;; amdgpu-corpus repo=ROCm/rocSOLVER kind=compiled arch=gfx1030 opt=O3
	.amdgcn_target "amdgcn-amd-amdhsa--gfx1030"
	.amdhsa_code_object_version 6
	.section	.text._ZN9rocsolver6v33100L18getf2_small_kernelILi1EdiiPKPdEEvT1_T3_lS5_lPS5_llPT2_S5_S5_S7_l,"axG",@progbits,_ZN9rocsolver6v33100L18getf2_small_kernelILi1EdiiPKPdEEvT1_T3_lS5_lPS5_llPT2_S5_S5_S7_l,comdat
	.globl	_ZN9rocsolver6v33100L18getf2_small_kernelILi1EdiiPKPdEEvT1_T3_lS5_lPS5_llPT2_S5_S5_S7_l ; -- Begin function _ZN9rocsolver6v33100L18getf2_small_kernelILi1EdiiPKPdEEvT1_T3_lS5_lPS5_llPT2_S5_S5_S7_l
	.p2align	8
	.type	_ZN9rocsolver6v33100L18getf2_small_kernelILi1EdiiPKPdEEvT1_T3_lS5_lPS5_llPT2_S5_S5_S7_l,@function
_ZN9rocsolver6v33100L18getf2_small_kernelILi1EdiiPKPdEEvT1_T3_lS5_lPS5_llPT2_S5_S5_S7_l: ; @_ZN9rocsolver6v33100L18getf2_small_kernelILi1EdiiPKPdEEvT1_T3_lS5_lPS5_llPT2_S5_S5_S7_l
; %bb.0:
	s_clause 0x1
	s_load_dword s0, s[4:5], 0x6c
	s_load_dwordx2 s[12:13], s[4:5], 0x48
	s_waitcnt lgkmcnt(0)
	s_lshr_b32 s0, s0, 16
	v_mad_u64_u32 v[2:3], null, s7, s0, v[1:2]
	s_mov_b32 s0, exec_lo
	v_cmpx_gt_i32_e64 s12, v2
	s_cbranch_execz .LBB0_21
; %bb.1:
	s_clause 0x1
	s_load_dwordx4 s[0:3], s[4:5], 0x8
	s_load_dwordx4 s[8:11], s[4:5], 0x50
	v_ashrrev_i32_e32 v3, 31, v2
	v_lshlrev_b64 v[4:5], 3, v[2:3]
	s_waitcnt lgkmcnt(0)
	v_add_co_u32 v4, vcc_lo, s0, v4
	v_add_co_ci_u32_e64 v5, null, s1, v5, vcc_lo
	s_cmp_lg_u64 s[8:9], 0
	s_cselect_b32 s0, -1, 0
	global_load_dwordx2 v[4:5], v[4:5], off
	s_cmp_eq_u64 s[8:9], 0
	s_cbranch_scc1 .LBB0_3
; %bb.2:
	v_mul_lo_u32 v8, s11, v2
	v_mul_lo_u32 v9, s10, v3
	v_mad_u64_u32 v[6:7], null, s10, v2, 0
	v_add3_u32 v7, v7, v9, v8
	v_lshlrev_b64 v[6:7], 2, v[6:7]
	v_add_co_u32 v8, vcc_lo, s8, v6
	v_add_co_ci_u32_e64 v9, null, s9, v7, vcc_lo
	s_branch .LBB0_4
.LBB0_3:
	v_mov_b32_e32 v8, 0
	v_mov_b32_e32 v9, 0
.LBB0_4:
	s_lshl_b64 s[2:3], s[2:3], 3
	v_lshlrev_b32_e32 v6, 3, v0
	s_waitcnt vmcnt(0)
	v_add_co_u32 v13, vcc_lo, v4, s2
	v_add_co_ci_u32_e64 v14, null, s3, v5, vcc_lo
	s_load_dword s1, s[4:5], 0x0
	v_add_co_u32 v4, vcc_lo, v13, v6
	v_add_co_ci_u32_e64 v5, null, 0, v14, vcc_lo
	v_mov_b32_e32 v11, 0
	flat_load_dwordx2 v[4:5], v[4:5]
	s_waitcnt lgkmcnt(0)
	s_max_i32 s2, s1, 1
	s_cmp_lt_i32 s1, 2
	v_mul_lo_u32 v1, s2, v1
	s_mov_b32 s2, 1
	v_lshl_add_u32 v7, v1, 3, 0
	v_add_nc_u32_e32 v6, v7, v6
	s_waitcnt vmcnt(0)
	ds_write_b64 v6, v[4:5]
	s_waitcnt lgkmcnt(0)
	s_barrier
	buffer_gl0_inv
	ds_read_b64 v[6:7], v7
	s_cbranch_scc1 .LBB0_7
; %bb.5:
	v_lshlrev_b32_e32 v1, 3, v1
	v_mov_b32_e32 v11, 0
	v_add3_u32 v1, v1, 0, 8
.LBB0_6:                                ; =>This Inner Loop Header: Depth=1
	ds_read_b64 v[15:16], v1
	v_add_nc_u32_e32 v1, 8, v1
	s_waitcnt lgkmcnt(0)
	v_cmp_lt_f64_e64 vcc_lo, |v[6:7]|, |v[15:16]|
	v_cndmask_b32_e32 v7, v7, v16, vcc_lo
	v_cndmask_b32_e32 v6, v6, v15, vcc_lo
	v_cndmask_b32_e64 v11, v11, s2, vcc_lo
	s_add_i32 s2, s2, 1
	s_cmp_eq_u32 s1, s2
	s_cbranch_scc0 .LBB0_6
.LBB0_7:
	v_add_nc_u32_e32 v1, 1, v0
	v_mov_b32_e32 v10, 0
	s_mov_b32 s1, exec_lo
	v_cmpx_ne_u32_e64 v0, v11
	s_cbranch_execz .LBB0_15
; %bb.8:
	s_mov_b32 s2, exec_lo
	v_cmpx_eq_u32_e32 0, v0
	s_cbranch_execz .LBB0_14
; %bb.9:
	v_add_nc_u32_e32 v1, 1, v11
	s_andn2_b32 vcc_lo, exec_lo, s0
	s_cbranch_vccnz .LBB0_13
; %bb.10:
	v_mov_b32_e32 v0, 0
	v_mov_b32_e32 v10, 1
	s_mov_b32 s0, exec_lo
	v_cmpx_ne_u32_e32 0, v11
	s_cbranch_execz .LBB0_12
; %bb.11:
	v_mov_b32_e32 v12, 0
	v_mov_b32_e32 v10, v1
	;; [unrolled: 1-line block ×3, first 2 shown]
	v_lshlrev_b64 v[15:16], 2, v[11:12]
	v_add_co_u32 v15, vcc_lo, v8, v15
	v_add_co_ci_u32_e64 v16, null, v9, v16, vcc_lo
	s_clause 0x1
	global_load_dword v12, v[15:16], off
	global_load_dword v17, v[8:9], off
	s_waitcnt vmcnt(1)
	global_store_dword v[8:9], v12, off
	s_waitcnt vmcnt(0)
	global_store_dword v[15:16], v17, off
.LBB0_12:
	s_or_b32 exec_lo, exec_lo, s0
	v_mov_b32_e32 v1, v10
	v_mov_b32_e32 v11, v0
.LBB0_13:
	v_mov_b32_e32 v0, v11
.LBB0_14:
	s_or_b32 exec_lo, exec_lo, s2
	v_mov_b32_e32 v10, v0
.LBB0_15:
	s_or_b32 exec_lo, exec_lo, s1
	s_load_dwordx8 s[0:7], s[4:5], 0x28
	v_ashrrev_i32_e32 v11, 31, v10
	s_mov_b32 s8, exec_lo
	s_waitcnt lgkmcnt(0)
	s_waitcnt_vscnt null, 0x0
	s_barrier
	buffer_gl0_inv
	s_barrier
	buffer_gl0_inv
	v_cmpx_gt_i32_e32 1, v10
	s_cbranch_execz .LBB0_17
; %bb.16:
	v_mul_lo_u32 v0, s5, v2
	v_mul_lo_u32 v12, s4, v3
	v_mad_u64_u32 v[8:9], null, s4, v2, 0
	s_lshl_b64 s[2:3], s[2:3], 2
	v_add3_u32 v9, v9, v12, v0
	v_lshlrev_b64 v[8:9], 2, v[8:9]
	v_add_co_u32 v0, vcc_lo, s0, v8
	v_add_co_ci_u32_e64 v12, null, s1, v9, vcc_lo
	v_lshlrev_b64 v[8:9], 2, v[10:11]
	v_add_co_u32 v0, vcc_lo, v0, s2
	v_add_co_ci_u32_e64 v12, null, s3, v12, vcc_lo
	v_add_co_u32 v8, vcc_lo, v0, v8
	v_add_co_ci_u32_e64 v9, null, v12, v9, vcc_lo
	v_add_nc_u32_e32 v0, s13, v1
	global_store_dword v[8:9], v0, off
.LBB0_17:
	s_or_b32 exec_lo, exec_lo, s8
	v_cmp_eq_f64_e64 s0, 0, v[6:7]
	s_mov_b32 s1, exec_lo
	v_cmpx_eq_u32_e32 0, v10
	s_cbranch_execz .LBB0_20
; %bb.18:
	v_lshlrev_b64 v[0:1], 2, v[2:3]
	v_add_co_u32 v0, vcc_lo, s6, v0
	v_add_co_ci_u32_e64 v1, null, s7, v1, vcc_lo
	global_load_dword v2, v[0:1], off
	s_waitcnt vmcnt(0)
	v_cmp_eq_u32_e32 vcc_lo, 0, v2
	s_and_b32 s2, vcc_lo, s0
	s_and_b32 exec_lo, exec_lo, s2
	s_cbranch_execz .LBB0_20
; %bb.19:
	s_add_i32 s2, s13, 1
	v_mov_b32_e32 v2, s2
	global_store_dword v[0:1], v2, off
.LBB0_20:
	s_or_b32 exec_lo, exec_lo, s1
	v_div_scale_f64 v[0:1], null, v[6:7], v[6:7], 1.0
	v_div_scale_f64 v[15:16], vcc_lo, 1.0, v[6:7], 1.0
	v_rcp_f64_e32 v[2:3], v[0:1]
	v_fma_f64 v[8:9], -v[0:1], v[2:3], 1.0
	v_fma_f64 v[2:3], v[2:3], v[8:9], v[2:3]
	v_fma_f64 v[8:9], -v[0:1], v[2:3], 1.0
	v_fma_f64 v[2:3], v[2:3], v[8:9], v[2:3]
	v_mul_f64 v[8:9], v[15:16], v[2:3]
	v_fma_f64 v[0:1], -v[0:1], v[8:9], v[15:16]
	v_div_fmas_f64 v[0:1], v[0:1], v[2:3], v[8:9]
	v_lshlrev_b64 v[2:3], 3, v[10:11]
	v_cmp_lt_i32_e32 vcc_lo, 0, v10
	v_div_fixup_f64 v[0:1], v[0:1], v[6:7], 1.0
	v_cndmask_b32_e64 v1, v1, v7, s0
	v_cndmask_b32_e64 v0, v0, v6, s0
	v_mul_f64 v[0:1], v[4:5], v[0:1]
	v_cndmask_b32_e32 v1, v5, v1, vcc_lo
	v_cndmask_b32_e32 v0, v4, v0, vcc_lo
	v_add_co_u32 v2, vcc_lo, v13, v2
	v_add_co_ci_u32_e64 v3, null, v14, v3, vcc_lo
	flat_store_dwordx2 v[2:3], v[0:1]
.LBB0_21:
	s_endpgm
	.section	.rodata,"a",@progbits
	.p2align	6, 0x0
	.amdhsa_kernel _ZN9rocsolver6v33100L18getf2_small_kernelILi1EdiiPKPdEEvT1_T3_lS5_lPS5_llPT2_S5_S5_S7_l
		.amdhsa_group_segment_fixed_size 0
		.amdhsa_private_segment_fixed_size 0
		.amdhsa_kernarg_size 352
		.amdhsa_user_sgpr_count 6
		.amdhsa_user_sgpr_private_segment_buffer 1
		.amdhsa_user_sgpr_dispatch_ptr 0
		.amdhsa_user_sgpr_queue_ptr 0
		.amdhsa_user_sgpr_kernarg_segment_ptr 1
		.amdhsa_user_sgpr_dispatch_id 0
		.amdhsa_user_sgpr_flat_scratch_init 0
		.amdhsa_user_sgpr_private_segment_size 0
		.amdhsa_wavefront_size32 1
		.amdhsa_uses_dynamic_stack 0
		.amdhsa_system_sgpr_private_segment_wavefront_offset 0
		.amdhsa_system_sgpr_workgroup_id_x 1
		.amdhsa_system_sgpr_workgroup_id_y 1
		.amdhsa_system_sgpr_workgroup_id_z 0
		.amdhsa_system_sgpr_workgroup_info 0
		.amdhsa_system_vgpr_workitem_id 1
		.amdhsa_next_free_vgpr 18
		.amdhsa_next_free_sgpr 14
		.amdhsa_reserve_vcc 1
		.amdhsa_reserve_flat_scratch 0
		.amdhsa_float_round_mode_32 0
		.amdhsa_float_round_mode_16_64 0
		.amdhsa_float_denorm_mode_32 3
		.amdhsa_float_denorm_mode_16_64 3
		.amdhsa_dx10_clamp 1
		.amdhsa_ieee_mode 1
		.amdhsa_fp16_overflow 0
		.amdhsa_workgroup_processor_mode 1
		.amdhsa_memory_ordered 1
		.amdhsa_forward_progress 1
		.amdhsa_shared_vgpr_count 0
		.amdhsa_exception_fp_ieee_invalid_op 0
		.amdhsa_exception_fp_denorm_src 0
		.amdhsa_exception_fp_ieee_div_zero 0
		.amdhsa_exception_fp_ieee_overflow 0
		.amdhsa_exception_fp_ieee_underflow 0
		.amdhsa_exception_fp_ieee_inexact 0
		.amdhsa_exception_int_div_zero 0
	.end_amdhsa_kernel
	.section	.text._ZN9rocsolver6v33100L18getf2_small_kernelILi1EdiiPKPdEEvT1_T3_lS5_lPS5_llPT2_S5_S5_S7_l,"axG",@progbits,_ZN9rocsolver6v33100L18getf2_small_kernelILi1EdiiPKPdEEvT1_T3_lS5_lPS5_llPT2_S5_S5_S7_l,comdat
.Lfunc_end0:
	.size	_ZN9rocsolver6v33100L18getf2_small_kernelILi1EdiiPKPdEEvT1_T3_lS5_lPS5_llPT2_S5_S5_S7_l, .Lfunc_end0-_ZN9rocsolver6v33100L18getf2_small_kernelILi1EdiiPKPdEEvT1_T3_lS5_lPS5_llPT2_S5_S5_S7_l
                                        ; -- End function
	.set _ZN9rocsolver6v33100L18getf2_small_kernelILi1EdiiPKPdEEvT1_T3_lS5_lPS5_llPT2_S5_S5_S7_l.num_vgpr, 18
	.set _ZN9rocsolver6v33100L18getf2_small_kernelILi1EdiiPKPdEEvT1_T3_lS5_lPS5_llPT2_S5_S5_S7_l.num_agpr, 0
	.set _ZN9rocsolver6v33100L18getf2_small_kernelILi1EdiiPKPdEEvT1_T3_lS5_lPS5_llPT2_S5_S5_S7_l.numbered_sgpr, 14
	.set _ZN9rocsolver6v33100L18getf2_small_kernelILi1EdiiPKPdEEvT1_T3_lS5_lPS5_llPT2_S5_S5_S7_l.num_named_barrier, 0
	.set _ZN9rocsolver6v33100L18getf2_small_kernelILi1EdiiPKPdEEvT1_T3_lS5_lPS5_llPT2_S5_S5_S7_l.private_seg_size, 0
	.set _ZN9rocsolver6v33100L18getf2_small_kernelILi1EdiiPKPdEEvT1_T3_lS5_lPS5_llPT2_S5_S5_S7_l.uses_vcc, 1
	.set _ZN9rocsolver6v33100L18getf2_small_kernelILi1EdiiPKPdEEvT1_T3_lS5_lPS5_llPT2_S5_S5_S7_l.uses_flat_scratch, 0
	.set _ZN9rocsolver6v33100L18getf2_small_kernelILi1EdiiPKPdEEvT1_T3_lS5_lPS5_llPT2_S5_S5_S7_l.has_dyn_sized_stack, 0
	.set _ZN9rocsolver6v33100L18getf2_small_kernelILi1EdiiPKPdEEvT1_T3_lS5_lPS5_llPT2_S5_S5_S7_l.has_recursion, 0
	.set _ZN9rocsolver6v33100L18getf2_small_kernelILi1EdiiPKPdEEvT1_T3_lS5_lPS5_llPT2_S5_S5_S7_l.has_indirect_call, 0
	.section	.AMDGPU.csdata,"",@progbits
; Kernel info:
; codeLenInByte = 1000
; TotalNumSgprs: 16
; NumVgprs: 18
; ScratchSize: 0
; MemoryBound: 0
; FloatMode: 240
; IeeeMode: 1
; LDSByteSize: 0 bytes/workgroup (compile time only)
; SGPRBlocks: 0
; VGPRBlocks: 2
; NumSGPRsForWavesPerEU: 16
; NumVGPRsForWavesPerEU: 18
; Occupancy: 16
; WaveLimiterHint : 1
; COMPUTE_PGM_RSRC2:SCRATCH_EN: 0
; COMPUTE_PGM_RSRC2:USER_SGPR: 6
; COMPUTE_PGM_RSRC2:TRAP_HANDLER: 0
; COMPUTE_PGM_RSRC2:TGID_X_EN: 1
; COMPUTE_PGM_RSRC2:TGID_Y_EN: 1
; COMPUTE_PGM_RSRC2:TGID_Z_EN: 0
; COMPUTE_PGM_RSRC2:TIDIG_COMP_CNT: 1
	.section	.text._ZN9rocsolver6v33100L23getf2_npvt_small_kernelILi1EdiiPKPdEEvT1_T3_lS5_lPT2_S5_S5_,"axG",@progbits,_ZN9rocsolver6v33100L23getf2_npvt_small_kernelILi1EdiiPKPdEEvT1_T3_lS5_lPT2_S5_S5_,comdat
	.globl	_ZN9rocsolver6v33100L23getf2_npvt_small_kernelILi1EdiiPKPdEEvT1_T3_lS5_lPT2_S5_S5_ ; -- Begin function _ZN9rocsolver6v33100L23getf2_npvt_small_kernelILi1EdiiPKPdEEvT1_T3_lS5_lPT2_S5_S5_
	.p2align	8
	.type	_ZN9rocsolver6v33100L23getf2_npvt_small_kernelILi1EdiiPKPdEEvT1_T3_lS5_lPT2_S5_S5_,@function
_ZN9rocsolver6v33100L23getf2_npvt_small_kernelILi1EdiiPKPdEEvT1_T3_lS5_lPT2_S5_S5_: ; @_ZN9rocsolver6v33100L23getf2_npvt_small_kernelILi1EdiiPKPdEEvT1_T3_lS5_lPT2_S5_S5_
; %bb.0:
	s_clause 0x1
	s_load_dword s0, s[4:5], 0x44
	s_load_dwordx2 s[2:3], s[4:5], 0x30
	s_mov_b32 s1, exec_lo
	s_waitcnt lgkmcnt(0)
	s_lshr_b32 s0, s0, 16
	v_mad_u64_u32 v[2:3], null, s7, s0, v[1:2]
	v_cmpx_gt_i32_e64 s2, v2
	s_cbranch_execz .LBB1_8
; %bb.1:
	s_load_dwordx4 s[8:11], s[4:5], 0x8
	v_ashrrev_i32_e32 v3, 31, v2
	v_lshlrev_b32_e32 v6, 3, v0
	v_lshlrev_b32_e32 v1, 3, v1
	s_lshl_b32 s1, s0, 3
	v_cmp_eq_u32_e64 s0, 0, v0
	v_lshlrev_b64 v[4:5], 3, v[2:3]
	v_add3_u32 v0, 0, s1, v1
	s_waitcnt lgkmcnt(0)
	v_add_co_u32 v4, vcc_lo, s8, v4
	v_add_co_ci_u32_e64 v5, null, s9, v5, vcc_lo
	s_lshl_b64 s[6:7], s[10:11], 3
	global_load_dwordx2 v[4:5], v[4:5], off
	s_waitcnt vmcnt(0)
	v_add_co_u32 v4, vcc_lo, v4, s6
	v_add_co_ci_u32_e64 v5, null, s7, v5, vcc_lo
	v_add_co_u32 v4, vcc_lo, v4, v6
	v_add_co_ci_u32_e64 v5, null, 0, v5, vcc_lo
	flat_load_dwordx2 v[6:7], v[4:5]
	s_and_saveexec_b32 s1, s0
	s_cbranch_execz .LBB1_4
; %bb.2:
	s_waitcnt vmcnt(0) lgkmcnt(0)
	v_cmp_neq_f64_e32 vcc_lo, 0, v[6:7]
	ds_write_b64 v0, v[6:7]
	s_and_b32 exec_lo, exec_lo, vcc_lo
	s_cbranch_execz .LBB1_4
; %bb.3:
	v_div_scale_f64 v[8:9], null, v[6:7], v[6:7], 1.0
	v_rcp_f64_e32 v[10:11], v[8:9]
	v_fma_f64 v[12:13], -v[8:9], v[10:11], 1.0
	v_fma_f64 v[10:11], v[10:11], v[12:13], v[10:11]
	v_fma_f64 v[12:13], -v[8:9], v[10:11], 1.0
	v_fma_f64 v[10:11], v[10:11], v[12:13], v[10:11]
	v_div_scale_f64 v[12:13], vcc_lo, 1.0, v[6:7], 1.0
	v_mul_f64 v[14:15], v[12:13], v[10:11]
	v_fma_f64 v[8:9], -v[8:9], v[14:15], v[12:13]
	v_div_fmas_f64 v[8:9], v[8:9], v[10:11], v[14:15]
	v_div_fixup_f64 v[8:9], v[8:9], v[6:7], 1.0
	ds_write_b64 v0, v[8:9]
.LBB1_4:
	s_or_b32 exec_lo, exec_lo, s1
	s_waitcnt vmcnt(0) lgkmcnt(0)
	s_barrier
	buffer_gl0_inv
	ds_read_b64 v[0:1], v0
	s_waitcnt lgkmcnt(0)
	s_barrier
	buffer_gl0_inv
	s_and_saveexec_b32 s2, s0
	s_cbranch_execz .LBB1_7
; %bb.5:
	s_load_dwordx2 s[4:5], s[4:5], 0x28
	v_lshlrev_b64 v[2:3], 2, v[2:3]
	s_waitcnt lgkmcnt(0)
	v_add_co_u32 v2, vcc_lo, s4, v2
	v_add_co_ci_u32_e64 v3, null, s5, v3, vcc_lo
	v_cmp_eq_f64_e32 vcc_lo, 0, v[0:1]
	global_load_dword v8, v[2:3], off
	s_waitcnt vmcnt(0)
	v_cmp_eq_u32_e64 s1, 0, v8
	s_and_b32 s1, s1, vcc_lo
	s_and_b32 exec_lo, exec_lo, s1
	s_cbranch_execz .LBB1_7
; %bb.6:
	s_add_i32 s1, s3, 1
	v_mov_b32_e32 v8, s1
	global_store_dword v[2:3], v8, off
.LBB1_7:
	s_or_b32 exec_lo, exec_lo, s2
	v_mul_f64 v[0:1], v[6:7], v[0:1]
	v_cndmask_b32_e64 v1, v1, v7, s0
	v_cndmask_b32_e64 v0, v0, v6, s0
	flat_store_dwordx2 v[4:5], v[0:1]
.LBB1_8:
	s_endpgm
	.section	.rodata,"a",@progbits
	.p2align	6, 0x0
	.amdhsa_kernel _ZN9rocsolver6v33100L23getf2_npvt_small_kernelILi1EdiiPKPdEEvT1_T3_lS5_lPT2_S5_S5_
		.amdhsa_group_segment_fixed_size 0
		.amdhsa_private_segment_fixed_size 0
		.amdhsa_kernarg_size 312
		.amdhsa_user_sgpr_count 6
		.amdhsa_user_sgpr_private_segment_buffer 1
		.amdhsa_user_sgpr_dispatch_ptr 0
		.amdhsa_user_sgpr_queue_ptr 0
		.amdhsa_user_sgpr_kernarg_segment_ptr 1
		.amdhsa_user_sgpr_dispatch_id 0
		.amdhsa_user_sgpr_flat_scratch_init 0
		.amdhsa_user_sgpr_private_segment_size 0
		.amdhsa_wavefront_size32 1
		.amdhsa_uses_dynamic_stack 0
		.amdhsa_system_sgpr_private_segment_wavefront_offset 0
		.amdhsa_system_sgpr_workgroup_id_x 1
		.amdhsa_system_sgpr_workgroup_id_y 1
		.amdhsa_system_sgpr_workgroup_id_z 0
		.amdhsa_system_sgpr_workgroup_info 0
		.amdhsa_system_vgpr_workitem_id 1
		.amdhsa_next_free_vgpr 16
		.amdhsa_next_free_sgpr 12
		.amdhsa_reserve_vcc 1
		.amdhsa_reserve_flat_scratch 0
		.amdhsa_float_round_mode_32 0
		.amdhsa_float_round_mode_16_64 0
		.amdhsa_float_denorm_mode_32 3
		.amdhsa_float_denorm_mode_16_64 3
		.amdhsa_dx10_clamp 1
		.amdhsa_ieee_mode 1
		.amdhsa_fp16_overflow 0
		.amdhsa_workgroup_processor_mode 1
		.amdhsa_memory_ordered 1
		.amdhsa_forward_progress 1
		.amdhsa_shared_vgpr_count 0
		.amdhsa_exception_fp_ieee_invalid_op 0
		.amdhsa_exception_fp_denorm_src 0
		.amdhsa_exception_fp_ieee_div_zero 0
		.amdhsa_exception_fp_ieee_overflow 0
		.amdhsa_exception_fp_ieee_underflow 0
		.amdhsa_exception_fp_ieee_inexact 0
		.amdhsa_exception_int_div_zero 0
	.end_amdhsa_kernel
	.section	.text._ZN9rocsolver6v33100L23getf2_npvt_small_kernelILi1EdiiPKPdEEvT1_T3_lS5_lPT2_S5_S5_,"axG",@progbits,_ZN9rocsolver6v33100L23getf2_npvt_small_kernelILi1EdiiPKPdEEvT1_T3_lS5_lPT2_S5_S5_,comdat
.Lfunc_end1:
	.size	_ZN9rocsolver6v33100L23getf2_npvt_small_kernelILi1EdiiPKPdEEvT1_T3_lS5_lPT2_S5_S5_, .Lfunc_end1-_ZN9rocsolver6v33100L23getf2_npvt_small_kernelILi1EdiiPKPdEEvT1_T3_lS5_lPT2_S5_S5_
                                        ; -- End function
	.set _ZN9rocsolver6v33100L23getf2_npvt_small_kernelILi1EdiiPKPdEEvT1_T3_lS5_lPT2_S5_S5_.num_vgpr, 16
	.set _ZN9rocsolver6v33100L23getf2_npvt_small_kernelILi1EdiiPKPdEEvT1_T3_lS5_lPT2_S5_S5_.num_agpr, 0
	.set _ZN9rocsolver6v33100L23getf2_npvt_small_kernelILi1EdiiPKPdEEvT1_T3_lS5_lPT2_S5_S5_.numbered_sgpr, 12
	.set _ZN9rocsolver6v33100L23getf2_npvt_small_kernelILi1EdiiPKPdEEvT1_T3_lS5_lPT2_S5_S5_.num_named_barrier, 0
	.set _ZN9rocsolver6v33100L23getf2_npvt_small_kernelILi1EdiiPKPdEEvT1_T3_lS5_lPT2_S5_S5_.private_seg_size, 0
	.set _ZN9rocsolver6v33100L23getf2_npvt_small_kernelILi1EdiiPKPdEEvT1_T3_lS5_lPT2_S5_S5_.uses_vcc, 1
	.set _ZN9rocsolver6v33100L23getf2_npvt_small_kernelILi1EdiiPKPdEEvT1_T3_lS5_lPT2_S5_S5_.uses_flat_scratch, 0
	.set _ZN9rocsolver6v33100L23getf2_npvt_small_kernelILi1EdiiPKPdEEvT1_T3_lS5_lPT2_S5_S5_.has_dyn_sized_stack, 0
	.set _ZN9rocsolver6v33100L23getf2_npvt_small_kernelILi1EdiiPKPdEEvT1_T3_lS5_lPT2_S5_S5_.has_recursion, 0
	.set _ZN9rocsolver6v33100L23getf2_npvt_small_kernelILi1EdiiPKPdEEvT1_T3_lS5_lPT2_S5_S5_.has_indirect_call, 0
	.section	.AMDGPU.csdata,"",@progbits
; Kernel info:
; codeLenInByte = 480
; TotalNumSgprs: 14
; NumVgprs: 16
; ScratchSize: 0
; MemoryBound: 0
; FloatMode: 240
; IeeeMode: 1
; LDSByteSize: 0 bytes/workgroup (compile time only)
; SGPRBlocks: 0
; VGPRBlocks: 1
; NumSGPRsForWavesPerEU: 14
; NumVGPRsForWavesPerEU: 16
; Occupancy: 16
; WaveLimiterHint : 1
; COMPUTE_PGM_RSRC2:SCRATCH_EN: 0
; COMPUTE_PGM_RSRC2:USER_SGPR: 6
; COMPUTE_PGM_RSRC2:TRAP_HANDLER: 0
; COMPUTE_PGM_RSRC2:TGID_X_EN: 1
; COMPUTE_PGM_RSRC2:TGID_Y_EN: 1
; COMPUTE_PGM_RSRC2:TGID_Z_EN: 0
; COMPUTE_PGM_RSRC2:TIDIG_COMP_CNT: 1
	.section	.text._ZN9rocsolver6v33100L18getf2_small_kernelILi2EdiiPKPdEEvT1_T3_lS5_lPS5_llPT2_S5_S5_S7_l,"axG",@progbits,_ZN9rocsolver6v33100L18getf2_small_kernelILi2EdiiPKPdEEvT1_T3_lS5_lPS5_llPT2_S5_S5_S7_l,comdat
	.globl	_ZN9rocsolver6v33100L18getf2_small_kernelILi2EdiiPKPdEEvT1_T3_lS5_lPS5_llPT2_S5_S5_S7_l ; -- Begin function _ZN9rocsolver6v33100L18getf2_small_kernelILi2EdiiPKPdEEvT1_T3_lS5_lPS5_llPT2_S5_S5_S7_l
	.p2align	8
	.type	_ZN9rocsolver6v33100L18getf2_small_kernelILi2EdiiPKPdEEvT1_T3_lS5_lPS5_llPT2_S5_S5_S7_l,@function
_ZN9rocsolver6v33100L18getf2_small_kernelILi2EdiiPKPdEEvT1_T3_lS5_lPS5_llPT2_S5_S5_S7_l: ; @_ZN9rocsolver6v33100L18getf2_small_kernelILi2EdiiPKPdEEvT1_T3_lS5_lPS5_llPT2_S5_S5_S7_l
; %bb.0:
	s_clause 0x1
	s_load_dword s0, s[4:5], 0x6c
	s_load_dwordx2 s[12:13], s[4:5], 0x48
	s_waitcnt lgkmcnt(0)
	s_lshr_b32 s0, s0, 16
	v_mad_u64_u32 v[2:3], null, s7, s0, v[1:2]
	s_mov_b32 s0, exec_lo
	v_cmpx_gt_i32_e64 s12, v2
	s_cbranch_execz .LBB2_31
; %bb.1:
	s_clause 0x1
	s_load_dwordx4 s[0:3], s[4:5], 0x8
	s_load_dwordx4 s[8:11], s[4:5], 0x50
	v_ashrrev_i32_e32 v3, 31, v2
	v_mov_b32_e32 v8, 0
	v_mov_b32_e32 v9, 0
	v_lshlrev_b64 v[4:5], 3, v[2:3]
	s_waitcnt lgkmcnt(0)
	v_add_co_u32 v4, vcc_lo, s0, v4
	v_add_co_ci_u32_e64 v5, null, s1, v5, vcc_lo
	s_cmp_eq_u64 s[8:9], 0
	s_cselect_b32 s1, -1, 0
	global_load_dwordx2 v[4:5], v[4:5], off
	s_and_b32 vcc_lo, exec_lo, s1
	s_cbranch_vccnz .LBB2_3
; %bb.2:
	v_mul_lo_u32 v8, s11, v2
	v_mul_lo_u32 v9, s10, v3
	v_mad_u64_u32 v[6:7], null, s10, v2, 0
	v_add3_u32 v7, v7, v9, v8
	v_lshlrev_b64 v[6:7], 2, v[6:7]
	v_add_co_u32 v8, vcc_lo, s8, v6
	v_add_co_ci_u32_e64 v9, null, s9, v7, vcc_lo
.LBB2_3:
	s_lshl_b64 s[2:3], s[2:3], 3
	v_lshlrev_b32_e32 v10, 3, v0
	s_waitcnt vmcnt(0)
	v_add_co_u32 v14, vcc_lo, v4, s2
	s_clause 0x1
	s_load_dword s2, s[4:5], 0x18
	s_load_dword s6, s[4:5], 0x0
	v_add_co_ci_u32_e64 v15, null, s3, v5, vcc_lo
	v_add_co_u32 v6, vcc_lo, v14, v10
	v_mov_b32_e32 v12, 0
	v_add_co_ci_u32_e64 v7, null, 0, v15, vcc_lo
	flat_load_dwordx2 v[4:5], v[6:7]
	s_waitcnt lgkmcnt(0)
	s_ashr_i32 s3, s2, 31
	s_max_i32 s0, s6, 2
	s_lshl_b64 s[2:3], s[2:3], 3
	v_mul_lo_u32 v13, s0, v1
	v_add_co_u32 v6, vcc_lo, v6, s2
	v_add_co_ci_u32_e64 v7, null, s3, v7, vcc_lo
	s_cmp_lt_i32 s6, 2
	flat_load_dwordx2 v[6:7], v[6:7]
	v_lshl_add_u32 v1, v13, 3, 0
	v_lshlrev_b32_e32 v16, 3, v13
	v_add_nc_u32_e32 v10, v1, v10
	s_waitcnt vmcnt(1)
	ds_write_b64 v10, v[4:5]
	s_waitcnt vmcnt(0) lgkmcnt(0)
	s_barrier
	buffer_gl0_inv
	ds_read_b64 v[10:11], v1
	s_cbranch_scc1 .LBB2_6
; %bb.4:
	v_add3_u32 v13, v16, 0, 8
	v_mov_b32_e32 v12, 0
	s_mov_b32 s0, 1
.LBB2_5:                                ; =>This Inner Loop Header: Depth=1
	ds_read_b64 v[17:18], v13
	v_add_nc_u32_e32 v13, 8, v13
	s_waitcnt lgkmcnt(0)
	v_cmp_lt_f64_e64 vcc_lo, |v[10:11]|, |v[17:18]|
	v_cndmask_b32_e32 v11, v11, v18, vcc_lo
	v_cndmask_b32_e32 v10, v10, v17, vcc_lo
	v_cndmask_b32_e64 v12, v12, s0, vcc_lo
	s_add_i32 s0, s0, 1
	s_cmp_eq_u32 s6, s0
	s_cbranch_scc0 .LBB2_5
.LBB2_6:
	s_mov_b32 s0, exec_lo
                                        ; implicit-def: $vgpr13
	v_cmpx_ne_u32_e64 v0, v12
	s_xor_b32 s0, exec_lo, s0
	s_cbranch_execz .LBB2_12
; %bb.7:
	s_mov_b32 s7, exec_lo
	v_cmpx_eq_u32_e32 0, v0
	s_cbranch_execz .LBB2_11
; %bb.8:
	v_cmp_ne_u32_e32 vcc_lo, 0, v12
	s_xor_b32 s8, s1, -1
	s_and_b32 s9, s8, vcc_lo
	s_and_saveexec_b32 s8, s9
	s_cbranch_execz .LBB2_10
; %bb.9:
	v_ashrrev_i32_e32 v13, 31, v12
	v_lshlrev_b64 v[17:18], 2, v[12:13]
	v_add_co_u32 v17, vcc_lo, v8, v17
	v_add_co_ci_u32_e64 v18, null, v9, v18, vcc_lo
	s_clause 0x1
	global_load_dword v0, v[17:18], off
	global_load_dword v13, v[8:9], off
	s_waitcnt vmcnt(1)
	global_store_dword v[8:9], v0, off
	s_waitcnt vmcnt(0)
	global_store_dword v[17:18], v13, off
.LBB2_10:
	s_or_b32 exec_lo, exec_lo, s8
	v_mov_b32_e32 v0, v12
.LBB2_11:
	s_or_b32 exec_lo, exec_lo, s7
	v_mov_b32_e32 v13, v0
                                        ; implicit-def: $vgpr0
.LBB2_12:
	s_or_saveexec_b32 s0, s0
	v_mov_b32_e32 v12, v13
	s_xor_b32 exec_lo, exec_lo, s0
; %bb.13:
	v_mov_b32_e32 v13, 0
	v_mov_b32_e32 v12, v0
	ds_write_b64 v1, v[6:7] offset:8
; %bb.14:
	s_or_b32 exec_lo, exec_lo, s0
	s_waitcnt lgkmcnt(0)
	v_cmp_eq_f64_e64 s0, 0, v[10:11]
	s_mov_b32 s7, exec_lo
	s_waitcnt_vscnt null, 0x0
	s_barrier
	buffer_gl0_inv
	v_cmpx_lt_i32_e32 0, v13
	s_cbranch_execz .LBB2_16
; %bb.15:
	v_div_scale_f64 v[17:18], null, v[10:11], v[10:11], 1.0
	v_div_scale_f64 v[23:24], vcc_lo, 1.0, v[10:11], 1.0
	v_rcp_f64_e32 v[19:20], v[17:18]
	v_fma_f64 v[21:22], -v[17:18], v[19:20], 1.0
	v_fma_f64 v[19:20], v[19:20], v[21:22], v[19:20]
	v_fma_f64 v[21:22], -v[17:18], v[19:20], 1.0
	v_fma_f64 v[19:20], v[19:20], v[21:22], v[19:20]
	v_mul_f64 v[21:22], v[23:24], v[19:20]
	v_fma_f64 v[17:18], -v[17:18], v[21:22], v[23:24]
	v_div_fmas_f64 v[17:18], v[17:18], v[19:20], v[21:22]
	v_div_fixup_f64 v[17:18], v[17:18], v[10:11], 1.0
	v_cndmask_b32_e64 v11, v18, v11, s0
	v_cndmask_b32_e64 v10, v17, v10, s0
	v_mul_f64 v[4:5], v[4:5], v[10:11]
	ds_read_b64 v[10:11], v1 offset:8
	s_waitcnt lgkmcnt(0)
	v_fma_f64 v[6:7], -v[4:5], v[10:11], v[6:7]
.LBB2_16:
	s_or_b32 exec_lo, exec_lo, s7
	v_lshl_add_u32 v0, v13, 3, v1
	s_barrier
	buffer_gl0_inv
	v_mov_b32_e32 v11, 1
	ds_write_b64 v0, v[6:7]
	s_waitcnt lgkmcnt(0)
	s_barrier
	buffer_gl0_inv
	ds_read_b64 v[0:1], v1 offset:8
	s_cmp_lt_i32 s6, 3
	s_cbranch_scc1 .LBB2_19
; %bb.17:
	v_add3_u32 v10, v16, 0, 16
	v_mov_b32_e32 v11, 1
	s_mov_b32 s7, 2
.LBB2_18:                               ; =>This Inner Loop Header: Depth=1
	ds_read_b64 v[16:17], v10
	v_add_nc_u32_e32 v10, 8, v10
	s_waitcnt lgkmcnt(0)
	v_cmp_lt_f64_e64 vcc_lo, |v[0:1]|, |v[16:17]|
	v_cndmask_b32_e32 v1, v1, v17, vcc_lo
	v_cndmask_b32_e32 v0, v0, v16, vcc_lo
	v_cndmask_b32_e64 v11, v11, s7, vcc_lo
	s_add_i32 s7, s7, 1
	s_cmp_lg_u32 s6, s7
	s_cbranch_scc1 .LBB2_18
.LBB2_19:
	v_mov_b32_e32 v10, 1
	s_mov_b32 s6, exec_lo
	v_cmpx_ne_u32_e64 v13, v11
	s_cbranch_execz .LBB2_25
; %bb.20:
	s_mov_b32 s7, exec_lo
	v_cmpx_eq_u32_e32 1, v13
	s_cbranch_execz .LBB2_24
; %bb.21:
	v_cmp_ne_u32_e32 vcc_lo, 1, v11
	s_xor_b32 s1, s1, -1
	s_and_b32 s8, s1, vcc_lo
	s_and_saveexec_b32 s1, s8
	s_cbranch_execz .LBB2_23
; %bb.22:
	v_ashrrev_i32_e32 v12, 31, v11
	v_lshlrev_b64 v[12:13], 2, v[11:12]
	v_add_co_u32 v12, vcc_lo, v8, v12
	v_add_co_ci_u32_e64 v13, null, v9, v13, vcc_lo
	s_clause 0x1
	global_load_dword v10, v[12:13], off
	global_load_dword v16, v[8:9], off offset:4
	s_waitcnt vmcnt(1)
	global_store_dword v[8:9], v10, off offset:4
	s_waitcnt vmcnt(0)
	global_store_dword v[12:13], v16, off
.LBB2_23:
	s_or_b32 exec_lo, exec_lo, s1
	v_mov_b32_e32 v12, v11
	v_mov_b32_e32 v13, v11
.LBB2_24:
	s_or_b32 exec_lo, exec_lo, s7
	v_mov_b32_e32 v10, v13
.LBB2_25:
	s_or_b32 exec_lo, exec_lo, s6
	s_load_dwordx8 s[4:11], s[4:5], 0x28
	v_ashrrev_i32_e32 v11, 31, v10
	s_mov_b32 s1, exec_lo
	s_waitcnt lgkmcnt(0)
	s_waitcnt_vscnt null, 0x0
	s_barrier
	buffer_gl0_inv
	s_barrier
	buffer_gl0_inv
	v_cmpx_gt_i32_e32 2, v10
	s_cbranch_execz .LBB2_27
; %bb.26:
	v_mul_lo_u32 v13, s9, v2
	v_mul_lo_u32 v16, s8, v3
	v_mad_u64_u32 v[8:9], null, s8, v2, 0
	s_lshl_b64 s[6:7], s[6:7], 2
	v_add3_u32 v12, v12, s13, 1
	v_add3_u32 v9, v9, v16, v13
	v_lshlrev_b64 v[8:9], 2, v[8:9]
	v_add_co_u32 v13, vcc_lo, s4, v8
	v_add_co_ci_u32_e64 v16, null, s5, v9, vcc_lo
	v_lshlrev_b64 v[8:9], 2, v[10:11]
	v_add_co_u32 v13, vcc_lo, v13, s6
	v_add_co_ci_u32_e64 v16, null, s7, v16, vcc_lo
	v_add_co_u32 v8, vcc_lo, v13, v8
	v_add_co_ci_u32_e64 v9, null, v16, v9, vcc_lo
	global_store_dword v[8:9], v12, off
.LBB2_27:
	s_or_b32 exec_lo, exec_lo, s1
	v_cmp_eq_f64_e64 s1, 0, v[0:1]
	s_mov_b32 s4, exec_lo
	v_cmpx_eq_u32_e32 0, v10
	s_cbranch_execz .LBB2_30
; %bb.28:
	v_lshlrev_b64 v[2:3], 2, v[2:3]
	s_or_b32 s5, s1, s0
	v_add_co_u32 v2, vcc_lo, s10, v2
	v_add_co_ci_u32_e64 v3, null, s11, v3, vcc_lo
	global_load_dword v8, v[2:3], off
	s_waitcnt vmcnt(0)
	v_cmp_eq_u32_e32 vcc_lo, 0, v8
	s_and_b32 s5, vcc_lo, s5
	s_and_b32 exec_lo, exec_lo, s5
	s_cbranch_execz .LBB2_30
; %bb.29:
	v_cndmask_b32_e64 v8, 2, 1, s0
	v_cndmask_b32_e64 v9, 0, 1, s0
	;; [unrolled: 1-line block ×3, first 2 shown]
	v_add_nc_u32_e32 v8, s13, v8
	global_store_dword v[2:3], v8, off
.LBB2_30:
	s_or_b32 exec_lo, exec_lo, s4
	v_div_scale_f64 v[2:3], null, v[0:1], v[0:1], 1.0
	v_div_scale_f64 v[16:17], vcc_lo, 1.0, v[0:1], 1.0
	v_rcp_f64_e32 v[8:9], v[2:3]
	v_fma_f64 v[12:13], -v[2:3], v[8:9], 1.0
	v_fma_f64 v[8:9], v[8:9], v[12:13], v[8:9]
	v_fma_f64 v[12:13], -v[2:3], v[8:9], 1.0
	v_fma_f64 v[8:9], v[8:9], v[12:13], v[8:9]
	v_mul_f64 v[12:13], v[16:17], v[8:9]
	v_fma_f64 v[2:3], -v[2:3], v[12:13], v[16:17]
	v_div_fmas_f64 v[2:3], v[2:3], v[8:9], v[12:13]
	v_cmp_lt_i32_e32 vcc_lo, 1, v10
	v_div_fixup_f64 v[2:3], v[2:3], v[0:1], 1.0
	v_cndmask_b32_e64 v1, v3, v1, s1
	v_cndmask_b32_e64 v0, v2, v0, s1
	v_lshlrev_b64 v[2:3], 3, v[10:11]
	v_mul_f64 v[0:1], v[6:7], v[0:1]
	v_add_co_u32 v2, s0, v14, v2
	v_add_co_ci_u32_e64 v3, null, v15, v3, s0
	v_cndmask_b32_e32 v1, v7, v1, vcc_lo
	v_cndmask_b32_e32 v0, v6, v0, vcc_lo
	v_add_co_u32 v6, vcc_lo, v2, s2
	v_add_co_ci_u32_e64 v7, null, s3, v3, vcc_lo
	flat_store_dwordx2 v[2:3], v[4:5]
	flat_store_dwordx2 v[6:7], v[0:1]
.LBB2_31:
	s_endpgm
	.section	.rodata,"a",@progbits
	.p2align	6, 0x0
	.amdhsa_kernel _ZN9rocsolver6v33100L18getf2_small_kernelILi2EdiiPKPdEEvT1_T3_lS5_lPS5_llPT2_S5_S5_S7_l
		.amdhsa_group_segment_fixed_size 0
		.amdhsa_private_segment_fixed_size 0
		.amdhsa_kernarg_size 352
		.amdhsa_user_sgpr_count 6
		.amdhsa_user_sgpr_private_segment_buffer 1
		.amdhsa_user_sgpr_dispatch_ptr 0
		.amdhsa_user_sgpr_queue_ptr 0
		.amdhsa_user_sgpr_kernarg_segment_ptr 1
		.amdhsa_user_sgpr_dispatch_id 0
		.amdhsa_user_sgpr_flat_scratch_init 0
		.amdhsa_user_sgpr_private_segment_size 0
		.amdhsa_wavefront_size32 1
		.amdhsa_uses_dynamic_stack 0
		.amdhsa_system_sgpr_private_segment_wavefront_offset 0
		.amdhsa_system_sgpr_workgroup_id_x 1
		.amdhsa_system_sgpr_workgroup_id_y 1
		.amdhsa_system_sgpr_workgroup_id_z 0
		.amdhsa_system_sgpr_workgroup_info 0
		.amdhsa_system_vgpr_workitem_id 1
		.amdhsa_next_free_vgpr 25
		.amdhsa_next_free_sgpr 14
		.amdhsa_reserve_vcc 1
		.amdhsa_reserve_flat_scratch 0
		.amdhsa_float_round_mode_32 0
		.amdhsa_float_round_mode_16_64 0
		.amdhsa_float_denorm_mode_32 3
		.amdhsa_float_denorm_mode_16_64 3
		.amdhsa_dx10_clamp 1
		.amdhsa_ieee_mode 1
		.amdhsa_fp16_overflow 0
		.amdhsa_workgroup_processor_mode 1
		.amdhsa_memory_ordered 1
		.amdhsa_forward_progress 1
		.amdhsa_shared_vgpr_count 0
		.amdhsa_exception_fp_ieee_invalid_op 0
		.amdhsa_exception_fp_denorm_src 0
		.amdhsa_exception_fp_ieee_div_zero 0
		.amdhsa_exception_fp_ieee_overflow 0
		.amdhsa_exception_fp_ieee_underflow 0
		.amdhsa_exception_fp_ieee_inexact 0
		.amdhsa_exception_int_div_zero 0
	.end_amdhsa_kernel
	.section	.text._ZN9rocsolver6v33100L18getf2_small_kernelILi2EdiiPKPdEEvT1_T3_lS5_lPS5_llPT2_S5_S5_S7_l,"axG",@progbits,_ZN9rocsolver6v33100L18getf2_small_kernelILi2EdiiPKPdEEvT1_T3_lS5_lPS5_llPT2_S5_S5_S7_l,comdat
.Lfunc_end2:
	.size	_ZN9rocsolver6v33100L18getf2_small_kernelILi2EdiiPKPdEEvT1_T3_lS5_lPS5_llPT2_S5_S5_S7_l, .Lfunc_end2-_ZN9rocsolver6v33100L18getf2_small_kernelILi2EdiiPKPdEEvT1_T3_lS5_lPS5_llPT2_S5_S5_S7_l
                                        ; -- End function
	.set _ZN9rocsolver6v33100L18getf2_small_kernelILi2EdiiPKPdEEvT1_T3_lS5_lPS5_llPT2_S5_S5_S7_l.num_vgpr, 25
	.set _ZN9rocsolver6v33100L18getf2_small_kernelILi2EdiiPKPdEEvT1_T3_lS5_lPS5_llPT2_S5_S5_S7_l.num_agpr, 0
	.set _ZN9rocsolver6v33100L18getf2_small_kernelILi2EdiiPKPdEEvT1_T3_lS5_lPS5_llPT2_S5_S5_S7_l.numbered_sgpr, 14
	.set _ZN9rocsolver6v33100L18getf2_small_kernelILi2EdiiPKPdEEvT1_T3_lS5_lPS5_llPT2_S5_S5_S7_l.num_named_barrier, 0
	.set _ZN9rocsolver6v33100L18getf2_small_kernelILi2EdiiPKPdEEvT1_T3_lS5_lPS5_llPT2_S5_S5_S7_l.private_seg_size, 0
	.set _ZN9rocsolver6v33100L18getf2_small_kernelILi2EdiiPKPdEEvT1_T3_lS5_lPS5_llPT2_S5_S5_S7_l.uses_vcc, 1
	.set _ZN9rocsolver6v33100L18getf2_small_kernelILi2EdiiPKPdEEvT1_T3_lS5_lPS5_llPT2_S5_S5_S7_l.uses_flat_scratch, 0
	.set _ZN9rocsolver6v33100L18getf2_small_kernelILi2EdiiPKPdEEvT1_T3_lS5_lPS5_llPT2_S5_S5_S7_l.has_dyn_sized_stack, 0
	.set _ZN9rocsolver6v33100L18getf2_small_kernelILi2EdiiPKPdEEvT1_T3_lS5_lPS5_llPT2_S5_S5_S7_l.has_recursion, 0
	.set _ZN9rocsolver6v33100L18getf2_small_kernelILi2EdiiPKPdEEvT1_T3_lS5_lPS5_llPT2_S5_S5_S7_l.has_indirect_call, 0
	.section	.AMDGPU.csdata,"",@progbits
; Kernel info:
; codeLenInByte = 1540
; TotalNumSgprs: 16
; NumVgprs: 25
; ScratchSize: 0
; MemoryBound: 0
; FloatMode: 240
; IeeeMode: 1
; LDSByteSize: 0 bytes/workgroup (compile time only)
; SGPRBlocks: 0
; VGPRBlocks: 3
; NumSGPRsForWavesPerEU: 16
; NumVGPRsForWavesPerEU: 25
; Occupancy: 16
; WaveLimiterHint : 1
; COMPUTE_PGM_RSRC2:SCRATCH_EN: 0
; COMPUTE_PGM_RSRC2:USER_SGPR: 6
; COMPUTE_PGM_RSRC2:TRAP_HANDLER: 0
; COMPUTE_PGM_RSRC2:TGID_X_EN: 1
; COMPUTE_PGM_RSRC2:TGID_Y_EN: 1
; COMPUTE_PGM_RSRC2:TGID_Z_EN: 0
; COMPUTE_PGM_RSRC2:TIDIG_COMP_CNT: 1
	.section	.text._ZN9rocsolver6v33100L23getf2_npvt_small_kernelILi2EdiiPKPdEEvT1_T3_lS5_lPT2_S5_S5_,"axG",@progbits,_ZN9rocsolver6v33100L23getf2_npvt_small_kernelILi2EdiiPKPdEEvT1_T3_lS5_lPT2_S5_S5_,comdat
	.globl	_ZN9rocsolver6v33100L23getf2_npvt_small_kernelILi2EdiiPKPdEEvT1_T3_lS5_lPT2_S5_S5_ ; -- Begin function _ZN9rocsolver6v33100L23getf2_npvt_small_kernelILi2EdiiPKPdEEvT1_T3_lS5_lPT2_S5_S5_
	.p2align	8
	.type	_ZN9rocsolver6v33100L23getf2_npvt_small_kernelILi2EdiiPKPdEEvT1_T3_lS5_lPT2_S5_S5_,@function
_ZN9rocsolver6v33100L23getf2_npvt_small_kernelILi2EdiiPKPdEEvT1_T3_lS5_lPT2_S5_S5_: ; @_ZN9rocsolver6v33100L23getf2_npvt_small_kernelILi2EdiiPKPdEEvT1_T3_lS5_lPT2_S5_S5_
; %bb.0:
	s_clause 0x1
	s_load_dword s0, s[4:5], 0x44
	s_load_dwordx2 s[2:3], s[4:5], 0x30
	s_mov_b32 s1, exec_lo
	s_waitcnt lgkmcnt(0)
	s_lshr_b32 s0, s0, 16
	v_mad_u64_u32 v[2:3], null, s7, s0, v[1:2]
	v_cmpx_gt_i32_e64 s2, v2
	s_cbranch_execz .LBB3_13
; %bb.1:
	s_clause 0x1
	s_load_dwordx4 s[8:11], s[4:5], 0x8
	s_load_dword s6, s[4:5], 0x18
	v_ashrrev_i32_e32 v3, 31, v2
	v_lshlrev_b32_e32 v6, 3, v0
	v_lshlrev_b32_e32 v12, 3, v1
	;; [unrolled: 1-line block ×3, first 2 shown]
	s_lshl_b32 s0, s0, 4
	v_lshlrev_b64 v[4:5], 3, v[2:3]
	v_cmp_ne_u32_e64 s1, 0, v0
	v_add3_u32 v1, 0, s0, v12
	v_cmp_eq_u32_e64 s0, 0, v0
	v_add_nc_u32_e32 v14, 0, v13
	s_waitcnt lgkmcnt(0)
	v_add_co_u32 v4, vcc_lo, s8, v4
	v_add_co_ci_u32_e64 v5, null, s9, v5, vcc_lo
	s_lshl_b64 s[8:9], s[10:11], 3
	s_ashr_i32 s7, s6, 31
	s_lshl_b64 s[6:7], s[6:7], 3
	global_load_dwordx2 v[4:5], v[4:5], off
	s_waitcnt vmcnt(0)
	v_add_co_u32 v4, vcc_lo, v4, s8
	v_add_co_ci_u32_e64 v5, null, s9, v5, vcc_lo
	v_add_co_u32 v4, vcc_lo, v4, v6
	v_add_co_ci_u32_e64 v5, null, 0, v5, vcc_lo
	;; [unrolled: 2-line block ×3, first 2 shown]
	s_clause 0x1
	flat_load_dwordx2 v[8:9], v[4:5]
	flat_load_dwordx2 v[10:11], v[6:7]
	s_and_saveexec_b32 s2, s0
	s_cbranch_execz .LBB3_4
; %bb.2:
	s_waitcnt vmcnt(1) lgkmcnt(1)
	ds_write_b64 v1, v[8:9]
	s_waitcnt vmcnt(0) lgkmcnt(1)
	ds_write_b64 v14, v[10:11] offset:8
	ds_read_b64 v[12:13], v1
	s_waitcnt lgkmcnt(0)
	v_cmp_neq_f64_e32 vcc_lo, 0, v[12:13]
	s_and_b32 exec_lo, exec_lo, vcc_lo
	s_cbranch_execz .LBB3_4
; %bb.3:
	v_div_scale_f64 v[15:16], null, v[12:13], v[12:13], 1.0
	v_rcp_f64_e32 v[17:18], v[15:16]
	v_fma_f64 v[19:20], -v[15:16], v[17:18], 1.0
	v_fma_f64 v[17:18], v[17:18], v[19:20], v[17:18]
	v_fma_f64 v[19:20], -v[15:16], v[17:18], 1.0
	v_fma_f64 v[17:18], v[17:18], v[19:20], v[17:18]
	v_div_scale_f64 v[19:20], vcc_lo, 1.0, v[12:13], 1.0
	v_mul_f64 v[21:22], v[19:20], v[17:18]
	v_fma_f64 v[15:16], -v[15:16], v[21:22], v[19:20]
	v_div_fmas_f64 v[15:16], v[15:16], v[17:18], v[21:22]
	v_div_fixup_f64 v[12:13], v[15:16], v[12:13], 1.0
	ds_write_b64 v1, v[12:13]
.LBB3_4:
	s_or_b32 exec_lo, exec_lo, s2
	s_waitcnt vmcnt(0) lgkmcnt(0)
	s_barrier
	buffer_gl0_inv
	ds_read_b64 v[12:13], v1
	s_and_saveexec_b32 s2, s1
	s_cbranch_execz .LBB3_6
; %bb.5:
	s_waitcnt lgkmcnt(0)
	v_mul_f64 v[8:9], v[8:9], v[12:13]
	ds_read_b64 v[14:15], v14 offset:8
	s_waitcnt lgkmcnt(0)
	v_fma_f64 v[10:11], -v[8:9], v[14:15], v[10:11]
.LBB3_6:
	s_or_b32 exec_lo, exec_lo, s2
	s_mov_b32 s1, exec_lo
	s_waitcnt lgkmcnt(0)
	s_barrier
	buffer_gl0_inv
	v_cmpx_eq_u32_e32 1, v0
	s_cbranch_execz .LBB3_9
; %bb.7:
	v_cmp_neq_f64_e32 vcc_lo, 0, v[10:11]
	ds_write_b64 v1, v[10:11]
	s_and_b32 exec_lo, exec_lo, vcc_lo
	s_cbranch_execz .LBB3_9
; %bb.8:
	v_div_scale_f64 v[14:15], null, v[10:11], v[10:11], 1.0
	v_rcp_f64_e32 v[16:17], v[14:15]
	v_fma_f64 v[18:19], -v[14:15], v[16:17], 1.0
	v_fma_f64 v[16:17], v[16:17], v[18:19], v[16:17]
	v_fma_f64 v[18:19], -v[14:15], v[16:17], 1.0
	v_fma_f64 v[16:17], v[16:17], v[18:19], v[16:17]
	v_div_scale_f64 v[18:19], vcc_lo, 1.0, v[10:11], 1.0
	v_mul_f64 v[20:21], v[18:19], v[16:17]
	v_fma_f64 v[14:15], -v[14:15], v[20:21], v[18:19]
	v_div_fmas_f64 v[14:15], v[14:15], v[16:17], v[20:21]
	v_div_fixup_f64 v[14:15], v[14:15], v[10:11], 1.0
	ds_write_b64 v1, v[14:15]
.LBB3_9:
	s_or_b32 exec_lo, exec_lo, s1
	s_waitcnt lgkmcnt(0)
	s_barrier
	buffer_gl0_inv
	ds_read_b64 v[14:15], v1
	s_waitcnt lgkmcnt(0)
	s_barrier
	buffer_gl0_inv
	s_and_saveexec_b32 s2, s0
	s_cbranch_execz .LBB3_12
; %bb.10:
	s_load_dwordx2 s[0:1], s[4:5], 0x28
	v_lshlrev_b64 v[1:2], 2, v[2:3]
	s_waitcnt lgkmcnt(0)
	v_add_co_u32 v1, vcc_lo, s0, v1
	v_add_co_ci_u32_e64 v2, null, s1, v2, vcc_lo
	v_cmp_eq_f64_e32 vcc_lo, 0, v[12:13]
	v_cmp_neq_f64_e64 s0, 0, v[14:15]
	global_load_dword v3, v[1:2], off
	s_or_b32 s0, s0, vcc_lo
	s_xor_b32 s4, s0, -1
	s_or_b32 s4, s4, vcc_lo
	s_waitcnt vmcnt(0)
	v_cmp_eq_u32_e64 s1, 0, v3
	s_and_b32 s1, s1, s4
	s_and_b32 exec_lo, exec_lo, s1
	s_cbranch_execz .LBB3_12
; %bb.11:
	v_cndmask_b32_e64 v3, 0, 1, vcc_lo
	v_cndmask_b32_e64 v3, 2, v3, s0
	v_add_nc_u32_e32 v3, s3, v3
	global_store_dword v[1:2], v3, off
.LBB3_12:
	s_or_b32 exec_lo, exec_lo, s2
	v_mul_f64 v[1:2], v[10:11], v[14:15]
	v_cmp_lt_u32_e32 vcc_lo, 1, v0
	v_cndmask_b32_e32 v2, v11, v2, vcc_lo
	v_cndmask_b32_e32 v1, v10, v1, vcc_lo
	flat_store_dwordx2 v[4:5], v[8:9]
	flat_store_dwordx2 v[6:7], v[1:2]
.LBB3_13:
	s_endpgm
	.section	.rodata,"a",@progbits
	.p2align	6, 0x0
	.amdhsa_kernel _ZN9rocsolver6v33100L23getf2_npvt_small_kernelILi2EdiiPKPdEEvT1_T3_lS5_lPT2_S5_S5_
		.amdhsa_group_segment_fixed_size 0
		.amdhsa_private_segment_fixed_size 0
		.amdhsa_kernarg_size 312
		.amdhsa_user_sgpr_count 6
		.amdhsa_user_sgpr_private_segment_buffer 1
		.amdhsa_user_sgpr_dispatch_ptr 0
		.amdhsa_user_sgpr_queue_ptr 0
		.amdhsa_user_sgpr_kernarg_segment_ptr 1
		.amdhsa_user_sgpr_dispatch_id 0
		.amdhsa_user_sgpr_flat_scratch_init 0
		.amdhsa_user_sgpr_private_segment_size 0
		.amdhsa_wavefront_size32 1
		.amdhsa_uses_dynamic_stack 0
		.amdhsa_system_sgpr_private_segment_wavefront_offset 0
		.amdhsa_system_sgpr_workgroup_id_x 1
		.amdhsa_system_sgpr_workgroup_id_y 1
		.amdhsa_system_sgpr_workgroup_id_z 0
		.amdhsa_system_sgpr_workgroup_info 0
		.amdhsa_system_vgpr_workitem_id 1
		.amdhsa_next_free_vgpr 23
		.amdhsa_next_free_sgpr 12
		.amdhsa_reserve_vcc 1
		.amdhsa_reserve_flat_scratch 1
		.amdhsa_float_round_mode_32 0
		.amdhsa_float_round_mode_16_64 0
		.amdhsa_float_denorm_mode_32 3
		.amdhsa_float_denorm_mode_16_64 3
		.amdhsa_dx10_clamp 1
		.amdhsa_ieee_mode 1
		.amdhsa_fp16_overflow 0
		.amdhsa_workgroup_processor_mode 1
		.amdhsa_memory_ordered 1
		.amdhsa_forward_progress 1
		.amdhsa_shared_vgpr_count 0
		.amdhsa_exception_fp_ieee_invalid_op 0
		.amdhsa_exception_fp_denorm_src 0
		.amdhsa_exception_fp_ieee_div_zero 0
		.amdhsa_exception_fp_ieee_overflow 0
		.amdhsa_exception_fp_ieee_underflow 0
		.amdhsa_exception_fp_ieee_inexact 0
		.amdhsa_exception_int_div_zero 0
	.end_amdhsa_kernel
	.section	.text._ZN9rocsolver6v33100L23getf2_npvt_small_kernelILi2EdiiPKPdEEvT1_T3_lS5_lPT2_S5_S5_,"axG",@progbits,_ZN9rocsolver6v33100L23getf2_npvt_small_kernelILi2EdiiPKPdEEvT1_T3_lS5_lPT2_S5_S5_,comdat
.Lfunc_end3:
	.size	_ZN9rocsolver6v33100L23getf2_npvt_small_kernelILi2EdiiPKPdEEvT1_T3_lS5_lPT2_S5_S5_, .Lfunc_end3-_ZN9rocsolver6v33100L23getf2_npvt_small_kernelILi2EdiiPKPdEEvT1_T3_lS5_lPT2_S5_S5_
                                        ; -- End function
	.set _ZN9rocsolver6v33100L23getf2_npvt_small_kernelILi2EdiiPKPdEEvT1_T3_lS5_lPT2_S5_S5_.num_vgpr, 23
	.set _ZN9rocsolver6v33100L23getf2_npvt_small_kernelILi2EdiiPKPdEEvT1_T3_lS5_lPT2_S5_S5_.num_agpr, 0
	.set _ZN9rocsolver6v33100L23getf2_npvt_small_kernelILi2EdiiPKPdEEvT1_T3_lS5_lPT2_S5_S5_.numbered_sgpr, 12
	.set _ZN9rocsolver6v33100L23getf2_npvt_small_kernelILi2EdiiPKPdEEvT1_T3_lS5_lPT2_S5_S5_.num_named_barrier, 0
	.set _ZN9rocsolver6v33100L23getf2_npvt_small_kernelILi2EdiiPKPdEEvT1_T3_lS5_lPT2_S5_S5_.private_seg_size, 0
	.set _ZN9rocsolver6v33100L23getf2_npvt_small_kernelILi2EdiiPKPdEEvT1_T3_lS5_lPT2_S5_S5_.uses_vcc, 1
	.set _ZN9rocsolver6v33100L23getf2_npvt_small_kernelILi2EdiiPKPdEEvT1_T3_lS5_lPT2_S5_S5_.uses_flat_scratch, 1
	.set _ZN9rocsolver6v33100L23getf2_npvt_small_kernelILi2EdiiPKPdEEvT1_T3_lS5_lPT2_S5_S5_.has_dyn_sized_stack, 0
	.set _ZN9rocsolver6v33100L23getf2_npvt_small_kernelILi2EdiiPKPdEEvT1_T3_lS5_lPT2_S5_S5_.has_recursion, 0
	.set _ZN9rocsolver6v33100L23getf2_npvt_small_kernelILi2EdiiPKPdEEvT1_T3_lS5_lPT2_S5_S5_.has_indirect_call, 0
	.section	.AMDGPU.csdata,"",@progbits
; Kernel info:
; codeLenInByte = 816
; TotalNumSgprs: 14
; NumVgprs: 23
; ScratchSize: 0
; MemoryBound: 0
; FloatMode: 240
; IeeeMode: 1
; LDSByteSize: 0 bytes/workgroup (compile time only)
; SGPRBlocks: 0
; VGPRBlocks: 2
; NumSGPRsForWavesPerEU: 14
; NumVGPRsForWavesPerEU: 23
; Occupancy: 16
; WaveLimiterHint : 1
; COMPUTE_PGM_RSRC2:SCRATCH_EN: 0
; COMPUTE_PGM_RSRC2:USER_SGPR: 6
; COMPUTE_PGM_RSRC2:TRAP_HANDLER: 0
; COMPUTE_PGM_RSRC2:TGID_X_EN: 1
; COMPUTE_PGM_RSRC2:TGID_Y_EN: 1
; COMPUTE_PGM_RSRC2:TGID_Z_EN: 0
; COMPUTE_PGM_RSRC2:TIDIG_COMP_CNT: 1
	.section	.text._ZN9rocsolver6v33100L18getf2_small_kernelILi3EdiiPKPdEEvT1_T3_lS5_lPS5_llPT2_S5_S5_S7_l,"axG",@progbits,_ZN9rocsolver6v33100L18getf2_small_kernelILi3EdiiPKPdEEvT1_T3_lS5_lPS5_llPT2_S5_S5_S7_l,comdat
	.globl	_ZN9rocsolver6v33100L18getf2_small_kernelILi3EdiiPKPdEEvT1_T3_lS5_lPS5_llPT2_S5_S5_S7_l ; -- Begin function _ZN9rocsolver6v33100L18getf2_small_kernelILi3EdiiPKPdEEvT1_T3_lS5_lPS5_llPT2_S5_S5_S7_l
	.p2align	8
	.type	_ZN9rocsolver6v33100L18getf2_small_kernelILi3EdiiPKPdEEvT1_T3_lS5_lPS5_llPT2_S5_S5_S7_l,@function
_ZN9rocsolver6v33100L18getf2_small_kernelILi3EdiiPKPdEEvT1_T3_lS5_lPS5_llPT2_S5_S5_S7_l: ; @_ZN9rocsolver6v33100L18getf2_small_kernelILi3EdiiPKPdEEvT1_T3_lS5_lPS5_llPT2_S5_S5_S7_l
; %bb.0:
	s_clause 0x1
	s_load_dword s0, s[4:5], 0x6c
	s_load_dwordx2 s[12:13], s[4:5], 0x48
	s_waitcnt lgkmcnt(0)
	s_lshr_b32 s0, s0, 16
	v_mad_u64_u32 v[2:3], null, s7, s0, v[1:2]
	s_mov_b32 s0, exec_lo
	v_cmpx_gt_i32_e64 s12, v2
	s_cbranch_execz .LBB4_48
; %bb.1:
	s_clause 0x1
	s_load_dwordx4 s[0:3], s[4:5], 0x8
	s_load_dwordx4 s[8:11], s[4:5], 0x50
	v_ashrrev_i32_e32 v3, 31, v2
	v_mov_b32_e32 v10, 0
	v_mov_b32_e32 v11, 0
	v_lshlrev_b64 v[4:5], 3, v[2:3]
	s_waitcnt lgkmcnt(0)
	v_add_co_u32 v4, vcc_lo, s0, v4
	v_add_co_ci_u32_e64 v5, null, s1, v5, vcc_lo
	s_cmp_eq_u64 s[8:9], 0
	s_cselect_b32 s6, -1, 0
	global_load_dwordx2 v[4:5], v[4:5], off
	s_and_b32 vcc_lo, exec_lo, s6
	s_cbranch_vccnz .LBB4_3
; %bb.2:
	v_mul_lo_u32 v8, s11, v2
	v_mul_lo_u32 v9, s10, v3
	v_mad_u64_u32 v[6:7], null, s10, v2, 0
	v_add3_u32 v7, v7, v9, v8
	v_lshlrev_b64 v[6:7], 2, v[6:7]
	v_add_co_u32 v10, vcc_lo, s8, v6
	v_add_co_ci_u32_e64 v11, null, s9, v7, vcc_lo
.LBB4_3:
	s_load_dword s8, s[4:5], 0x18
	s_lshl_b64 s[0:1], s[2:3], 3
	v_lshlrev_b32_e32 v12, 3, v0
	s_waitcnt vmcnt(0)
	v_add_co_u32 v16, vcc_lo, v4, s0
	v_add_co_ci_u32_e64 v17, null, s1, v5, vcc_lo
	s_load_dword s2, s[4:5], 0x0
	v_add_co_u32 v6, vcc_lo, v16, v12
	v_add_co_ci_u32_e64 v7, null, 0, v17, vcc_lo
	v_mov_b32_e32 v14, 0
	flat_load_dwordx2 v[4:5], v[6:7]
	s_waitcnt lgkmcnt(0)
	v_add3_u32 v8, s8, s8, v0
	s_ashr_i32 s9, s8, 31
	s_lshl_b64 s[10:11], s[8:9], 3
	v_add_co_u32 v6, vcc_lo, v6, s10
	v_ashrrev_i32_e32 v9, 31, v8
	v_add_co_ci_u32_e64 v7, null, s11, v7, vcc_lo
	s_max_i32 s0, s2, 3
	s_cmp_lt_i32 s2, 2
	v_lshlrev_b64 v[8:9], 3, v[8:9]
	v_mul_lo_u32 v1, s0, v1
	v_add_co_u32 v8, vcc_lo, v16, v8
	v_add_co_ci_u32_e64 v9, null, v17, v9, vcc_lo
	s_clause 0x1
	flat_load_dwordx2 v[6:7], v[6:7]
	flat_load_dwordx2 v[8:9], v[8:9]
	v_lshl_add_u32 v18, v1, 3, 0
	v_lshlrev_b32_e32 v19, 3, v1
	v_add_nc_u32_e32 v12, v18, v12
	s_waitcnt vmcnt(2)
	ds_write_b64 v12, v[4:5]
	s_waitcnt vmcnt(0) lgkmcnt(0)
	s_barrier
	buffer_gl0_inv
	ds_read_b64 v[12:13], v18
	s_cbranch_scc1 .LBB4_6
; %bb.4:
	v_add3_u32 v1, v19, 0, 8
	v_mov_b32_e32 v14, 0
	s_mov_b32 s0, 1
.LBB4_5:                                ; =>This Inner Loop Header: Depth=1
	ds_read_b64 v[20:21], v1
	v_add_nc_u32_e32 v1, 8, v1
	s_waitcnt lgkmcnt(0)
	v_cmp_lt_f64_e64 vcc_lo, |v[12:13]|, |v[20:21]|
	v_cndmask_b32_e32 v13, v13, v21, vcc_lo
	v_cndmask_b32_e32 v12, v12, v20, vcc_lo
	v_cndmask_b32_e64 v14, v14, s0, vcc_lo
	s_add_i32 s0, s0, 1
	s_cmp_eq_u32 s2, s0
	s_cbranch_scc0 .LBB4_5
.LBB4_6:
	s_mov_b32 s0, exec_lo
                                        ; implicit-def: $vgpr20
	v_cmpx_ne_u32_e64 v0, v14
	s_xor_b32 s0, exec_lo, s0
	s_cbranch_execz .LBB4_12
; %bb.7:
	s_mov_b32 s1, exec_lo
	v_cmpx_eq_u32_e32 0, v0
	s_cbranch_execz .LBB4_11
; %bb.8:
	v_cmp_ne_u32_e32 vcc_lo, 0, v14
	s_xor_b32 s3, s6, -1
	s_and_b32 s7, s3, vcc_lo
	s_and_saveexec_b32 s3, s7
	s_cbranch_execz .LBB4_10
; %bb.9:
	v_ashrrev_i32_e32 v15, 31, v14
	v_lshlrev_b64 v[0:1], 2, v[14:15]
	v_add_co_u32 v0, vcc_lo, v10, v0
	v_add_co_ci_u32_e64 v1, null, v11, v1, vcc_lo
	s_clause 0x1
	global_load_dword v15, v[0:1], off
	global_load_dword v20, v[10:11], off
	s_waitcnt vmcnt(1)
	global_store_dword v[10:11], v15, off
	s_waitcnt vmcnt(0)
	global_store_dword v[0:1], v20, off
.LBB4_10:
	s_or_b32 exec_lo, exec_lo, s3
	v_mov_b32_e32 v0, v14
.LBB4_11:
	s_or_b32 exec_lo, exec_lo, s1
	v_mov_b32_e32 v20, v0
                                        ; implicit-def: $vgpr0
.LBB4_12:
	s_or_saveexec_b32 s0, s0
	v_mov_b32_e32 v15, v20
	s_xor_b32 exec_lo, exec_lo, s0
; %bb.13:
	v_mov_b32_e32 v20, 0
	v_mov_b32_e32 v15, v0
	ds_write2_b64 v18, v[6:7], v[8:9] offset0:1 offset1:2
; %bb.14:
	s_or_b32 exec_lo, exec_lo, s0
	s_waitcnt lgkmcnt(0)
	v_cmp_eq_f64_e64 s0, 0, v[12:13]
	s_mov_b32 s1, exec_lo
	s_waitcnt_vscnt null, 0x0
	s_barrier
	buffer_gl0_inv
	v_cmpx_lt_i32_e32 0, v20
	s_cbranch_execz .LBB4_16
; %bb.15:
	v_div_scale_f64 v[0:1], null, v[12:13], v[12:13], 1.0
	v_div_scale_f64 v[25:26], vcc_lo, 1.0, v[12:13], 1.0
	v_rcp_f64_e32 v[21:22], v[0:1]
	v_fma_f64 v[23:24], -v[0:1], v[21:22], 1.0
	v_fma_f64 v[21:22], v[21:22], v[23:24], v[21:22]
	v_fma_f64 v[23:24], -v[0:1], v[21:22], 1.0
	v_fma_f64 v[21:22], v[21:22], v[23:24], v[21:22]
	v_mul_f64 v[23:24], v[25:26], v[21:22]
	v_fma_f64 v[0:1], -v[0:1], v[23:24], v[25:26]
	v_div_fmas_f64 v[0:1], v[0:1], v[21:22], v[23:24]
	ds_read2_b64 v[21:24], v18 offset0:1 offset1:2
	v_div_fixup_f64 v[0:1], v[0:1], v[12:13], 1.0
	v_cndmask_b32_e64 v1, v1, v13, s0
	v_cndmask_b32_e64 v0, v0, v12, s0
	v_mul_f64 v[4:5], v[4:5], v[0:1]
	s_waitcnt lgkmcnt(0)
	v_fma_f64 v[6:7], -v[4:5], v[21:22], v[6:7]
	v_fma_f64 v[8:9], -v[4:5], v[23:24], v[8:9]
.LBB4_16:
	s_or_b32 exec_lo, exec_lo, s1
	v_lshl_add_u32 v0, v20, 3, v18
	s_barrier
	buffer_gl0_inv
	v_mov_b32_e32 v12, 1
	ds_write_b64 v0, v[6:7]
	s_waitcnt lgkmcnt(0)
	s_barrier
	buffer_gl0_inv
	ds_read_b64 v[0:1], v18 offset:8
	s_cmp_lt_i32 s2, 3
	s_cbranch_scc1 .LBB4_19
; %bb.17:
	v_add3_u32 v13, v19, 0, 16
	v_mov_b32_e32 v12, 1
	s_mov_b32 s1, 2
.LBB4_18:                               ; =>This Inner Loop Header: Depth=1
	ds_read_b64 v[21:22], v13
	v_add_nc_u32_e32 v13, 8, v13
	s_waitcnt lgkmcnt(0)
	v_cmp_lt_f64_e64 vcc_lo, |v[0:1]|, |v[21:22]|
	v_cndmask_b32_e32 v1, v1, v22, vcc_lo
	v_cndmask_b32_e32 v0, v0, v21, vcc_lo
	v_cndmask_b32_e64 v12, v12, s1, vcc_lo
	s_add_i32 s1, s1, 1
	s_cmp_lg_u32 s2, s1
	s_cbranch_scc1 .LBB4_18
.LBB4_19:
	s_mov_b32 s1, exec_lo
	v_cmpx_ne_u32_e64 v20, v12
	s_xor_b32 s1, exec_lo, s1
	s_cbranch_execz .LBB4_25
; %bb.20:
	s_mov_b32 s3, exec_lo
	v_cmpx_eq_u32_e32 1, v20
	s_cbranch_execz .LBB4_24
; %bb.21:
	v_cmp_ne_u32_e32 vcc_lo, 1, v12
	s_xor_b32 s7, s6, -1
	s_and_b32 s9, s7, vcc_lo
	s_and_saveexec_b32 s7, s9
	s_cbranch_execz .LBB4_23
; %bb.22:
	v_ashrrev_i32_e32 v13, 31, v12
	v_lshlrev_b64 v[13:14], 2, v[12:13]
	v_add_co_u32 v13, vcc_lo, v10, v13
	v_add_co_ci_u32_e64 v14, null, v11, v14, vcc_lo
	s_clause 0x1
	global_load_dword v15, v[13:14], off
	global_load_dword v20, v[10:11], off offset:4
	s_waitcnt vmcnt(1)
	global_store_dword v[10:11], v15, off offset:4
	s_waitcnt vmcnt(0)
	global_store_dword v[13:14], v20, off
.LBB4_23:
	s_or_b32 exec_lo, exec_lo, s7
	v_mov_b32_e32 v15, v12
	v_mov_b32_e32 v20, v12
.LBB4_24:
	s_or_b32 exec_lo, exec_lo, s3
.LBB4_25:
	s_andn2_saveexec_b32 s1, s1
; %bb.26:
	v_mov_b32_e32 v20, 1
	ds_write_b64 v18, v[8:9] offset:16
; %bb.27:
	s_or_b32 exec_lo, exec_lo, s1
	s_waitcnt lgkmcnt(0)
	v_cmp_neq_f64_e64 s1, 0, v[0:1]
	s_mov_b32 s3, exec_lo
	s_waitcnt_vscnt null, 0x0
	s_barrier
	buffer_gl0_inv
	v_cmpx_lt_i32_e32 1, v20
	s_cbranch_execz .LBB4_29
; %bb.28:
	v_div_scale_f64 v[12:13], null, v[0:1], v[0:1], 1.0
	v_div_scale_f64 v[25:26], vcc_lo, 1.0, v[0:1], 1.0
	v_rcp_f64_e32 v[21:22], v[12:13]
	v_fma_f64 v[23:24], -v[12:13], v[21:22], 1.0
	v_fma_f64 v[21:22], v[21:22], v[23:24], v[21:22]
	v_fma_f64 v[23:24], -v[12:13], v[21:22], 1.0
	v_fma_f64 v[21:22], v[21:22], v[23:24], v[21:22]
	v_mul_f64 v[23:24], v[25:26], v[21:22]
	v_fma_f64 v[12:13], -v[12:13], v[23:24], v[25:26]
	v_div_fmas_f64 v[12:13], v[12:13], v[21:22], v[23:24]
	v_div_fixup_f64 v[12:13], v[12:13], v[0:1], 1.0
	v_cndmask_b32_e64 v1, v1, v13, s1
	v_cndmask_b32_e64 v0, v0, v12, s1
	v_mul_f64 v[6:7], v[6:7], v[0:1]
	ds_read_b64 v[0:1], v18 offset:16
	s_waitcnt lgkmcnt(0)
	v_fma_f64 v[8:9], -v[6:7], v[0:1], v[8:9]
.LBB4_29:
	s_or_b32 exec_lo, exec_lo, s3
	v_lshl_add_u32 v0, v20, 3, v18
	s_barrier
	buffer_gl0_inv
	v_mov_b32_e32 v12, 2
	ds_write_b64 v0, v[8:9]
	s_waitcnt lgkmcnt(0)
	s_barrier
	buffer_gl0_inv
	ds_read_b64 v[0:1], v18 offset:16
	s_cmp_lt_i32 s2, 4
	s_mov_b32 s3, 3
	s_cbranch_scc1 .LBB4_32
; %bb.30:
	v_add3_u32 v13, v19, 0, 24
	v_mov_b32_e32 v12, 2
.LBB4_31:                               ; =>This Inner Loop Header: Depth=1
	ds_read_b64 v[18:19], v13
	v_add_nc_u32_e32 v13, 8, v13
	s_waitcnt lgkmcnt(0)
	v_cmp_lt_f64_e64 vcc_lo, |v[0:1]|, |v[18:19]|
	v_cndmask_b32_e32 v1, v1, v19, vcc_lo
	v_cndmask_b32_e32 v0, v0, v18, vcc_lo
	v_cndmask_b32_e64 v12, v12, s3, vcc_lo
	s_add_i32 s3, s3, 1
	s_cmp_lg_u32 s2, s3
	s_cbranch_scc1 .LBB4_31
.LBB4_32:
	v_cndmask_b32_e64 v13, 2, 1, s0
	v_cndmask_b32_e64 v14, 0, 1, s0
	s_mov_b32 s0, exec_lo
	v_cndmask_b32_e64 v18, v13, v14, s1
	s_waitcnt lgkmcnt(0)
	v_cmpx_eq_f64_e32 0, v[0:1]
	s_xor_b32 s0, exec_lo, s0
; %bb.33:
	v_cmp_ne_u32_e32 vcc_lo, 0, v18
	v_cndmask_b32_e32 v18, 3, v18, vcc_lo
; %bb.34:
	s_andn2_saveexec_b32 s0, s0
	s_cbranch_execz .LBB4_36
; %bb.35:
	v_div_scale_f64 v[13:14], null, v[0:1], v[0:1], 1.0
	v_rcp_f64_e32 v[21:22], v[13:14]
	v_fma_f64 v[23:24], -v[13:14], v[21:22], 1.0
	v_fma_f64 v[21:22], v[21:22], v[23:24], v[21:22]
	v_fma_f64 v[23:24], -v[13:14], v[21:22], 1.0
	v_fma_f64 v[21:22], v[21:22], v[23:24], v[21:22]
	v_div_scale_f64 v[23:24], vcc_lo, 1.0, v[0:1], 1.0
	v_mul_f64 v[25:26], v[23:24], v[21:22]
	v_fma_f64 v[13:14], -v[13:14], v[25:26], v[23:24]
	v_div_fmas_f64 v[13:14], v[13:14], v[21:22], v[25:26]
	v_div_fixup_f64 v[0:1], v[13:14], v[0:1], 1.0
.LBB4_36:
	s_or_b32 exec_lo, exec_lo, s0
	v_mov_b32_e32 v13, 2
	s_mov_b32 s0, exec_lo
	v_cmpx_ne_u32_e64 v20, v12
	s_cbranch_execz .LBB4_42
; %bb.37:
	s_mov_b32 s1, exec_lo
	v_cmpx_eq_u32_e32 2, v20
	s_cbranch_execz .LBB4_41
; %bb.38:
	v_cmp_ne_u32_e32 vcc_lo, 2, v12
	s_xor_b32 s2, s6, -1
	s_and_b32 s3, s2, vcc_lo
	s_and_saveexec_b32 s2, s3
	s_cbranch_execz .LBB4_40
; %bb.39:
	v_ashrrev_i32_e32 v13, 31, v12
	v_lshlrev_b64 v[13:14], 2, v[12:13]
	v_add_co_u32 v13, vcc_lo, v10, v13
	v_add_co_ci_u32_e64 v14, null, v11, v14, vcc_lo
	s_clause 0x1
	global_load_dword v15, v[13:14], off
	global_load_dword v19, v[10:11], off offset:8
	s_waitcnt vmcnt(1)
	global_store_dword v[10:11], v15, off offset:8
	s_waitcnt vmcnt(0)
	global_store_dword v[13:14], v19, off
.LBB4_40:
	s_or_b32 exec_lo, exec_lo, s2
	v_mov_b32_e32 v15, v12
	v_mov_b32_e32 v20, v12
.LBB4_41:
	s_or_b32 exec_lo, exec_lo, s1
	v_mov_b32_e32 v13, v20
.LBB4_42:
	s_or_b32 exec_lo, exec_lo, s0
	s_load_dwordx8 s[0:7], s[4:5], 0x28
	v_ashrrev_i32_e32 v14, 31, v13
	s_mov_b32 s9, exec_lo
	s_waitcnt lgkmcnt(0)
	s_waitcnt_vscnt null, 0x0
	s_barrier
	buffer_gl0_inv
	s_barrier
	buffer_gl0_inv
	v_cmpx_gt_i32_e32 3, v13
	s_cbranch_execz .LBB4_44
; %bb.43:
	v_mul_lo_u32 v12, s5, v2
	v_mul_lo_u32 v19, s4, v3
	v_mad_u64_u32 v[10:11], null, s4, v2, 0
	s_lshl_b64 s[2:3], s[2:3], 2
	v_add3_u32 v11, v11, v19, v12
	v_lshlrev_b64 v[10:11], 2, v[10:11]
	v_add_co_u32 v12, vcc_lo, s0, v10
	v_add_co_ci_u32_e64 v19, null, s1, v11, vcc_lo
	v_lshlrev_b64 v[10:11], 2, v[13:14]
	v_add_co_u32 v12, vcc_lo, v12, s2
	v_add_co_ci_u32_e64 v19, null, s3, v19, vcc_lo
	v_add_co_u32 v10, vcc_lo, v12, v10
	v_add_co_ci_u32_e64 v11, null, v19, v11, vcc_lo
	v_add3_u32 v12, v15, s13, 1
	global_store_dword v[10:11], v12, off
.LBB4_44:
	s_or_b32 exec_lo, exec_lo, s9
	s_mov_b32 s1, exec_lo
	v_cmpx_eq_u32_e32 0, v13
	s_cbranch_execz .LBB4_47
; %bb.45:
	v_lshlrev_b64 v[2:3], 2, v[2:3]
	v_cmp_ne_u32_e64 s0, 0, v18
	v_add_co_u32 v2, vcc_lo, s6, v2
	v_add_co_ci_u32_e64 v3, null, s7, v3, vcc_lo
	global_load_dword v10, v[2:3], off
	s_waitcnt vmcnt(0)
	v_cmp_eq_u32_e32 vcc_lo, 0, v10
	s_and_b32 s0, vcc_lo, s0
	s_and_b32 exec_lo, exec_lo, s0
	s_cbranch_execz .LBB4_47
; %bb.46:
	v_add_nc_u32_e32 v10, s13, v18
	global_store_dword v[2:3], v10, off
.LBB4_47:
	s_or_b32 exec_lo, exec_lo, s1
	v_mul_f64 v[0:1], v[8:9], v[0:1]
	v_add3_u32 v2, s8, s8, v13
	v_lshlrev_b64 v[10:11], 3, v[13:14]
	v_cmp_lt_i32_e32 vcc_lo, 2, v13
	v_ashrrev_i32_e32 v3, 31, v2
	v_add_co_u32 v10, s0, v16, v10
	v_add_co_ci_u32_e64 v11, null, v17, v11, s0
	v_lshlrev_b64 v[2:3], 3, v[2:3]
	v_add_co_u32 v12, s0, v10, s10
	v_add_co_ci_u32_e64 v13, null, s11, v11, s0
	v_cndmask_b32_e32 v1, v9, v1, vcc_lo
	v_cndmask_b32_e32 v0, v8, v0, vcc_lo
	v_add_co_u32 v2, vcc_lo, v16, v2
	v_add_co_ci_u32_e64 v3, null, v17, v3, vcc_lo
	flat_store_dwordx2 v[10:11], v[4:5]
	flat_store_dwordx2 v[12:13], v[6:7]
	;; [unrolled: 1-line block ×3, first 2 shown]
.LBB4_48:
	s_endpgm
	.section	.rodata,"a",@progbits
	.p2align	6, 0x0
	.amdhsa_kernel _ZN9rocsolver6v33100L18getf2_small_kernelILi3EdiiPKPdEEvT1_T3_lS5_lPS5_llPT2_S5_S5_S7_l
		.amdhsa_group_segment_fixed_size 0
		.amdhsa_private_segment_fixed_size 0
		.amdhsa_kernarg_size 352
		.amdhsa_user_sgpr_count 6
		.amdhsa_user_sgpr_private_segment_buffer 1
		.amdhsa_user_sgpr_dispatch_ptr 0
		.amdhsa_user_sgpr_queue_ptr 0
		.amdhsa_user_sgpr_kernarg_segment_ptr 1
		.amdhsa_user_sgpr_dispatch_id 0
		.amdhsa_user_sgpr_flat_scratch_init 0
		.amdhsa_user_sgpr_private_segment_size 0
		.amdhsa_wavefront_size32 1
		.amdhsa_uses_dynamic_stack 0
		.amdhsa_system_sgpr_private_segment_wavefront_offset 0
		.amdhsa_system_sgpr_workgroup_id_x 1
		.amdhsa_system_sgpr_workgroup_id_y 1
		.amdhsa_system_sgpr_workgroup_id_z 0
		.amdhsa_system_sgpr_workgroup_info 0
		.amdhsa_system_vgpr_workitem_id 1
		.amdhsa_next_free_vgpr 27
		.amdhsa_next_free_sgpr 14
		.amdhsa_reserve_vcc 1
		.amdhsa_reserve_flat_scratch 1
		.amdhsa_float_round_mode_32 0
		.amdhsa_float_round_mode_16_64 0
		.amdhsa_float_denorm_mode_32 3
		.amdhsa_float_denorm_mode_16_64 3
		.amdhsa_dx10_clamp 1
		.amdhsa_ieee_mode 1
		.amdhsa_fp16_overflow 0
		.amdhsa_workgroup_processor_mode 1
		.amdhsa_memory_ordered 1
		.amdhsa_forward_progress 1
		.amdhsa_shared_vgpr_count 0
		.amdhsa_exception_fp_ieee_invalid_op 0
		.amdhsa_exception_fp_denorm_src 0
		.amdhsa_exception_fp_ieee_div_zero 0
		.amdhsa_exception_fp_ieee_overflow 0
		.amdhsa_exception_fp_ieee_underflow 0
		.amdhsa_exception_fp_ieee_inexact 0
		.amdhsa_exception_int_div_zero 0
	.end_amdhsa_kernel
	.section	.text._ZN9rocsolver6v33100L18getf2_small_kernelILi3EdiiPKPdEEvT1_T3_lS5_lPS5_llPT2_S5_S5_S7_l,"axG",@progbits,_ZN9rocsolver6v33100L18getf2_small_kernelILi3EdiiPKPdEEvT1_T3_lS5_lPS5_llPT2_S5_S5_S7_l,comdat
.Lfunc_end4:
	.size	_ZN9rocsolver6v33100L18getf2_small_kernelILi3EdiiPKPdEEvT1_T3_lS5_lPS5_llPT2_S5_S5_S7_l, .Lfunc_end4-_ZN9rocsolver6v33100L18getf2_small_kernelILi3EdiiPKPdEEvT1_T3_lS5_lPS5_llPT2_S5_S5_S7_l
                                        ; -- End function
	.set _ZN9rocsolver6v33100L18getf2_small_kernelILi3EdiiPKPdEEvT1_T3_lS5_lPS5_llPT2_S5_S5_S7_l.num_vgpr, 27
	.set _ZN9rocsolver6v33100L18getf2_small_kernelILi3EdiiPKPdEEvT1_T3_lS5_lPS5_llPT2_S5_S5_S7_l.num_agpr, 0
	.set _ZN9rocsolver6v33100L18getf2_small_kernelILi3EdiiPKPdEEvT1_T3_lS5_lPS5_llPT2_S5_S5_S7_l.numbered_sgpr, 14
	.set _ZN9rocsolver6v33100L18getf2_small_kernelILi3EdiiPKPdEEvT1_T3_lS5_lPS5_llPT2_S5_S5_S7_l.num_named_barrier, 0
	.set _ZN9rocsolver6v33100L18getf2_small_kernelILi3EdiiPKPdEEvT1_T3_lS5_lPS5_llPT2_S5_S5_S7_l.private_seg_size, 0
	.set _ZN9rocsolver6v33100L18getf2_small_kernelILi3EdiiPKPdEEvT1_T3_lS5_lPS5_llPT2_S5_S5_S7_l.uses_vcc, 1
	.set _ZN9rocsolver6v33100L18getf2_small_kernelILi3EdiiPKPdEEvT1_T3_lS5_lPS5_llPT2_S5_S5_S7_l.uses_flat_scratch, 1
	.set _ZN9rocsolver6v33100L18getf2_small_kernelILi3EdiiPKPdEEvT1_T3_lS5_lPS5_llPT2_S5_S5_S7_l.has_dyn_sized_stack, 0
	.set _ZN9rocsolver6v33100L18getf2_small_kernelILi3EdiiPKPdEEvT1_T3_lS5_lPS5_llPT2_S5_S5_S7_l.has_recursion, 0
	.set _ZN9rocsolver6v33100L18getf2_small_kernelILi3EdiiPKPdEEvT1_T3_lS5_lPS5_llPT2_S5_S5_S7_l.has_indirect_call, 0
	.section	.AMDGPU.csdata,"",@progbits
; Kernel info:
; codeLenInByte = 2116
; TotalNumSgprs: 16
; NumVgprs: 27
; ScratchSize: 0
; MemoryBound: 0
; FloatMode: 240
; IeeeMode: 1
; LDSByteSize: 0 bytes/workgroup (compile time only)
; SGPRBlocks: 0
; VGPRBlocks: 3
; NumSGPRsForWavesPerEU: 16
; NumVGPRsForWavesPerEU: 27
; Occupancy: 16
; WaveLimiterHint : 1
; COMPUTE_PGM_RSRC2:SCRATCH_EN: 0
; COMPUTE_PGM_RSRC2:USER_SGPR: 6
; COMPUTE_PGM_RSRC2:TRAP_HANDLER: 0
; COMPUTE_PGM_RSRC2:TGID_X_EN: 1
; COMPUTE_PGM_RSRC2:TGID_Y_EN: 1
; COMPUTE_PGM_RSRC2:TGID_Z_EN: 0
; COMPUTE_PGM_RSRC2:TIDIG_COMP_CNT: 1
	.section	.text._ZN9rocsolver6v33100L23getf2_npvt_small_kernelILi3EdiiPKPdEEvT1_T3_lS5_lPT2_S5_S5_,"axG",@progbits,_ZN9rocsolver6v33100L23getf2_npvt_small_kernelILi3EdiiPKPdEEvT1_T3_lS5_lPT2_S5_S5_,comdat
	.globl	_ZN9rocsolver6v33100L23getf2_npvt_small_kernelILi3EdiiPKPdEEvT1_T3_lS5_lPT2_S5_S5_ ; -- Begin function _ZN9rocsolver6v33100L23getf2_npvt_small_kernelILi3EdiiPKPdEEvT1_T3_lS5_lPT2_S5_S5_
	.p2align	8
	.type	_ZN9rocsolver6v33100L23getf2_npvt_small_kernelILi3EdiiPKPdEEvT1_T3_lS5_lPT2_S5_S5_,@function
_ZN9rocsolver6v33100L23getf2_npvt_small_kernelILi3EdiiPKPdEEvT1_T3_lS5_lPT2_S5_S5_: ; @_ZN9rocsolver6v33100L23getf2_npvt_small_kernelILi3EdiiPKPdEEvT1_T3_lS5_lPT2_S5_S5_
; %bb.0:
	s_clause 0x1
	s_load_dword s0, s[4:5], 0x44
	s_load_dwordx2 s[2:3], s[4:5], 0x30
	s_mov_b32 s1, exec_lo
	s_waitcnt lgkmcnt(0)
	s_lshr_b32 s0, s0, 16
	v_mad_u64_u32 v[2:3], null, s7, s0, v[1:2]
	v_cmpx_gt_i32_e64 s2, v2
	s_cbranch_execz .LBB5_19
; %bb.1:
	s_clause 0x1
	s_load_dwordx4 s[8:11], s[4:5], 0x8
	s_load_dword s6, s[4:5], 0x18
	v_ashrrev_i32_e32 v3, 31, v2
	v_lshlrev_b32_e32 v8, 3, v0
	v_lshlrev_b32_e32 v16, 3, v1
	v_mul_u32_u24_e32 v17, 24, v1
	s_mul_i32 s0, s0, 24
	v_lshlrev_b64 v[4:5], 3, v[2:3]
	v_cmp_ne_u32_e64 s1, 0, v0
	v_add3_u32 v1, 0, s0, v16
	v_cmp_eq_u32_e64 s0, 0, v0
	v_add_nc_u32_e32 v20, 0, v17
	s_waitcnt lgkmcnt(0)
	v_add_co_u32 v4, vcc_lo, s8, v4
	v_add_co_ci_u32_e64 v5, null, s9, v5, vcc_lo
	v_add3_u32 v6, s6, s6, v0
	s_lshl_b64 s[8:9], s[10:11], 3
	s_ashr_i32 s7, s6, 31
	global_load_dwordx2 v[4:5], v[4:5], off
	s_lshl_b64 s[6:7], s[6:7], 3
	v_ashrrev_i32_e32 v7, 31, v6
	s_waitcnt vmcnt(0)
	v_add_co_u32 v10, vcc_lo, v4, s8
	v_add_co_ci_u32_e64 v11, null, s9, v5, vcc_lo
	v_add_co_u32 v4, vcc_lo, v10, v8
	v_lshlrev_b64 v[8:9], 3, v[6:7]
	v_add_co_ci_u32_e64 v5, null, 0, v11, vcc_lo
	v_add_co_u32 v6, vcc_lo, v4, s6
	v_add_co_ci_u32_e64 v7, null, s7, v5, vcc_lo
	v_add_co_u32 v8, vcc_lo, v10, v8
	v_add_co_ci_u32_e64 v9, null, v11, v9, vcc_lo
	s_clause 0x2
	flat_load_dwordx2 v[10:11], v[4:5]
	flat_load_dwordx2 v[12:13], v[6:7]
	;; [unrolled: 1-line block ×3, first 2 shown]
	s_and_saveexec_b32 s2, s0
	s_cbranch_execz .LBB5_4
; %bb.2:
	s_waitcnt vmcnt(2) lgkmcnt(2)
	ds_write_b64 v1, v[10:11]
	s_waitcnt vmcnt(0) lgkmcnt(1)
	ds_write2_b64 v20, v[12:13], v[14:15] offset0:1 offset1:2
	ds_read_b64 v[16:17], v1
	s_waitcnt lgkmcnt(0)
	v_cmp_neq_f64_e32 vcc_lo, 0, v[16:17]
	s_and_b32 exec_lo, exec_lo, vcc_lo
	s_cbranch_execz .LBB5_4
; %bb.3:
	v_div_scale_f64 v[18:19], null, v[16:17], v[16:17], 1.0
	v_rcp_f64_e32 v[21:22], v[18:19]
	v_fma_f64 v[23:24], -v[18:19], v[21:22], 1.0
	v_fma_f64 v[21:22], v[21:22], v[23:24], v[21:22]
	v_fma_f64 v[23:24], -v[18:19], v[21:22], 1.0
	v_fma_f64 v[21:22], v[21:22], v[23:24], v[21:22]
	v_div_scale_f64 v[23:24], vcc_lo, 1.0, v[16:17], 1.0
	v_mul_f64 v[25:26], v[23:24], v[21:22]
	v_fma_f64 v[18:19], -v[18:19], v[25:26], v[23:24]
	v_div_fmas_f64 v[18:19], v[18:19], v[21:22], v[25:26]
	v_div_fixup_f64 v[16:17], v[18:19], v[16:17], 1.0
	ds_write_b64 v1, v[16:17]
.LBB5_4:
	s_or_b32 exec_lo, exec_lo, s2
	s_waitcnt vmcnt(0) lgkmcnt(0)
	s_barrier
	buffer_gl0_inv
	ds_read_b64 v[16:17], v1
	s_and_saveexec_b32 s2, s1
	s_cbranch_execz .LBB5_6
; %bb.5:
	s_waitcnt lgkmcnt(0)
	v_mul_f64 v[10:11], v[10:11], v[16:17]
	ds_read2_b64 v[21:24], v20 offset0:1 offset1:2
	s_waitcnt lgkmcnt(0)
	v_fma_f64 v[12:13], -v[10:11], v[21:22], v[12:13]
	v_fma_f64 v[14:15], -v[10:11], v[23:24], v[14:15]
.LBB5_6:
	s_or_b32 exec_lo, exec_lo, s2
	s_mov_b32 s1, exec_lo
	s_waitcnt lgkmcnt(0)
	s_barrier
	buffer_gl0_inv
	v_cmpx_eq_u32_e32 1, v0
	s_cbranch_execz .LBB5_9
; %bb.7:
	ds_write_b64 v1, v[12:13]
	ds_write_b64 v20, v[14:15] offset:16
	ds_read_b64 v[18:19], v1
	s_waitcnt lgkmcnt(0)
	v_cmp_neq_f64_e32 vcc_lo, 0, v[18:19]
	s_and_b32 exec_lo, exec_lo, vcc_lo
	s_cbranch_execz .LBB5_9
; %bb.8:
	v_div_scale_f64 v[21:22], null, v[18:19], v[18:19], 1.0
	v_rcp_f64_e32 v[23:24], v[21:22]
	v_fma_f64 v[25:26], -v[21:22], v[23:24], 1.0
	v_fma_f64 v[23:24], v[23:24], v[25:26], v[23:24]
	v_fma_f64 v[25:26], -v[21:22], v[23:24], 1.0
	v_fma_f64 v[23:24], v[23:24], v[25:26], v[23:24]
	v_div_scale_f64 v[25:26], vcc_lo, 1.0, v[18:19], 1.0
	v_mul_f64 v[27:28], v[25:26], v[23:24]
	v_fma_f64 v[21:22], -v[21:22], v[27:28], v[25:26]
	v_div_fmas_f64 v[21:22], v[21:22], v[23:24], v[27:28]
	v_div_fixup_f64 v[18:19], v[21:22], v[18:19], 1.0
	ds_write_b64 v1, v[18:19]
.LBB5_9:
	s_or_b32 exec_lo, exec_lo, s1
	s_waitcnt lgkmcnt(0)
	s_barrier
	buffer_gl0_inv
	ds_read_b64 v[18:19], v1
	s_mov_b32 s1, exec_lo
	v_cmpx_lt_u32_e32 1, v0
	s_cbranch_execz .LBB5_11
; %bb.10:
	s_waitcnt lgkmcnt(0)
	v_mul_f64 v[12:13], v[12:13], v[18:19]
	ds_read_b64 v[20:21], v20 offset:16
	s_waitcnt lgkmcnt(0)
	v_fma_f64 v[14:15], -v[12:13], v[20:21], v[14:15]
.LBB5_11:
	s_or_b32 exec_lo, exec_lo, s1
	s_mov_b32 s1, exec_lo
	s_waitcnt lgkmcnt(0)
	s_barrier
	buffer_gl0_inv
	v_cmpx_ne_u32_e32 2, v0
	s_xor_b32 s1, exec_lo, s1
	s_andn2_saveexec_b32 s1, s1
	s_cbranch_execz .LBB5_15
; %bb.12:
	s_mov_b32 s2, exec_lo
	ds_write_b64 v1, v[14:15]
	v_cmpx_neq_f64_e32 0, v[14:15]
	s_cbranch_execz .LBB5_14
; %bb.13:
	v_div_scale_f64 v[20:21], null, v[14:15], v[14:15], 1.0
	v_rcp_f64_e32 v[22:23], v[20:21]
	v_fma_f64 v[24:25], -v[20:21], v[22:23], 1.0
	v_fma_f64 v[22:23], v[22:23], v[24:25], v[22:23]
	v_fma_f64 v[24:25], -v[20:21], v[22:23], 1.0
	v_fma_f64 v[22:23], v[22:23], v[24:25], v[22:23]
	v_div_scale_f64 v[24:25], vcc_lo, 1.0, v[14:15], 1.0
	v_mul_f64 v[26:27], v[24:25], v[22:23]
	v_fma_f64 v[20:21], -v[20:21], v[26:27], v[24:25]
	v_div_fmas_f64 v[20:21], v[20:21], v[22:23], v[26:27]
	v_div_fixup_f64 v[20:21], v[20:21], v[14:15], 1.0
	ds_write_b64 v1, v[20:21]
.LBB5_14:
	s_or_b32 exec_lo, exec_lo, s2
.LBB5_15:
	s_or_b32 exec_lo, exec_lo, s1
	s_waitcnt lgkmcnt(0)
	s_barrier
	buffer_gl0_inv
	ds_read_b64 v[20:21], v1
	s_waitcnt lgkmcnt(0)
	s_barrier
	buffer_gl0_inv
	s_and_saveexec_b32 s2, s0
	s_cbranch_execz .LBB5_18
; %bb.16:
	s_load_dwordx2 s[0:1], s[4:5], 0x28
	v_lshlrev_b64 v[1:2], 2, v[2:3]
	s_waitcnt lgkmcnt(0)
	v_add_co_u32 v1, vcc_lo, s0, v1
	v_add_co_ci_u32_e64 v2, null, s1, v2, vcc_lo
	v_cmp_eq_f64_e32 vcc_lo, 0, v[16:17]
	v_cmp_neq_f64_e64 s0, 0, v[18:19]
	v_cmp_eq_f64_e64 s1, 0, v[20:21]
	global_load_dword v22, v[1:2], off
	v_cndmask_b32_e64 v3, 0, 1, vcc_lo
	s_or_b32 vcc_lo, s0, vcc_lo
	v_cndmask_b32_e32 v3, 2, v3, vcc_lo
	v_cmp_eq_u32_e32 vcc_lo, 0, v3
	s_and_b32 s0, s1, vcc_lo
	v_cndmask_b32_e64 v3, v3, 3, s0
	v_cmp_ne_u32_e64 s0, 0, v3
	s_waitcnt vmcnt(0)
	v_cmp_eq_u32_e32 vcc_lo, 0, v22
	s_and_b32 s0, vcc_lo, s0
	s_and_b32 exec_lo, exec_lo, s0
	s_cbranch_execz .LBB5_18
; %bb.17:
	v_add_nc_u32_e32 v3, s3, v3
	global_store_dword v[1:2], v3, off
.LBB5_18:
	s_or_b32 exec_lo, exec_lo, s2
	v_mul_f64 v[1:2], v[14:15], v[20:21]
	v_cmp_lt_u32_e32 vcc_lo, 2, v0
	v_cndmask_b32_e32 v2, v15, v2, vcc_lo
	v_cndmask_b32_e32 v1, v14, v1, vcc_lo
	flat_store_dwordx2 v[4:5], v[10:11]
	flat_store_dwordx2 v[6:7], v[12:13]
	;; [unrolled: 1-line block ×3, first 2 shown]
.LBB5_19:
	s_endpgm
	.section	.rodata,"a",@progbits
	.p2align	6, 0x0
	.amdhsa_kernel _ZN9rocsolver6v33100L23getf2_npvt_small_kernelILi3EdiiPKPdEEvT1_T3_lS5_lPT2_S5_S5_
		.amdhsa_group_segment_fixed_size 0
		.amdhsa_private_segment_fixed_size 0
		.amdhsa_kernarg_size 312
		.amdhsa_user_sgpr_count 6
		.amdhsa_user_sgpr_private_segment_buffer 1
		.amdhsa_user_sgpr_dispatch_ptr 0
		.amdhsa_user_sgpr_queue_ptr 0
		.amdhsa_user_sgpr_kernarg_segment_ptr 1
		.amdhsa_user_sgpr_dispatch_id 0
		.amdhsa_user_sgpr_flat_scratch_init 0
		.amdhsa_user_sgpr_private_segment_size 0
		.amdhsa_wavefront_size32 1
		.amdhsa_uses_dynamic_stack 0
		.amdhsa_system_sgpr_private_segment_wavefront_offset 0
		.amdhsa_system_sgpr_workgroup_id_x 1
		.amdhsa_system_sgpr_workgroup_id_y 1
		.amdhsa_system_sgpr_workgroup_id_z 0
		.amdhsa_system_sgpr_workgroup_info 0
		.amdhsa_system_vgpr_workitem_id 1
		.amdhsa_next_free_vgpr 29
		.amdhsa_next_free_sgpr 12
		.amdhsa_reserve_vcc 1
		.amdhsa_reserve_flat_scratch 1
		.amdhsa_float_round_mode_32 0
		.amdhsa_float_round_mode_16_64 0
		.amdhsa_float_denorm_mode_32 3
		.amdhsa_float_denorm_mode_16_64 3
		.amdhsa_dx10_clamp 1
		.amdhsa_ieee_mode 1
		.amdhsa_fp16_overflow 0
		.amdhsa_workgroup_processor_mode 1
		.amdhsa_memory_ordered 1
		.amdhsa_forward_progress 1
		.amdhsa_shared_vgpr_count 0
		.amdhsa_exception_fp_ieee_invalid_op 0
		.amdhsa_exception_fp_denorm_src 0
		.amdhsa_exception_fp_ieee_div_zero 0
		.amdhsa_exception_fp_ieee_overflow 0
		.amdhsa_exception_fp_ieee_underflow 0
		.amdhsa_exception_fp_ieee_inexact 0
		.amdhsa_exception_int_div_zero 0
	.end_amdhsa_kernel
	.section	.text._ZN9rocsolver6v33100L23getf2_npvt_small_kernelILi3EdiiPKPdEEvT1_T3_lS5_lPT2_S5_S5_,"axG",@progbits,_ZN9rocsolver6v33100L23getf2_npvt_small_kernelILi3EdiiPKPdEEvT1_T3_lS5_lPT2_S5_S5_,comdat
.Lfunc_end5:
	.size	_ZN9rocsolver6v33100L23getf2_npvt_small_kernelILi3EdiiPKPdEEvT1_T3_lS5_lPT2_S5_S5_, .Lfunc_end5-_ZN9rocsolver6v33100L23getf2_npvt_small_kernelILi3EdiiPKPdEEvT1_T3_lS5_lPT2_S5_S5_
                                        ; -- End function
	.set _ZN9rocsolver6v33100L23getf2_npvt_small_kernelILi3EdiiPKPdEEvT1_T3_lS5_lPT2_S5_S5_.num_vgpr, 29
	.set _ZN9rocsolver6v33100L23getf2_npvt_small_kernelILi3EdiiPKPdEEvT1_T3_lS5_lPT2_S5_S5_.num_agpr, 0
	.set _ZN9rocsolver6v33100L23getf2_npvt_small_kernelILi3EdiiPKPdEEvT1_T3_lS5_lPT2_S5_S5_.numbered_sgpr, 12
	.set _ZN9rocsolver6v33100L23getf2_npvt_small_kernelILi3EdiiPKPdEEvT1_T3_lS5_lPT2_S5_S5_.num_named_barrier, 0
	.set _ZN9rocsolver6v33100L23getf2_npvt_small_kernelILi3EdiiPKPdEEvT1_T3_lS5_lPT2_S5_S5_.private_seg_size, 0
	.set _ZN9rocsolver6v33100L23getf2_npvt_small_kernelILi3EdiiPKPdEEvT1_T3_lS5_lPT2_S5_S5_.uses_vcc, 1
	.set _ZN9rocsolver6v33100L23getf2_npvt_small_kernelILi3EdiiPKPdEEvT1_T3_lS5_lPT2_S5_S5_.uses_flat_scratch, 1
	.set _ZN9rocsolver6v33100L23getf2_npvt_small_kernelILi3EdiiPKPdEEvT1_T3_lS5_lPT2_S5_S5_.has_dyn_sized_stack, 0
	.set _ZN9rocsolver6v33100L23getf2_npvt_small_kernelILi3EdiiPKPdEEvT1_T3_lS5_lPT2_S5_S5_.has_recursion, 0
	.set _ZN9rocsolver6v33100L23getf2_npvt_small_kernelILi3EdiiPKPdEEvT1_T3_lS5_lPT2_S5_S5_.has_indirect_call, 0
	.section	.AMDGPU.csdata,"",@progbits
; Kernel info:
; codeLenInByte = 1140
; TotalNumSgprs: 14
; NumVgprs: 29
; ScratchSize: 0
; MemoryBound: 0
; FloatMode: 240
; IeeeMode: 1
; LDSByteSize: 0 bytes/workgroup (compile time only)
; SGPRBlocks: 0
; VGPRBlocks: 3
; NumSGPRsForWavesPerEU: 14
; NumVGPRsForWavesPerEU: 29
; Occupancy: 16
; WaveLimiterHint : 1
; COMPUTE_PGM_RSRC2:SCRATCH_EN: 0
; COMPUTE_PGM_RSRC2:USER_SGPR: 6
; COMPUTE_PGM_RSRC2:TRAP_HANDLER: 0
; COMPUTE_PGM_RSRC2:TGID_X_EN: 1
; COMPUTE_PGM_RSRC2:TGID_Y_EN: 1
; COMPUTE_PGM_RSRC2:TGID_Z_EN: 0
; COMPUTE_PGM_RSRC2:TIDIG_COMP_CNT: 1
	.section	.text._ZN9rocsolver6v33100L18getf2_small_kernelILi4EdiiPKPdEEvT1_T3_lS5_lPS5_llPT2_S5_S5_S7_l,"axG",@progbits,_ZN9rocsolver6v33100L18getf2_small_kernelILi4EdiiPKPdEEvT1_T3_lS5_lPS5_llPT2_S5_S5_S7_l,comdat
	.globl	_ZN9rocsolver6v33100L18getf2_small_kernelILi4EdiiPKPdEEvT1_T3_lS5_lPS5_llPT2_S5_S5_S7_l ; -- Begin function _ZN9rocsolver6v33100L18getf2_small_kernelILi4EdiiPKPdEEvT1_T3_lS5_lPS5_llPT2_S5_S5_S7_l
	.p2align	8
	.type	_ZN9rocsolver6v33100L18getf2_small_kernelILi4EdiiPKPdEEvT1_T3_lS5_lPS5_llPT2_S5_S5_S7_l,@function
_ZN9rocsolver6v33100L18getf2_small_kernelILi4EdiiPKPdEEvT1_T3_lS5_lPS5_llPT2_S5_S5_S7_l: ; @_ZN9rocsolver6v33100L18getf2_small_kernelILi4EdiiPKPdEEvT1_T3_lS5_lPS5_llPT2_S5_S5_S7_l
; %bb.0:
	s_clause 0x1
	s_load_dword s0, s[4:5], 0x6c
	s_load_dwordx2 s[12:13], s[4:5], 0x48
	s_waitcnt lgkmcnt(0)
	s_lshr_b32 s0, s0, 16
	v_mad_u64_u32 v[2:3], null, s7, s0, v[1:2]
	s_mov_b32 s0, exec_lo
	v_cmpx_gt_i32_e64 s12, v2
	s_cbranch_execz .LBB6_65
; %bb.1:
	s_clause 0x1
	s_load_dwordx4 s[0:3], s[4:5], 0x8
	s_load_dwordx4 s[8:11], s[4:5], 0x50
	v_ashrrev_i32_e32 v3, 31, v2
	v_mov_b32_e32 v12, 0
	v_mov_b32_e32 v13, 0
	v_lshlrev_b64 v[4:5], 3, v[2:3]
	s_waitcnt lgkmcnt(0)
	v_add_co_u32 v4, vcc_lo, s0, v4
	v_add_co_ci_u32_e64 v5, null, s1, v5, vcc_lo
	s_cmp_eq_u64 s[8:9], 0
	s_cselect_b32 s6, -1, 0
	global_load_dwordx2 v[4:5], v[4:5], off
	s_and_b32 vcc_lo, exec_lo, s6
	s_cbranch_vccnz .LBB6_3
; %bb.2:
	v_mul_lo_u32 v8, s11, v2
	v_mul_lo_u32 v9, s10, v3
	v_mad_u64_u32 v[6:7], null, s10, v2, 0
	v_add3_u32 v7, v7, v9, v8
	v_lshlrev_b64 v[6:7], 2, v[6:7]
	v_add_co_u32 v12, vcc_lo, s8, v6
	v_add_co_ci_u32_e64 v13, null, s9, v7, vcc_lo
.LBB6_3:
	s_load_dword s8, s[4:5], 0x18
	s_lshl_b64 s[0:1], s[2:3], 3
	v_lshlrev_b32_e32 v16, 3, v0
	s_waitcnt vmcnt(0)
	v_add_co_u32 v18, vcc_lo, v4, s0
	v_add_co_ci_u32_e64 v19, null, s1, v5, vcc_lo
	s_load_dword s2, s[4:5], 0x0
	v_add_co_u32 v6, vcc_lo, v18, v16
	v_add_co_ci_u32_e64 v7, null, 0, v19, vcc_lo
	flat_load_dwordx2 v[4:5], v[6:7]
	s_waitcnt lgkmcnt(0)
	v_add3_u32 v8, s8, s8, v0
	s_ashr_i32 s9, s8, 31
	s_lshl_b64 s[10:11], s[8:9], 3
	v_add_co_u32 v6, vcc_lo, v6, s10
	v_add_nc_u32_e32 v10, s8, v8
	v_ashrrev_i32_e32 v9, 31, v8
	v_add_co_ci_u32_e64 v7, null, s11, v7, vcc_lo
	s_max_i32 s0, s2, 4
	v_ashrrev_i32_e32 v11, 31, v10
	v_lshlrev_b64 v[8:9], 3, v[8:9]
	v_mul_lo_u32 v1, s0, v1
	s_cmp_lt_i32 s2, 2
	v_lshlrev_b64 v[10:11], 3, v[10:11]
	v_add_co_u32 v14, vcc_lo, v18, v8
	v_add_co_ci_u32_e64 v15, null, v19, v9, vcc_lo
	v_add_co_u32 v10, vcc_lo, v18, v10
	v_add_co_ci_u32_e64 v11, null, v19, v11, vcc_lo
	s_clause 0x2
	flat_load_dwordx2 v[8:9], v[6:7]
	flat_load_dwordx2 v[6:7], v[14:15]
	;; [unrolled: 1-line block ×3, first 2 shown]
	v_lshl_add_u32 v20, v1, 3, 0
	v_lshlrev_b32_e32 v21, 3, v1
	v_add_nc_u32_e32 v14, v20, v16
	v_mov_b32_e32 v16, 0
	s_waitcnt vmcnt(3)
	ds_write_b64 v14, v[4:5]
	s_waitcnt vmcnt(0) lgkmcnt(0)
	s_barrier
	buffer_gl0_inv
	ds_read_b64 v[14:15], v20
	s_cbranch_scc1 .LBB6_6
; %bb.4:
	v_add3_u32 v1, v21, 0, 8
	v_mov_b32_e32 v16, 0
	s_mov_b32 s0, 1
.LBB6_5:                                ; =>This Inner Loop Header: Depth=1
	ds_read_b64 v[22:23], v1
	v_add_nc_u32_e32 v1, 8, v1
	s_waitcnt lgkmcnt(0)
	v_cmp_lt_f64_e64 vcc_lo, |v[14:15]|, |v[22:23]|
	v_cndmask_b32_e32 v15, v15, v23, vcc_lo
	v_cndmask_b32_e32 v14, v14, v22, vcc_lo
	v_cndmask_b32_e64 v16, v16, s0, vcc_lo
	s_add_i32 s0, s0, 1
	s_cmp_eq_u32 s2, s0
	s_cbranch_scc0 .LBB6_5
.LBB6_6:
	s_mov_b32 s0, exec_lo
                                        ; implicit-def: $vgpr22
	v_cmpx_ne_u32_e64 v0, v16
	s_xor_b32 s0, exec_lo, s0
	s_cbranch_execz .LBB6_12
; %bb.7:
	s_mov_b32 s1, exec_lo
	v_cmpx_eq_u32_e32 0, v0
	s_cbranch_execz .LBB6_11
; %bb.8:
	v_cmp_ne_u32_e32 vcc_lo, 0, v16
	s_xor_b32 s3, s6, -1
	s_and_b32 s7, s3, vcc_lo
	s_and_saveexec_b32 s3, s7
	s_cbranch_execz .LBB6_10
; %bb.9:
	v_ashrrev_i32_e32 v17, 31, v16
	v_lshlrev_b64 v[0:1], 2, v[16:17]
	v_add_co_u32 v0, vcc_lo, v12, v0
	v_add_co_ci_u32_e64 v1, null, v13, v1, vcc_lo
	s_clause 0x1
	global_load_dword v17, v[0:1], off
	global_load_dword v22, v[12:13], off
	s_waitcnt vmcnt(1)
	global_store_dword v[12:13], v17, off
	s_waitcnt vmcnt(0)
	global_store_dword v[0:1], v22, off
.LBB6_10:
	s_or_b32 exec_lo, exec_lo, s3
	v_mov_b32_e32 v0, v16
.LBB6_11:
	s_or_b32 exec_lo, exec_lo, s1
	v_mov_b32_e32 v22, v0
                                        ; implicit-def: $vgpr0
.LBB6_12:
	s_or_saveexec_b32 s0, s0
	v_mov_b32_e32 v17, v22
	s_xor_b32 exec_lo, exec_lo, s0
	s_cbranch_execz .LBB6_14
; %bb.13:
	v_mov_b32_e32 v22, 0
	v_mov_b32_e32 v17, v0
	ds_write2_b64 v20, v[8:9], v[6:7] offset0:1 offset1:2
	ds_write_b64 v20, v[10:11] offset:24
.LBB6_14:
	s_or_b32 exec_lo, exec_lo, s0
	s_waitcnt lgkmcnt(0)
	v_cmp_eq_f64_e64 s0, 0, v[14:15]
	s_mov_b32 s1, exec_lo
	s_waitcnt_vscnt null, 0x0
	s_barrier
	buffer_gl0_inv
	v_cmpx_lt_i32_e32 0, v22
	s_cbranch_execz .LBB6_16
; %bb.15:
	v_div_scale_f64 v[0:1], null, v[14:15], v[14:15], 1.0
	v_div_scale_f64 v[27:28], vcc_lo, 1.0, v[14:15], 1.0
	v_rcp_f64_e32 v[23:24], v[0:1]
	v_fma_f64 v[25:26], -v[0:1], v[23:24], 1.0
	v_fma_f64 v[23:24], v[23:24], v[25:26], v[23:24]
	v_fma_f64 v[25:26], -v[0:1], v[23:24], 1.0
	v_fma_f64 v[23:24], v[23:24], v[25:26], v[23:24]
	v_mul_f64 v[25:26], v[27:28], v[23:24]
	v_fma_f64 v[0:1], -v[0:1], v[25:26], v[27:28]
	v_div_fmas_f64 v[0:1], v[0:1], v[23:24], v[25:26]
	v_div_fixup_f64 v[0:1], v[0:1], v[14:15], 1.0
	v_cndmask_b32_e64 v1, v1, v15, s0
	v_cndmask_b32_e64 v0, v0, v14, s0
	v_mul_f64 v[4:5], v[4:5], v[0:1]
	ds_read2_b64 v[23:26], v20 offset0:1 offset1:2
	ds_read_b64 v[0:1], v20 offset:24
	s_waitcnt lgkmcnt(1)
	v_fma_f64 v[8:9], -v[4:5], v[23:24], v[8:9]
	v_fma_f64 v[6:7], -v[4:5], v[25:26], v[6:7]
	s_waitcnt lgkmcnt(0)
	v_fma_f64 v[10:11], -v[4:5], v[0:1], v[10:11]
.LBB6_16:
	s_or_b32 exec_lo, exec_lo, s1
	v_lshl_add_u32 v0, v22, 3, v20
	s_barrier
	buffer_gl0_inv
	v_mov_b32_e32 v14, 1
	ds_write_b64 v0, v[8:9]
	s_waitcnt lgkmcnt(0)
	s_barrier
	buffer_gl0_inv
	ds_read_b64 v[0:1], v20 offset:8
	s_cmp_lt_i32 s2, 3
	s_cbranch_scc1 .LBB6_19
; %bb.17:
	v_add3_u32 v15, v21, 0, 16
	v_mov_b32_e32 v14, 1
	s_mov_b32 s1, 2
.LBB6_18:                               ; =>This Inner Loop Header: Depth=1
	ds_read_b64 v[23:24], v15
	v_add_nc_u32_e32 v15, 8, v15
	s_waitcnt lgkmcnt(0)
	v_cmp_lt_f64_e64 vcc_lo, |v[0:1]|, |v[23:24]|
	v_cndmask_b32_e32 v1, v1, v24, vcc_lo
	v_cndmask_b32_e32 v0, v0, v23, vcc_lo
	v_cndmask_b32_e64 v14, v14, s1, vcc_lo
	s_add_i32 s1, s1, 1
	s_cmp_lg_u32 s2, s1
	s_cbranch_scc1 .LBB6_18
.LBB6_19:
	s_mov_b32 s1, exec_lo
	v_cmpx_ne_u32_e64 v22, v14
	s_xor_b32 s1, exec_lo, s1
	s_cbranch_execz .LBB6_25
; %bb.20:
	s_mov_b32 s3, exec_lo
	v_cmpx_eq_u32_e32 1, v22
	s_cbranch_execz .LBB6_24
; %bb.21:
	v_cmp_ne_u32_e32 vcc_lo, 1, v14
	s_xor_b32 s7, s6, -1
	s_and_b32 s9, s7, vcc_lo
	s_and_saveexec_b32 s7, s9
	s_cbranch_execz .LBB6_23
; %bb.22:
	v_ashrrev_i32_e32 v15, 31, v14
	v_lshlrev_b64 v[15:16], 2, v[14:15]
	v_add_co_u32 v15, vcc_lo, v12, v15
	v_add_co_ci_u32_e64 v16, null, v13, v16, vcc_lo
	s_clause 0x1
	global_load_dword v17, v[15:16], off
	global_load_dword v22, v[12:13], off offset:4
	s_waitcnt vmcnt(1)
	global_store_dword v[12:13], v17, off offset:4
	s_waitcnt vmcnt(0)
	global_store_dword v[15:16], v22, off
.LBB6_23:
	s_or_b32 exec_lo, exec_lo, s7
	v_mov_b32_e32 v17, v14
	v_mov_b32_e32 v22, v14
.LBB6_24:
	s_or_b32 exec_lo, exec_lo, s3
.LBB6_25:
	s_andn2_saveexec_b32 s1, s1
; %bb.26:
	v_mov_b32_e32 v22, 1
	ds_write2_b64 v20, v[6:7], v[10:11] offset0:2 offset1:3
; %bb.27:
	s_or_b32 exec_lo, exec_lo, s1
	s_waitcnt lgkmcnt(0)
	v_cmp_neq_f64_e64 s1, 0, v[0:1]
	s_mov_b32 s3, exec_lo
	s_waitcnt_vscnt null, 0x0
	s_barrier
	buffer_gl0_inv
	v_cmpx_lt_i32_e32 1, v22
	s_cbranch_execz .LBB6_29
; %bb.28:
	v_div_scale_f64 v[14:15], null, v[0:1], v[0:1], 1.0
	v_div_scale_f64 v[27:28], vcc_lo, 1.0, v[0:1], 1.0
	v_rcp_f64_e32 v[23:24], v[14:15]
	v_fma_f64 v[25:26], -v[14:15], v[23:24], 1.0
	v_fma_f64 v[23:24], v[23:24], v[25:26], v[23:24]
	v_fma_f64 v[25:26], -v[14:15], v[23:24], 1.0
	v_fma_f64 v[23:24], v[23:24], v[25:26], v[23:24]
	v_mul_f64 v[25:26], v[27:28], v[23:24]
	v_fma_f64 v[14:15], -v[14:15], v[25:26], v[27:28]
	v_div_fmas_f64 v[14:15], v[14:15], v[23:24], v[25:26]
	ds_read2_b64 v[23:26], v20 offset0:2 offset1:3
	v_div_fixup_f64 v[14:15], v[14:15], v[0:1], 1.0
	v_cndmask_b32_e64 v1, v1, v15, s1
	v_cndmask_b32_e64 v0, v0, v14, s1
	v_mul_f64 v[8:9], v[8:9], v[0:1]
	s_waitcnt lgkmcnt(0)
	v_fma_f64 v[6:7], -v[8:9], v[23:24], v[6:7]
	v_fma_f64 v[10:11], -v[8:9], v[25:26], v[10:11]
.LBB6_29:
	s_or_b32 exec_lo, exec_lo, s3
	v_lshl_add_u32 v0, v22, 3, v20
	s_barrier
	buffer_gl0_inv
	v_mov_b32_e32 v14, 2
	ds_write_b64 v0, v[6:7]
	s_waitcnt lgkmcnt(0)
	s_barrier
	buffer_gl0_inv
	ds_read_b64 v[0:1], v20 offset:16
	s_cmp_lt_i32 s2, 4
	s_mov_b32 s3, 3
	s_cbranch_scc1 .LBB6_32
; %bb.30:
	v_add3_u32 v15, v21, 0, 24
	v_mov_b32_e32 v14, 2
.LBB6_31:                               ; =>This Inner Loop Header: Depth=1
	ds_read_b64 v[23:24], v15
	v_add_nc_u32_e32 v15, 8, v15
	s_waitcnt lgkmcnt(0)
	v_cmp_lt_f64_e64 vcc_lo, |v[0:1]|, |v[23:24]|
	v_cndmask_b32_e32 v1, v1, v24, vcc_lo
	v_cndmask_b32_e32 v0, v0, v23, vcc_lo
	v_cndmask_b32_e64 v14, v14, s3, vcc_lo
	s_add_i32 s3, s3, 1
	s_cmp_lg_u32 s2, s3
	s_cbranch_scc1 .LBB6_31
.LBB6_32:
	v_cndmask_b32_e64 v15, 2, 1, s0
	v_cndmask_b32_e64 v16, 0, 1, s0
	s_mov_b32 s0, exec_lo
	v_cndmask_b32_e64 v23, v15, v16, s1
	s_waitcnt lgkmcnt(0)
	v_cmpx_eq_f64_e32 0, v[0:1]
	s_xor_b32 s0, exec_lo, s0
; %bb.33:
	v_cmp_ne_u32_e32 vcc_lo, 0, v23
	v_cndmask_b32_e32 v23, 3, v23, vcc_lo
; %bb.34:
	s_andn2_saveexec_b32 s0, s0
	s_cbranch_execz .LBB6_36
; %bb.35:
	v_div_scale_f64 v[15:16], null, v[0:1], v[0:1], 1.0
	v_rcp_f64_e32 v[24:25], v[15:16]
	v_fma_f64 v[26:27], -v[15:16], v[24:25], 1.0
	v_fma_f64 v[24:25], v[24:25], v[26:27], v[24:25]
	v_fma_f64 v[26:27], -v[15:16], v[24:25], 1.0
	v_fma_f64 v[24:25], v[24:25], v[26:27], v[24:25]
	v_div_scale_f64 v[26:27], vcc_lo, 1.0, v[0:1], 1.0
	v_mul_f64 v[28:29], v[26:27], v[24:25]
	v_fma_f64 v[15:16], -v[15:16], v[28:29], v[26:27]
	v_div_fmas_f64 v[15:16], v[15:16], v[24:25], v[28:29]
	v_div_fixup_f64 v[0:1], v[15:16], v[0:1], 1.0
.LBB6_36:
	s_or_b32 exec_lo, exec_lo, s0
	s_mov_b32 s0, exec_lo
	v_cmpx_ne_u32_e64 v22, v14
	s_xor_b32 s0, exec_lo, s0
	s_cbranch_execz .LBB6_42
; %bb.37:
	s_mov_b32 s1, exec_lo
	v_cmpx_eq_u32_e32 2, v22
	s_cbranch_execz .LBB6_41
; %bb.38:
	v_cmp_ne_u32_e32 vcc_lo, 2, v14
	s_xor_b32 s3, s6, -1
	s_and_b32 s7, s3, vcc_lo
	s_and_saveexec_b32 s3, s7
	s_cbranch_execz .LBB6_40
; %bb.39:
	v_ashrrev_i32_e32 v15, 31, v14
	v_lshlrev_b64 v[15:16], 2, v[14:15]
	v_add_co_u32 v15, vcc_lo, v12, v15
	v_add_co_ci_u32_e64 v16, null, v13, v16, vcc_lo
	s_clause 0x1
	global_load_dword v17, v[15:16], off
	global_load_dword v22, v[12:13], off offset:8
	s_waitcnt vmcnt(1)
	global_store_dword v[12:13], v17, off offset:8
	s_waitcnt vmcnt(0)
	global_store_dword v[15:16], v22, off
.LBB6_40:
	s_or_b32 exec_lo, exec_lo, s3
	v_mov_b32_e32 v17, v14
	v_mov_b32_e32 v22, v14
.LBB6_41:
	s_or_b32 exec_lo, exec_lo, s1
.LBB6_42:
	s_andn2_saveexec_b32 s0, s0
; %bb.43:
	v_mov_b32_e32 v22, 2
	ds_write_b64 v20, v[10:11] offset:24
; %bb.44:
	s_or_b32 exec_lo, exec_lo, s0
	s_mov_b32 s0, exec_lo
	s_waitcnt lgkmcnt(0)
	s_waitcnt_vscnt null, 0x0
	s_barrier
	buffer_gl0_inv
	v_cmpx_lt_i32_e32 2, v22
	s_cbranch_execz .LBB6_46
; %bb.45:
	v_mul_f64 v[6:7], v[6:7], v[0:1]
	ds_read_b64 v[0:1], v20 offset:24
	s_waitcnt lgkmcnt(0)
	v_fma_f64 v[10:11], -v[6:7], v[0:1], v[10:11]
.LBB6_46:
	s_or_b32 exec_lo, exec_lo, s0
	v_lshl_add_u32 v0, v22, 3, v20
	s_barrier
	buffer_gl0_inv
	v_mov_b32_e32 v14, 3
	ds_write_b64 v0, v[10:11]
	s_waitcnt lgkmcnt(0)
	s_barrier
	buffer_gl0_inv
	ds_read_b64 v[0:1], v20 offset:24
	s_cmp_lt_i32 s2, 5
	s_cbranch_scc1 .LBB6_49
; %bb.47:
	v_mov_b32_e32 v14, 3
	v_add3_u32 v15, v21, 0, 32
	s_mov_b32 s0, 4
.LBB6_48:                               ; =>This Inner Loop Header: Depth=1
	ds_read_b64 v[20:21], v15
	v_add_nc_u32_e32 v15, 8, v15
	s_waitcnt lgkmcnt(0)
	v_cmp_lt_f64_e64 vcc_lo, |v[0:1]|, |v[20:21]|
	v_cndmask_b32_e32 v1, v1, v21, vcc_lo
	v_cndmask_b32_e32 v0, v0, v20, vcc_lo
	v_cndmask_b32_e64 v14, v14, s0, vcc_lo
	s_add_i32 s0, s0, 1
	s_cmp_lg_u32 s2, s0
	s_cbranch_scc1 .LBB6_48
.LBB6_49:
	s_mov_b32 s0, exec_lo
	s_waitcnt lgkmcnt(0)
	v_cmpx_eq_f64_e32 0, v[0:1]
	s_xor_b32 s0, exec_lo, s0
; %bb.50:
	v_cmp_ne_u32_e32 vcc_lo, 0, v23
	v_cndmask_b32_e32 v23, 4, v23, vcc_lo
; %bb.51:
	s_andn2_saveexec_b32 s0, s0
	s_cbranch_execz .LBB6_53
; %bb.52:
	v_div_scale_f64 v[15:16], null, v[0:1], v[0:1], 1.0
	v_rcp_f64_e32 v[20:21], v[15:16]
	v_fma_f64 v[24:25], -v[15:16], v[20:21], 1.0
	v_fma_f64 v[20:21], v[20:21], v[24:25], v[20:21]
	v_fma_f64 v[24:25], -v[15:16], v[20:21], 1.0
	v_fma_f64 v[20:21], v[20:21], v[24:25], v[20:21]
	v_div_scale_f64 v[24:25], vcc_lo, 1.0, v[0:1], 1.0
	v_mul_f64 v[26:27], v[24:25], v[20:21]
	v_fma_f64 v[15:16], -v[15:16], v[26:27], v[24:25]
	v_div_fmas_f64 v[15:16], v[15:16], v[20:21], v[26:27]
	v_div_fixup_f64 v[0:1], v[15:16], v[0:1], 1.0
.LBB6_53:
	s_or_b32 exec_lo, exec_lo, s0
	v_mov_b32_e32 v15, 3
	s_mov_b32 s0, exec_lo
	v_cmpx_ne_u32_e64 v22, v14
	s_cbranch_execz .LBB6_59
; %bb.54:
	s_mov_b32 s1, exec_lo
	v_cmpx_eq_u32_e32 3, v22
	s_cbranch_execz .LBB6_58
; %bb.55:
	v_cmp_ne_u32_e32 vcc_lo, 3, v14
	s_xor_b32 s2, s6, -1
	s_and_b32 s3, s2, vcc_lo
	s_and_saveexec_b32 s2, s3
	s_cbranch_execz .LBB6_57
; %bb.56:
	v_ashrrev_i32_e32 v15, 31, v14
	v_lshlrev_b64 v[15:16], 2, v[14:15]
	v_add_co_u32 v15, vcc_lo, v12, v15
	v_add_co_ci_u32_e64 v16, null, v13, v16, vcc_lo
	s_clause 0x1
	global_load_dword v17, v[15:16], off
	global_load_dword v20, v[12:13], off offset:12
	s_waitcnt vmcnt(1)
	global_store_dword v[12:13], v17, off offset:12
	s_waitcnt vmcnt(0)
	global_store_dword v[15:16], v20, off
.LBB6_57:
	s_or_b32 exec_lo, exec_lo, s2
	v_mov_b32_e32 v17, v14
	v_mov_b32_e32 v22, v14
.LBB6_58:
	s_or_b32 exec_lo, exec_lo, s1
	v_mov_b32_e32 v15, v22
.LBB6_59:
	s_or_b32 exec_lo, exec_lo, s0
	s_load_dwordx8 s[0:7], s[4:5], 0x28
	v_ashrrev_i32_e32 v16, 31, v15
	s_mov_b32 s9, exec_lo
	s_waitcnt lgkmcnt(0)
	s_waitcnt_vscnt null, 0x0
	s_barrier
	buffer_gl0_inv
	s_barrier
	buffer_gl0_inv
	v_cmpx_gt_i32_e32 4, v15
	s_cbranch_execz .LBB6_61
; %bb.60:
	v_mul_lo_u32 v14, s5, v2
	v_mul_lo_u32 v20, s4, v3
	v_mad_u64_u32 v[12:13], null, s4, v2, 0
	s_lshl_b64 s[2:3], s[2:3], 2
	v_add3_u32 v13, v13, v20, v14
	v_lshlrev_b64 v[12:13], 2, v[12:13]
	v_add_co_u32 v14, vcc_lo, s0, v12
	v_add_co_ci_u32_e64 v20, null, s1, v13, vcc_lo
	v_lshlrev_b64 v[12:13], 2, v[15:16]
	v_add_co_u32 v14, vcc_lo, v14, s2
	v_add_co_ci_u32_e64 v20, null, s3, v20, vcc_lo
	v_add_co_u32 v12, vcc_lo, v14, v12
	v_add_co_ci_u32_e64 v13, null, v20, v13, vcc_lo
	v_add3_u32 v14, v17, s13, 1
	global_store_dword v[12:13], v14, off
.LBB6_61:
	s_or_b32 exec_lo, exec_lo, s9
	s_mov_b32 s1, exec_lo
	v_cmpx_eq_u32_e32 0, v15
	s_cbranch_execz .LBB6_64
; %bb.62:
	v_lshlrev_b64 v[2:3], 2, v[2:3]
	v_cmp_ne_u32_e64 s0, 0, v23
	v_add_co_u32 v2, vcc_lo, s6, v2
	v_add_co_ci_u32_e64 v3, null, s7, v3, vcc_lo
	global_load_dword v12, v[2:3], off
	s_waitcnt vmcnt(0)
	v_cmp_eq_u32_e32 vcc_lo, 0, v12
	s_and_b32 s0, vcc_lo, s0
	s_and_b32 exec_lo, exec_lo, s0
	s_cbranch_execz .LBB6_64
; %bb.63:
	v_add_nc_u32_e32 v12, s13, v23
	global_store_dword v[2:3], v12, off
.LBB6_64:
	s_or_b32 exec_lo, exec_lo, s1
	v_mul_f64 v[0:1], v[10:11], v[0:1]
	v_add3_u32 v2, s8, s8, v15
	v_lshlrev_b64 v[12:13], 3, v[15:16]
	v_cmp_lt_i32_e32 vcc_lo, 3, v15
	v_add_nc_u32_e32 v14, s8, v2
	v_ashrrev_i32_e32 v3, 31, v2
	v_add_co_u32 v12, s0, v18, v12
	v_add_co_ci_u32_e64 v13, null, v19, v13, s0
	v_ashrrev_i32_e32 v15, 31, v14
	v_lshlrev_b64 v[2:3], 3, v[2:3]
	v_add_co_u32 v16, s0, v12, s10
	v_add_co_ci_u32_e64 v17, null, s11, v13, s0
	v_lshlrev_b64 v[14:15], 3, v[14:15]
	v_add_co_u32 v2, s0, v18, v2
	v_add_co_ci_u32_e64 v3, null, v19, v3, s0
	v_cndmask_b32_e32 v1, v11, v1, vcc_lo
	v_cndmask_b32_e32 v0, v10, v0, vcc_lo
	v_add_co_u32 v10, vcc_lo, v18, v14
	v_add_co_ci_u32_e64 v11, null, v19, v15, vcc_lo
	flat_store_dwordx2 v[12:13], v[4:5]
	flat_store_dwordx2 v[16:17], v[8:9]
	;; [unrolled: 1-line block ×4, first 2 shown]
.LBB6_65:
	s_endpgm
	.section	.rodata,"a",@progbits
	.p2align	6, 0x0
	.amdhsa_kernel _ZN9rocsolver6v33100L18getf2_small_kernelILi4EdiiPKPdEEvT1_T3_lS5_lPS5_llPT2_S5_S5_S7_l
		.amdhsa_group_segment_fixed_size 0
		.amdhsa_private_segment_fixed_size 0
		.amdhsa_kernarg_size 352
		.amdhsa_user_sgpr_count 6
		.amdhsa_user_sgpr_private_segment_buffer 1
		.amdhsa_user_sgpr_dispatch_ptr 0
		.amdhsa_user_sgpr_queue_ptr 0
		.amdhsa_user_sgpr_kernarg_segment_ptr 1
		.amdhsa_user_sgpr_dispatch_id 0
		.amdhsa_user_sgpr_flat_scratch_init 0
		.amdhsa_user_sgpr_private_segment_size 0
		.amdhsa_wavefront_size32 1
		.amdhsa_uses_dynamic_stack 0
		.amdhsa_system_sgpr_private_segment_wavefront_offset 0
		.amdhsa_system_sgpr_workgroup_id_x 1
		.amdhsa_system_sgpr_workgroup_id_y 1
		.amdhsa_system_sgpr_workgroup_id_z 0
		.amdhsa_system_sgpr_workgroup_info 0
		.amdhsa_system_vgpr_workitem_id 1
		.amdhsa_next_free_vgpr 30
		.amdhsa_next_free_sgpr 14
		.amdhsa_reserve_vcc 1
		.amdhsa_reserve_flat_scratch 1
		.amdhsa_float_round_mode_32 0
		.amdhsa_float_round_mode_16_64 0
		.amdhsa_float_denorm_mode_32 3
		.amdhsa_float_denorm_mode_16_64 3
		.amdhsa_dx10_clamp 1
		.amdhsa_ieee_mode 1
		.amdhsa_fp16_overflow 0
		.amdhsa_workgroup_processor_mode 1
		.amdhsa_memory_ordered 1
		.amdhsa_forward_progress 1
		.amdhsa_shared_vgpr_count 0
		.amdhsa_exception_fp_ieee_invalid_op 0
		.amdhsa_exception_fp_denorm_src 0
		.amdhsa_exception_fp_ieee_div_zero 0
		.amdhsa_exception_fp_ieee_overflow 0
		.amdhsa_exception_fp_ieee_underflow 0
		.amdhsa_exception_fp_ieee_inexact 0
		.amdhsa_exception_int_div_zero 0
	.end_amdhsa_kernel
	.section	.text._ZN9rocsolver6v33100L18getf2_small_kernelILi4EdiiPKPdEEvT1_T3_lS5_lPS5_llPT2_S5_S5_S7_l,"axG",@progbits,_ZN9rocsolver6v33100L18getf2_small_kernelILi4EdiiPKPdEEvT1_T3_lS5_lPS5_llPT2_S5_S5_S7_l,comdat
.Lfunc_end6:
	.size	_ZN9rocsolver6v33100L18getf2_small_kernelILi4EdiiPKPdEEvT1_T3_lS5_lPS5_llPT2_S5_S5_S7_l, .Lfunc_end6-_ZN9rocsolver6v33100L18getf2_small_kernelILi4EdiiPKPdEEvT1_T3_lS5_lPS5_llPT2_S5_S5_S7_l
                                        ; -- End function
	.set _ZN9rocsolver6v33100L18getf2_small_kernelILi4EdiiPKPdEEvT1_T3_lS5_lPS5_llPT2_S5_S5_S7_l.num_vgpr, 30
	.set _ZN9rocsolver6v33100L18getf2_small_kernelILi4EdiiPKPdEEvT1_T3_lS5_lPS5_llPT2_S5_S5_S7_l.num_agpr, 0
	.set _ZN9rocsolver6v33100L18getf2_small_kernelILi4EdiiPKPdEEvT1_T3_lS5_lPS5_llPT2_S5_S5_S7_l.numbered_sgpr, 14
	.set _ZN9rocsolver6v33100L18getf2_small_kernelILi4EdiiPKPdEEvT1_T3_lS5_lPS5_llPT2_S5_S5_S7_l.num_named_barrier, 0
	.set _ZN9rocsolver6v33100L18getf2_small_kernelILi4EdiiPKPdEEvT1_T3_lS5_lPS5_llPT2_S5_S5_S7_l.private_seg_size, 0
	.set _ZN9rocsolver6v33100L18getf2_small_kernelILi4EdiiPKPdEEvT1_T3_lS5_lPS5_llPT2_S5_S5_S7_l.uses_vcc, 1
	.set _ZN9rocsolver6v33100L18getf2_small_kernelILi4EdiiPKPdEEvT1_T3_lS5_lPS5_llPT2_S5_S5_S7_l.uses_flat_scratch, 1
	.set _ZN9rocsolver6v33100L18getf2_small_kernelILi4EdiiPKPdEEvT1_T3_lS5_lPS5_llPT2_S5_S5_S7_l.has_dyn_sized_stack, 0
	.set _ZN9rocsolver6v33100L18getf2_small_kernelILi4EdiiPKPdEEvT1_T3_lS5_lPS5_llPT2_S5_S5_S7_l.has_recursion, 0
	.set _ZN9rocsolver6v33100L18getf2_small_kernelILi4EdiiPKPdEEvT1_T3_lS5_lPS5_llPT2_S5_S5_S7_l.has_indirect_call, 0
	.section	.AMDGPU.csdata,"",@progbits
; Kernel info:
; codeLenInByte = 2712
; TotalNumSgprs: 16
; NumVgprs: 30
; ScratchSize: 0
; MemoryBound: 0
; FloatMode: 240
; IeeeMode: 1
; LDSByteSize: 0 bytes/workgroup (compile time only)
; SGPRBlocks: 0
; VGPRBlocks: 3
; NumSGPRsForWavesPerEU: 16
; NumVGPRsForWavesPerEU: 30
; Occupancy: 16
; WaveLimiterHint : 1
; COMPUTE_PGM_RSRC2:SCRATCH_EN: 0
; COMPUTE_PGM_RSRC2:USER_SGPR: 6
; COMPUTE_PGM_RSRC2:TRAP_HANDLER: 0
; COMPUTE_PGM_RSRC2:TGID_X_EN: 1
; COMPUTE_PGM_RSRC2:TGID_Y_EN: 1
; COMPUTE_PGM_RSRC2:TGID_Z_EN: 0
; COMPUTE_PGM_RSRC2:TIDIG_COMP_CNT: 1
	.section	.text._ZN9rocsolver6v33100L23getf2_npvt_small_kernelILi4EdiiPKPdEEvT1_T3_lS5_lPT2_S5_S5_,"axG",@progbits,_ZN9rocsolver6v33100L23getf2_npvt_small_kernelILi4EdiiPKPdEEvT1_T3_lS5_lPT2_S5_S5_,comdat
	.globl	_ZN9rocsolver6v33100L23getf2_npvt_small_kernelILi4EdiiPKPdEEvT1_T3_lS5_lPT2_S5_S5_ ; -- Begin function _ZN9rocsolver6v33100L23getf2_npvt_small_kernelILi4EdiiPKPdEEvT1_T3_lS5_lPT2_S5_S5_
	.p2align	8
	.type	_ZN9rocsolver6v33100L23getf2_npvt_small_kernelILi4EdiiPKPdEEvT1_T3_lS5_lPT2_S5_S5_,@function
_ZN9rocsolver6v33100L23getf2_npvt_small_kernelILi4EdiiPKPdEEvT1_T3_lS5_lPT2_S5_S5_: ; @_ZN9rocsolver6v33100L23getf2_npvt_small_kernelILi4EdiiPKPdEEvT1_T3_lS5_lPT2_S5_S5_
; %bb.0:
	s_clause 0x1
	s_load_dword s0, s[4:5], 0x44
	s_load_dwordx2 s[2:3], s[4:5], 0x30
	s_mov_b32 s1, exec_lo
	s_waitcnt lgkmcnt(0)
	s_lshr_b32 s0, s0, 16
	v_mad_u64_u32 v[2:3], null, s7, s0, v[1:2]
	v_cmpx_gt_i32_e64 s2, v2
	s_cbranch_execz .LBB7_24
; %bb.1:
	s_clause 0x1
	s_load_dwordx4 s[8:11], s[4:5], 0x8
	s_load_dword s6, s[4:5], 0x18
	v_ashrrev_i32_e32 v3, 31, v2
	v_lshlrev_b32_e32 v12, 3, v0
	v_lshlrev_b32_e32 v20, 3, v1
	;; [unrolled: 1-line block ×3, first 2 shown]
	s_lshl_b32 s0, s0, 5
	v_lshlrev_b64 v[4:5], 3, v[2:3]
	v_cmp_ne_u32_e64 s1, 0, v0
	v_add3_u32 v1, 0, s0, v20
	v_cmp_eq_u32_e64 s0, 0, v0
	v_add_nc_u32_e32 v26, 0, v21
	s_waitcnt lgkmcnt(0)
	v_add_co_u32 v4, vcc_lo, s8, v4
	v_add_co_ci_u32_e64 v5, null, s9, v5, vcc_lo
	v_add3_u32 v6, s6, s6, v0
	s_lshl_b64 s[8:9], s[10:11], 3
	s_ashr_i32 s7, s6, 31
	global_load_dwordx2 v[4:5], v[4:5], off
	v_add_nc_u32_e32 v8, s6, v6
	v_ashrrev_i32_e32 v7, 31, v6
	s_lshl_b64 s[6:7], s[6:7], 3
	v_ashrrev_i32_e32 v9, 31, v8
	v_lshlrev_b64 v[6:7], 3, v[6:7]
	v_lshlrev_b64 v[10:11], 3, v[8:9]
	s_waitcnt vmcnt(0)
	v_add_co_u32 v13, vcc_lo, v4, s8
	v_add_co_ci_u32_e64 v14, null, s9, v5, vcc_lo
	v_add_co_u32 v4, vcc_lo, v13, v12
	v_add_co_ci_u32_e64 v5, null, 0, v14, vcc_lo
	;; [unrolled: 2-line block ×5, first 2 shown]
	s_clause 0x3
	flat_load_dwordx2 v[12:13], v[4:5]
	flat_load_dwordx2 v[14:15], v[8:9]
	;; [unrolled: 1-line block ×4, first 2 shown]
	s_and_saveexec_b32 s2, s0
	s_cbranch_execz .LBB7_4
; %bb.2:
	s_waitcnt vmcnt(3) lgkmcnt(3)
	ds_write_b64 v1, v[12:13]
	s_waitcnt vmcnt(1) lgkmcnt(2)
	ds_write2_b64 v26, v[14:15], v[16:17] offset0:1 offset1:2
	s_waitcnt vmcnt(0) lgkmcnt(2)
	ds_write_b64 v26, v[18:19] offset:24
	ds_read_b64 v[20:21], v1
	s_waitcnt lgkmcnt(0)
	v_cmp_neq_f64_e32 vcc_lo, 0, v[20:21]
	s_and_b32 exec_lo, exec_lo, vcc_lo
	s_cbranch_execz .LBB7_4
; %bb.3:
	v_div_scale_f64 v[22:23], null, v[20:21], v[20:21], 1.0
	v_rcp_f64_e32 v[24:25], v[22:23]
	v_fma_f64 v[27:28], -v[22:23], v[24:25], 1.0
	v_fma_f64 v[24:25], v[24:25], v[27:28], v[24:25]
	v_fma_f64 v[27:28], -v[22:23], v[24:25], 1.0
	v_fma_f64 v[24:25], v[24:25], v[27:28], v[24:25]
	v_div_scale_f64 v[27:28], vcc_lo, 1.0, v[20:21], 1.0
	v_mul_f64 v[29:30], v[27:28], v[24:25]
	v_fma_f64 v[22:23], -v[22:23], v[29:30], v[27:28]
	v_div_fmas_f64 v[22:23], v[22:23], v[24:25], v[29:30]
	v_div_fixup_f64 v[20:21], v[22:23], v[20:21], 1.0
	ds_write_b64 v1, v[20:21]
.LBB7_4:
	s_or_b32 exec_lo, exec_lo, s2
	s_waitcnt vmcnt(0) lgkmcnt(0)
	s_barrier
	buffer_gl0_inv
	ds_read_b64 v[20:21], v1
	s_and_saveexec_b32 s2, s1
	s_cbranch_execz .LBB7_6
; %bb.5:
	s_waitcnt lgkmcnt(0)
	v_mul_f64 v[12:13], v[12:13], v[20:21]
	ds_read2_b64 v[22:25], v26 offset0:1 offset1:2
	ds_read_b64 v[27:28], v26 offset:24
	s_waitcnt lgkmcnt(1)
	v_fma_f64 v[14:15], -v[12:13], v[22:23], v[14:15]
	v_fma_f64 v[16:17], -v[12:13], v[24:25], v[16:17]
	s_waitcnt lgkmcnt(0)
	v_fma_f64 v[18:19], -v[12:13], v[27:28], v[18:19]
.LBB7_6:
	s_or_b32 exec_lo, exec_lo, s2
	s_mov_b32 s1, exec_lo
	s_waitcnt lgkmcnt(0)
	s_barrier
	buffer_gl0_inv
	v_cmpx_eq_u32_e32 1, v0
	s_cbranch_execz .LBB7_9
; %bb.7:
	ds_write_b64 v1, v[14:15]
	ds_write2_b64 v26, v[16:17], v[18:19] offset0:2 offset1:3
	ds_read_b64 v[22:23], v1
	s_waitcnt lgkmcnt(0)
	v_cmp_neq_f64_e32 vcc_lo, 0, v[22:23]
	s_and_b32 exec_lo, exec_lo, vcc_lo
	s_cbranch_execz .LBB7_9
; %bb.8:
	v_div_scale_f64 v[24:25], null, v[22:23], v[22:23], 1.0
	v_rcp_f64_e32 v[27:28], v[24:25]
	v_fma_f64 v[29:30], -v[24:25], v[27:28], 1.0
	v_fma_f64 v[27:28], v[27:28], v[29:30], v[27:28]
	v_fma_f64 v[29:30], -v[24:25], v[27:28], 1.0
	v_fma_f64 v[27:28], v[27:28], v[29:30], v[27:28]
	v_div_scale_f64 v[29:30], vcc_lo, 1.0, v[22:23], 1.0
	v_mul_f64 v[31:32], v[29:30], v[27:28]
	v_fma_f64 v[24:25], -v[24:25], v[31:32], v[29:30]
	v_div_fmas_f64 v[24:25], v[24:25], v[27:28], v[31:32]
	v_div_fixup_f64 v[22:23], v[24:25], v[22:23], 1.0
	ds_write_b64 v1, v[22:23]
.LBB7_9:
	s_or_b32 exec_lo, exec_lo, s1
	s_waitcnt lgkmcnt(0)
	s_barrier
	buffer_gl0_inv
	ds_read_b64 v[22:23], v1
	s_mov_b32 s1, exec_lo
	v_cmpx_lt_u32_e32 1, v0
	s_cbranch_execz .LBB7_11
; %bb.10:
	s_waitcnt lgkmcnt(0)
	v_mul_f64 v[14:15], v[14:15], v[22:23]
	ds_read2_b64 v[27:30], v26 offset0:2 offset1:3
	s_waitcnt lgkmcnt(0)
	v_fma_f64 v[16:17], -v[14:15], v[27:28], v[16:17]
	v_fma_f64 v[18:19], -v[14:15], v[29:30], v[18:19]
.LBB7_11:
	s_or_b32 exec_lo, exec_lo, s1
	s_mov_b32 s1, exec_lo
	s_waitcnt lgkmcnt(0)
	s_barrier
	buffer_gl0_inv
	v_cmpx_eq_u32_e32 2, v0
	s_cbranch_execz .LBB7_14
; %bb.12:
	ds_write_b64 v1, v[16:17]
	ds_write_b64 v26, v[18:19] offset:24
	ds_read_b64 v[24:25], v1
	s_waitcnt lgkmcnt(0)
	v_cmp_neq_f64_e32 vcc_lo, 0, v[24:25]
	s_and_b32 exec_lo, exec_lo, vcc_lo
	s_cbranch_execz .LBB7_14
; %bb.13:
	v_div_scale_f64 v[27:28], null, v[24:25], v[24:25], 1.0
	v_rcp_f64_e32 v[29:30], v[27:28]
	v_fma_f64 v[31:32], -v[27:28], v[29:30], 1.0
	v_fma_f64 v[29:30], v[29:30], v[31:32], v[29:30]
	v_fma_f64 v[31:32], -v[27:28], v[29:30], 1.0
	v_fma_f64 v[29:30], v[29:30], v[31:32], v[29:30]
	v_div_scale_f64 v[31:32], vcc_lo, 1.0, v[24:25], 1.0
	v_mul_f64 v[33:34], v[31:32], v[29:30]
	v_fma_f64 v[27:28], -v[27:28], v[33:34], v[31:32]
	v_div_fmas_f64 v[27:28], v[27:28], v[29:30], v[33:34]
	v_div_fixup_f64 v[24:25], v[27:28], v[24:25], 1.0
	ds_write_b64 v1, v[24:25]
.LBB7_14:
	s_or_b32 exec_lo, exec_lo, s1
	s_waitcnt lgkmcnt(0)
	s_barrier
	buffer_gl0_inv
	ds_read_b64 v[24:25], v1
	s_mov_b32 s1, exec_lo
	v_cmpx_lt_u32_e32 2, v0
	s_cbranch_execz .LBB7_16
; %bb.15:
	s_waitcnt lgkmcnt(0)
	v_mul_f64 v[16:17], v[16:17], v[24:25]
	ds_read_b64 v[26:27], v26 offset:24
	s_waitcnt lgkmcnt(0)
	v_fma_f64 v[18:19], -v[16:17], v[26:27], v[18:19]
.LBB7_16:
	s_or_b32 exec_lo, exec_lo, s1
	s_mov_b32 s1, exec_lo
	s_waitcnt lgkmcnt(0)
	s_barrier
	buffer_gl0_inv
	v_cmpx_ne_u32_e32 3, v0
	s_xor_b32 s1, exec_lo, s1
	s_andn2_saveexec_b32 s1, s1
	s_cbranch_execz .LBB7_20
; %bb.17:
	s_mov_b32 s2, exec_lo
	ds_write_b64 v1, v[18:19]
	v_cmpx_neq_f64_e32 0, v[18:19]
	s_cbranch_execz .LBB7_19
; %bb.18:
	v_div_scale_f64 v[26:27], null, v[18:19], v[18:19], 1.0
	v_rcp_f64_e32 v[28:29], v[26:27]
	v_fma_f64 v[30:31], -v[26:27], v[28:29], 1.0
	v_fma_f64 v[28:29], v[28:29], v[30:31], v[28:29]
	v_fma_f64 v[30:31], -v[26:27], v[28:29], 1.0
	v_fma_f64 v[28:29], v[28:29], v[30:31], v[28:29]
	v_div_scale_f64 v[30:31], vcc_lo, 1.0, v[18:19], 1.0
	v_mul_f64 v[32:33], v[30:31], v[28:29]
	v_fma_f64 v[26:27], -v[26:27], v[32:33], v[30:31]
	v_div_fmas_f64 v[26:27], v[26:27], v[28:29], v[32:33]
	v_div_fixup_f64 v[26:27], v[26:27], v[18:19], 1.0
	ds_write_b64 v1, v[26:27]
.LBB7_19:
	s_or_b32 exec_lo, exec_lo, s2
.LBB7_20:
	s_or_b32 exec_lo, exec_lo, s1
	s_waitcnt lgkmcnt(0)
	s_barrier
	buffer_gl0_inv
	ds_read_b64 v[26:27], v1
	s_waitcnt lgkmcnt(0)
	s_barrier
	buffer_gl0_inv
	s_and_saveexec_b32 s6, s0
	s_cbranch_execz .LBB7_23
; %bb.21:
	s_load_dwordx2 s[0:1], s[4:5], 0x28
	v_lshlrev_b64 v[1:2], 2, v[2:3]
	v_cmp_eq_f64_e64 s2, 0, v[26:27]
	s_waitcnt lgkmcnt(0)
	v_add_co_u32 v1, vcc_lo, s0, v1
	v_add_co_ci_u32_e64 v2, null, s1, v2, vcc_lo
	v_cmp_eq_f64_e32 vcc_lo, 0, v[20:21]
	v_cmp_neq_f64_e64 s0, 0, v[22:23]
	v_cmp_eq_f64_e64 s1, 0, v[24:25]
	global_load_dword v28, v[1:2], off
	v_cndmask_b32_e64 v3, 0, 1, vcc_lo
	s_or_b32 vcc_lo, s0, vcc_lo
	v_cndmask_b32_e32 v3, 2, v3, vcc_lo
	v_cmp_eq_u32_e32 vcc_lo, 0, v3
	s_and_b32 s0, s1, vcc_lo
	v_cndmask_b32_e64 v3, v3, 3, s0
	v_cmp_eq_u32_e32 vcc_lo, 0, v3
	s_and_b32 s0, s2, vcc_lo
	v_cndmask_b32_e64 v3, v3, 4, s0
	v_cmp_ne_u32_e64 s0, 0, v3
	s_waitcnt vmcnt(0)
	v_cmp_eq_u32_e32 vcc_lo, 0, v28
	s_and_b32 s0, vcc_lo, s0
	s_and_b32 exec_lo, exec_lo, s0
	s_cbranch_execz .LBB7_23
; %bb.22:
	v_add_nc_u32_e32 v3, s3, v3
	global_store_dword v[1:2], v3, off
.LBB7_23:
	s_or_b32 exec_lo, exec_lo, s6
	v_mul_f64 v[1:2], v[18:19], v[26:27]
	v_cmp_lt_u32_e32 vcc_lo, 3, v0
	v_cndmask_b32_e32 v2, v19, v2, vcc_lo
	v_cndmask_b32_e32 v1, v18, v1, vcc_lo
	flat_store_dwordx2 v[4:5], v[12:13]
	flat_store_dwordx2 v[8:9], v[14:15]
	;; [unrolled: 1-line block ×4, first 2 shown]
.LBB7_24:
	s_endpgm
	.section	.rodata,"a",@progbits
	.p2align	6, 0x0
	.amdhsa_kernel _ZN9rocsolver6v33100L23getf2_npvt_small_kernelILi4EdiiPKPdEEvT1_T3_lS5_lPT2_S5_S5_
		.amdhsa_group_segment_fixed_size 0
		.amdhsa_private_segment_fixed_size 0
		.amdhsa_kernarg_size 312
		.amdhsa_user_sgpr_count 6
		.amdhsa_user_sgpr_private_segment_buffer 1
		.amdhsa_user_sgpr_dispatch_ptr 0
		.amdhsa_user_sgpr_queue_ptr 0
		.amdhsa_user_sgpr_kernarg_segment_ptr 1
		.amdhsa_user_sgpr_dispatch_id 0
		.amdhsa_user_sgpr_flat_scratch_init 0
		.amdhsa_user_sgpr_private_segment_size 0
		.amdhsa_wavefront_size32 1
		.amdhsa_uses_dynamic_stack 0
		.amdhsa_system_sgpr_private_segment_wavefront_offset 0
		.amdhsa_system_sgpr_workgroup_id_x 1
		.amdhsa_system_sgpr_workgroup_id_y 1
		.amdhsa_system_sgpr_workgroup_id_z 0
		.amdhsa_system_sgpr_workgroup_info 0
		.amdhsa_system_vgpr_workitem_id 1
		.amdhsa_next_free_vgpr 35
		.amdhsa_next_free_sgpr 12
		.amdhsa_reserve_vcc 1
		.amdhsa_reserve_flat_scratch 1
		.amdhsa_float_round_mode_32 0
		.amdhsa_float_round_mode_16_64 0
		.amdhsa_float_denorm_mode_32 3
		.amdhsa_float_denorm_mode_16_64 3
		.amdhsa_dx10_clamp 1
		.amdhsa_ieee_mode 1
		.amdhsa_fp16_overflow 0
		.amdhsa_workgroup_processor_mode 1
		.amdhsa_memory_ordered 1
		.amdhsa_forward_progress 1
		.amdhsa_shared_vgpr_count 0
		.amdhsa_exception_fp_ieee_invalid_op 0
		.amdhsa_exception_fp_denorm_src 0
		.amdhsa_exception_fp_ieee_div_zero 0
		.amdhsa_exception_fp_ieee_overflow 0
		.amdhsa_exception_fp_ieee_underflow 0
		.amdhsa_exception_fp_ieee_inexact 0
		.amdhsa_exception_int_div_zero 0
	.end_amdhsa_kernel
	.section	.text._ZN9rocsolver6v33100L23getf2_npvt_small_kernelILi4EdiiPKPdEEvT1_T3_lS5_lPT2_S5_S5_,"axG",@progbits,_ZN9rocsolver6v33100L23getf2_npvt_small_kernelILi4EdiiPKPdEEvT1_T3_lS5_lPT2_S5_S5_,comdat
.Lfunc_end7:
	.size	_ZN9rocsolver6v33100L23getf2_npvt_small_kernelILi4EdiiPKPdEEvT1_T3_lS5_lPT2_S5_S5_, .Lfunc_end7-_ZN9rocsolver6v33100L23getf2_npvt_small_kernelILi4EdiiPKPdEEvT1_T3_lS5_lPT2_S5_S5_
                                        ; -- End function
	.set _ZN9rocsolver6v33100L23getf2_npvt_small_kernelILi4EdiiPKPdEEvT1_T3_lS5_lPT2_S5_S5_.num_vgpr, 35
	.set _ZN9rocsolver6v33100L23getf2_npvt_small_kernelILi4EdiiPKPdEEvT1_T3_lS5_lPT2_S5_S5_.num_agpr, 0
	.set _ZN9rocsolver6v33100L23getf2_npvt_small_kernelILi4EdiiPKPdEEvT1_T3_lS5_lPT2_S5_S5_.numbered_sgpr, 12
	.set _ZN9rocsolver6v33100L23getf2_npvt_small_kernelILi4EdiiPKPdEEvT1_T3_lS5_lPT2_S5_S5_.num_named_barrier, 0
	.set _ZN9rocsolver6v33100L23getf2_npvt_small_kernelILi4EdiiPKPdEEvT1_T3_lS5_lPT2_S5_S5_.private_seg_size, 0
	.set _ZN9rocsolver6v33100L23getf2_npvt_small_kernelILi4EdiiPKPdEEvT1_T3_lS5_lPT2_S5_S5_.uses_vcc, 1
	.set _ZN9rocsolver6v33100L23getf2_npvt_small_kernelILi4EdiiPKPdEEvT1_T3_lS5_lPT2_S5_S5_.uses_flat_scratch, 1
	.set _ZN9rocsolver6v33100L23getf2_npvt_small_kernelILi4EdiiPKPdEEvT1_T3_lS5_lPT2_S5_S5_.has_dyn_sized_stack, 0
	.set _ZN9rocsolver6v33100L23getf2_npvt_small_kernelILi4EdiiPKPdEEvT1_T3_lS5_lPT2_S5_S5_.has_recursion, 0
	.set _ZN9rocsolver6v33100L23getf2_npvt_small_kernelILi4EdiiPKPdEEvT1_T3_lS5_lPT2_S5_S5_.has_indirect_call, 0
	.section	.AMDGPU.csdata,"",@progbits
; Kernel info:
; codeLenInByte = 1488
; TotalNumSgprs: 14
; NumVgprs: 35
; ScratchSize: 0
; MemoryBound: 0
; FloatMode: 240
; IeeeMode: 1
; LDSByteSize: 0 bytes/workgroup (compile time only)
; SGPRBlocks: 0
; VGPRBlocks: 4
; NumSGPRsForWavesPerEU: 14
; NumVGPRsForWavesPerEU: 35
; Occupancy: 16
; WaveLimiterHint : 1
; COMPUTE_PGM_RSRC2:SCRATCH_EN: 0
; COMPUTE_PGM_RSRC2:USER_SGPR: 6
; COMPUTE_PGM_RSRC2:TRAP_HANDLER: 0
; COMPUTE_PGM_RSRC2:TGID_X_EN: 1
; COMPUTE_PGM_RSRC2:TGID_Y_EN: 1
; COMPUTE_PGM_RSRC2:TGID_Z_EN: 0
; COMPUTE_PGM_RSRC2:TIDIG_COMP_CNT: 1
	.section	.text._ZN9rocsolver6v33100L18getf2_small_kernelILi5EdiiPKPdEEvT1_T3_lS5_lPS5_llPT2_S5_S5_S7_l,"axG",@progbits,_ZN9rocsolver6v33100L18getf2_small_kernelILi5EdiiPKPdEEvT1_T3_lS5_lPS5_llPT2_S5_S5_S7_l,comdat
	.globl	_ZN9rocsolver6v33100L18getf2_small_kernelILi5EdiiPKPdEEvT1_T3_lS5_lPS5_llPT2_S5_S5_S7_l ; -- Begin function _ZN9rocsolver6v33100L18getf2_small_kernelILi5EdiiPKPdEEvT1_T3_lS5_lPS5_llPT2_S5_S5_S7_l
	.p2align	8
	.type	_ZN9rocsolver6v33100L18getf2_small_kernelILi5EdiiPKPdEEvT1_T3_lS5_lPS5_llPT2_S5_S5_S7_l,@function
_ZN9rocsolver6v33100L18getf2_small_kernelILi5EdiiPKPdEEvT1_T3_lS5_lPS5_llPT2_S5_S5_S7_l: ; @_ZN9rocsolver6v33100L18getf2_small_kernelILi5EdiiPKPdEEvT1_T3_lS5_lPS5_llPT2_S5_S5_S7_l
; %bb.0:
	s_clause 0x1
	s_load_dword s0, s[4:5], 0x6c
	s_load_dwordx2 s[12:13], s[4:5], 0x48
	s_waitcnt lgkmcnt(0)
	s_lshr_b32 s0, s0, 16
	v_mad_u64_u32 v[2:3], null, s7, s0, v[1:2]
	s_mov_b32 s0, exec_lo
	v_cmpx_gt_i32_e64 s12, v2
	s_cbranch_execz .LBB8_82
; %bb.1:
	s_clause 0x1
	s_load_dwordx4 s[0:3], s[4:5], 0x8
	s_load_dwordx4 s[8:11], s[4:5], 0x50
	v_ashrrev_i32_e32 v3, 31, v2
	v_mov_b32_e32 v14, 0
	v_mov_b32_e32 v15, 0
	v_lshlrev_b64 v[4:5], 3, v[2:3]
	s_waitcnt lgkmcnt(0)
	v_add_co_u32 v4, vcc_lo, s0, v4
	v_add_co_ci_u32_e64 v5, null, s1, v5, vcc_lo
	s_cmp_eq_u64 s[8:9], 0
	s_cselect_b32 s6, -1, 0
	global_load_dwordx2 v[4:5], v[4:5], off
	s_and_b32 vcc_lo, exec_lo, s6
	s_cbranch_vccnz .LBB8_3
; %bb.2:
	v_mul_lo_u32 v8, s11, v2
	v_mul_lo_u32 v9, s10, v3
	v_mad_u64_u32 v[6:7], null, s10, v2, 0
	v_add3_u32 v7, v7, v9, v8
	v_lshlrev_b64 v[6:7], 2, v[6:7]
	v_add_co_u32 v14, vcc_lo, s8, v6
	v_add_co_ci_u32_e64 v15, null, s9, v7, vcc_lo
.LBB8_3:
	s_load_dword s8, s[4:5], 0x18
	s_lshl_b64 s[0:1], s[2:3], 3
	v_lshlrev_b32_e32 v18, 3, v0
	s_waitcnt vmcnt(0)
	v_add_co_u32 v20, vcc_lo, v4, s0
	s_load_dword s2, s[4:5], 0x0
	v_add_co_ci_u32_e64 v21, null, s1, v5, vcc_lo
	v_add_co_u32 v8, vcc_lo, v20, v18
	v_add_co_ci_u32_e64 v9, null, 0, v21, vcc_lo
	flat_load_dwordx2 v[4:5], v[8:9]
	s_waitcnt lgkmcnt(0)
	v_add3_u32 v6, s8, s8, v0
	s_ashr_i32 s9, s8, 31
	s_lshl_b64 s[10:11], s[8:9], 3
	v_add_co_u32 v8, vcc_lo, v8, s10
	v_add_nc_u32_e32 v10, s8, v6
	v_ashrrev_i32_e32 v7, 31, v6
	v_add_co_ci_u32_e64 v9, null, s11, v9, vcc_lo
	s_max_i32 s0, s2, 5
	v_add_nc_u32_e32 v12, s8, v10
	v_lshlrev_b64 v[6:7], 3, v[6:7]
	v_ashrrev_i32_e32 v11, 31, v10
	v_mul_lo_u32 v1, s0, v1
	s_cmp_lt_i32 s2, 2
	v_ashrrev_i32_e32 v13, 31, v12
	v_lshlrev_b64 v[10:11], 3, v[10:11]
	v_add_co_u32 v16, vcc_lo, v20, v6
	v_add_co_ci_u32_e64 v17, null, v21, v7, vcc_lo
	v_lshlrev_b64 v[6:7], 3, v[12:13]
	v_add_co_u32 v10, vcc_lo, v20, v10
	v_add_co_ci_u32_e64 v11, null, v21, v11, vcc_lo
	v_lshl_add_u32 v22, v1, 3, 0
	v_add_co_u32 v12, vcc_lo, v20, v6
	v_add_co_ci_u32_e64 v13, null, v21, v7, vcc_lo
	s_clause 0x3
	flat_load_dwordx2 v[6:7], v[8:9]
	flat_load_dwordx2 v[8:9], v[16:17]
	;; [unrolled: 1-line block ×4, first 2 shown]
	v_add_nc_u32_e32 v16, v22, v18
	v_mov_b32_e32 v18, 0
	v_lshlrev_b32_e32 v23, 3, v1
	s_waitcnt vmcnt(4)
	ds_write_b64 v16, v[4:5]
	s_waitcnt vmcnt(0) lgkmcnt(0)
	s_barrier
	buffer_gl0_inv
	ds_read_b64 v[16:17], v22
	s_cbranch_scc1 .LBB8_6
; %bb.4:
	v_add3_u32 v1, v23, 0, 8
	v_mov_b32_e32 v18, 0
	s_mov_b32 s0, 1
.LBB8_5:                                ; =>This Inner Loop Header: Depth=1
	ds_read_b64 v[24:25], v1
	v_add_nc_u32_e32 v1, 8, v1
	s_waitcnt lgkmcnt(0)
	v_cmp_lt_f64_e64 vcc_lo, |v[16:17]|, |v[24:25]|
	v_cndmask_b32_e32 v17, v17, v25, vcc_lo
	v_cndmask_b32_e32 v16, v16, v24, vcc_lo
	v_cndmask_b32_e64 v18, v18, s0, vcc_lo
	s_add_i32 s0, s0, 1
	s_cmp_eq_u32 s2, s0
	s_cbranch_scc0 .LBB8_5
.LBB8_6:
	s_mov_b32 s0, exec_lo
                                        ; implicit-def: $vgpr24
	v_cmpx_ne_u32_e64 v0, v18
	s_xor_b32 s0, exec_lo, s0
	s_cbranch_execz .LBB8_12
; %bb.7:
	s_mov_b32 s1, exec_lo
	v_cmpx_eq_u32_e32 0, v0
	s_cbranch_execz .LBB8_11
; %bb.8:
	v_cmp_ne_u32_e32 vcc_lo, 0, v18
	s_xor_b32 s3, s6, -1
	s_and_b32 s7, s3, vcc_lo
	s_and_saveexec_b32 s3, s7
	s_cbranch_execz .LBB8_10
; %bb.9:
	v_ashrrev_i32_e32 v19, 31, v18
	v_lshlrev_b64 v[0:1], 2, v[18:19]
	v_add_co_u32 v0, vcc_lo, v14, v0
	v_add_co_ci_u32_e64 v1, null, v15, v1, vcc_lo
	s_clause 0x1
	global_load_dword v19, v[0:1], off
	global_load_dword v24, v[14:15], off
	s_waitcnt vmcnt(1)
	global_store_dword v[14:15], v19, off
	s_waitcnt vmcnt(0)
	global_store_dword v[0:1], v24, off
.LBB8_10:
	s_or_b32 exec_lo, exec_lo, s3
	v_mov_b32_e32 v0, v18
.LBB8_11:
	s_or_b32 exec_lo, exec_lo, s1
	v_mov_b32_e32 v24, v0
                                        ; implicit-def: $vgpr0
.LBB8_12:
	s_or_saveexec_b32 s0, s0
	v_mov_b32_e32 v19, v24
	s_xor_b32 exec_lo, exec_lo, s0
	s_cbranch_execz .LBB8_14
; %bb.13:
	v_mov_b32_e32 v24, 0
	v_mov_b32_e32 v19, v0
	ds_write2_b64 v22, v[6:7], v[8:9] offset0:1 offset1:2
	ds_write2_b64 v22, v[10:11], v[12:13] offset0:3 offset1:4
.LBB8_14:
	s_or_b32 exec_lo, exec_lo, s0
	s_waitcnt lgkmcnt(0)
	v_cmp_eq_f64_e64 s0, 0, v[16:17]
	s_mov_b32 s1, exec_lo
	s_waitcnt_vscnt null, 0x0
	s_barrier
	buffer_gl0_inv
	v_cmpx_lt_i32_e32 0, v24
	s_cbranch_execz .LBB8_16
; %bb.15:
	v_div_scale_f64 v[0:1], null, v[16:17], v[16:17], 1.0
	v_div_scale_f64 v[29:30], vcc_lo, 1.0, v[16:17], 1.0
	v_rcp_f64_e32 v[25:26], v[0:1]
	v_fma_f64 v[27:28], -v[0:1], v[25:26], 1.0
	v_fma_f64 v[25:26], v[25:26], v[27:28], v[25:26]
	v_fma_f64 v[27:28], -v[0:1], v[25:26], 1.0
	v_fma_f64 v[25:26], v[25:26], v[27:28], v[25:26]
	v_mul_f64 v[27:28], v[29:30], v[25:26]
	v_fma_f64 v[0:1], -v[0:1], v[27:28], v[29:30]
	v_div_fmas_f64 v[0:1], v[0:1], v[25:26], v[27:28]
	ds_read2_b64 v[25:28], v22 offset0:1 offset1:2
	ds_read2_b64 v[29:32], v22 offset0:3 offset1:4
	v_div_fixup_f64 v[0:1], v[0:1], v[16:17], 1.0
	v_cndmask_b32_e64 v1, v1, v17, s0
	v_cndmask_b32_e64 v0, v0, v16, s0
	v_mul_f64 v[4:5], v[4:5], v[0:1]
	s_waitcnt lgkmcnt(1)
	v_fma_f64 v[6:7], -v[4:5], v[25:26], v[6:7]
	v_fma_f64 v[8:9], -v[4:5], v[27:28], v[8:9]
	s_waitcnt lgkmcnt(0)
	v_fma_f64 v[10:11], -v[4:5], v[29:30], v[10:11]
	v_fma_f64 v[12:13], -v[4:5], v[31:32], v[12:13]
.LBB8_16:
	s_or_b32 exec_lo, exec_lo, s1
	v_lshl_add_u32 v0, v24, 3, v22
	s_barrier
	buffer_gl0_inv
	v_mov_b32_e32 v16, 1
	ds_write_b64 v0, v[6:7]
	s_waitcnt lgkmcnt(0)
	s_barrier
	buffer_gl0_inv
	ds_read_b64 v[0:1], v22 offset:8
	s_cmp_lt_i32 s2, 3
	s_cbranch_scc1 .LBB8_19
; %bb.17:
	v_add3_u32 v17, v23, 0, 16
	v_mov_b32_e32 v16, 1
	s_mov_b32 s1, 2
.LBB8_18:                               ; =>This Inner Loop Header: Depth=1
	ds_read_b64 v[25:26], v17
	v_add_nc_u32_e32 v17, 8, v17
	s_waitcnt lgkmcnt(0)
	v_cmp_lt_f64_e64 vcc_lo, |v[0:1]|, |v[25:26]|
	v_cndmask_b32_e32 v1, v1, v26, vcc_lo
	v_cndmask_b32_e32 v0, v0, v25, vcc_lo
	v_cndmask_b32_e64 v16, v16, s1, vcc_lo
	s_add_i32 s1, s1, 1
	s_cmp_lg_u32 s2, s1
	s_cbranch_scc1 .LBB8_18
.LBB8_19:
	s_mov_b32 s1, exec_lo
	v_cmpx_ne_u32_e64 v24, v16
	s_xor_b32 s1, exec_lo, s1
	s_cbranch_execz .LBB8_25
; %bb.20:
	s_mov_b32 s3, exec_lo
	v_cmpx_eq_u32_e32 1, v24
	s_cbranch_execz .LBB8_24
; %bb.21:
	v_cmp_ne_u32_e32 vcc_lo, 1, v16
	s_xor_b32 s7, s6, -1
	s_and_b32 s9, s7, vcc_lo
	s_and_saveexec_b32 s7, s9
	s_cbranch_execz .LBB8_23
; %bb.22:
	v_ashrrev_i32_e32 v17, 31, v16
	v_lshlrev_b64 v[17:18], 2, v[16:17]
	v_add_co_u32 v17, vcc_lo, v14, v17
	v_add_co_ci_u32_e64 v18, null, v15, v18, vcc_lo
	s_clause 0x1
	global_load_dword v19, v[17:18], off
	global_load_dword v24, v[14:15], off offset:4
	s_waitcnt vmcnt(1)
	global_store_dword v[14:15], v19, off offset:4
	s_waitcnt vmcnt(0)
	global_store_dword v[17:18], v24, off
.LBB8_23:
	s_or_b32 exec_lo, exec_lo, s7
	v_mov_b32_e32 v19, v16
	v_mov_b32_e32 v24, v16
.LBB8_24:
	s_or_b32 exec_lo, exec_lo, s3
.LBB8_25:
	s_andn2_saveexec_b32 s1, s1
	s_cbranch_execz .LBB8_27
; %bb.26:
	v_mov_b32_e32 v24, 1
	ds_write2_b64 v22, v[8:9], v[10:11] offset0:2 offset1:3
	ds_write_b64 v22, v[12:13] offset:32
.LBB8_27:
	s_or_b32 exec_lo, exec_lo, s1
	s_waitcnt lgkmcnt(0)
	v_cmp_neq_f64_e64 s1, 0, v[0:1]
	s_mov_b32 s3, exec_lo
	s_waitcnt_vscnt null, 0x0
	s_barrier
	buffer_gl0_inv
	v_cmpx_lt_i32_e32 1, v24
	s_cbranch_execz .LBB8_29
; %bb.28:
	v_div_scale_f64 v[16:17], null, v[0:1], v[0:1], 1.0
	v_div_scale_f64 v[29:30], vcc_lo, 1.0, v[0:1], 1.0
	v_rcp_f64_e32 v[25:26], v[16:17]
	v_fma_f64 v[27:28], -v[16:17], v[25:26], 1.0
	v_fma_f64 v[25:26], v[25:26], v[27:28], v[25:26]
	v_fma_f64 v[27:28], -v[16:17], v[25:26], 1.0
	v_fma_f64 v[25:26], v[25:26], v[27:28], v[25:26]
	v_mul_f64 v[27:28], v[29:30], v[25:26]
	v_fma_f64 v[16:17], -v[16:17], v[27:28], v[29:30]
	v_div_fmas_f64 v[16:17], v[16:17], v[25:26], v[27:28]
	v_div_fixup_f64 v[16:17], v[16:17], v[0:1], 1.0
	v_cndmask_b32_e64 v1, v1, v17, s1
	v_cndmask_b32_e64 v0, v0, v16, s1
	v_mul_f64 v[6:7], v[6:7], v[0:1]
	ds_read2_b64 v[25:28], v22 offset0:2 offset1:3
	ds_read_b64 v[0:1], v22 offset:32
	s_waitcnt lgkmcnt(1)
	v_fma_f64 v[8:9], -v[6:7], v[25:26], v[8:9]
	v_fma_f64 v[10:11], -v[6:7], v[27:28], v[10:11]
	s_waitcnt lgkmcnt(0)
	v_fma_f64 v[12:13], -v[6:7], v[0:1], v[12:13]
.LBB8_29:
	s_or_b32 exec_lo, exec_lo, s3
	v_lshl_add_u32 v0, v24, 3, v22
	s_barrier
	buffer_gl0_inv
	v_mov_b32_e32 v16, 2
	ds_write_b64 v0, v[8:9]
	s_waitcnt lgkmcnt(0)
	s_barrier
	buffer_gl0_inv
	ds_read_b64 v[0:1], v22 offset:16
	s_cmp_lt_i32 s2, 4
	s_mov_b32 s3, 3
	s_cbranch_scc1 .LBB8_32
; %bb.30:
	v_add3_u32 v17, v23, 0, 24
	v_mov_b32_e32 v16, 2
.LBB8_31:                               ; =>This Inner Loop Header: Depth=1
	ds_read_b64 v[25:26], v17
	v_add_nc_u32_e32 v17, 8, v17
	s_waitcnt lgkmcnt(0)
	v_cmp_lt_f64_e64 vcc_lo, |v[0:1]|, |v[25:26]|
	v_cndmask_b32_e32 v1, v1, v26, vcc_lo
	v_cndmask_b32_e32 v0, v0, v25, vcc_lo
	v_cndmask_b32_e64 v16, v16, s3, vcc_lo
	s_add_i32 s3, s3, 1
	s_cmp_lg_u32 s2, s3
	s_cbranch_scc1 .LBB8_31
.LBB8_32:
	v_cndmask_b32_e64 v17, 2, 1, s0
	v_cndmask_b32_e64 v18, 0, 1, s0
	s_mov_b32 s0, exec_lo
	v_cndmask_b32_e64 v25, v17, v18, s1
	s_waitcnt lgkmcnt(0)
	v_cmpx_eq_f64_e32 0, v[0:1]
	s_xor_b32 s0, exec_lo, s0
; %bb.33:
	v_cmp_ne_u32_e32 vcc_lo, 0, v25
	v_cndmask_b32_e32 v25, 3, v25, vcc_lo
; %bb.34:
	s_andn2_saveexec_b32 s0, s0
	s_cbranch_execz .LBB8_36
; %bb.35:
	v_div_scale_f64 v[17:18], null, v[0:1], v[0:1], 1.0
	v_rcp_f64_e32 v[26:27], v[17:18]
	v_fma_f64 v[28:29], -v[17:18], v[26:27], 1.0
	v_fma_f64 v[26:27], v[26:27], v[28:29], v[26:27]
	v_fma_f64 v[28:29], -v[17:18], v[26:27], 1.0
	v_fma_f64 v[26:27], v[26:27], v[28:29], v[26:27]
	v_div_scale_f64 v[28:29], vcc_lo, 1.0, v[0:1], 1.0
	v_mul_f64 v[30:31], v[28:29], v[26:27]
	v_fma_f64 v[17:18], -v[17:18], v[30:31], v[28:29]
	v_div_fmas_f64 v[17:18], v[17:18], v[26:27], v[30:31]
	v_div_fixup_f64 v[0:1], v[17:18], v[0:1], 1.0
.LBB8_36:
	s_or_b32 exec_lo, exec_lo, s0
	s_mov_b32 s0, exec_lo
	v_cmpx_ne_u32_e64 v24, v16
	s_xor_b32 s0, exec_lo, s0
	s_cbranch_execz .LBB8_42
; %bb.37:
	s_mov_b32 s1, exec_lo
	v_cmpx_eq_u32_e32 2, v24
	s_cbranch_execz .LBB8_41
; %bb.38:
	v_cmp_ne_u32_e32 vcc_lo, 2, v16
	s_xor_b32 s3, s6, -1
	s_and_b32 s7, s3, vcc_lo
	s_and_saveexec_b32 s3, s7
	s_cbranch_execz .LBB8_40
; %bb.39:
	v_ashrrev_i32_e32 v17, 31, v16
	v_lshlrev_b64 v[17:18], 2, v[16:17]
	v_add_co_u32 v17, vcc_lo, v14, v17
	v_add_co_ci_u32_e64 v18, null, v15, v18, vcc_lo
	s_clause 0x1
	global_load_dword v19, v[17:18], off
	global_load_dword v24, v[14:15], off offset:8
	s_waitcnt vmcnt(1)
	global_store_dword v[14:15], v19, off offset:8
	s_waitcnt vmcnt(0)
	global_store_dword v[17:18], v24, off
.LBB8_40:
	s_or_b32 exec_lo, exec_lo, s3
	v_mov_b32_e32 v19, v16
	v_mov_b32_e32 v24, v16
.LBB8_41:
	s_or_b32 exec_lo, exec_lo, s1
.LBB8_42:
	s_andn2_saveexec_b32 s0, s0
; %bb.43:
	v_mov_b32_e32 v24, 2
	ds_write2_b64 v22, v[10:11], v[12:13] offset0:3 offset1:4
; %bb.44:
	s_or_b32 exec_lo, exec_lo, s0
	s_mov_b32 s0, exec_lo
	s_waitcnt lgkmcnt(0)
	s_waitcnt_vscnt null, 0x0
	s_barrier
	buffer_gl0_inv
	v_cmpx_lt_i32_e32 2, v24
	s_cbranch_execz .LBB8_46
; %bb.45:
	v_mul_f64 v[8:9], v[8:9], v[0:1]
	ds_read2_b64 v[26:29], v22 offset0:3 offset1:4
	s_waitcnt lgkmcnt(0)
	v_fma_f64 v[10:11], -v[8:9], v[26:27], v[10:11]
	v_fma_f64 v[12:13], -v[8:9], v[28:29], v[12:13]
.LBB8_46:
	s_or_b32 exec_lo, exec_lo, s0
	v_lshl_add_u32 v0, v24, 3, v22
	s_barrier
	buffer_gl0_inv
	v_mov_b32_e32 v16, 3
	ds_write_b64 v0, v[10:11]
	s_waitcnt lgkmcnt(0)
	s_barrier
	buffer_gl0_inv
	ds_read_b64 v[0:1], v22 offset:24
	s_cmp_lt_i32 s2, 5
	s_cbranch_scc1 .LBB8_49
; %bb.47:
	v_mov_b32_e32 v16, 3
	v_add3_u32 v17, v23, 0, 32
	s_mov_b32 s0, 4
.LBB8_48:                               ; =>This Inner Loop Header: Depth=1
	ds_read_b64 v[26:27], v17
	v_add_nc_u32_e32 v17, 8, v17
	s_waitcnt lgkmcnt(0)
	v_cmp_lt_f64_e64 vcc_lo, |v[0:1]|, |v[26:27]|
	v_cndmask_b32_e32 v1, v1, v27, vcc_lo
	v_cndmask_b32_e32 v0, v0, v26, vcc_lo
	v_cndmask_b32_e64 v16, v16, s0, vcc_lo
	s_add_i32 s0, s0, 1
	s_cmp_lg_u32 s2, s0
	s_cbranch_scc1 .LBB8_48
.LBB8_49:
	s_mov_b32 s0, exec_lo
	s_waitcnt lgkmcnt(0)
	v_cmpx_eq_f64_e32 0, v[0:1]
	s_xor_b32 s0, exec_lo, s0
; %bb.50:
	v_cmp_ne_u32_e32 vcc_lo, 0, v25
	v_cndmask_b32_e32 v25, 4, v25, vcc_lo
; %bb.51:
	s_andn2_saveexec_b32 s0, s0
	s_cbranch_execz .LBB8_53
; %bb.52:
	v_div_scale_f64 v[17:18], null, v[0:1], v[0:1], 1.0
	v_rcp_f64_e32 v[26:27], v[17:18]
	v_fma_f64 v[28:29], -v[17:18], v[26:27], 1.0
	v_fma_f64 v[26:27], v[26:27], v[28:29], v[26:27]
	v_fma_f64 v[28:29], -v[17:18], v[26:27], 1.0
	v_fma_f64 v[26:27], v[26:27], v[28:29], v[26:27]
	v_div_scale_f64 v[28:29], vcc_lo, 1.0, v[0:1], 1.0
	v_mul_f64 v[30:31], v[28:29], v[26:27]
	v_fma_f64 v[17:18], -v[17:18], v[30:31], v[28:29]
	v_div_fmas_f64 v[17:18], v[17:18], v[26:27], v[30:31]
	v_div_fixup_f64 v[0:1], v[17:18], v[0:1], 1.0
.LBB8_53:
	s_or_b32 exec_lo, exec_lo, s0
	s_mov_b32 s0, exec_lo
	v_cmpx_ne_u32_e64 v24, v16
	s_xor_b32 s0, exec_lo, s0
	s_cbranch_execz .LBB8_59
; %bb.54:
	s_mov_b32 s1, exec_lo
	v_cmpx_eq_u32_e32 3, v24
	s_cbranch_execz .LBB8_58
; %bb.55:
	v_cmp_ne_u32_e32 vcc_lo, 3, v16
	s_xor_b32 s3, s6, -1
	s_and_b32 s7, s3, vcc_lo
	s_and_saveexec_b32 s3, s7
	s_cbranch_execz .LBB8_57
; %bb.56:
	v_ashrrev_i32_e32 v17, 31, v16
	v_lshlrev_b64 v[17:18], 2, v[16:17]
	v_add_co_u32 v17, vcc_lo, v14, v17
	v_add_co_ci_u32_e64 v18, null, v15, v18, vcc_lo
	s_clause 0x1
	global_load_dword v19, v[17:18], off
	global_load_dword v24, v[14:15], off offset:12
	s_waitcnt vmcnt(1)
	global_store_dword v[14:15], v19, off offset:12
	s_waitcnt vmcnt(0)
	global_store_dword v[17:18], v24, off
.LBB8_57:
	s_or_b32 exec_lo, exec_lo, s3
	v_mov_b32_e32 v19, v16
	v_mov_b32_e32 v24, v16
.LBB8_58:
	s_or_b32 exec_lo, exec_lo, s1
.LBB8_59:
	s_andn2_saveexec_b32 s0, s0
; %bb.60:
	v_mov_b32_e32 v24, 3
	ds_write_b64 v22, v[12:13] offset:32
; %bb.61:
	s_or_b32 exec_lo, exec_lo, s0
	s_mov_b32 s0, exec_lo
	s_waitcnt lgkmcnt(0)
	s_waitcnt_vscnt null, 0x0
	s_barrier
	buffer_gl0_inv
	v_cmpx_lt_i32_e32 3, v24
	s_cbranch_execz .LBB8_63
; %bb.62:
	v_mul_f64 v[10:11], v[10:11], v[0:1]
	ds_read_b64 v[0:1], v22 offset:32
	s_waitcnt lgkmcnt(0)
	v_fma_f64 v[12:13], -v[10:11], v[0:1], v[12:13]
.LBB8_63:
	s_or_b32 exec_lo, exec_lo, s0
	v_lshl_add_u32 v0, v24, 3, v22
	s_barrier
	buffer_gl0_inv
	v_mov_b32_e32 v16, 4
	ds_write_b64 v0, v[12:13]
	s_waitcnt lgkmcnt(0)
	s_barrier
	buffer_gl0_inv
	ds_read_b64 v[0:1], v22 offset:32
	s_cmp_lt_i32 s2, 6
	s_cbranch_scc1 .LBB8_66
; %bb.64:
	v_add3_u32 v17, v23, 0, 40
	v_mov_b32_e32 v16, 4
	s_mov_b32 s0, 5
.LBB8_65:                               ; =>This Inner Loop Header: Depth=1
	ds_read_b64 v[22:23], v17
	v_add_nc_u32_e32 v17, 8, v17
	s_waitcnt lgkmcnt(0)
	v_cmp_lt_f64_e64 vcc_lo, |v[0:1]|, |v[22:23]|
	v_cndmask_b32_e32 v1, v1, v23, vcc_lo
	v_cndmask_b32_e32 v0, v0, v22, vcc_lo
	v_cndmask_b32_e64 v16, v16, s0, vcc_lo
	s_add_i32 s0, s0, 1
	s_cmp_lg_u32 s2, s0
	s_cbranch_scc1 .LBB8_65
.LBB8_66:
	s_mov_b32 s0, exec_lo
	s_waitcnt lgkmcnt(0)
	v_cmpx_eq_f64_e32 0, v[0:1]
	s_xor_b32 s0, exec_lo, s0
; %bb.67:
	v_cmp_ne_u32_e32 vcc_lo, 0, v25
	v_cndmask_b32_e32 v25, 5, v25, vcc_lo
; %bb.68:
	s_andn2_saveexec_b32 s0, s0
	s_cbranch_execz .LBB8_70
; %bb.69:
	v_div_scale_f64 v[17:18], null, v[0:1], v[0:1], 1.0
	v_rcp_f64_e32 v[22:23], v[17:18]
	v_fma_f64 v[26:27], -v[17:18], v[22:23], 1.0
	v_fma_f64 v[22:23], v[22:23], v[26:27], v[22:23]
	v_fma_f64 v[26:27], -v[17:18], v[22:23], 1.0
	v_fma_f64 v[22:23], v[22:23], v[26:27], v[22:23]
	v_div_scale_f64 v[26:27], vcc_lo, 1.0, v[0:1], 1.0
	v_mul_f64 v[28:29], v[26:27], v[22:23]
	v_fma_f64 v[17:18], -v[17:18], v[28:29], v[26:27]
	v_div_fmas_f64 v[17:18], v[17:18], v[22:23], v[28:29]
	v_div_fixup_f64 v[0:1], v[17:18], v[0:1], 1.0
.LBB8_70:
	s_or_b32 exec_lo, exec_lo, s0
	v_mov_b32_e32 v17, 4
	s_mov_b32 s0, exec_lo
	v_cmpx_ne_u32_e64 v24, v16
	s_cbranch_execz .LBB8_76
; %bb.71:
	s_mov_b32 s1, exec_lo
	v_cmpx_eq_u32_e32 4, v24
	s_cbranch_execz .LBB8_75
; %bb.72:
	v_cmp_ne_u32_e32 vcc_lo, 4, v16
	s_xor_b32 s2, s6, -1
	s_and_b32 s3, s2, vcc_lo
	s_and_saveexec_b32 s2, s3
	s_cbranch_execz .LBB8_74
; %bb.73:
	v_ashrrev_i32_e32 v17, 31, v16
	v_lshlrev_b64 v[17:18], 2, v[16:17]
	v_add_co_u32 v17, vcc_lo, v14, v17
	v_add_co_ci_u32_e64 v18, null, v15, v18, vcc_lo
	s_clause 0x1
	global_load_dword v19, v[17:18], off
	global_load_dword v22, v[14:15], off offset:16
	s_waitcnt vmcnt(1)
	global_store_dword v[14:15], v19, off offset:16
	s_waitcnt vmcnt(0)
	global_store_dword v[17:18], v22, off
.LBB8_74:
	s_or_b32 exec_lo, exec_lo, s2
	v_mov_b32_e32 v19, v16
	v_mov_b32_e32 v24, v16
.LBB8_75:
	s_or_b32 exec_lo, exec_lo, s1
	v_mov_b32_e32 v17, v24
.LBB8_76:
	s_or_b32 exec_lo, exec_lo, s0
	s_load_dwordx8 s[0:7], s[4:5], 0x28
	v_ashrrev_i32_e32 v18, 31, v17
	s_mov_b32 s9, exec_lo
	s_waitcnt lgkmcnt(0)
	s_waitcnt_vscnt null, 0x0
	s_barrier
	buffer_gl0_inv
	s_barrier
	buffer_gl0_inv
	v_cmpx_gt_i32_e32 5, v17
	s_cbranch_execz .LBB8_78
; %bb.77:
	v_mul_lo_u32 v16, s5, v2
	v_mul_lo_u32 v22, s4, v3
	v_mad_u64_u32 v[14:15], null, s4, v2, 0
	s_lshl_b64 s[2:3], s[2:3], 2
	v_add3_u32 v15, v15, v22, v16
	v_lshlrev_b64 v[14:15], 2, v[14:15]
	v_add_co_u32 v16, vcc_lo, s0, v14
	v_add_co_ci_u32_e64 v22, null, s1, v15, vcc_lo
	v_lshlrev_b64 v[14:15], 2, v[17:18]
	v_add_co_u32 v16, vcc_lo, v16, s2
	v_add_co_ci_u32_e64 v22, null, s3, v22, vcc_lo
	v_add_co_u32 v14, vcc_lo, v16, v14
	v_add_co_ci_u32_e64 v15, null, v22, v15, vcc_lo
	v_add3_u32 v16, v19, s13, 1
	global_store_dword v[14:15], v16, off
.LBB8_78:
	s_or_b32 exec_lo, exec_lo, s9
	s_mov_b32 s1, exec_lo
	v_cmpx_eq_u32_e32 0, v17
	s_cbranch_execz .LBB8_81
; %bb.79:
	v_lshlrev_b64 v[2:3], 2, v[2:3]
	v_cmp_ne_u32_e64 s0, 0, v25
	v_add_co_u32 v2, vcc_lo, s6, v2
	v_add_co_ci_u32_e64 v3, null, s7, v3, vcc_lo
	global_load_dword v14, v[2:3], off
	s_waitcnt vmcnt(0)
	v_cmp_eq_u32_e32 vcc_lo, 0, v14
	s_and_b32 s0, vcc_lo, s0
	s_and_b32 exec_lo, exec_lo, s0
	s_cbranch_execz .LBB8_81
; %bb.80:
	v_add_nc_u32_e32 v14, s13, v25
	global_store_dword v[2:3], v14, off
.LBB8_81:
	s_or_b32 exec_lo, exec_lo, s1
	v_mul_f64 v[0:1], v[12:13], v[0:1]
	v_add3_u32 v2, s8, s8, v17
	v_lshlrev_b64 v[14:15], 3, v[17:18]
	v_cmp_lt_i32_e32 vcc_lo, 4, v17
	v_add_nc_u32_e32 v16, s8, v2
	v_ashrrev_i32_e32 v3, 31, v2
	v_add_co_u32 v14, s0, v20, v14
	v_add_co_ci_u32_e64 v15, null, v21, v15, s0
	v_add_nc_u32_e32 v18, s8, v16
	v_ashrrev_i32_e32 v17, 31, v16
	v_lshlrev_b64 v[2:3], 3, v[2:3]
	v_add_co_u32 v22, s0, v14, s10
	v_ashrrev_i32_e32 v19, 31, v18
	v_lshlrev_b64 v[16:17], 3, v[16:17]
	v_add_co_ci_u32_e64 v23, null, s11, v15, s0
	v_cndmask_b32_e32 v1, v13, v1, vcc_lo
	v_cndmask_b32_e32 v0, v12, v0, vcc_lo
	v_lshlrev_b64 v[12:13], 3, v[18:19]
	v_add_co_u32 v2, vcc_lo, v20, v2
	v_add_co_ci_u32_e64 v3, null, v21, v3, vcc_lo
	v_add_co_u32 v16, vcc_lo, v20, v16
	v_add_co_ci_u32_e64 v17, null, v21, v17, vcc_lo
	;; [unrolled: 2-line block ×3, first 2 shown]
	flat_store_dwordx2 v[14:15], v[4:5]
	flat_store_dwordx2 v[22:23], v[6:7]
	;; [unrolled: 1-line block ×5, first 2 shown]
.LBB8_82:
	s_endpgm
	.section	.rodata,"a",@progbits
	.p2align	6, 0x0
	.amdhsa_kernel _ZN9rocsolver6v33100L18getf2_small_kernelILi5EdiiPKPdEEvT1_T3_lS5_lPS5_llPT2_S5_S5_S7_l
		.amdhsa_group_segment_fixed_size 0
		.amdhsa_private_segment_fixed_size 0
		.amdhsa_kernarg_size 352
		.amdhsa_user_sgpr_count 6
		.amdhsa_user_sgpr_private_segment_buffer 1
		.amdhsa_user_sgpr_dispatch_ptr 0
		.amdhsa_user_sgpr_queue_ptr 0
		.amdhsa_user_sgpr_kernarg_segment_ptr 1
		.amdhsa_user_sgpr_dispatch_id 0
		.amdhsa_user_sgpr_flat_scratch_init 0
		.amdhsa_user_sgpr_private_segment_size 0
		.amdhsa_wavefront_size32 1
		.amdhsa_uses_dynamic_stack 0
		.amdhsa_system_sgpr_private_segment_wavefront_offset 0
		.amdhsa_system_sgpr_workgroup_id_x 1
		.amdhsa_system_sgpr_workgroup_id_y 1
		.amdhsa_system_sgpr_workgroup_id_z 0
		.amdhsa_system_sgpr_workgroup_info 0
		.amdhsa_system_vgpr_workitem_id 1
		.amdhsa_next_free_vgpr 33
		.amdhsa_next_free_sgpr 14
		.amdhsa_reserve_vcc 1
		.amdhsa_reserve_flat_scratch 1
		.amdhsa_float_round_mode_32 0
		.amdhsa_float_round_mode_16_64 0
		.amdhsa_float_denorm_mode_32 3
		.amdhsa_float_denorm_mode_16_64 3
		.amdhsa_dx10_clamp 1
		.amdhsa_ieee_mode 1
		.amdhsa_fp16_overflow 0
		.amdhsa_workgroup_processor_mode 1
		.amdhsa_memory_ordered 1
		.amdhsa_forward_progress 1
		.amdhsa_shared_vgpr_count 0
		.amdhsa_exception_fp_ieee_invalid_op 0
		.amdhsa_exception_fp_denorm_src 0
		.amdhsa_exception_fp_ieee_div_zero 0
		.amdhsa_exception_fp_ieee_overflow 0
		.amdhsa_exception_fp_ieee_underflow 0
		.amdhsa_exception_fp_ieee_inexact 0
		.amdhsa_exception_int_div_zero 0
	.end_amdhsa_kernel
	.section	.text._ZN9rocsolver6v33100L18getf2_small_kernelILi5EdiiPKPdEEvT1_T3_lS5_lPS5_llPT2_S5_S5_S7_l,"axG",@progbits,_ZN9rocsolver6v33100L18getf2_small_kernelILi5EdiiPKPdEEvT1_T3_lS5_lPS5_llPT2_S5_S5_S7_l,comdat
.Lfunc_end8:
	.size	_ZN9rocsolver6v33100L18getf2_small_kernelILi5EdiiPKPdEEvT1_T3_lS5_lPS5_llPT2_S5_S5_S7_l, .Lfunc_end8-_ZN9rocsolver6v33100L18getf2_small_kernelILi5EdiiPKPdEEvT1_T3_lS5_lPS5_llPT2_S5_S5_S7_l
                                        ; -- End function
	.set _ZN9rocsolver6v33100L18getf2_small_kernelILi5EdiiPKPdEEvT1_T3_lS5_lPS5_llPT2_S5_S5_S7_l.num_vgpr, 33
	.set _ZN9rocsolver6v33100L18getf2_small_kernelILi5EdiiPKPdEEvT1_T3_lS5_lPS5_llPT2_S5_S5_S7_l.num_agpr, 0
	.set _ZN9rocsolver6v33100L18getf2_small_kernelILi5EdiiPKPdEEvT1_T3_lS5_lPS5_llPT2_S5_S5_S7_l.numbered_sgpr, 14
	.set _ZN9rocsolver6v33100L18getf2_small_kernelILi5EdiiPKPdEEvT1_T3_lS5_lPS5_llPT2_S5_S5_S7_l.num_named_barrier, 0
	.set _ZN9rocsolver6v33100L18getf2_small_kernelILi5EdiiPKPdEEvT1_T3_lS5_lPS5_llPT2_S5_S5_S7_l.private_seg_size, 0
	.set _ZN9rocsolver6v33100L18getf2_small_kernelILi5EdiiPKPdEEvT1_T3_lS5_lPS5_llPT2_S5_S5_S7_l.uses_vcc, 1
	.set _ZN9rocsolver6v33100L18getf2_small_kernelILi5EdiiPKPdEEvT1_T3_lS5_lPS5_llPT2_S5_S5_S7_l.uses_flat_scratch, 1
	.set _ZN9rocsolver6v33100L18getf2_small_kernelILi5EdiiPKPdEEvT1_T3_lS5_lPS5_llPT2_S5_S5_S7_l.has_dyn_sized_stack, 0
	.set _ZN9rocsolver6v33100L18getf2_small_kernelILi5EdiiPKPdEEvT1_T3_lS5_lPS5_llPT2_S5_S5_S7_l.has_recursion, 0
	.set _ZN9rocsolver6v33100L18getf2_small_kernelILi5EdiiPKPdEEvT1_T3_lS5_lPS5_llPT2_S5_S5_S7_l.has_indirect_call, 0
	.section	.AMDGPU.csdata,"",@progbits
; Kernel info:
; codeLenInByte = 3316
; TotalNumSgprs: 16
; NumVgprs: 33
; ScratchSize: 0
; MemoryBound: 0
; FloatMode: 240
; IeeeMode: 1
; LDSByteSize: 0 bytes/workgroup (compile time only)
; SGPRBlocks: 0
; VGPRBlocks: 4
; NumSGPRsForWavesPerEU: 16
; NumVGPRsForWavesPerEU: 33
; Occupancy: 16
; WaveLimiterHint : 1
; COMPUTE_PGM_RSRC2:SCRATCH_EN: 0
; COMPUTE_PGM_RSRC2:USER_SGPR: 6
; COMPUTE_PGM_RSRC2:TRAP_HANDLER: 0
; COMPUTE_PGM_RSRC2:TGID_X_EN: 1
; COMPUTE_PGM_RSRC2:TGID_Y_EN: 1
; COMPUTE_PGM_RSRC2:TGID_Z_EN: 0
; COMPUTE_PGM_RSRC2:TIDIG_COMP_CNT: 1
	.section	.text._ZN9rocsolver6v33100L23getf2_npvt_small_kernelILi5EdiiPKPdEEvT1_T3_lS5_lPT2_S5_S5_,"axG",@progbits,_ZN9rocsolver6v33100L23getf2_npvt_small_kernelILi5EdiiPKPdEEvT1_T3_lS5_lPT2_S5_S5_,comdat
	.globl	_ZN9rocsolver6v33100L23getf2_npvt_small_kernelILi5EdiiPKPdEEvT1_T3_lS5_lPT2_S5_S5_ ; -- Begin function _ZN9rocsolver6v33100L23getf2_npvt_small_kernelILi5EdiiPKPdEEvT1_T3_lS5_lPT2_S5_S5_
	.p2align	8
	.type	_ZN9rocsolver6v33100L23getf2_npvt_small_kernelILi5EdiiPKPdEEvT1_T3_lS5_lPT2_S5_S5_,@function
_ZN9rocsolver6v33100L23getf2_npvt_small_kernelILi5EdiiPKPdEEvT1_T3_lS5_lPT2_S5_S5_: ; @_ZN9rocsolver6v33100L23getf2_npvt_small_kernelILi5EdiiPKPdEEvT1_T3_lS5_lPT2_S5_S5_
; %bb.0:
	s_clause 0x1
	s_load_dword s0, s[4:5], 0x44
	s_load_dwordx2 s[8:9], s[4:5], 0x30
	s_waitcnt lgkmcnt(0)
	s_lshr_b32 s6, s0, 16
	s_mov_b32 s0, exec_lo
	v_mad_u64_u32 v[2:3], null, s7, s6, v[1:2]
	v_cmpx_gt_i32_e64 s8, v2
	s_cbranch_execz .LBB9_29
; %bb.1:
	s_clause 0x1
	s_load_dwordx4 s[0:3], s[4:5], 0x8
	s_load_dword s10, s[4:5], 0x18
	v_ashrrev_i32_e32 v3, 31, v2
	v_lshlrev_b32_e32 v12, 3, v0
	v_lshlrev_b32_e32 v24, 3, v1
	v_mul_u32_u24_e32 v25, 40, v1
	s_mul_i32 s6, s6, 40
	v_lshlrev_b64 v[4:5], 3, v[2:3]
	v_add3_u32 v1, 0, s6, v24
	v_add_nc_u32_e32 v32, 0, v25
	s_waitcnt lgkmcnt(0)
	v_add_co_u32 v4, vcc_lo, s0, v4
	v_add_co_ci_u32_e64 v5, null, s1, v5, vcc_lo
	v_add3_u32 v6, s10, s10, v0
	s_lshl_b64 s[0:1], s[2:3], 3
	s_ashr_i32 s11, s10, 31
	global_load_dwordx2 v[4:5], v[4:5], off
	s_lshl_b64 s[2:3], s[10:11], 3
	v_add_nc_u32_e32 v8, s10, v6
	v_ashrrev_i32_e32 v7, 31, v6
	v_ashrrev_i32_e32 v9, 31, v8
	v_add_nc_u32_e32 v10, s10, v8
	v_lshlrev_b64 v[6:7], 3, v[6:7]
	v_lshlrev_b64 v[8:9], 3, v[8:9]
	v_ashrrev_i32_e32 v11, 31, v10
	v_lshlrev_b64 v[10:11], 3, v[10:11]
	s_waitcnt vmcnt(0)
	v_add_co_u32 v14, vcc_lo, v4, s0
	v_add_co_ci_u32_e64 v15, null, s1, v5, vcc_lo
	v_cmp_ne_u32_e64 s1, 0, v0
	v_add_co_u32 v4, vcc_lo, v14, v12
	v_add_co_ci_u32_e64 v5, null, 0, v15, vcc_lo
	v_add_co_u32 v6, vcc_lo, v14, v6
	v_add_co_ci_u32_e64 v7, null, v15, v7, vcc_lo
	;; [unrolled: 2-line block ×5, first 2 shown]
	s_clause 0x4
	flat_load_dwordx2 v[14:15], v[4:5]
	flat_load_dwordx2 v[16:17], v[12:13]
	;; [unrolled: 1-line block ×5, first 2 shown]
	v_cmp_eq_u32_e64 s0, 0, v0
	s_and_saveexec_b32 s2, s0
	s_cbranch_execz .LBB9_4
; %bb.2:
	s_waitcnt vmcnt(4) lgkmcnt(4)
	ds_write_b64 v1, v[14:15]
	s_waitcnt vmcnt(2) lgkmcnt(3)
	ds_write2_b64 v32, v[16:17], v[18:19] offset0:1 offset1:2
	s_waitcnt vmcnt(0) lgkmcnt(2)
	ds_write2_b64 v32, v[20:21], v[22:23] offset0:3 offset1:4
	ds_read_b64 v[24:25], v1
	s_waitcnt lgkmcnt(0)
	v_cmp_neq_f64_e32 vcc_lo, 0, v[24:25]
	s_and_b32 exec_lo, exec_lo, vcc_lo
	s_cbranch_execz .LBB9_4
; %bb.3:
	v_div_scale_f64 v[26:27], null, v[24:25], v[24:25], 1.0
	v_rcp_f64_e32 v[28:29], v[26:27]
	v_fma_f64 v[30:31], -v[26:27], v[28:29], 1.0
	v_fma_f64 v[28:29], v[28:29], v[30:31], v[28:29]
	v_fma_f64 v[30:31], -v[26:27], v[28:29], 1.0
	v_fma_f64 v[28:29], v[28:29], v[30:31], v[28:29]
	v_div_scale_f64 v[30:31], vcc_lo, 1.0, v[24:25], 1.0
	v_mul_f64 v[33:34], v[30:31], v[28:29]
	v_fma_f64 v[26:27], -v[26:27], v[33:34], v[30:31]
	v_div_fmas_f64 v[26:27], v[26:27], v[28:29], v[33:34]
	v_div_fixup_f64 v[24:25], v[26:27], v[24:25], 1.0
	ds_write_b64 v1, v[24:25]
.LBB9_4:
	s_or_b32 exec_lo, exec_lo, s2
	s_waitcnt vmcnt(0) lgkmcnt(0)
	s_barrier
	buffer_gl0_inv
	ds_read_b64 v[24:25], v1
	s_and_saveexec_b32 s2, s1
	s_cbranch_execz .LBB9_6
; %bb.5:
	s_waitcnt lgkmcnt(0)
	v_mul_f64 v[14:15], v[14:15], v[24:25]
	ds_read2_b64 v[26:29], v32 offset0:1 offset1:2
	ds_read2_b64 v[33:36], v32 offset0:3 offset1:4
	s_waitcnt lgkmcnt(1)
	v_fma_f64 v[16:17], -v[14:15], v[26:27], v[16:17]
	v_fma_f64 v[18:19], -v[14:15], v[28:29], v[18:19]
	s_waitcnt lgkmcnt(0)
	v_fma_f64 v[20:21], -v[14:15], v[33:34], v[20:21]
	v_fma_f64 v[22:23], -v[14:15], v[35:36], v[22:23]
.LBB9_6:
	s_or_b32 exec_lo, exec_lo, s2
	s_mov_b32 s1, exec_lo
	s_waitcnt lgkmcnt(0)
	s_barrier
	buffer_gl0_inv
	v_cmpx_eq_u32_e32 1, v0
	s_cbranch_execz .LBB9_9
; %bb.7:
	ds_write_b64 v1, v[16:17]
	ds_write2_b64 v32, v[18:19], v[20:21] offset0:2 offset1:3
	ds_write_b64 v32, v[22:23] offset:32
	ds_read_b64 v[26:27], v1
	s_waitcnt lgkmcnt(0)
	v_cmp_neq_f64_e32 vcc_lo, 0, v[26:27]
	s_and_b32 exec_lo, exec_lo, vcc_lo
	s_cbranch_execz .LBB9_9
; %bb.8:
	v_div_scale_f64 v[28:29], null, v[26:27], v[26:27], 1.0
	v_rcp_f64_e32 v[30:31], v[28:29]
	v_fma_f64 v[33:34], -v[28:29], v[30:31], 1.0
	v_fma_f64 v[30:31], v[30:31], v[33:34], v[30:31]
	v_fma_f64 v[33:34], -v[28:29], v[30:31], 1.0
	v_fma_f64 v[30:31], v[30:31], v[33:34], v[30:31]
	v_div_scale_f64 v[33:34], vcc_lo, 1.0, v[26:27], 1.0
	v_mul_f64 v[35:36], v[33:34], v[30:31]
	v_fma_f64 v[28:29], -v[28:29], v[35:36], v[33:34]
	v_div_fmas_f64 v[28:29], v[28:29], v[30:31], v[35:36]
	v_div_fixup_f64 v[26:27], v[28:29], v[26:27], 1.0
	ds_write_b64 v1, v[26:27]
.LBB9_9:
	s_or_b32 exec_lo, exec_lo, s1
	s_waitcnt lgkmcnt(0)
	s_barrier
	buffer_gl0_inv
	ds_read_b64 v[26:27], v1
	s_mov_b32 s1, exec_lo
	v_cmpx_lt_u32_e32 1, v0
	s_cbranch_execz .LBB9_11
; %bb.10:
	s_waitcnt lgkmcnt(0)
	v_mul_f64 v[16:17], v[16:17], v[26:27]
	ds_read2_b64 v[28:31], v32 offset0:2 offset1:3
	ds_read_b64 v[33:34], v32 offset:32
	s_waitcnt lgkmcnt(1)
	v_fma_f64 v[18:19], -v[16:17], v[28:29], v[18:19]
	v_fma_f64 v[20:21], -v[16:17], v[30:31], v[20:21]
	s_waitcnt lgkmcnt(0)
	v_fma_f64 v[22:23], -v[16:17], v[33:34], v[22:23]
.LBB9_11:
	s_or_b32 exec_lo, exec_lo, s1
	s_mov_b32 s1, exec_lo
	s_waitcnt lgkmcnt(0)
	s_barrier
	buffer_gl0_inv
	v_cmpx_eq_u32_e32 2, v0
	s_cbranch_execz .LBB9_14
; %bb.12:
	ds_write_b64 v1, v[18:19]
	ds_write2_b64 v32, v[20:21], v[22:23] offset0:3 offset1:4
	ds_read_b64 v[28:29], v1
	s_waitcnt lgkmcnt(0)
	v_cmp_neq_f64_e32 vcc_lo, 0, v[28:29]
	s_and_b32 exec_lo, exec_lo, vcc_lo
	s_cbranch_execz .LBB9_14
; %bb.13:
	v_div_scale_f64 v[30:31], null, v[28:29], v[28:29], 1.0
	v_rcp_f64_e32 v[33:34], v[30:31]
	v_fma_f64 v[35:36], -v[30:31], v[33:34], 1.0
	v_fma_f64 v[33:34], v[33:34], v[35:36], v[33:34]
	v_fma_f64 v[35:36], -v[30:31], v[33:34], 1.0
	v_fma_f64 v[33:34], v[33:34], v[35:36], v[33:34]
	v_div_scale_f64 v[35:36], vcc_lo, 1.0, v[28:29], 1.0
	v_mul_f64 v[37:38], v[35:36], v[33:34]
	v_fma_f64 v[30:31], -v[30:31], v[37:38], v[35:36]
	v_div_fmas_f64 v[30:31], v[30:31], v[33:34], v[37:38]
	v_div_fixup_f64 v[28:29], v[30:31], v[28:29], 1.0
	ds_write_b64 v1, v[28:29]
.LBB9_14:
	s_or_b32 exec_lo, exec_lo, s1
	s_waitcnt lgkmcnt(0)
	s_barrier
	buffer_gl0_inv
	ds_read_b64 v[28:29], v1
	s_mov_b32 s1, exec_lo
	v_cmpx_lt_u32_e32 2, v0
	s_cbranch_execz .LBB9_16
; %bb.15:
	s_waitcnt lgkmcnt(0)
	v_mul_f64 v[18:19], v[18:19], v[28:29]
	ds_read2_b64 v[33:36], v32 offset0:3 offset1:4
	s_waitcnt lgkmcnt(0)
	v_fma_f64 v[20:21], -v[18:19], v[33:34], v[20:21]
	v_fma_f64 v[22:23], -v[18:19], v[35:36], v[22:23]
.LBB9_16:
	s_or_b32 exec_lo, exec_lo, s1
	s_mov_b32 s1, exec_lo
	s_waitcnt lgkmcnt(0)
	s_barrier
	buffer_gl0_inv
	v_cmpx_eq_u32_e32 3, v0
	s_cbranch_execz .LBB9_19
; %bb.17:
	ds_write_b64 v1, v[20:21]
	ds_write_b64 v32, v[22:23] offset:32
	ds_read_b64 v[30:31], v1
	s_waitcnt lgkmcnt(0)
	v_cmp_neq_f64_e32 vcc_lo, 0, v[30:31]
	s_and_b32 exec_lo, exec_lo, vcc_lo
	s_cbranch_execz .LBB9_19
; %bb.18:
	v_div_scale_f64 v[33:34], null, v[30:31], v[30:31], 1.0
	v_rcp_f64_e32 v[35:36], v[33:34]
	v_fma_f64 v[37:38], -v[33:34], v[35:36], 1.0
	v_fma_f64 v[35:36], v[35:36], v[37:38], v[35:36]
	v_fma_f64 v[37:38], -v[33:34], v[35:36], 1.0
	v_fma_f64 v[35:36], v[35:36], v[37:38], v[35:36]
	v_div_scale_f64 v[37:38], vcc_lo, 1.0, v[30:31], 1.0
	v_mul_f64 v[39:40], v[37:38], v[35:36]
	v_fma_f64 v[33:34], -v[33:34], v[39:40], v[37:38]
	v_div_fmas_f64 v[33:34], v[33:34], v[35:36], v[39:40]
	v_div_fixup_f64 v[30:31], v[33:34], v[30:31], 1.0
	ds_write_b64 v1, v[30:31]
.LBB9_19:
	s_or_b32 exec_lo, exec_lo, s1
	s_waitcnt lgkmcnt(0)
	s_barrier
	buffer_gl0_inv
	ds_read_b64 v[30:31], v1
	s_mov_b32 s1, exec_lo
	v_cmpx_lt_u32_e32 3, v0
	s_cbranch_execz .LBB9_21
; %bb.20:
	s_waitcnt lgkmcnt(0)
	v_mul_f64 v[20:21], v[20:21], v[30:31]
	ds_read_b64 v[32:33], v32 offset:32
	s_waitcnt lgkmcnt(0)
	v_fma_f64 v[22:23], -v[20:21], v[32:33], v[22:23]
.LBB9_21:
	s_or_b32 exec_lo, exec_lo, s1
	s_mov_b32 s1, exec_lo
	s_waitcnt lgkmcnt(0)
	s_barrier
	buffer_gl0_inv
	v_cmpx_ne_u32_e32 4, v0
	s_xor_b32 s1, exec_lo, s1
	s_andn2_saveexec_b32 s1, s1
	s_cbranch_execz .LBB9_25
; %bb.22:
	s_mov_b32 s2, exec_lo
	ds_write_b64 v1, v[22:23]
	v_cmpx_neq_f64_e32 0, v[22:23]
	s_cbranch_execz .LBB9_24
; %bb.23:
	v_div_scale_f64 v[32:33], null, v[22:23], v[22:23], 1.0
	v_rcp_f64_e32 v[34:35], v[32:33]
	v_fma_f64 v[36:37], -v[32:33], v[34:35], 1.0
	v_fma_f64 v[34:35], v[34:35], v[36:37], v[34:35]
	v_fma_f64 v[36:37], -v[32:33], v[34:35], 1.0
	v_fma_f64 v[34:35], v[34:35], v[36:37], v[34:35]
	v_div_scale_f64 v[36:37], vcc_lo, 1.0, v[22:23], 1.0
	v_mul_f64 v[38:39], v[36:37], v[34:35]
	v_fma_f64 v[32:33], -v[32:33], v[38:39], v[36:37]
	v_div_fmas_f64 v[32:33], v[32:33], v[34:35], v[38:39]
	v_div_fixup_f64 v[32:33], v[32:33], v[22:23], 1.0
	ds_write_b64 v1, v[32:33]
.LBB9_24:
	s_or_b32 exec_lo, exec_lo, s2
.LBB9_25:
	s_or_b32 exec_lo, exec_lo, s1
	s_waitcnt lgkmcnt(0)
	s_barrier
	buffer_gl0_inv
	ds_read_b64 v[32:33], v1
	s_waitcnt lgkmcnt(0)
	s_barrier
	buffer_gl0_inv
	s_and_saveexec_b32 s3, s0
	s_cbranch_execz .LBB9_28
; %bb.26:
	s_load_dwordx2 s[0:1], s[4:5], 0x28
	v_lshlrev_b64 v[1:2], 2, v[2:3]
	v_cmp_eq_f64_e64 s2, 0, v[30:31]
	s_waitcnt lgkmcnt(0)
	v_add_co_u32 v1, vcc_lo, s0, v1
	v_add_co_ci_u32_e64 v2, null, s1, v2, vcc_lo
	v_cmp_eq_f64_e32 vcc_lo, 0, v[24:25]
	v_cmp_neq_f64_e64 s0, 0, v[26:27]
	v_cmp_eq_f64_e64 s1, 0, v[28:29]
	global_load_dword v34, v[1:2], off
	v_cndmask_b32_e64 v3, 0, 1, vcc_lo
	s_or_b32 vcc_lo, s0, vcc_lo
	v_cmp_eq_f64_e64 s0, 0, v[32:33]
	v_cndmask_b32_e32 v3, 2, v3, vcc_lo
	v_cmp_eq_u32_e32 vcc_lo, 0, v3
	s_and_b32 s1, s1, vcc_lo
	v_cndmask_b32_e64 v3, v3, 3, s1
	v_cmp_eq_u32_e32 vcc_lo, 0, v3
	s_and_b32 s1, s2, vcc_lo
	v_cndmask_b32_e64 v3, v3, 4, s1
	;; [unrolled: 3-line block ×3, first 2 shown]
	v_cmp_ne_u32_e64 s0, 0, v3
	s_waitcnt vmcnt(0)
	v_cmp_eq_u32_e32 vcc_lo, 0, v34
	s_and_b32 s0, vcc_lo, s0
	s_and_b32 exec_lo, exec_lo, s0
	s_cbranch_execz .LBB9_28
; %bb.27:
	v_add_nc_u32_e32 v3, s9, v3
	global_store_dword v[1:2], v3, off
.LBB9_28:
	s_or_b32 exec_lo, exec_lo, s3
	v_mul_f64 v[1:2], v[22:23], v[32:33]
	v_cmp_lt_u32_e32 vcc_lo, 4, v0
	v_cndmask_b32_e32 v2, v23, v2, vcc_lo
	v_cndmask_b32_e32 v1, v22, v1, vcc_lo
	flat_store_dwordx2 v[4:5], v[14:15]
	flat_store_dwordx2 v[12:13], v[16:17]
	;; [unrolled: 1-line block ×5, first 2 shown]
.LBB9_29:
	s_endpgm
	.section	.rodata,"a",@progbits
	.p2align	6, 0x0
	.amdhsa_kernel _ZN9rocsolver6v33100L23getf2_npvt_small_kernelILi5EdiiPKPdEEvT1_T3_lS5_lPT2_S5_S5_
		.amdhsa_group_segment_fixed_size 0
		.amdhsa_private_segment_fixed_size 0
		.amdhsa_kernarg_size 312
		.amdhsa_user_sgpr_count 6
		.amdhsa_user_sgpr_private_segment_buffer 1
		.amdhsa_user_sgpr_dispatch_ptr 0
		.amdhsa_user_sgpr_queue_ptr 0
		.amdhsa_user_sgpr_kernarg_segment_ptr 1
		.amdhsa_user_sgpr_dispatch_id 0
		.amdhsa_user_sgpr_flat_scratch_init 0
		.amdhsa_user_sgpr_private_segment_size 0
		.amdhsa_wavefront_size32 1
		.amdhsa_uses_dynamic_stack 0
		.amdhsa_system_sgpr_private_segment_wavefront_offset 0
		.amdhsa_system_sgpr_workgroup_id_x 1
		.amdhsa_system_sgpr_workgroup_id_y 1
		.amdhsa_system_sgpr_workgroup_id_z 0
		.amdhsa_system_sgpr_workgroup_info 0
		.amdhsa_system_vgpr_workitem_id 1
		.amdhsa_next_free_vgpr 41
		.amdhsa_next_free_sgpr 12
		.amdhsa_reserve_vcc 1
		.amdhsa_reserve_flat_scratch 1
		.amdhsa_float_round_mode_32 0
		.amdhsa_float_round_mode_16_64 0
		.amdhsa_float_denorm_mode_32 3
		.amdhsa_float_denorm_mode_16_64 3
		.amdhsa_dx10_clamp 1
		.amdhsa_ieee_mode 1
		.amdhsa_fp16_overflow 0
		.amdhsa_workgroup_processor_mode 1
		.amdhsa_memory_ordered 1
		.amdhsa_forward_progress 1
		.amdhsa_shared_vgpr_count 0
		.amdhsa_exception_fp_ieee_invalid_op 0
		.amdhsa_exception_fp_denorm_src 0
		.amdhsa_exception_fp_ieee_div_zero 0
		.amdhsa_exception_fp_ieee_overflow 0
		.amdhsa_exception_fp_ieee_underflow 0
		.amdhsa_exception_fp_ieee_inexact 0
		.amdhsa_exception_int_div_zero 0
	.end_amdhsa_kernel
	.section	.text._ZN9rocsolver6v33100L23getf2_npvt_small_kernelILi5EdiiPKPdEEvT1_T3_lS5_lPT2_S5_S5_,"axG",@progbits,_ZN9rocsolver6v33100L23getf2_npvt_small_kernelILi5EdiiPKPdEEvT1_T3_lS5_lPT2_S5_S5_,comdat
.Lfunc_end9:
	.size	_ZN9rocsolver6v33100L23getf2_npvt_small_kernelILi5EdiiPKPdEEvT1_T3_lS5_lPT2_S5_S5_, .Lfunc_end9-_ZN9rocsolver6v33100L23getf2_npvt_small_kernelILi5EdiiPKPdEEvT1_T3_lS5_lPT2_S5_S5_
                                        ; -- End function
	.set _ZN9rocsolver6v33100L23getf2_npvt_small_kernelILi5EdiiPKPdEEvT1_T3_lS5_lPT2_S5_S5_.num_vgpr, 41
	.set _ZN9rocsolver6v33100L23getf2_npvt_small_kernelILi5EdiiPKPdEEvT1_T3_lS5_lPT2_S5_S5_.num_agpr, 0
	.set _ZN9rocsolver6v33100L23getf2_npvt_small_kernelILi5EdiiPKPdEEvT1_T3_lS5_lPT2_S5_S5_.numbered_sgpr, 12
	.set _ZN9rocsolver6v33100L23getf2_npvt_small_kernelILi5EdiiPKPdEEvT1_T3_lS5_lPT2_S5_S5_.num_named_barrier, 0
	.set _ZN9rocsolver6v33100L23getf2_npvt_small_kernelILi5EdiiPKPdEEvT1_T3_lS5_lPT2_S5_S5_.private_seg_size, 0
	.set _ZN9rocsolver6v33100L23getf2_npvt_small_kernelILi5EdiiPKPdEEvT1_T3_lS5_lPT2_S5_S5_.uses_vcc, 1
	.set _ZN9rocsolver6v33100L23getf2_npvt_small_kernelILi5EdiiPKPdEEvT1_T3_lS5_lPT2_S5_S5_.uses_flat_scratch, 1
	.set _ZN9rocsolver6v33100L23getf2_npvt_small_kernelILi5EdiiPKPdEEvT1_T3_lS5_lPT2_S5_S5_.has_dyn_sized_stack, 0
	.set _ZN9rocsolver6v33100L23getf2_npvt_small_kernelILi5EdiiPKPdEEvT1_T3_lS5_lPT2_S5_S5_.has_recursion, 0
	.set _ZN9rocsolver6v33100L23getf2_npvt_small_kernelILi5EdiiPKPdEEvT1_T3_lS5_lPT2_S5_S5_.has_indirect_call, 0
	.section	.AMDGPU.csdata,"",@progbits
; Kernel info:
; codeLenInByte = 1840
; TotalNumSgprs: 14
; NumVgprs: 41
; ScratchSize: 0
; MemoryBound: 0
; FloatMode: 240
; IeeeMode: 1
; LDSByteSize: 0 bytes/workgroup (compile time only)
; SGPRBlocks: 0
; VGPRBlocks: 5
; NumSGPRsForWavesPerEU: 14
; NumVGPRsForWavesPerEU: 41
; Occupancy: 16
; WaveLimiterHint : 1
; COMPUTE_PGM_RSRC2:SCRATCH_EN: 0
; COMPUTE_PGM_RSRC2:USER_SGPR: 6
; COMPUTE_PGM_RSRC2:TRAP_HANDLER: 0
; COMPUTE_PGM_RSRC2:TGID_X_EN: 1
; COMPUTE_PGM_RSRC2:TGID_Y_EN: 1
; COMPUTE_PGM_RSRC2:TGID_Z_EN: 0
; COMPUTE_PGM_RSRC2:TIDIG_COMP_CNT: 1
	.section	.text._ZN9rocsolver6v33100L18getf2_small_kernelILi6EdiiPKPdEEvT1_T3_lS5_lPS5_llPT2_S5_S5_S7_l,"axG",@progbits,_ZN9rocsolver6v33100L18getf2_small_kernelILi6EdiiPKPdEEvT1_T3_lS5_lPS5_llPT2_S5_S5_S7_l,comdat
	.globl	_ZN9rocsolver6v33100L18getf2_small_kernelILi6EdiiPKPdEEvT1_T3_lS5_lPS5_llPT2_S5_S5_S7_l ; -- Begin function _ZN9rocsolver6v33100L18getf2_small_kernelILi6EdiiPKPdEEvT1_T3_lS5_lPS5_llPT2_S5_S5_S7_l
	.p2align	8
	.type	_ZN9rocsolver6v33100L18getf2_small_kernelILi6EdiiPKPdEEvT1_T3_lS5_lPS5_llPT2_S5_S5_S7_l,@function
_ZN9rocsolver6v33100L18getf2_small_kernelILi6EdiiPKPdEEvT1_T3_lS5_lPS5_llPT2_S5_S5_S7_l: ; @_ZN9rocsolver6v33100L18getf2_small_kernelILi6EdiiPKPdEEvT1_T3_lS5_lPS5_llPT2_S5_S5_S7_l
; %bb.0:
	s_clause 0x1
	s_load_dword s0, s[4:5], 0x6c
	s_load_dwordx2 s[12:13], s[4:5], 0x48
	s_waitcnt lgkmcnt(0)
	s_lshr_b32 s0, s0, 16
	v_mad_u64_u32 v[2:3], null, s7, s0, v[1:2]
	s_mov_b32 s0, exec_lo
	v_cmpx_gt_i32_e64 s12, v2
	s_cbranch_execz .LBB10_99
; %bb.1:
	s_clause 0x1
	s_load_dwordx4 s[0:3], s[4:5], 0x8
	s_load_dwordx4 s[8:11], s[4:5], 0x50
	v_ashrrev_i32_e32 v3, 31, v2
	v_mov_b32_e32 v16, 0
	v_mov_b32_e32 v17, 0
	v_lshlrev_b64 v[4:5], 3, v[2:3]
	s_waitcnt lgkmcnt(0)
	v_add_co_u32 v4, vcc_lo, s0, v4
	v_add_co_ci_u32_e64 v5, null, s1, v5, vcc_lo
	s_cmp_eq_u64 s[8:9], 0
	s_cselect_b32 s6, -1, 0
	global_load_dwordx2 v[4:5], v[4:5], off
	s_and_b32 vcc_lo, exec_lo, s6
	s_cbranch_vccnz .LBB10_3
; %bb.2:
	v_mul_lo_u32 v8, s11, v2
	v_mul_lo_u32 v9, s10, v3
	v_mad_u64_u32 v[6:7], null, s10, v2, 0
	v_add3_u32 v7, v7, v9, v8
	v_lshlrev_b64 v[6:7], 2, v[6:7]
	v_add_co_u32 v16, vcc_lo, s8, v6
	v_add_co_ci_u32_e64 v17, null, s9, v7, vcc_lo
.LBB10_3:
	s_load_dword s8, s[4:5], 0x18
	s_lshl_b64 s[0:1], s[2:3], 3
	s_load_dword s2, s[4:5], 0x0
	v_lshlrev_b32_e32 v25, 3, v0
	s_waitcnt vmcnt(0)
	v_add_co_u32 v22, vcc_lo, v4, s0
	v_add_co_ci_u32_e64 v23, null, s1, v5, vcc_lo
	v_add_co_u32 v8, vcc_lo, v22, v25
	v_add_co_ci_u32_e64 v9, null, 0, v23, vcc_lo
	flat_load_dwordx2 v[4:5], v[8:9]
	s_waitcnt lgkmcnt(0)
	v_add3_u32 v6, s8, s8, v0
	s_ashr_i32 s9, s8, 31
	s_max_i32 s0, s2, 6
	s_lshl_b64 s[10:11], s[8:9], 3
	v_mul_lo_u32 v1, s0, v1
	v_add_nc_u32_e32 v10, s8, v6
	v_ashrrev_i32_e32 v7, 31, v6
	v_add_co_u32 v8, vcc_lo, v8, s10
	v_add_co_ci_u32_e64 v9, null, s11, v9, vcc_lo
	v_add_nc_u32_e32 v12, s8, v10
	v_lshlrev_b64 v[6:7], 3, v[6:7]
	v_ashrrev_i32_e32 v11, 31, v10
	v_lshl_add_u32 v24, v1, 3, 0
	s_cmp_lt_i32 s2, 2
	v_add_nc_u32_e32 v14, s8, v12
	v_ashrrev_i32_e32 v13, 31, v12
	v_lshlrev_b64 v[10:11], 3, v[10:11]
	v_add_co_u32 v18, vcc_lo, v22, v6
	v_ashrrev_i32_e32 v15, 31, v14
	v_add_co_ci_u32_e64 v19, null, v23, v7, vcc_lo
	v_lshlrev_b64 v[6:7], 3, v[12:13]
	v_add_co_u32 v10, vcc_lo, v22, v10
	v_lshlrev_b64 v[12:13], 3, v[14:15]
	v_add_co_ci_u32_e64 v11, null, v23, v11, vcc_lo
	v_add_co_u32 v14, vcc_lo, v22, v6
	v_add_co_ci_u32_e64 v15, null, v23, v7, vcc_lo
	v_add_co_u32 v20, vcc_lo, v22, v12
	v_add_co_ci_u32_e64 v21, null, v23, v13, vcc_lo
	s_clause 0x4
	flat_load_dwordx2 v[6:7], v[8:9]
	flat_load_dwordx2 v[8:9], v[18:19]
	;; [unrolled: 1-line block ×5, first 2 shown]
	v_add_nc_u32_e32 v18, v24, v25
	v_mov_b32_e32 v20, 0
	v_lshlrev_b32_e32 v25, 3, v1
	s_waitcnt vmcnt(5)
	ds_write_b64 v18, v[4:5]
	s_waitcnt vmcnt(0) lgkmcnt(0)
	s_barrier
	buffer_gl0_inv
	ds_read_b64 v[18:19], v24
	s_cbranch_scc1 .LBB10_6
; %bb.4:
	v_add3_u32 v1, v25, 0, 8
	v_mov_b32_e32 v20, 0
	s_mov_b32 s0, 1
.LBB10_5:                               ; =>This Inner Loop Header: Depth=1
	ds_read_b64 v[26:27], v1
	v_add_nc_u32_e32 v1, 8, v1
	s_waitcnt lgkmcnt(0)
	v_cmp_lt_f64_e64 vcc_lo, |v[18:19]|, |v[26:27]|
	v_cndmask_b32_e32 v19, v19, v27, vcc_lo
	v_cndmask_b32_e32 v18, v18, v26, vcc_lo
	v_cndmask_b32_e64 v20, v20, s0, vcc_lo
	s_add_i32 s0, s0, 1
	s_cmp_eq_u32 s2, s0
	s_cbranch_scc0 .LBB10_5
.LBB10_6:
	s_mov_b32 s0, exec_lo
                                        ; implicit-def: $vgpr26
	v_cmpx_ne_u32_e64 v0, v20
	s_xor_b32 s0, exec_lo, s0
	s_cbranch_execz .LBB10_12
; %bb.7:
	s_mov_b32 s1, exec_lo
	v_cmpx_eq_u32_e32 0, v0
	s_cbranch_execz .LBB10_11
; %bb.8:
	v_cmp_ne_u32_e32 vcc_lo, 0, v20
	s_xor_b32 s3, s6, -1
	s_and_b32 s7, s3, vcc_lo
	s_and_saveexec_b32 s3, s7
	s_cbranch_execz .LBB10_10
; %bb.9:
	v_ashrrev_i32_e32 v21, 31, v20
	v_lshlrev_b64 v[0:1], 2, v[20:21]
	v_add_co_u32 v0, vcc_lo, v16, v0
	v_add_co_ci_u32_e64 v1, null, v17, v1, vcc_lo
	s_clause 0x1
	global_load_dword v21, v[0:1], off
	global_load_dword v26, v[16:17], off
	s_waitcnt vmcnt(1)
	global_store_dword v[16:17], v21, off
	s_waitcnt vmcnt(0)
	global_store_dword v[0:1], v26, off
.LBB10_10:
	s_or_b32 exec_lo, exec_lo, s3
	v_mov_b32_e32 v0, v20
.LBB10_11:
	s_or_b32 exec_lo, exec_lo, s1
	v_mov_b32_e32 v26, v0
                                        ; implicit-def: $vgpr0
.LBB10_12:
	s_or_saveexec_b32 s0, s0
	v_mov_b32_e32 v21, v26
	s_xor_b32 exec_lo, exec_lo, s0
	s_cbranch_execz .LBB10_14
; %bb.13:
	v_mov_b32_e32 v26, 0
	v_mov_b32_e32 v21, v0
	ds_write2_b64 v24, v[6:7], v[8:9] offset0:1 offset1:2
	ds_write2_b64 v24, v[10:11], v[12:13] offset0:3 offset1:4
	ds_write_b64 v24, v[14:15] offset:40
.LBB10_14:
	s_or_b32 exec_lo, exec_lo, s0
	s_waitcnt lgkmcnt(0)
	v_cmp_eq_f64_e64 s0, 0, v[18:19]
	s_mov_b32 s1, exec_lo
	s_waitcnt_vscnt null, 0x0
	s_barrier
	buffer_gl0_inv
	v_cmpx_lt_i32_e32 0, v26
	s_cbranch_execz .LBB10_16
; %bb.15:
	v_div_scale_f64 v[0:1], null, v[18:19], v[18:19], 1.0
	v_div_scale_f64 v[31:32], vcc_lo, 1.0, v[18:19], 1.0
	v_rcp_f64_e32 v[27:28], v[0:1]
	v_fma_f64 v[29:30], -v[0:1], v[27:28], 1.0
	v_fma_f64 v[27:28], v[27:28], v[29:30], v[27:28]
	v_fma_f64 v[29:30], -v[0:1], v[27:28], 1.0
	v_fma_f64 v[27:28], v[27:28], v[29:30], v[27:28]
	v_mul_f64 v[29:30], v[31:32], v[27:28]
	v_fma_f64 v[0:1], -v[0:1], v[29:30], v[31:32]
	v_div_fmas_f64 v[0:1], v[0:1], v[27:28], v[29:30]
	v_div_fixup_f64 v[0:1], v[0:1], v[18:19], 1.0
	v_cndmask_b32_e64 v1, v1, v19, s0
	v_cndmask_b32_e64 v0, v0, v18, s0
	v_mul_f64 v[4:5], v[4:5], v[0:1]
	ds_read2_b64 v[27:30], v24 offset0:1 offset1:2
	ds_read2_b64 v[31:34], v24 offset0:3 offset1:4
	ds_read_b64 v[0:1], v24 offset:40
	s_waitcnt lgkmcnt(2)
	v_fma_f64 v[6:7], -v[4:5], v[27:28], v[6:7]
	v_fma_f64 v[8:9], -v[4:5], v[29:30], v[8:9]
	s_waitcnt lgkmcnt(1)
	v_fma_f64 v[10:11], -v[4:5], v[31:32], v[10:11]
	v_fma_f64 v[12:13], -v[4:5], v[33:34], v[12:13]
	s_waitcnt lgkmcnt(0)
	v_fma_f64 v[14:15], -v[4:5], v[0:1], v[14:15]
.LBB10_16:
	s_or_b32 exec_lo, exec_lo, s1
	v_lshl_add_u32 v0, v26, 3, v24
	s_barrier
	buffer_gl0_inv
	v_mov_b32_e32 v18, 1
	ds_write_b64 v0, v[6:7]
	s_waitcnt lgkmcnt(0)
	s_barrier
	buffer_gl0_inv
	ds_read_b64 v[0:1], v24 offset:8
	s_cmp_lt_i32 s2, 3
	s_cbranch_scc1 .LBB10_19
; %bb.17:
	v_add3_u32 v19, v25, 0, 16
	v_mov_b32_e32 v18, 1
	s_mov_b32 s1, 2
.LBB10_18:                              ; =>This Inner Loop Header: Depth=1
	ds_read_b64 v[27:28], v19
	v_add_nc_u32_e32 v19, 8, v19
	s_waitcnt lgkmcnt(0)
	v_cmp_lt_f64_e64 vcc_lo, |v[0:1]|, |v[27:28]|
	v_cndmask_b32_e32 v1, v1, v28, vcc_lo
	v_cndmask_b32_e32 v0, v0, v27, vcc_lo
	v_cndmask_b32_e64 v18, v18, s1, vcc_lo
	s_add_i32 s1, s1, 1
	s_cmp_lg_u32 s2, s1
	s_cbranch_scc1 .LBB10_18
.LBB10_19:
	s_mov_b32 s1, exec_lo
	v_cmpx_ne_u32_e64 v26, v18
	s_xor_b32 s1, exec_lo, s1
	s_cbranch_execz .LBB10_25
; %bb.20:
	s_mov_b32 s3, exec_lo
	v_cmpx_eq_u32_e32 1, v26
	s_cbranch_execz .LBB10_24
; %bb.21:
	v_cmp_ne_u32_e32 vcc_lo, 1, v18
	s_xor_b32 s7, s6, -1
	s_and_b32 s9, s7, vcc_lo
	s_and_saveexec_b32 s7, s9
	s_cbranch_execz .LBB10_23
; %bb.22:
	v_ashrrev_i32_e32 v19, 31, v18
	v_lshlrev_b64 v[19:20], 2, v[18:19]
	v_add_co_u32 v19, vcc_lo, v16, v19
	v_add_co_ci_u32_e64 v20, null, v17, v20, vcc_lo
	s_clause 0x1
	global_load_dword v21, v[19:20], off
	global_load_dword v26, v[16:17], off offset:4
	s_waitcnt vmcnt(1)
	global_store_dword v[16:17], v21, off offset:4
	s_waitcnt vmcnt(0)
	global_store_dword v[19:20], v26, off
.LBB10_23:
	s_or_b32 exec_lo, exec_lo, s7
	v_mov_b32_e32 v21, v18
	v_mov_b32_e32 v26, v18
.LBB10_24:
	s_or_b32 exec_lo, exec_lo, s3
.LBB10_25:
	s_andn2_saveexec_b32 s1, s1
	s_cbranch_execz .LBB10_27
; %bb.26:
	v_mov_b32_e32 v26, 1
	ds_write2_b64 v24, v[8:9], v[10:11] offset0:2 offset1:3
	ds_write2_b64 v24, v[12:13], v[14:15] offset0:4 offset1:5
.LBB10_27:
	s_or_b32 exec_lo, exec_lo, s1
	s_waitcnt lgkmcnt(0)
	v_cmp_neq_f64_e64 s1, 0, v[0:1]
	s_mov_b32 s3, exec_lo
	s_waitcnt_vscnt null, 0x0
	s_barrier
	buffer_gl0_inv
	v_cmpx_lt_i32_e32 1, v26
	s_cbranch_execz .LBB10_29
; %bb.28:
	v_div_scale_f64 v[18:19], null, v[0:1], v[0:1], 1.0
	v_div_scale_f64 v[31:32], vcc_lo, 1.0, v[0:1], 1.0
	v_rcp_f64_e32 v[27:28], v[18:19]
	v_fma_f64 v[29:30], -v[18:19], v[27:28], 1.0
	v_fma_f64 v[27:28], v[27:28], v[29:30], v[27:28]
	v_fma_f64 v[29:30], -v[18:19], v[27:28], 1.0
	v_fma_f64 v[27:28], v[27:28], v[29:30], v[27:28]
	v_mul_f64 v[29:30], v[31:32], v[27:28]
	v_fma_f64 v[18:19], -v[18:19], v[29:30], v[31:32]
	v_div_fmas_f64 v[18:19], v[18:19], v[27:28], v[29:30]
	ds_read2_b64 v[27:30], v24 offset0:2 offset1:3
	ds_read2_b64 v[31:34], v24 offset0:4 offset1:5
	v_div_fixup_f64 v[18:19], v[18:19], v[0:1], 1.0
	v_cndmask_b32_e64 v1, v1, v19, s1
	v_cndmask_b32_e64 v0, v0, v18, s1
	v_mul_f64 v[6:7], v[6:7], v[0:1]
	s_waitcnt lgkmcnt(1)
	v_fma_f64 v[8:9], -v[6:7], v[27:28], v[8:9]
	v_fma_f64 v[10:11], -v[6:7], v[29:30], v[10:11]
	s_waitcnt lgkmcnt(0)
	v_fma_f64 v[12:13], -v[6:7], v[31:32], v[12:13]
	v_fma_f64 v[14:15], -v[6:7], v[33:34], v[14:15]
.LBB10_29:
	s_or_b32 exec_lo, exec_lo, s3
	v_lshl_add_u32 v0, v26, 3, v24
	s_barrier
	buffer_gl0_inv
	v_mov_b32_e32 v18, 2
	ds_write_b64 v0, v[8:9]
	s_waitcnt lgkmcnt(0)
	s_barrier
	buffer_gl0_inv
	ds_read_b64 v[0:1], v24 offset:16
	s_cmp_lt_i32 s2, 4
	s_mov_b32 s3, 3
	s_cbranch_scc1 .LBB10_32
; %bb.30:
	v_add3_u32 v19, v25, 0, 24
	v_mov_b32_e32 v18, 2
.LBB10_31:                              ; =>This Inner Loop Header: Depth=1
	ds_read_b64 v[27:28], v19
	v_add_nc_u32_e32 v19, 8, v19
	s_waitcnt lgkmcnt(0)
	v_cmp_lt_f64_e64 vcc_lo, |v[0:1]|, |v[27:28]|
	v_cndmask_b32_e32 v1, v1, v28, vcc_lo
	v_cndmask_b32_e32 v0, v0, v27, vcc_lo
	v_cndmask_b32_e64 v18, v18, s3, vcc_lo
	s_add_i32 s3, s3, 1
	s_cmp_lg_u32 s2, s3
	s_cbranch_scc1 .LBB10_31
.LBB10_32:
	v_cndmask_b32_e64 v19, 2, 1, s0
	v_cndmask_b32_e64 v20, 0, 1, s0
	s_mov_b32 s0, exec_lo
	v_cndmask_b32_e64 v27, v19, v20, s1
	s_waitcnt lgkmcnt(0)
	v_cmpx_eq_f64_e32 0, v[0:1]
	s_xor_b32 s0, exec_lo, s0
; %bb.33:
	v_cmp_ne_u32_e32 vcc_lo, 0, v27
	v_cndmask_b32_e32 v27, 3, v27, vcc_lo
; %bb.34:
	s_andn2_saveexec_b32 s0, s0
	s_cbranch_execz .LBB10_36
; %bb.35:
	v_div_scale_f64 v[19:20], null, v[0:1], v[0:1], 1.0
	v_rcp_f64_e32 v[28:29], v[19:20]
	v_fma_f64 v[30:31], -v[19:20], v[28:29], 1.0
	v_fma_f64 v[28:29], v[28:29], v[30:31], v[28:29]
	v_fma_f64 v[30:31], -v[19:20], v[28:29], 1.0
	v_fma_f64 v[28:29], v[28:29], v[30:31], v[28:29]
	v_div_scale_f64 v[30:31], vcc_lo, 1.0, v[0:1], 1.0
	v_mul_f64 v[32:33], v[30:31], v[28:29]
	v_fma_f64 v[19:20], -v[19:20], v[32:33], v[30:31]
	v_div_fmas_f64 v[19:20], v[19:20], v[28:29], v[32:33]
	v_div_fixup_f64 v[0:1], v[19:20], v[0:1], 1.0
.LBB10_36:
	s_or_b32 exec_lo, exec_lo, s0
	s_mov_b32 s0, exec_lo
	v_cmpx_ne_u32_e64 v26, v18
	s_xor_b32 s0, exec_lo, s0
	s_cbranch_execz .LBB10_42
; %bb.37:
	s_mov_b32 s1, exec_lo
	v_cmpx_eq_u32_e32 2, v26
	s_cbranch_execz .LBB10_41
; %bb.38:
	v_cmp_ne_u32_e32 vcc_lo, 2, v18
	s_xor_b32 s3, s6, -1
	s_and_b32 s7, s3, vcc_lo
	s_and_saveexec_b32 s3, s7
	s_cbranch_execz .LBB10_40
; %bb.39:
	v_ashrrev_i32_e32 v19, 31, v18
	v_lshlrev_b64 v[19:20], 2, v[18:19]
	v_add_co_u32 v19, vcc_lo, v16, v19
	v_add_co_ci_u32_e64 v20, null, v17, v20, vcc_lo
	s_clause 0x1
	global_load_dword v21, v[19:20], off
	global_load_dword v26, v[16:17], off offset:8
	s_waitcnt vmcnt(1)
	global_store_dword v[16:17], v21, off offset:8
	s_waitcnt vmcnt(0)
	global_store_dword v[19:20], v26, off
.LBB10_40:
	s_or_b32 exec_lo, exec_lo, s3
	v_mov_b32_e32 v21, v18
	v_mov_b32_e32 v26, v18
.LBB10_41:
	s_or_b32 exec_lo, exec_lo, s1
.LBB10_42:
	s_andn2_saveexec_b32 s0, s0
	s_cbranch_execz .LBB10_44
; %bb.43:
	v_mov_b32_e32 v26, 2
	ds_write2_b64 v24, v[10:11], v[12:13] offset0:3 offset1:4
	ds_write_b64 v24, v[14:15] offset:40
.LBB10_44:
	s_or_b32 exec_lo, exec_lo, s0
	s_mov_b32 s0, exec_lo
	s_waitcnt lgkmcnt(0)
	s_waitcnt_vscnt null, 0x0
	s_barrier
	buffer_gl0_inv
	v_cmpx_lt_i32_e32 2, v26
	s_cbranch_execz .LBB10_46
; %bb.45:
	v_mul_f64 v[8:9], v[8:9], v[0:1]
	ds_read2_b64 v[28:31], v24 offset0:3 offset1:4
	ds_read_b64 v[0:1], v24 offset:40
	s_waitcnt lgkmcnt(1)
	v_fma_f64 v[10:11], -v[8:9], v[28:29], v[10:11]
	v_fma_f64 v[12:13], -v[8:9], v[30:31], v[12:13]
	s_waitcnt lgkmcnt(0)
	v_fma_f64 v[14:15], -v[8:9], v[0:1], v[14:15]
.LBB10_46:
	s_or_b32 exec_lo, exec_lo, s0
	v_lshl_add_u32 v0, v26, 3, v24
	s_barrier
	buffer_gl0_inv
	v_mov_b32_e32 v18, 3
	ds_write_b64 v0, v[10:11]
	s_waitcnt lgkmcnt(0)
	s_barrier
	buffer_gl0_inv
	ds_read_b64 v[0:1], v24 offset:24
	s_cmp_lt_i32 s2, 5
	s_cbranch_scc1 .LBB10_49
; %bb.47:
	v_mov_b32_e32 v18, 3
	v_add3_u32 v19, v25, 0, 32
	s_mov_b32 s0, 4
.LBB10_48:                              ; =>This Inner Loop Header: Depth=1
	ds_read_b64 v[28:29], v19
	v_add_nc_u32_e32 v19, 8, v19
	s_waitcnt lgkmcnt(0)
	v_cmp_lt_f64_e64 vcc_lo, |v[0:1]|, |v[28:29]|
	v_cndmask_b32_e32 v1, v1, v29, vcc_lo
	v_cndmask_b32_e32 v0, v0, v28, vcc_lo
	v_cndmask_b32_e64 v18, v18, s0, vcc_lo
	s_add_i32 s0, s0, 1
	s_cmp_lg_u32 s2, s0
	s_cbranch_scc1 .LBB10_48
.LBB10_49:
	s_mov_b32 s0, exec_lo
	s_waitcnt lgkmcnt(0)
	v_cmpx_eq_f64_e32 0, v[0:1]
	s_xor_b32 s0, exec_lo, s0
; %bb.50:
	v_cmp_ne_u32_e32 vcc_lo, 0, v27
	v_cndmask_b32_e32 v27, 4, v27, vcc_lo
; %bb.51:
	s_andn2_saveexec_b32 s0, s0
	s_cbranch_execz .LBB10_53
; %bb.52:
	v_div_scale_f64 v[19:20], null, v[0:1], v[0:1], 1.0
	v_rcp_f64_e32 v[28:29], v[19:20]
	v_fma_f64 v[30:31], -v[19:20], v[28:29], 1.0
	v_fma_f64 v[28:29], v[28:29], v[30:31], v[28:29]
	v_fma_f64 v[30:31], -v[19:20], v[28:29], 1.0
	v_fma_f64 v[28:29], v[28:29], v[30:31], v[28:29]
	v_div_scale_f64 v[30:31], vcc_lo, 1.0, v[0:1], 1.0
	v_mul_f64 v[32:33], v[30:31], v[28:29]
	v_fma_f64 v[19:20], -v[19:20], v[32:33], v[30:31]
	v_div_fmas_f64 v[19:20], v[19:20], v[28:29], v[32:33]
	v_div_fixup_f64 v[0:1], v[19:20], v[0:1], 1.0
.LBB10_53:
	s_or_b32 exec_lo, exec_lo, s0
	s_mov_b32 s0, exec_lo
	v_cmpx_ne_u32_e64 v26, v18
	s_xor_b32 s0, exec_lo, s0
	s_cbranch_execz .LBB10_59
; %bb.54:
	s_mov_b32 s1, exec_lo
	v_cmpx_eq_u32_e32 3, v26
	s_cbranch_execz .LBB10_58
; %bb.55:
	v_cmp_ne_u32_e32 vcc_lo, 3, v18
	s_xor_b32 s3, s6, -1
	s_and_b32 s7, s3, vcc_lo
	s_and_saveexec_b32 s3, s7
	s_cbranch_execz .LBB10_57
; %bb.56:
	v_ashrrev_i32_e32 v19, 31, v18
	v_lshlrev_b64 v[19:20], 2, v[18:19]
	v_add_co_u32 v19, vcc_lo, v16, v19
	v_add_co_ci_u32_e64 v20, null, v17, v20, vcc_lo
	s_clause 0x1
	global_load_dword v21, v[19:20], off
	global_load_dword v26, v[16:17], off offset:12
	s_waitcnt vmcnt(1)
	global_store_dword v[16:17], v21, off offset:12
	s_waitcnt vmcnt(0)
	global_store_dword v[19:20], v26, off
.LBB10_57:
	s_or_b32 exec_lo, exec_lo, s3
	v_mov_b32_e32 v21, v18
	v_mov_b32_e32 v26, v18
.LBB10_58:
	s_or_b32 exec_lo, exec_lo, s1
.LBB10_59:
	s_andn2_saveexec_b32 s0, s0
; %bb.60:
	v_mov_b32_e32 v26, 3
	ds_write2_b64 v24, v[12:13], v[14:15] offset0:4 offset1:5
; %bb.61:
	s_or_b32 exec_lo, exec_lo, s0
	s_mov_b32 s0, exec_lo
	s_waitcnt lgkmcnt(0)
	s_waitcnt_vscnt null, 0x0
	s_barrier
	buffer_gl0_inv
	v_cmpx_lt_i32_e32 3, v26
	s_cbranch_execz .LBB10_63
; %bb.62:
	v_mul_f64 v[10:11], v[10:11], v[0:1]
	ds_read2_b64 v[28:31], v24 offset0:4 offset1:5
	s_waitcnt lgkmcnt(0)
	v_fma_f64 v[12:13], -v[10:11], v[28:29], v[12:13]
	v_fma_f64 v[14:15], -v[10:11], v[30:31], v[14:15]
.LBB10_63:
	s_or_b32 exec_lo, exec_lo, s0
	v_lshl_add_u32 v0, v26, 3, v24
	s_barrier
	buffer_gl0_inv
	v_mov_b32_e32 v18, 4
	ds_write_b64 v0, v[12:13]
	s_waitcnt lgkmcnt(0)
	s_barrier
	buffer_gl0_inv
	ds_read_b64 v[0:1], v24 offset:32
	s_cmp_lt_i32 s2, 6
	s_cbranch_scc1 .LBB10_66
; %bb.64:
	v_add3_u32 v19, v25, 0, 40
	v_mov_b32_e32 v18, 4
	s_mov_b32 s0, 5
.LBB10_65:                              ; =>This Inner Loop Header: Depth=1
	ds_read_b64 v[28:29], v19
	v_add_nc_u32_e32 v19, 8, v19
	s_waitcnt lgkmcnt(0)
	v_cmp_lt_f64_e64 vcc_lo, |v[0:1]|, |v[28:29]|
	v_cndmask_b32_e32 v1, v1, v29, vcc_lo
	v_cndmask_b32_e32 v0, v0, v28, vcc_lo
	v_cndmask_b32_e64 v18, v18, s0, vcc_lo
	s_add_i32 s0, s0, 1
	s_cmp_lg_u32 s2, s0
	s_cbranch_scc1 .LBB10_65
.LBB10_66:
	s_mov_b32 s0, exec_lo
	s_waitcnt lgkmcnt(0)
	v_cmpx_eq_f64_e32 0, v[0:1]
	s_xor_b32 s0, exec_lo, s0
; %bb.67:
	v_cmp_ne_u32_e32 vcc_lo, 0, v27
	v_cndmask_b32_e32 v27, 5, v27, vcc_lo
; %bb.68:
	s_andn2_saveexec_b32 s0, s0
	s_cbranch_execz .LBB10_70
; %bb.69:
	v_div_scale_f64 v[19:20], null, v[0:1], v[0:1], 1.0
	v_rcp_f64_e32 v[28:29], v[19:20]
	v_fma_f64 v[30:31], -v[19:20], v[28:29], 1.0
	v_fma_f64 v[28:29], v[28:29], v[30:31], v[28:29]
	v_fma_f64 v[30:31], -v[19:20], v[28:29], 1.0
	v_fma_f64 v[28:29], v[28:29], v[30:31], v[28:29]
	v_div_scale_f64 v[30:31], vcc_lo, 1.0, v[0:1], 1.0
	v_mul_f64 v[32:33], v[30:31], v[28:29]
	v_fma_f64 v[19:20], -v[19:20], v[32:33], v[30:31]
	v_div_fmas_f64 v[19:20], v[19:20], v[28:29], v[32:33]
	v_div_fixup_f64 v[0:1], v[19:20], v[0:1], 1.0
.LBB10_70:
	s_or_b32 exec_lo, exec_lo, s0
	s_mov_b32 s0, exec_lo
	v_cmpx_ne_u32_e64 v26, v18
	s_xor_b32 s0, exec_lo, s0
	s_cbranch_execz .LBB10_76
; %bb.71:
	s_mov_b32 s1, exec_lo
	v_cmpx_eq_u32_e32 4, v26
	s_cbranch_execz .LBB10_75
; %bb.72:
	v_cmp_ne_u32_e32 vcc_lo, 4, v18
	s_xor_b32 s3, s6, -1
	s_and_b32 s7, s3, vcc_lo
	s_and_saveexec_b32 s3, s7
	s_cbranch_execz .LBB10_74
; %bb.73:
	v_ashrrev_i32_e32 v19, 31, v18
	v_lshlrev_b64 v[19:20], 2, v[18:19]
	v_add_co_u32 v19, vcc_lo, v16, v19
	v_add_co_ci_u32_e64 v20, null, v17, v20, vcc_lo
	s_clause 0x1
	global_load_dword v21, v[19:20], off
	global_load_dword v26, v[16:17], off offset:16
	s_waitcnt vmcnt(1)
	global_store_dword v[16:17], v21, off offset:16
	s_waitcnt vmcnt(0)
	global_store_dword v[19:20], v26, off
.LBB10_74:
	s_or_b32 exec_lo, exec_lo, s3
	v_mov_b32_e32 v21, v18
	v_mov_b32_e32 v26, v18
.LBB10_75:
	s_or_b32 exec_lo, exec_lo, s1
.LBB10_76:
	s_andn2_saveexec_b32 s0, s0
; %bb.77:
	v_mov_b32_e32 v26, 4
	ds_write_b64 v24, v[14:15] offset:40
; %bb.78:
	s_or_b32 exec_lo, exec_lo, s0
	s_mov_b32 s0, exec_lo
	s_waitcnt lgkmcnt(0)
	s_waitcnt_vscnt null, 0x0
	s_barrier
	buffer_gl0_inv
	v_cmpx_lt_i32_e32 4, v26
	s_cbranch_execz .LBB10_80
; %bb.79:
	v_mul_f64 v[12:13], v[12:13], v[0:1]
	ds_read_b64 v[0:1], v24 offset:40
	s_waitcnt lgkmcnt(0)
	v_fma_f64 v[14:15], -v[12:13], v[0:1], v[14:15]
.LBB10_80:
	s_or_b32 exec_lo, exec_lo, s0
	v_lshl_add_u32 v0, v26, 3, v24
	s_barrier
	buffer_gl0_inv
	v_mov_b32_e32 v18, 5
	ds_write_b64 v0, v[14:15]
	s_waitcnt lgkmcnt(0)
	s_barrier
	buffer_gl0_inv
	ds_read_b64 v[0:1], v24 offset:40
	s_cmp_lt_i32 s2, 7
	s_cbranch_scc1 .LBB10_83
; %bb.81:
	v_add3_u32 v19, v25, 0, 48
	v_mov_b32_e32 v18, 5
	s_mov_b32 s0, 6
.LBB10_82:                              ; =>This Inner Loop Header: Depth=1
	ds_read_b64 v[24:25], v19
	v_add_nc_u32_e32 v19, 8, v19
	s_waitcnt lgkmcnt(0)
	v_cmp_lt_f64_e64 vcc_lo, |v[0:1]|, |v[24:25]|
	v_cndmask_b32_e32 v1, v1, v25, vcc_lo
	v_cndmask_b32_e32 v0, v0, v24, vcc_lo
	v_cndmask_b32_e64 v18, v18, s0, vcc_lo
	s_add_i32 s0, s0, 1
	s_cmp_lg_u32 s2, s0
	s_cbranch_scc1 .LBB10_82
.LBB10_83:
	s_mov_b32 s0, exec_lo
	s_waitcnt lgkmcnt(0)
	v_cmpx_eq_f64_e32 0, v[0:1]
	s_xor_b32 s0, exec_lo, s0
; %bb.84:
	v_cmp_ne_u32_e32 vcc_lo, 0, v27
	v_cndmask_b32_e32 v27, 6, v27, vcc_lo
; %bb.85:
	s_andn2_saveexec_b32 s0, s0
	s_cbranch_execz .LBB10_87
; %bb.86:
	v_div_scale_f64 v[19:20], null, v[0:1], v[0:1], 1.0
	v_rcp_f64_e32 v[24:25], v[19:20]
	v_fma_f64 v[28:29], -v[19:20], v[24:25], 1.0
	v_fma_f64 v[24:25], v[24:25], v[28:29], v[24:25]
	v_fma_f64 v[28:29], -v[19:20], v[24:25], 1.0
	v_fma_f64 v[24:25], v[24:25], v[28:29], v[24:25]
	v_div_scale_f64 v[28:29], vcc_lo, 1.0, v[0:1], 1.0
	v_mul_f64 v[30:31], v[28:29], v[24:25]
	v_fma_f64 v[19:20], -v[19:20], v[30:31], v[28:29]
	v_div_fmas_f64 v[19:20], v[19:20], v[24:25], v[30:31]
	v_div_fixup_f64 v[0:1], v[19:20], v[0:1], 1.0
.LBB10_87:
	s_or_b32 exec_lo, exec_lo, s0
	v_mov_b32_e32 v19, 5
	s_mov_b32 s0, exec_lo
	v_cmpx_ne_u32_e64 v26, v18
	s_cbranch_execz .LBB10_93
; %bb.88:
	s_mov_b32 s1, exec_lo
	v_cmpx_eq_u32_e32 5, v26
	s_cbranch_execz .LBB10_92
; %bb.89:
	v_cmp_ne_u32_e32 vcc_lo, 5, v18
	s_xor_b32 s2, s6, -1
	s_and_b32 s3, s2, vcc_lo
	s_and_saveexec_b32 s2, s3
	s_cbranch_execz .LBB10_91
; %bb.90:
	v_ashrrev_i32_e32 v19, 31, v18
	v_lshlrev_b64 v[19:20], 2, v[18:19]
	v_add_co_u32 v19, vcc_lo, v16, v19
	v_add_co_ci_u32_e64 v20, null, v17, v20, vcc_lo
	s_clause 0x1
	global_load_dword v21, v[19:20], off
	global_load_dword v24, v[16:17], off offset:20
	s_waitcnt vmcnt(1)
	global_store_dword v[16:17], v21, off offset:20
	s_waitcnt vmcnt(0)
	global_store_dword v[19:20], v24, off
.LBB10_91:
	s_or_b32 exec_lo, exec_lo, s2
	v_mov_b32_e32 v21, v18
	v_mov_b32_e32 v26, v18
.LBB10_92:
	s_or_b32 exec_lo, exec_lo, s1
	v_mov_b32_e32 v19, v26
.LBB10_93:
	s_or_b32 exec_lo, exec_lo, s0
	s_load_dwordx8 s[0:7], s[4:5], 0x28
	v_ashrrev_i32_e32 v20, 31, v19
	s_mov_b32 s9, exec_lo
	s_waitcnt lgkmcnt(0)
	s_waitcnt_vscnt null, 0x0
	s_barrier
	buffer_gl0_inv
	s_barrier
	buffer_gl0_inv
	v_cmpx_gt_i32_e32 6, v19
	s_cbranch_execz .LBB10_95
; %bb.94:
	v_mul_lo_u32 v18, s5, v2
	v_mul_lo_u32 v24, s4, v3
	v_mad_u64_u32 v[16:17], null, s4, v2, 0
	s_lshl_b64 s[2:3], s[2:3], 2
	v_add3_u32 v17, v17, v24, v18
	v_lshlrev_b64 v[16:17], 2, v[16:17]
	v_add_co_u32 v18, vcc_lo, s0, v16
	v_add_co_ci_u32_e64 v24, null, s1, v17, vcc_lo
	v_lshlrev_b64 v[16:17], 2, v[19:20]
	v_add_co_u32 v18, vcc_lo, v18, s2
	v_add_co_ci_u32_e64 v24, null, s3, v24, vcc_lo
	v_add_co_u32 v16, vcc_lo, v18, v16
	v_add_co_ci_u32_e64 v17, null, v24, v17, vcc_lo
	v_add3_u32 v18, v21, s13, 1
	global_store_dword v[16:17], v18, off
.LBB10_95:
	s_or_b32 exec_lo, exec_lo, s9
	s_mov_b32 s1, exec_lo
	v_cmpx_eq_u32_e32 0, v19
	s_cbranch_execz .LBB10_98
; %bb.96:
	v_lshlrev_b64 v[2:3], 2, v[2:3]
	v_cmp_ne_u32_e64 s0, 0, v27
	v_add_co_u32 v2, vcc_lo, s6, v2
	v_add_co_ci_u32_e64 v3, null, s7, v3, vcc_lo
	global_load_dword v16, v[2:3], off
	s_waitcnt vmcnt(0)
	v_cmp_eq_u32_e32 vcc_lo, 0, v16
	s_and_b32 s0, vcc_lo, s0
	s_and_b32 exec_lo, exec_lo, s0
	s_cbranch_execz .LBB10_98
; %bb.97:
	v_add_nc_u32_e32 v16, s13, v27
	global_store_dword v[2:3], v16, off
.LBB10_98:
	s_or_b32 exec_lo, exec_lo, s1
	v_add3_u32 v2, s8, s8, v19
	v_lshlrev_b64 v[16:17], 3, v[19:20]
	v_mul_f64 v[0:1], v[14:15], v[0:1]
	v_add_nc_u32_e32 v18, s8, v2
	v_ashrrev_i32_e32 v3, 31, v2
	v_add_co_u32 v16, vcc_lo, v22, v16
	v_add_co_ci_u32_e64 v17, null, v23, v17, vcc_lo
	v_cmp_lt_i32_e32 vcc_lo, 5, v19
	v_ashrrev_i32_e32 v19, 31, v18
	v_add_nc_u32_e32 v20, s8, v18
	flat_store_dwordx2 v[16:17], v[4:5]
	v_add_co_u32 v4, s0, v16, s10
	v_add_co_ci_u32_e64 v5, null, s11, v17, s0
	v_lshlrev_b64 v[16:17], 3, v[18:19]
	v_add_nc_u32_e32 v18, s8, v20
	v_ashrrev_i32_e32 v21, 31, v20
	v_lshlrev_b64 v[2:3], 3, v[2:3]
	v_cndmask_b32_e32 v1, v15, v1, vcc_lo
	v_ashrrev_i32_e32 v19, 31, v18
	v_cndmask_b32_e32 v0, v14, v0, vcc_lo
	v_lshlrev_b64 v[14:15], 3, v[20:21]
	v_add_co_u32 v2, vcc_lo, v22, v2
	v_lshlrev_b64 v[18:19], 3, v[18:19]
	v_add_co_ci_u32_e64 v3, null, v23, v3, vcc_lo
	v_add_co_u32 v16, vcc_lo, v22, v16
	v_add_co_ci_u32_e64 v17, null, v23, v17, vcc_lo
	v_add_co_u32 v14, vcc_lo, v22, v14
	v_add_co_ci_u32_e64 v15, null, v23, v15, vcc_lo
	v_add_co_u32 v18, vcc_lo, v22, v18
	v_add_co_ci_u32_e64 v19, null, v23, v19, vcc_lo
	flat_store_dwordx2 v[4:5], v[6:7]
	flat_store_dwordx2 v[2:3], v[8:9]
	;; [unrolled: 1-line block ×5, first 2 shown]
.LBB10_99:
	s_endpgm
	.section	.rodata,"a",@progbits
	.p2align	6, 0x0
	.amdhsa_kernel _ZN9rocsolver6v33100L18getf2_small_kernelILi6EdiiPKPdEEvT1_T3_lS5_lPS5_llPT2_S5_S5_S7_l
		.amdhsa_group_segment_fixed_size 0
		.amdhsa_private_segment_fixed_size 0
		.amdhsa_kernarg_size 352
		.amdhsa_user_sgpr_count 6
		.amdhsa_user_sgpr_private_segment_buffer 1
		.amdhsa_user_sgpr_dispatch_ptr 0
		.amdhsa_user_sgpr_queue_ptr 0
		.amdhsa_user_sgpr_kernarg_segment_ptr 1
		.amdhsa_user_sgpr_dispatch_id 0
		.amdhsa_user_sgpr_flat_scratch_init 0
		.amdhsa_user_sgpr_private_segment_size 0
		.amdhsa_wavefront_size32 1
		.amdhsa_uses_dynamic_stack 0
		.amdhsa_system_sgpr_private_segment_wavefront_offset 0
		.amdhsa_system_sgpr_workgroup_id_x 1
		.amdhsa_system_sgpr_workgroup_id_y 1
		.amdhsa_system_sgpr_workgroup_id_z 0
		.amdhsa_system_sgpr_workgroup_info 0
		.amdhsa_system_vgpr_workitem_id 1
		.amdhsa_next_free_vgpr 35
		.amdhsa_next_free_sgpr 14
		.amdhsa_reserve_vcc 1
		.amdhsa_reserve_flat_scratch 1
		.amdhsa_float_round_mode_32 0
		.amdhsa_float_round_mode_16_64 0
		.amdhsa_float_denorm_mode_32 3
		.amdhsa_float_denorm_mode_16_64 3
		.amdhsa_dx10_clamp 1
		.amdhsa_ieee_mode 1
		.amdhsa_fp16_overflow 0
		.amdhsa_workgroup_processor_mode 1
		.amdhsa_memory_ordered 1
		.amdhsa_forward_progress 1
		.amdhsa_shared_vgpr_count 0
		.amdhsa_exception_fp_ieee_invalid_op 0
		.amdhsa_exception_fp_denorm_src 0
		.amdhsa_exception_fp_ieee_div_zero 0
		.amdhsa_exception_fp_ieee_overflow 0
		.amdhsa_exception_fp_ieee_underflow 0
		.amdhsa_exception_fp_ieee_inexact 0
		.amdhsa_exception_int_div_zero 0
	.end_amdhsa_kernel
	.section	.text._ZN9rocsolver6v33100L18getf2_small_kernelILi6EdiiPKPdEEvT1_T3_lS5_lPS5_llPT2_S5_S5_S7_l,"axG",@progbits,_ZN9rocsolver6v33100L18getf2_small_kernelILi6EdiiPKPdEEvT1_T3_lS5_lPS5_llPT2_S5_S5_S7_l,comdat
.Lfunc_end10:
	.size	_ZN9rocsolver6v33100L18getf2_small_kernelILi6EdiiPKPdEEvT1_T3_lS5_lPS5_llPT2_S5_S5_S7_l, .Lfunc_end10-_ZN9rocsolver6v33100L18getf2_small_kernelILi6EdiiPKPdEEvT1_T3_lS5_lPS5_llPT2_S5_S5_S7_l
                                        ; -- End function
	.set _ZN9rocsolver6v33100L18getf2_small_kernelILi6EdiiPKPdEEvT1_T3_lS5_lPS5_llPT2_S5_S5_S7_l.num_vgpr, 35
	.set _ZN9rocsolver6v33100L18getf2_small_kernelILi6EdiiPKPdEEvT1_T3_lS5_lPS5_llPT2_S5_S5_S7_l.num_agpr, 0
	.set _ZN9rocsolver6v33100L18getf2_small_kernelILi6EdiiPKPdEEvT1_T3_lS5_lPS5_llPT2_S5_S5_S7_l.numbered_sgpr, 14
	.set _ZN9rocsolver6v33100L18getf2_small_kernelILi6EdiiPKPdEEvT1_T3_lS5_lPS5_llPT2_S5_S5_S7_l.num_named_barrier, 0
	.set _ZN9rocsolver6v33100L18getf2_small_kernelILi6EdiiPKPdEEvT1_T3_lS5_lPS5_llPT2_S5_S5_S7_l.private_seg_size, 0
	.set _ZN9rocsolver6v33100L18getf2_small_kernelILi6EdiiPKPdEEvT1_T3_lS5_lPS5_llPT2_S5_S5_S7_l.uses_vcc, 1
	.set _ZN9rocsolver6v33100L18getf2_small_kernelILi6EdiiPKPdEEvT1_T3_lS5_lPS5_llPT2_S5_S5_S7_l.uses_flat_scratch, 1
	.set _ZN9rocsolver6v33100L18getf2_small_kernelILi6EdiiPKPdEEvT1_T3_lS5_lPS5_llPT2_S5_S5_S7_l.has_dyn_sized_stack, 0
	.set _ZN9rocsolver6v33100L18getf2_small_kernelILi6EdiiPKPdEEvT1_T3_lS5_lPS5_llPT2_S5_S5_S7_l.has_recursion, 0
	.set _ZN9rocsolver6v33100L18getf2_small_kernelILi6EdiiPKPdEEvT1_T3_lS5_lPS5_llPT2_S5_S5_S7_l.has_indirect_call, 0
	.section	.AMDGPU.csdata,"",@progbits
; Kernel info:
; codeLenInByte = 3948
; TotalNumSgprs: 16
; NumVgprs: 35
; ScratchSize: 0
; MemoryBound: 0
; FloatMode: 240
; IeeeMode: 1
; LDSByteSize: 0 bytes/workgroup (compile time only)
; SGPRBlocks: 0
; VGPRBlocks: 4
; NumSGPRsForWavesPerEU: 16
; NumVGPRsForWavesPerEU: 35
; Occupancy: 16
; WaveLimiterHint : 1
; COMPUTE_PGM_RSRC2:SCRATCH_EN: 0
; COMPUTE_PGM_RSRC2:USER_SGPR: 6
; COMPUTE_PGM_RSRC2:TRAP_HANDLER: 0
; COMPUTE_PGM_RSRC2:TGID_X_EN: 1
; COMPUTE_PGM_RSRC2:TGID_Y_EN: 1
; COMPUTE_PGM_RSRC2:TGID_Z_EN: 0
; COMPUTE_PGM_RSRC2:TIDIG_COMP_CNT: 1
	.section	.text._ZN9rocsolver6v33100L23getf2_npvt_small_kernelILi6EdiiPKPdEEvT1_T3_lS5_lPT2_S5_S5_,"axG",@progbits,_ZN9rocsolver6v33100L23getf2_npvt_small_kernelILi6EdiiPKPdEEvT1_T3_lS5_lPT2_S5_S5_,comdat
	.globl	_ZN9rocsolver6v33100L23getf2_npvt_small_kernelILi6EdiiPKPdEEvT1_T3_lS5_lPT2_S5_S5_ ; -- Begin function _ZN9rocsolver6v33100L23getf2_npvt_small_kernelILi6EdiiPKPdEEvT1_T3_lS5_lPT2_S5_S5_
	.p2align	8
	.type	_ZN9rocsolver6v33100L23getf2_npvt_small_kernelILi6EdiiPKPdEEvT1_T3_lS5_lPT2_S5_S5_,@function
_ZN9rocsolver6v33100L23getf2_npvt_small_kernelILi6EdiiPKPdEEvT1_T3_lS5_lPT2_S5_S5_: ; @_ZN9rocsolver6v33100L23getf2_npvt_small_kernelILi6EdiiPKPdEEvT1_T3_lS5_lPT2_S5_S5_
; %bb.0:
	s_clause 0x1
	s_load_dword s0, s[4:5], 0x44
	s_load_dwordx2 s[8:9], s[4:5], 0x30
	s_waitcnt lgkmcnt(0)
	s_lshr_b32 s6, s0, 16
	s_mov_b32 s0, exec_lo
	v_mad_u64_u32 v[2:3], null, s7, s6, v[1:2]
	v_cmpx_gt_i32_e64 s8, v2
	s_cbranch_execz .LBB11_34
; %bb.1:
	s_clause 0x1
	s_load_dwordx4 s[0:3], s[4:5], 0x8
	s_load_dword s10, s[4:5], 0x18
	v_ashrrev_i32_e32 v3, 31, v2
	v_lshlrev_b32_e32 v14, 3, v0
	v_lshlrev_b32_e32 v28, 3, v1
	v_mul_u32_u24_e32 v29, 48, v1
	s_mul_i32 s6, s6, 48
	v_lshlrev_b64 v[4:5], 3, v[2:3]
	v_add3_u32 v1, 0, s6, v28
	v_add_nc_u32_e32 v38, 0, v29
	s_waitcnt lgkmcnt(0)
	v_add_co_u32 v4, vcc_lo, s0, v4
	v_add_co_ci_u32_e64 v5, null, s1, v5, vcc_lo
	v_add3_u32 v6, s10, s10, v0
	s_lshl_b64 s[0:1], s[2:3], 3
	s_ashr_i32 s11, s10, 31
	global_load_dwordx2 v[4:5], v[4:5], off
	s_lshl_b64 s[2:3], s[10:11], 3
	v_add_nc_u32_e32 v8, s10, v6
	v_ashrrev_i32_e32 v7, 31, v6
	v_add_nc_u32_e32 v10, s10, v8
	v_ashrrev_i32_e32 v9, 31, v8
	v_lshlrev_b64 v[6:7], 3, v[6:7]
	v_ashrrev_i32_e32 v11, 31, v10
	v_add_nc_u32_e32 v12, s10, v10
	v_lshlrev_b64 v[8:9], 3, v[8:9]
	v_lshlrev_b64 v[10:11], 3, v[10:11]
	v_ashrrev_i32_e32 v13, 31, v12
	v_lshlrev_b64 v[12:13], 3, v[12:13]
	s_waitcnt vmcnt(0)
	v_add_co_u32 v16, vcc_lo, v4, s0
	v_add_co_ci_u32_e64 v17, null, s1, v5, vcc_lo
	v_cmp_ne_u32_e64 s1, 0, v0
	v_add_co_u32 v4, vcc_lo, v16, v14
	v_add_co_ci_u32_e64 v5, null, 0, v17, vcc_lo
	v_add_co_u32 v6, vcc_lo, v16, v6
	v_add_co_ci_u32_e64 v7, null, v17, v7, vcc_lo
	;; [unrolled: 2-line block ×6, first 2 shown]
	s_clause 0x5
	flat_load_dwordx2 v[16:17], v[4:5]
	flat_load_dwordx2 v[18:19], v[14:15]
	;; [unrolled: 1-line block ×6, first 2 shown]
	v_cmp_eq_u32_e64 s0, 0, v0
	s_and_saveexec_b32 s2, s0
	s_cbranch_execz .LBB11_4
; %bb.2:
	s_waitcnt vmcnt(5) lgkmcnt(5)
	ds_write_b64 v1, v[16:17]
	s_waitcnt vmcnt(3) lgkmcnt(4)
	ds_write2_b64 v38, v[18:19], v[20:21] offset0:1 offset1:2
	s_waitcnt vmcnt(1) lgkmcnt(3)
	ds_write2_b64 v38, v[22:23], v[24:25] offset0:3 offset1:4
	s_waitcnt vmcnt(0) lgkmcnt(3)
	ds_write_b64 v38, v[26:27] offset:40
	ds_read_b64 v[28:29], v1
	s_waitcnt lgkmcnt(0)
	v_cmp_neq_f64_e32 vcc_lo, 0, v[28:29]
	s_and_b32 exec_lo, exec_lo, vcc_lo
	s_cbranch_execz .LBB11_4
; %bb.3:
	v_div_scale_f64 v[30:31], null, v[28:29], v[28:29], 1.0
	v_rcp_f64_e32 v[32:33], v[30:31]
	v_fma_f64 v[34:35], -v[30:31], v[32:33], 1.0
	v_fma_f64 v[32:33], v[32:33], v[34:35], v[32:33]
	v_fma_f64 v[34:35], -v[30:31], v[32:33], 1.0
	v_fma_f64 v[32:33], v[32:33], v[34:35], v[32:33]
	v_div_scale_f64 v[34:35], vcc_lo, 1.0, v[28:29], 1.0
	v_mul_f64 v[36:37], v[34:35], v[32:33]
	v_fma_f64 v[30:31], -v[30:31], v[36:37], v[34:35]
	v_div_fmas_f64 v[30:31], v[30:31], v[32:33], v[36:37]
	v_div_fixup_f64 v[28:29], v[30:31], v[28:29], 1.0
	ds_write_b64 v1, v[28:29]
.LBB11_4:
	s_or_b32 exec_lo, exec_lo, s2
	s_waitcnt vmcnt(0) lgkmcnt(0)
	s_barrier
	buffer_gl0_inv
	ds_read_b64 v[28:29], v1
	s_and_saveexec_b32 s2, s1
	s_cbranch_execz .LBB11_6
; %bb.5:
	s_waitcnt lgkmcnt(0)
	v_mul_f64 v[16:17], v[16:17], v[28:29]
	ds_read2_b64 v[30:33], v38 offset0:1 offset1:2
	ds_read2_b64 v[34:37], v38 offset0:3 offset1:4
	ds_read_b64 v[39:40], v38 offset:40
	s_waitcnt lgkmcnt(2)
	v_fma_f64 v[18:19], -v[16:17], v[30:31], v[18:19]
	v_fma_f64 v[20:21], -v[16:17], v[32:33], v[20:21]
	s_waitcnt lgkmcnt(1)
	v_fma_f64 v[22:23], -v[16:17], v[34:35], v[22:23]
	v_fma_f64 v[24:25], -v[16:17], v[36:37], v[24:25]
	s_waitcnt lgkmcnt(0)
	v_fma_f64 v[26:27], -v[16:17], v[39:40], v[26:27]
.LBB11_6:
	s_or_b32 exec_lo, exec_lo, s2
	s_mov_b32 s1, exec_lo
	s_waitcnt lgkmcnt(0)
	s_barrier
	buffer_gl0_inv
	v_cmpx_eq_u32_e32 1, v0
	s_cbranch_execz .LBB11_9
; %bb.7:
	ds_write_b64 v1, v[18:19]
	ds_write2_b64 v38, v[20:21], v[22:23] offset0:2 offset1:3
	ds_write2_b64 v38, v[24:25], v[26:27] offset0:4 offset1:5
	ds_read_b64 v[30:31], v1
	s_waitcnt lgkmcnt(0)
	v_cmp_neq_f64_e32 vcc_lo, 0, v[30:31]
	s_and_b32 exec_lo, exec_lo, vcc_lo
	s_cbranch_execz .LBB11_9
; %bb.8:
	v_div_scale_f64 v[32:33], null, v[30:31], v[30:31], 1.0
	v_rcp_f64_e32 v[34:35], v[32:33]
	v_fma_f64 v[36:37], -v[32:33], v[34:35], 1.0
	v_fma_f64 v[34:35], v[34:35], v[36:37], v[34:35]
	v_fma_f64 v[36:37], -v[32:33], v[34:35], 1.0
	v_fma_f64 v[34:35], v[34:35], v[36:37], v[34:35]
	v_div_scale_f64 v[36:37], vcc_lo, 1.0, v[30:31], 1.0
	v_mul_f64 v[39:40], v[36:37], v[34:35]
	v_fma_f64 v[32:33], -v[32:33], v[39:40], v[36:37]
	v_div_fmas_f64 v[32:33], v[32:33], v[34:35], v[39:40]
	v_div_fixup_f64 v[30:31], v[32:33], v[30:31], 1.0
	ds_write_b64 v1, v[30:31]
.LBB11_9:
	s_or_b32 exec_lo, exec_lo, s1
	s_waitcnt lgkmcnt(0)
	s_barrier
	buffer_gl0_inv
	ds_read_b64 v[30:31], v1
	s_mov_b32 s1, exec_lo
	v_cmpx_lt_u32_e32 1, v0
	s_cbranch_execz .LBB11_11
; %bb.10:
	s_waitcnt lgkmcnt(0)
	v_mul_f64 v[18:19], v[18:19], v[30:31]
	ds_read2_b64 v[32:35], v38 offset0:2 offset1:3
	ds_read2_b64 v[39:42], v38 offset0:4 offset1:5
	s_waitcnt lgkmcnt(1)
	v_fma_f64 v[20:21], -v[18:19], v[32:33], v[20:21]
	v_fma_f64 v[22:23], -v[18:19], v[34:35], v[22:23]
	s_waitcnt lgkmcnt(0)
	v_fma_f64 v[24:25], -v[18:19], v[39:40], v[24:25]
	v_fma_f64 v[26:27], -v[18:19], v[41:42], v[26:27]
.LBB11_11:
	s_or_b32 exec_lo, exec_lo, s1
	s_mov_b32 s1, exec_lo
	s_waitcnt lgkmcnt(0)
	s_barrier
	buffer_gl0_inv
	v_cmpx_eq_u32_e32 2, v0
	s_cbranch_execz .LBB11_14
; %bb.12:
	ds_write_b64 v1, v[20:21]
	ds_write2_b64 v38, v[22:23], v[24:25] offset0:3 offset1:4
	ds_write_b64 v38, v[26:27] offset:40
	ds_read_b64 v[32:33], v1
	s_waitcnt lgkmcnt(0)
	v_cmp_neq_f64_e32 vcc_lo, 0, v[32:33]
	s_and_b32 exec_lo, exec_lo, vcc_lo
	s_cbranch_execz .LBB11_14
; %bb.13:
	v_div_scale_f64 v[34:35], null, v[32:33], v[32:33], 1.0
	v_rcp_f64_e32 v[36:37], v[34:35]
	v_fma_f64 v[39:40], -v[34:35], v[36:37], 1.0
	v_fma_f64 v[36:37], v[36:37], v[39:40], v[36:37]
	v_fma_f64 v[39:40], -v[34:35], v[36:37], 1.0
	v_fma_f64 v[36:37], v[36:37], v[39:40], v[36:37]
	v_div_scale_f64 v[39:40], vcc_lo, 1.0, v[32:33], 1.0
	v_mul_f64 v[41:42], v[39:40], v[36:37]
	v_fma_f64 v[34:35], -v[34:35], v[41:42], v[39:40]
	v_div_fmas_f64 v[34:35], v[34:35], v[36:37], v[41:42]
	v_div_fixup_f64 v[32:33], v[34:35], v[32:33], 1.0
	ds_write_b64 v1, v[32:33]
.LBB11_14:
	s_or_b32 exec_lo, exec_lo, s1
	s_waitcnt lgkmcnt(0)
	s_barrier
	buffer_gl0_inv
	ds_read_b64 v[32:33], v1
	s_mov_b32 s1, exec_lo
	v_cmpx_lt_u32_e32 2, v0
	s_cbranch_execz .LBB11_16
; %bb.15:
	s_waitcnt lgkmcnt(0)
	v_mul_f64 v[20:21], v[20:21], v[32:33]
	ds_read2_b64 v[34:37], v38 offset0:3 offset1:4
	ds_read_b64 v[39:40], v38 offset:40
	s_waitcnt lgkmcnt(1)
	v_fma_f64 v[22:23], -v[20:21], v[34:35], v[22:23]
	v_fma_f64 v[24:25], -v[20:21], v[36:37], v[24:25]
	s_waitcnt lgkmcnt(0)
	v_fma_f64 v[26:27], -v[20:21], v[39:40], v[26:27]
.LBB11_16:
	s_or_b32 exec_lo, exec_lo, s1
	s_mov_b32 s1, exec_lo
	s_waitcnt lgkmcnt(0)
	s_barrier
	buffer_gl0_inv
	v_cmpx_eq_u32_e32 3, v0
	s_cbranch_execz .LBB11_19
; %bb.17:
	ds_write_b64 v1, v[22:23]
	ds_write2_b64 v38, v[24:25], v[26:27] offset0:4 offset1:5
	ds_read_b64 v[34:35], v1
	s_waitcnt lgkmcnt(0)
	v_cmp_neq_f64_e32 vcc_lo, 0, v[34:35]
	s_and_b32 exec_lo, exec_lo, vcc_lo
	s_cbranch_execz .LBB11_19
; %bb.18:
	v_div_scale_f64 v[36:37], null, v[34:35], v[34:35], 1.0
	v_rcp_f64_e32 v[39:40], v[36:37]
	v_fma_f64 v[41:42], -v[36:37], v[39:40], 1.0
	v_fma_f64 v[39:40], v[39:40], v[41:42], v[39:40]
	v_fma_f64 v[41:42], -v[36:37], v[39:40], 1.0
	v_fma_f64 v[39:40], v[39:40], v[41:42], v[39:40]
	v_div_scale_f64 v[41:42], vcc_lo, 1.0, v[34:35], 1.0
	v_mul_f64 v[43:44], v[41:42], v[39:40]
	v_fma_f64 v[36:37], -v[36:37], v[43:44], v[41:42]
	v_div_fmas_f64 v[36:37], v[36:37], v[39:40], v[43:44]
	v_div_fixup_f64 v[34:35], v[36:37], v[34:35], 1.0
	ds_write_b64 v1, v[34:35]
.LBB11_19:
	s_or_b32 exec_lo, exec_lo, s1
	s_waitcnt lgkmcnt(0)
	s_barrier
	buffer_gl0_inv
	ds_read_b64 v[34:35], v1
	s_mov_b32 s1, exec_lo
	v_cmpx_lt_u32_e32 3, v0
	s_cbranch_execz .LBB11_21
; %bb.20:
	s_waitcnt lgkmcnt(0)
	v_mul_f64 v[22:23], v[22:23], v[34:35]
	ds_read2_b64 v[39:42], v38 offset0:4 offset1:5
	s_waitcnt lgkmcnt(0)
	v_fma_f64 v[24:25], -v[22:23], v[39:40], v[24:25]
	v_fma_f64 v[26:27], -v[22:23], v[41:42], v[26:27]
.LBB11_21:
	s_or_b32 exec_lo, exec_lo, s1
	s_mov_b32 s1, exec_lo
	s_waitcnt lgkmcnt(0)
	s_barrier
	buffer_gl0_inv
	v_cmpx_eq_u32_e32 4, v0
	s_cbranch_execz .LBB11_24
; %bb.22:
	ds_write_b64 v1, v[24:25]
	ds_write_b64 v38, v[26:27] offset:40
	ds_read_b64 v[36:37], v1
	s_waitcnt lgkmcnt(0)
	v_cmp_neq_f64_e32 vcc_lo, 0, v[36:37]
	s_and_b32 exec_lo, exec_lo, vcc_lo
	s_cbranch_execz .LBB11_24
; %bb.23:
	v_div_scale_f64 v[39:40], null, v[36:37], v[36:37], 1.0
	v_rcp_f64_e32 v[41:42], v[39:40]
	v_fma_f64 v[43:44], -v[39:40], v[41:42], 1.0
	v_fma_f64 v[41:42], v[41:42], v[43:44], v[41:42]
	v_fma_f64 v[43:44], -v[39:40], v[41:42], 1.0
	v_fma_f64 v[41:42], v[41:42], v[43:44], v[41:42]
	v_div_scale_f64 v[43:44], vcc_lo, 1.0, v[36:37], 1.0
	v_mul_f64 v[45:46], v[43:44], v[41:42]
	v_fma_f64 v[39:40], -v[39:40], v[45:46], v[43:44]
	v_div_fmas_f64 v[39:40], v[39:40], v[41:42], v[45:46]
	v_div_fixup_f64 v[36:37], v[39:40], v[36:37], 1.0
	ds_write_b64 v1, v[36:37]
.LBB11_24:
	s_or_b32 exec_lo, exec_lo, s1
	s_waitcnt lgkmcnt(0)
	s_barrier
	buffer_gl0_inv
	ds_read_b64 v[36:37], v1
	s_mov_b32 s1, exec_lo
	v_cmpx_lt_u32_e32 4, v0
	s_cbranch_execz .LBB11_26
; %bb.25:
	s_waitcnt lgkmcnt(0)
	v_mul_f64 v[24:25], v[24:25], v[36:37]
	ds_read_b64 v[38:39], v38 offset:40
	s_waitcnt lgkmcnt(0)
	v_fma_f64 v[26:27], -v[24:25], v[38:39], v[26:27]
.LBB11_26:
	s_or_b32 exec_lo, exec_lo, s1
	s_mov_b32 s1, exec_lo
	s_waitcnt lgkmcnt(0)
	s_barrier
	buffer_gl0_inv
	v_cmpx_ne_u32_e32 5, v0
	s_xor_b32 s1, exec_lo, s1
	s_andn2_saveexec_b32 s1, s1
	s_cbranch_execz .LBB11_30
; %bb.27:
	s_mov_b32 s2, exec_lo
	ds_write_b64 v1, v[26:27]
	v_cmpx_neq_f64_e32 0, v[26:27]
	s_cbranch_execz .LBB11_29
; %bb.28:
	v_div_scale_f64 v[38:39], null, v[26:27], v[26:27], 1.0
	v_rcp_f64_e32 v[40:41], v[38:39]
	v_fma_f64 v[42:43], -v[38:39], v[40:41], 1.0
	v_fma_f64 v[40:41], v[40:41], v[42:43], v[40:41]
	v_fma_f64 v[42:43], -v[38:39], v[40:41], 1.0
	v_fma_f64 v[40:41], v[40:41], v[42:43], v[40:41]
	v_div_scale_f64 v[42:43], vcc_lo, 1.0, v[26:27], 1.0
	v_mul_f64 v[44:45], v[42:43], v[40:41]
	v_fma_f64 v[38:39], -v[38:39], v[44:45], v[42:43]
	v_div_fmas_f64 v[38:39], v[38:39], v[40:41], v[44:45]
	v_div_fixup_f64 v[38:39], v[38:39], v[26:27], 1.0
	ds_write_b64 v1, v[38:39]
.LBB11_29:
	s_or_b32 exec_lo, exec_lo, s2
.LBB11_30:
	s_or_b32 exec_lo, exec_lo, s1
	s_waitcnt lgkmcnt(0)
	s_barrier
	buffer_gl0_inv
	ds_read_b64 v[38:39], v1
	s_waitcnt lgkmcnt(0)
	s_barrier
	buffer_gl0_inv
	s_and_saveexec_b32 s3, s0
	s_cbranch_execz .LBB11_33
; %bb.31:
	s_load_dwordx2 s[0:1], s[4:5], 0x28
	v_lshlrev_b64 v[1:2], 2, v[2:3]
	v_cmp_eq_f64_e64 s2, 0, v[34:35]
	s_waitcnt lgkmcnt(0)
	v_add_co_u32 v1, vcc_lo, s0, v1
	v_add_co_ci_u32_e64 v2, null, s1, v2, vcc_lo
	v_cmp_eq_f64_e32 vcc_lo, 0, v[28:29]
	v_cmp_neq_f64_e64 s0, 0, v[30:31]
	v_cmp_eq_f64_e64 s1, 0, v[32:33]
	global_load_dword v40, v[1:2], off
	v_cndmask_b32_e64 v3, 0, 1, vcc_lo
	s_or_b32 vcc_lo, s0, vcc_lo
	v_cmp_eq_f64_e64 s0, 0, v[36:37]
	v_cndmask_b32_e32 v3, 2, v3, vcc_lo
	v_cmp_eq_u32_e32 vcc_lo, 0, v3
	s_and_b32 s1, s1, vcc_lo
	v_cndmask_b32_e64 v3, v3, 3, s1
	v_cmp_eq_f64_e64 s1, 0, v[38:39]
	v_cmp_eq_u32_e32 vcc_lo, 0, v3
	s_and_b32 s2, s2, vcc_lo
	v_cndmask_b32_e64 v3, v3, 4, s2
	v_cmp_eq_u32_e32 vcc_lo, 0, v3
	s_and_b32 s0, s0, vcc_lo
	v_cndmask_b32_e64 v3, v3, 5, s0
	;; [unrolled: 3-line block ×3, first 2 shown]
	v_cmp_ne_u32_e64 s0, 0, v3
	s_waitcnt vmcnt(0)
	v_cmp_eq_u32_e32 vcc_lo, 0, v40
	s_and_b32 s0, vcc_lo, s0
	s_and_b32 exec_lo, exec_lo, s0
	s_cbranch_execz .LBB11_33
; %bb.32:
	v_add_nc_u32_e32 v3, s9, v3
	global_store_dword v[1:2], v3, off
.LBB11_33:
	s_or_b32 exec_lo, exec_lo, s3
	v_mul_f64 v[1:2], v[26:27], v[38:39]
	v_cmp_lt_u32_e32 vcc_lo, 5, v0
	v_cndmask_b32_e32 v2, v27, v2, vcc_lo
	v_cndmask_b32_e32 v1, v26, v1, vcc_lo
	flat_store_dwordx2 v[4:5], v[16:17]
	flat_store_dwordx2 v[14:15], v[18:19]
	;; [unrolled: 1-line block ×6, first 2 shown]
.LBB11_34:
	s_endpgm
	.section	.rodata,"a",@progbits
	.p2align	6, 0x0
	.amdhsa_kernel _ZN9rocsolver6v33100L23getf2_npvt_small_kernelILi6EdiiPKPdEEvT1_T3_lS5_lPT2_S5_S5_
		.amdhsa_group_segment_fixed_size 0
		.amdhsa_private_segment_fixed_size 0
		.amdhsa_kernarg_size 312
		.amdhsa_user_sgpr_count 6
		.amdhsa_user_sgpr_private_segment_buffer 1
		.amdhsa_user_sgpr_dispatch_ptr 0
		.amdhsa_user_sgpr_queue_ptr 0
		.amdhsa_user_sgpr_kernarg_segment_ptr 1
		.amdhsa_user_sgpr_dispatch_id 0
		.amdhsa_user_sgpr_flat_scratch_init 0
		.amdhsa_user_sgpr_private_segment_size 0
		.amdhsa_wavefront_size32 1
		.amdhsa_uses_dynamic_stack 0
		.amdhsa_system_sgpr_private_segment_wavefront_offset 0
		.amdhsa_system_sgpr_workgroup_id_x 1
		.amdhsa_system_sgpr_workgroup_id_y 1
		.amdhsa_system_sgpr_workgroup_id_z 0
		.amdhsa_system_sgpr_workgroup_info 0
		.amdhsa_system_vgpr_workitem_id 1
		.amdhsa_next_free_vgpr 47
		.amdhsa_next_free_sgpr 12
		.amdhsa_reserve_vcc 1
		.amdhsa_reserve_flat_scratch 1
		.amdhsa_float_round_mode_32 0
		.amdhsa_float_round_mode_16_64 0
		.amdhsa_float_denorm_mode_32 3
		.amdhsa_float_denorm_mode_16_64 3
		.amdhsa_dx10_clamp 1
		.amdhsa_ieee_mode 1
		.amdhsa_fp16_overflow 0
		.amdhsa_workgroup_processor_mode 1
		.amdhsa_memory_ordered 1
		.amdhsa_forward_progress 1
		.amdhsa_shared_vgpr_count 0
		.amdhsa_exception_fp_ieee_invalid_op 0
		.amdhsa_exception_fp_denorm_src 0
		.amdhsa_exception_fp_ieee_div_zero 0
		.amdhsa_exception_fp_ieee_overflow 0
		.amdhsa_exception_fp_ieee_underflow 0
		.amdhsa_exception_fp_ieee_inexact 0
		.amdhsa_exception_int_div_zero 0
	.end_amdhsa_kernel
	.section	.text._ZN9rocsolver6v33100L23getf2_npvt_small_kernelILi6EdiiPKPdEEvT1_T3_lS5_lPT2_S5_S5_,"axG",@progbits,_ZN9rocsolver6v33100L23getf2_npvt_small_kernelILi6EdiiPKPdEEvT1_T3_lS5_lPT2_S5_S5_,comdat
.Lfunc_end11:
	.size	_ZN9rocsolver6v33100L23getf2_npvt_small_kernelILi6EdiiPKPdEEvT1_T3_lS5_lPT2_S5_S5_, .Lfunc_end11-_ZN9rocsolver6v33100L23getf2_npvt_small_kernelILi6EdiiPKPdEEvT1_T3_lS5_lPT2_S5_S5_
                                        ; -- End function
	.set _ZN9rocsolver6v33100L23getf2_npvt_small_kernelILi6EdiiPKPdEEvT1_T3_lS5_lPT2_S5_S5_.num_vgpr, 47
	.set _ZN9rocsolver6v33100L23getf2_npvt_small_kernelILi6EdiiPKPdEEvT1_T3_lS5_lPT2_S5_S5_.num_agpr, 0
	.set _ZN9rocsolver6v33100L23getf2_npvt_small_kernelILi6EdiiPKPdEEvT1_T3_lS5_lPT2_S5_S5_.numbered_sgpr, 12
	.set _ZN9rocsolver6v33100L23getf2_npvt_small_kernelILi6EdiiPKPdEEvT1_T3_lS5_lPT2_S5_S5_.num_named_barrier, 0
	.set _ZN9rocsolver6v33100L23getf2_npvt_small_kernelILi6EdiiPKPdEEvT1_T3_lS5_lPT2_S5_S5_.private_seg_size, 0
	.set _ZN9rocsolver6v33100L23getf2_npvt_small_kernelILi6EdiiPKPdEEvT1_T3_lS5_lPT2_S5_S5_.uses_vcc, 1
	.set _ZN9rocsolver6v33100L23getf2_npvt_small_kernelILi6EdiiPKPdEEvT1_T3_lS5_lPT2_S5_S5_.uses_flat_scratch, 1
	.set _ZN9rocsolver6v33100L23getf2_npvt_small_kernelILi6EdiiPKPdEEvT1_T3_lS5_lPT2_S5_S5_.has_dyn_sized_stack, 0
	.set _ZN9rocsolver6v33100L23getf2_npvt_small_kernelILi6EdiiPKPdEEvT1_T3_lS5_lPT2_S5_S5_.has_recursion, 0
	.set _ZN9rocsolver6v33100L23getf2_npvt_small_kernelILi6EdiiPKPdEEvT1_T3_lS5_lPT2_S5_S5_.has_indirect_call, 0
	.section	.AMDGPU.csdata,"",@progbits
; Kernel info:
; codeLenInByte = 2224
; TotalNumSgprs: 14
; NumVgprs: 47
; ScratchSize: 0
; MemoryBound: 0
; FloatMode: 240
; IeeeMode: 1
; LDSByteSize: 0 bytes/workgroup (compile time only)
; SGPRBlocks: 0
; VGPRBlocks: 5
; NumSGPRsForWavesPerEU: 14
; NumVGPRsForWavesPerEU: 47
; Occupancy: 16
; WaveLimiterHint : 1
; COMPUTE_PGM_RSRC2:SCRATCH_EN: 0
; COMPUTE_PGM_RSRC2:USER_SGPR: 6
; COMPUTE_PGM_RSRC2:TRAP_HANDLER: 0
; COMPUTE_PGM_RSRC2:TGID_X_EN: 1
; COMPUTE_PGM_RSRC2:TGID_Y_EN: 1
; COMPUTE_PGM_RSRC2:TGID_Z_EN: 0
; COMPUTE_PGM_RSRC2:TIDIG_COMP_CNT: 1
	.section	.text._ZN9rocsolver6v33100L18getf2_small_kernelILi7EdiiPKPdEEvT1_T3_lS5_lPS5_llPT2_S5_S5_S7_l,"axG",@progbits,_ZN9rocsolver6v33100L18getf2_small_kernelILi7EdiiPKPdEEvT1_T3_lS5_lPS5_llPT2_S5_S5_S7_l,comdat
	.globl	_ZN9rocsolver6v33100L18getf2_small_kernelILi7EdiiPKPdEEvT1_T3_lS5_lPS5_llPT2_S5_S5_S7_l ; -- Begin function _ZN9rocsolver6v33100L18getf2_small_kernelILi7EdiiPKPdEEvT1_T3_lS5_lPS5_llPT2_S5_S5_S7_l
	.p2align	8
	.type	_ZN9rocsolver6v33100L18getf2_small_kernelILi7EdiiPKPdEEvT1_T3_lS5_lPS5_llPT2_S5_S5_S7_l,@function
_ZN9rocsolver6v33100L18getf2_small_kernelILi7EdiiPKPdEEvT1_T3_lS5_lPS5_llPT2_S5_S5_S7_l: ; @_ZN9rocsolver6v33100L18getf2_small_kernelILi7EdiiPKPdEEvT1_T3_lS5_lPS5_llPT2_S5_S5_S7_l
; %bb.0:
	s_clause 0x1
	s_load_dword s0, s[4:5], 0x6c
	s_load_dwordx2 s[12:13], s[4:5], 0x48
	s_waitcnt lgkmcnt(0)
	s_lshr_b32 s0, s0, 16
	v_mad_u64_u32 v[2:3], null, s7, s0, v[1:2]
	s_mov_b32 s0, exec_lo
	v_cmpx_gt_i32_e64 s12, v2
	s_cbranch_execz .LBB12_116
; %bb.1:
	s_clause 0x1
	s_load_dwordx4 s[0:3], s[4:5], 0x8
	s_load_dwordx4 s[8:11], s[4:5], 0x50
	v_ashrrev_i32_e32 v3, 31, v2
	v_mov_b32_e32 v18, 0
	v_mov_b32_e32 v19, 0
	v_lshlrev_b64 v[4:5], 3, v[2:3]
	s_waitcnt lgkmcnt(0)
	v_add_co_u32 v4, vcc_lo, s0, v4
	v_add_co_ci_u32_e64 v5, null, s1, v5, vcc_lo
	s_cmp_eq_u64 s[8:9], 0
	s_cselect_b32 s6, -1, 0
	global_load_dwordx2 v[4:5], v[4:5], off
	s_and_b32 vcc_lo, exec_lo, s6
	s_cbranch_vccnz .LBB12_3
; %bb.2:
	v_mul_lo_u32 v8, s11, v2
	v_mul_lo_u32 v9, s10, v3
	v_mad_u64_u32 v[6:7], null, s10, v2, 0
	v_add3_u32 v7, v7, v9, v8
	v_lshlrev_b64 v[6:7], 2, v[6:7]
	v_add_co_u32 v18, vcc_lo, s8, v6
	v_add_co_ci_u32_e64 v19, null, s9, v7, vcc_lo
.LBB12_3:
	s_load_dword s8, s[4:5], 0x18
	s_lshl_b64 s[0:1], s[2:3], 3
	s_load_dword s2, s[4:5], 0x0
	v_lshlrev_b32_e32 v22, 3, v0
	s_waitcnt vmcnt(0)
	v_add_co_u32 v24, vcc_lo, v4, s0
	v_add_co_ci_u32_e64 v25, null, s1, v5, vcc_lo
	v_add_co_u32 v8, vcc_lo, v24, v22
	v_add_co_ci_u32_e64 v9, null, 0, v25, vcc_lo
	flat_load_dwordx2 v[4:5], v[8:9]
	s_waitcnt lgkmcnt(0)
	v_add3_u32 v6, s8, s8, v0
	s_ashr_i32 s9, s8, 31
	s_max_i32 s0, s2, 7
	s_lshl_b64 s[10:11], s[8:9], 3
	v_mul_lo_u32 v1, s0, v1
	v_add_nc_u32_e32 v10, s8, v6
	v_ashrrev_i32_e32 v7, 31, v6
	v_add_co_u32 v8, vcc_lo, v8, s10
	v_add_co_ci_u32_e64 v9, null, s11, v9, vcc_lo
	v_add_nc_u32_e32 v12, s8, v10
	v_ashrrev_i32_e32 v11, 31, v10
	v_lshlrev_b64 v[6:7], 3, v[6:7]
	v_lshl_add_u32 v26, v1, 3, 0
	v_lshlrev_b32_e32 v27, 3, v1
	v_add_nc_u32_e32 v14, s8, v12
	v_ashrrev_i32_e32 v13, 31, v12
	v_lshlrev_b64 v[10:11], 3, v[10:11]
	v_add_co_u32 v6, vcc_lo, v24, v6
	v_add_nc_u32_e32 v16, s8, v14
	v_ashrrev_i32_e32 v15, 31, v14
	v_lshlrev_b64 v[12:13], 3, v[12:13]
	v_add_co_ci_u32_e64 v7, null, v25, v7, vcc_lo
	v_ashrrev_i32_e32 v17, 31, v16
	v_lshlrev_b64 v[14:15], 3, v[14:15]
	v_add_co_u32 v10, vcc_lo, v24, v10
	v_add_co_ci_u32_e64 v11, null, v25, v11, vcc_lo
	v_lshlrev_b64 v[16:17], 3, v[16:17]
	v_add_co_u32 v12, vcc_lo, v24, v12
	v_add_co_ci_u32_e64 v13, null, v25, v13, vcc_lo
	v_add_co_u32 v20, vcc_lo, v24, v14
	v_add_co_ci_u32_e64 v21, null, v25, v15, vcc_lo
	;; [unrolled: 2-line block ×3, first 2 shown]
	s_clause 0x5
	flat_load_dwordx2 v[14:15], v[8:9]
	flat_load_dwordx2 v[6:7], v[6:7]
	;; [unrolled: 1-line block ×6, first 2 shown]
	v_add_nc_u32_e32 v20, v26, v22
	v_mov_b32_e32 v22, 0
	s_cmp_lt_i32 s2, 2
	s_waitcnt vmcnt(6)
	ds_write_b64 v20, v[4:5]
	s_waitcnt vmcnt(0) lgkmcnt(0)
	s_barrier
	buffer_gl0_inv
	ds_read_b64 v[20:21], v26
	s_cbranch_scc1 .LBB12_6
; %bb.4:
	v_add3_u32 v1, v27, 0, 8
	v_mov_b32_e32 v22, 0
	s_mov_b32 s0, 1
.LBB12_5:                               ; =>This Inner Loop Header: Depth=1
	ds_read_b64 v[28:29], v1
	v_add_nc_u32_e32 v1, 8, v1
	s_waitcnt lgkmcnt(0)
	v_cmp_lt_f64_e64 vcc_lo, |v[20:21]|, |v[28:29]|
	v_cndmask_b32_e32 v21, v21, v29, vcc_lo
	v_cndmask_b32_e32 v20, v20, v28, vcc_lo
	v_cndmask_b32_e64 v22, v22, s0, vcc_lo
	s_add_i32 s0, s0, 1
	s_cmp_eq_u32 s2, s0
	s_cbranch_scc0 .LBB12_5
.LBB12_6:
	s_mov_b32 s0, exec_lo
                                        ; implicit-def: $vgpr28
	v_cmpx_ne_u32_e64 v0, v22
	s_xor_b32 s0, exec_lo, s0
	s_cbranch_execz .LBB12_12
; %bb.7:
	s_mov_b32 s1, exec_lo
	v_cmpx_eq_u32_e32 0, v0
	s_cbranch_execz .LBB12_11
; %bb.8:
	v_cmp_ne_u32_e32 vcc_lo, 0, v22
	s_xor_b32 s3, s6, -1
	s_and_b32 s7, s3, vcc_lo
	s_and_saveexec_b32 s3, s7
	s_cbranch_execz .LBB12_10
; %bb.9:
	v_ashrrev_i32_e32 v23, 31, v22
	v_lshlrev_b64 v[0:1], 2, v[22:23]
	v_add_co_u32 v0, vcc_lo, v18, v0
	v_add_co_ci_u32_e64 v1, null, v19, v1, vcc_lo
	s_clause 0x1
	global_load_dword v23, v[0:1], off
	global_load_dword v28, v[18:19], off
	s_waitcnt vmcnt(1)
	global_store_dword v[18:19], v23, off
	s_waitcnt vmcnt(0)
	global_store_dword v[0:1], v28, off
.LBB12_10:
	s_or_b32 exec_lo, exec_lo, s3
	v_mov_b32_e32 v0, v22
.LBB12_11:
	s_or_b32 exec_lo, exec_lo, s1
	v_mov_b32_e32 v28, v0
                                        ; implicit-def: $vgpr0
.LBB12_12:
	s_or_saveexec_b32 s0, s0
	v_mov_b32_e32 v23, v28
	s_xor_b32 exec_lo, exec_lo, s0
	s_cbranch_execz .LBB12_14
; %bb.13:
	v_mov_b32_e32 v28, 0
	v_mov_b32_e32 v23, v0
	ds_write2_b64 v26, v[14:15], v[6:7] offset0:1 offset1:2
	ds_write2_b64 v26, v[8:9], v[10:11] offset0:3 offset1:4
	;; [unrolled: 1-line block ×3, first 2 shown]
.LBB12_14:
	s_or_b32 exec_lo, exec_lo, s0
	s_waitcnt lgkmcnt(0)
	v_cmp_eq_f64_e64 s0, 0, v[20:21]
	s_mov_b32 s1, exec_lo
	s_waitcnt_vscnt null, 0x0
	s_barrier
	buffer_gl0_inv
	v_cmpx_lt_i32_e32 0, v28
	s_cbranch_execz .LBB12_16
; %bb.15:
	v_div_scale_f64 v[0:1], null, v[20:21], v[20:21], 1.0
	v_div_scale_f64 v[33:34], vcc_lo, 1.0, v[20:21], 1.0
	v_rcp_f64_e32 v[29:30], v[0:1]
	v_fma_f64 v[31:32], -v[0:1], v[29:30], 1.0
	v_fma_f64 v[29:30], v[29:30], v[31:32], v[29:30]
	v_fma_f64 v[31:32], -v[0:1], v[29:30], 1.0
	v_fma_f64 v[29:30], v[29:30], v[31:32], v[29:30]
	v_mul_f64 v[31:32], v[33:34], v[29:30]
	v_fma_f64 v[0:1], -v[0:1], v[31:32], v[33:34]
	v_div_fmas_f64 v[0:1], v[0:1], v[29:30], v[31:32]
	ds_read2_b64 v[29:32], v26 offset0:1 offset1:2
	ds_read2_b64 v[33:36], v26 offset0:3 offset1:4
	;; [unrolled: 1-line block ×3, first 2 shown]
	v_div_fixup_f64 v[0:1], v[0:1], v[20:21], 1.0
	v_cndmask_b32_e64 v1, v1, v21, s0
	v_cndmask_b32_e64 v0, v0, v20, s0
	v_mul_f64 v[4:5], v[4:5], v[0:1]
	s_waitcnt lgkmcnt(2)
	v_fma_f64 v[14:15], -v[4:5], v[29:30], v[14:15]
	v_fma_f64 v[6:7], -v[4:5], v[31:32], v[6:7]
	s_waitcnt lgkmcnt(1)
	v_fma_f64 v[8:9], -v[4:5], v[33:34], v[8:9]
	v_fma_f64 v[10:11], -v[4:5], v[35:36], v[10:11]
	;; [unrolled: 3-line block ×3, first 2 shown]
.LBB12_16:
	s_or_b32 exec_lo, exec_lo, s1
	v_lshl_add_u32 v0, v28, 3, v26
	s_barrier
	buffer_gl0_inv
	v_mov_b32_e32 v20, 1
	ds_write_b64 v0, v[14:15]
	s_waitcnt lgkmcnt(0)
	s_barrier
	buffer_gl0_inv
	ds_read_b64 v[0:1], v26 offset:8
	s_cmp_lt_i32 s2, 3
	s_cbranch_scc1 .LBB12_19
; %bb.17:
	v_add3_u32 v21, v27, 0, 16
	v_mov_b32_e32 v20, 1
	s_mov_b32 s1, 2
.LBB12_18:                              ; =>This Inner Loop Header: Depth=1
	ds_read_b64 v[29:30], v21
	v_add_nc_u32_e32 v21, 8, v21
	s_waitcnt lgkmcnt(0)
	v_cmp_lt_f64_e64 vcc_lo, |v[0:1]|, |v[29:30]|
	v_cndmask_b32_e32 v1, v1, v30, vcc_lo
	v_cndmask_b32_e32 v0, v0, v29, vcc_lo
	v_cndmask_b32_e64 v20, v20, s1, vcc_lo
	s_add_i32 s1, s1, 1
	s_cmp_lg_u32 s2, s1
	s_cbranch_scc1 .LBB12_18
.LBB12_19:
	s_mov_b32 s1, exec_lo
	v_cmpx_ne_u32_e64 v28, v20
	s_xor_b32 s1, exec_lo, s1
	s_cbranch_execz .LBB12_25
; %bb.20:
	s_mov_b32 s3, exec_lo
	v_cmpx_eq_u32_e32 1, v28
	s_cbranch_execz .LBB12_24
; %bb.21:
	v_cmp_ne_u32_e32 vcc_lo, 1, v20
	s_xor_b32 s7, s6, -1
	s_and_b32 s9, s7, vcc_lo
	s_and_saveexec_b32 s7, s9
	s_cbranch_execz .LBB12_23
; %bb.22:
	v_ashrrev_i32_e32 v21, 31, v20
	v_lshlrev_b64 v[21:22], 2, v[20:21]
	v_add_co_u32 v21, vcc_lo, v18, v21
	v_add_co_ci_u32_e64 v22, null, v19, v22, vcc_lo
	s_clause 0x1
	global_load_dword v23, v[21:22], off
	global_load_dword v28, v[18:19], off offset:4
	s_waitcnt vmcnt(1)
	global_store_dword v[18:19], v23, off offset:4
	s_waitcnt vmcnt(0)
	global_store_dword v[21:22], v28, off
.LBB12_23:
	s_or_b32 exec_lo, exec_lo, s7
	v_mov_b32_e32 v23, v20
	v_mov_b32_e32 v28, v20
.LBB12_24:
	s_or_b32 exec_lo, exec_lo, s3
.LBB12_25:
	s_andn2_saveexec_b32 s1, s1
	s_cbranch_execz .LBB12_27
; %bb.26:
	v_mov_b32_e32 v28, 1
	ds_write2_b64 v26, v[6:7], v[8:9] offset0:2 offset1:3
	ds_write2_b64 v26, v[10:11], v[12:13] offset0:4 offset1:5
	ds_write_b64 v26, v[16:17] offset:48
.LBB12_27:
	s_or_b32 exec_lo, exec_lo, s1
	s_waitcnt lgkmcnt(0)
	v_cmp_neq_f64_e64 s1, 0, v[0:1]
	s_mov_b32 s3, exec_lo
	s_waitcnt_vscnt null, 0x0
	s_barrier
	buffer_gl0_inv
	v_cmpx_lt_i32_e32 1, v28
	s_cbranch_execz .LBB12_29
; %bb.28:
	v_div_scale_f64 v[20:21], null, v[0:1], v[0:1], 1.0
	v_div_scale_f64 v[33:34], vcc_lo, 1.0, v[0:1], 1.0
	v_rcp_f64_e32 v[29:30], v[20:21]
	v_fma_f64 v[31:32], -v[20:21], v[29:30], 1.0
	v_fma_f64 v[29:30], v[29:30], v[31:32], v[29:30]
	v_fma_f64 v[31:32], -v[20:21], v[29:30], 1.0
	v_fma_f64 v[29:30], v[29:30], v[31:32], v[29:30]
	v_mul_f64 v[31:32], v[33:34], v[29:30]
	v_fma_f64 v[20:21], -v[20:21], v[31:32], v[33:34]
	v_div_fmas_f64 v[20:21], v[20:21], v[29:30], v[31:32]
	v_div_fixup_f64 v[20:21], v[20:21], v[0:1], 1.0
	v_cndmask_b32_e64 v1, v1, v21, s1
	v_cndmask_b32_e64 v0, v0, v20, s1
	v_mul_f64 v[14:15], v[14:15], v[0:1]
	ds_read2_b64 v[29:32], v26 offset0:2 offset1:3
	ds_read2_b64 v[33:36], v26 offset0:4 offset1:5
	ds_read_b64 v[0:1], v26 offset:48
	s_waitcnt lgkmcnt(2)
	v_fma_f64 v[6:7], -v[14:15], v[29:30], v[6:7]
	v_fma_f64 v[8:9], -v[14:15], v[31:32], v[8:9]
	s_waitcnt lgkmcnt(1)
	v_fma_f64 v[10:11], -v[14:15], v[33:34], v[10:11]
	v_fma_f64 v[12:13], -v[14:15], v[35:36], v[12:13]
	s_waitcnt lgkmcnt(0)
	v_fma_f64 v[16:17], -v[14:15], v[0:1], v[16:17]
.LBB12_29:
	s_or_b32 exec_lo, exec_lo, s3
	v_lshl_add_u32 v0, v28, 3, v26
	s_barrier
	buffer_gl0_inv
	v_mov_b32_e32 v20, 2
	ds_write_b64 v0, v[6:7]
	s_waitcnt lgkmcnt(0)
	s_barrier
	buffer_gl0_inv
	ds_read_b64 v[0:1], v26 offset:16
	s_cmp_lt_i32 s2, 4
	s_mov_b32 s3, 3
	s_cbranch_scc1 .LBB12_32
; %bb.30:
	v_add3_u32 v21, v27, 0, 24
	v_mov_b32_e32 v20, 2
.LBB12_31:                              ; =>This Inner Loop Header: Depth=1
	ds_read_b64 v[29:30], v21
	v_add_nc_u32_e32 v21, 8, v21
	s_waitcnt lgkmcnt(0)
	v_cmp_lt_f64_e64 vcc_lo, |v[0:1]|, |v[29:30]|
	v_cndmask_b32_e32 v1, v1, v30, vcc_lo
	v_cndmask_b32_e32 v0, v0, v29, vcc_lo
	v_cndmask_b32_e64 v20, v20, s3, vcc_lo
	s_add_i32 s3, s3, 1
	s_cmp_lg_u32 s2, s3
	s_cbranch_scc1 .LBB12_31
.LBB12_32:
	v_cndmask_b32_e64 v21, 2, 1, s0
	v_cndmask_b32_e64 v22, 0, 1, s0
	s_mov_b32 s0, exec_lo
	v_cndmask_b32_e64 v29, v21, v22, s1
	s_waitcnt lgkmcnt(0)
	v_cmpx_eq_f64_e32 0, v[0:1]
	s_xor_b32 s0, exec_lo, s0
; %bb.33:
	v_cmp_ne_u32_e32 vcc_lo, 0, v29
	v_cndmask_b32_e32 v29, 3, v29, vcc_lo
; %bb.34:
	s_andn2_saveexec_b32 s0, s0
	s_cbranch_execz .LBB12_36
; %bb.35:
	v_div_scale_f64 v[21:22], null, v[0:1], v[0:1], 1.0
	v_rcp_f64_e32 v[30:31], v[21:22]
	v_fma_f64 v[32:33], -v[21:22], v[30:31], 1.0
	v_fma_f64 v[30:31], v[30:31], v[32:33], v[30:31]
	v_fma_f64 v[32:33], -v[21:22], v[30:31], 1.0
	v_fma_f64 v[30:31], v[30:31], v[32:33], v[30:31]
	v_div_scale_f64 v[32:33], vcc_lo, 1.0, v[0:1], 1.0
	v_mul_f64 v[34:35], v[32:33], v[30:31]
	v_fma_f64 v[21:22], -v[21:22], v[34:35], v[32:33]
	v_div_fmas_f64 v[21:22], v[21:22], v[30:31], v[34:35]
	v_div_fixup_f64 v[0:1], v[21:22], v[0:1], 1.0
.LBB12_36:
	s_or_b32 exec_lo, exec_lo, s0
	s_mov_b32 s0, exec_lo
	v_cmpx_ne_u32_e64 v28, v20
	s_xor_b32 s0, exec_lo, s0
	s_cbranch_execz .LBB12_42
; %bb.37:
	s_mov_b32 s1, exec_lo
	v_cmpx_eq_u32_e32 2, v28
	s_cbranch_execz .LBB12_41
; %bb.38:
	v_cmp_ne_u32_e32 vcc_lo, 2, v20
	s_xor_b32 s3, s6, -1
	s_and_b32 s7, s3, vcc_lo
	s_and_saveexec_b32 s3, s7
	s_cbranch_execz .LBB12_40
; %bb.39:
	v_ashrrev_i32_e32 v21, 31, v20
	v_lshlrev_b64 v[21:22], 2, v[20:21]
	v_add_co_u32 v21, vcc_lo, v18, v21
	v_add_co_ci_u32_e64 v22, null, v19, v22, vcc_lo
	s_clause 0x1
	global_load_dword v23, v[21:22], off
	global_load_dword v28, v[18:19], off offset:8
	s_waitcnt vmcnt(1)
	global_store_dword v[18:19], v23, off offset:8
	s_waitcnt vmcnt(0)
	global_store_dword v[21:22], v28, off
.LBB12_40:
	s_or_b32 exec_lo, exec_lo, s3
	v_mov_b32_e32 v23, v20
	v_mov_b32_e32 v28, v20
.LBB12_41:
	s_or_b32 exec_lo, exec_lo, s1
.LBB12_42:
	s_andn2_saveexec_b32 s0, s0
	s_cbranch_execz .LBB12_44
; %bb.43:
	v_mov_b32_e32 v28, 2
	ds_write2_b64 v26, v[8:9], v[10:11] offset0:3 offset1:4
	ds_write2_b64 v26, v[12:13], v[16:17] offset0:5 offset1:6
.LBB12_44:
	s_or_b32 exec_lo, exec_lo, s0
	s_mov_b32 s0, exec_lo
	s_waitcnt lgkmcnt(0)
	s_waitcnt_vscnt null, 0x0
	s_barrier
	buffer_gl0_inv
	v_cmpx_lt_i32_e32 2, v28
	s_cbranch_execz .LBB12_46
; %bb.45:
	v_mul_f64 v[6:7], v[6:7], v[0:1]
	ds_read2_b64 v[30:33], v26 offset0:3 offset1:4
	ds_read2_b64 v[34:37], v26 offset0:5 offset1:6
	s_waitcnt lgkmcnt(1)
	v_fma_f64 v[8:9], -v[6:7], v[30:31], v[8:9]
	v_fma_f64 v[10:11], -v[6:7], v[32:33], v[10:11]
	s_waitcnt lgkmcnt(0)
	v_fma_f64 v[12:13], -v[6:7], v[34:35], v[12:13]
	v_fma_f64 v[16:17], -v[6:7], v[36:37], v[16:17]
.LBB12_46:
	s_or_b32 exec_lo, exec_lo, s0
	v_lshl_add_u32 v0, v28, 3, v26
	s_barrier
	buffer_gl0_inv
	v_mov_b32_e32 v20, 3
	ds_write_b64 v0, v[8:9]
	s_waitcnt lgkmcnt(0)
	s_barrier
	buffer_gl0_inv
	ds_read_b64 v[0:1], v26 offset:24
	s_cmp_lt_i32 s2, 5
	s_cbranch_scc1 .LBB12_49
; %bb.47:
	v_mov_b32_e32 v20, 3
	v_add3_u32 v21, v27, 0, 32
	s_mov_b32 s0, 4
.LBB12_48:                              ; =>This Inner Loop Header: Depth=1
	ds_read_b64 v[30:31], v21
	v_add_nc_u32_e32 v21, 8, v21
	s_waitcnt lgkmcnt(0)
	v_cmp_lt_f64_e64 vcc_lo, |v[0:1]|, |v[30:31]|
	v_cndmask_b32_e32 v1, v1, v31, vcc_lo
	v_cndmask_b32_e32 v0, v0, v30, vcc_lo
	v_cndmask_b32_e64 v20, v20, s0, vcc_lo
	s_add_i32 s0, s0, 1
	s_cmp_lg_u32 s2, s0
	s_cbranch_scc1 .LBB12_48
.LBB12_49:
	s_mov_b32 s0, exec_lo
	s_waitcnt lgkmcnt(0)
	v_cmpx_eq_f64_e32 0, v[0:1]
	s_xor_b32 s0, exec_lo, s0
; %bb.50:
	v_cmp_ne_u32_e32 vcc_lo, 0, v29
	v_cndmask_b32_e32 v29, 4, v29, vcc_lo
; %bb.51:
	s_andn2_saveexec_b32 s0, s0
	s_cbranch_execz .LBB12_53
; %bb.52:
	v_div_scale_f64 v[21:22], null, v[0:1], v[0:1], 1.0
	v_rcp_f64_e32 v[30:31], v[21:22]
	v_fma_f64 v[32:33], -v[21:22], v[30:31], 1.0
	v_fma_f64 v[30:31], v[30:31], v[32:33], v[30:31]
	v_fma_f64 v[32:33], -v[21:22], v[30:31], 1.0
	v_fma_f64 v[30:31], v[30:31], v[32:33], v[30:31]
	v_div_scale_f64 v[32:33], vcc_lo, 1.0, v[0:1], 1.0
	v_mul_f64 v[34:35], v[32:33], v[30:31]
	v_fma_f64 v[21:22], -v[21:22], v[34:35], v[32:33]
	v_div_fmas_f64 v[21:22], v[21:22], v[30:31], v[34:35]
	v_div_fixup_f64 v[0:1], v[21:22], v[0:1], 1.0
.LBB12_53:
	s_or_b32 exec_lo, exec_lo, s0
	s_mov_b32 s0, exec_lo
	v_cmpx_ne_u32_e64 v28, v20
	s_xor_b32 s0, exec_lo, s0
	s_cbranch_execz .LBB12_59
; %bb.54:
	s_mov_b32 s1, exec_lo
	v_cmpx_eq_u32_e32 3, v28
	s_cbranch_execz .LBB12_58
; %bb.55:
	v_cmp_ne_u32_e32 vcc_lo, 3, v20
	s_xor_b32 s3, s6, -1
	s_and_b32 s7, s3, vcc_lo
	s_and_saveexec_b32 s3, s7
	s_cbranch_execz .LBB12_57
; %bb.56:
	v_ashrrev_i32_e32 v21, 31, v20
	v_lshlrev_b64 v[21:22], 2, v[20:21]
	v_add_co_u32 v21, vcc_lo, v18, v21
	v_add_co_ci_u32_e64 v22, null, v19, v22, vcc_lo
	s_clause 0x1
	global_load_dword v23, v[21:22], off
	global_load_dword v28, v[18:19], off offset:12
	s_waitcnt vmcnt(1)
	global_store_dword v[18:19], v23, off offset:12
	s_waitcnt vmcnt(0)
	global_store_dword v[21:22], v28, off
.LBB12_57:
	s_or_b32 exec_lo, exec_lo, s3
	v_mov_b32_e32 v23, v20
	v_mov_b32_e32 v28, v20
.LBB12_58:
	s_or_b32 exec_lo, exec_lo, s1
.LBB12_59:
	s_andn2_saveexec_b32 s0, s0
	s_cbranch_execz .LBB12_61
; %bb.60:
	v_mov_b32_e32 v28, 3
	ds_write2_b64 v26, v[10:11], v[12:13] offset0:4 offset1:5
	ds_write_b64 v26, v[16:17] offset:48
.LBB12_61:
	s_or_b32 exec_lo, exec_lo, s0
	s_mov_b32 s0, exec_lo
	s_waitcnt lgkmcnt(0)
	s_waitcnt_vscnt null, 0x0
	s_barrier
	buffer_gl0_inv
	v_cmpx_lt_i32_e32 3, v28
	s_cbranch_execz .LBB12_63
; %bb.62:
	v_mul_f64 v[8:9], v[8:9], v[0:1]
	ds_read2_b64 v[30:33], v26 offset0:4 offset1:5
	ds_read_b64 v[0:1], v26 offset:48
	s_waitcnt lgkmcnt(1)
	v_fma_f64 v[10:11], -v[8:9], v[30:31], v[10:11]
	v_fma_f64 v[12:13], -v[8:9], v[32:33], v[12:13]
	s_waitcnt lgkmcnt(0)
	v_fma_f64 v[16:17], -v[8:9], v[0:1], v[16:17]
.LBB12_63:
	s_or_b32 exec_lo, exec_lo, s0
	v_lshl_add_u32 v0, v28, 3, v26
	s_barrier
	buffer_gl0_inv
	v_mov_b32_e32 v20, 4
	ds_write_b64 v0, v[10:11]
	s_waitcnt lgkmcnt(0)
	s_barrier
	buffer_gl0_inv
	ds_read_b64 v[0:1], v26 offset:32
	s_cmp_lt_i32 s2, 6
	s_cbranch_scc1 .LBB12_66
; %bb.64:
	v_add3_u32 v21, v27, 0, 40
	v_mov_b32_e32 v20, 4
	s_mov_b32 s0, 5
.LBB12_65:                              ; =>This Inner Loop Header: Depth=1
	ds_read_b64 v[30:31], v21
	v_add_nc_u32_e32 v21, 8, v21
	s_waitcnt lgkmcnt(0)
	v_cmp_lt_f64_e64 vcc_lo, |v[0:1]|, |v[30:31]|
	v_cndmask_b32_e32 v1, v1, v31, vcc_lo
	v_cndmask_b32_e32 v0, v0, v30, vcc_lo
	v_cndmask_b32_e64 v20, v20, s0, vcc_lo
	s_add_i32 s0, s0, 1
	s_cmp_lg_u32 s2, s0
	s_cbranch_scc1 .LBB12_65
.LBB12_66:
	s_mov_b32 s0, exec_lo
	s_waitcnt lgkmcnt(0)
	v_cmpx_eq_f64_e32 0, v[0:1]
	s_xor_b32 s0, exec_lo, s0
; %bb.67:
	v_cmp_ne_u32_e32 vcc_lo, 0, v29
	v_cndmask_b32_e32 v29, 5, v29, vcc_lo
; %bb.68:
	s_andn2_saveexec_b32 s0, s0
	s_cbranch_execz .LBB12_70
; %bb.69:
	v_div_scale_f64 v[21:22], null, v[0:1], v[0:1], 1.0
	v_rcp_f64_e32 v[30:31], v[21:22]
	v_fma_f64 v[32:33], -v[21:22], v[30:31], 1.0
	v_fma_f64 v[30:31], v[30:31], v[32:33], v[30:31]
	v_fma_f64 v[32:33], -v[21:22], v[30:31], 1.0
	v_fma_f64 v[30:31], v[30:31], v[32:33], v[30:31]
	v_div_scale_f64 v[32:33], vcc_lo, 1.0, v[0:1], 1.0
	v_mul_f64 v[34:35], v[32:33], v[30:31]
	v_fma_f64 v[21:22], -v[21:22], v[34:35], v[32:33]
	v_div_fmas_f64 v[21:22], v[21:22], v[30:31], v[34:35]
	v_div_fixup_f64 v[0:1], v[21:22], v[0:1], 1.0
.LBB12_70:
	s_or_b32 exec_lo, exec_lo, s0
	s_mov_b32 s0, exec_lo
	v_cmpx_ne_u32_e64 v28, v20
	s_xor_b32 s0, exec_lo, s0
	s_cbranch_execz .LBB12_76
; %bb.71:
	s_mov_b32 s1, exec_lo
	v_cmpx_eq_u32_e32 4, v28
	s_cbranch_execz .LBB12_75
; %bb.72:
	v_cmp_ne_u32_e32 vcc_lo, 4, v20
	s_xor_b32 s3, s6, -1
	s_and_b32 s7, s3, vcc_lo
	s_and_saveexec_b32 s3, s7
	s_cbranch_execz .LBB12_74
; %bb.73:
	v_ashrrev_i32_e32 v21, 31, v20
	v_lshlrev_b64 v[21:22], 2, v[20:21]
	v_add_co_u32 v21, vcc_lo, v18, v21
	v_add_co_ci_u32_e64 v22, null, v19, v22, vcc_lo
	s_clause 0x1
	global_load_dword v23, v[21:22], off
	global_load_dword v28, v[18:19], off offset:16
	s_waitcnt vmcnt(1)
	global_store_dword v[18:19], v23, off offset:16
	s_waitcnt vmcnt(0)
	global_store_dword v[21:22], v28, off
.LBB12_74:
	s_or_b32 exec_lo, exec_lo, s3
	v_mov_b32_e32 v23, v20
	v_mov_b32_e32 v28, v20
.LBB12_75:
	s_or_b32 exec_lo, exec_lo, s1
.LBB12_76:
	s_andn2_saveexec_b32 s0, s0
; %bb.77:
	v_mov_b32_e32 v28, 4
	ds_write2_b64 v26, v[12:13], v[16:17] offset0:5 offset1:6
; %bb.78:
	s_or_b32 exec_lo, exec_lo, s0
	s_mov_b32 s0, exec_lo
	s_waitcnt lgkmcnt(0)
	s_waitcnt_vscnt null, 0x0
	s_barrier
	buffer_gl0_inv
	v_cmpx_lt_i32_e32 4, v28
	s_cbranch_execz .LBB12_80
; %bb.79:
	v_mul_f64 v[10:11], v[10:11], v[0:1]
	ds_read2_b64 v[30:33], v26 offset0:5 offset1:6
	s_waitcnt lgkmcnt(0)
	v_fma_f64 v[12:13], -v[10:11], v[30:31], v[12:13]
	v_fma_f64 v[16:17], -v[10:11], v[32:33], v[16:17]
.LBB12_80:
	s_or_b32 exec_lo, exec_lo, s0
	v_lshl_add_u32 v0, v28, 3, v26
	s_barrier
	buffer_gl0_inv
	v_mov_b32_e32 v20, 5
	ds_write_b64 v0, v[12:13]
	s_waitcnt lgkmcnt(0)
	s_barrier
	buffer_gl0_inv
	ds_read_b64 v[0:1], v26 offset:40
	s_cmp_lt_i32 s2, 7
	s_cbranch_scc1 .LBB12_83
; %bb.81:
	v_add3_u32 v21, v27, 0, 48
	v_mov_b32_e32 v20, 5
	s_mov_b32 s0, 6
.LBB12_82:                              ; =>This Inner Loop Header: Depth=1
	ds_read_b64 v[30:31], v21
	v_add_nc_u32_e32 v21, 8, v21
	s_waitcnt lgkmcnt(0)
	v_cmp_lt_f64_e64 vcc_lo, |v[0:1]|, |v[30:31]|
	v_cndmask_b32_e32 v1, v1, v31, vcc_lo
	v_cndmask_b32_e32 v0, v0, v30, vcc_lo
	v_cndmask_b32_e64 v20, v20, s0, vcc_lo
	s_add_i32 s0, s0, 1
	s_cmp_lg_u32 s2, s0
	s_cbranch_scc1 .LBB12_82
.LBB12_83:
	s_mov_b32 s0, exec_lo
	s_waitcnt lgkmcnt(0)
	v_cmpx_eq_f64_e32 0, v[0:1]
	s_xor_b32 s0, exec_lo, s0
; %bb.84:
	v_cmp_ne_u32_e32 vcc_lo, 0, v29
	v_cndmask_b32_e32 v29, 6, v29, vcc_lo
; %bb.85:
	s_andn2_saveexec_b32 s0, s0
	s_cbranch_execz .LBB12_87
; %bb.86:
	v_div_scale_f64 v[21:22], null, v[0:1], v[0:1], 1.0
	v_rcp_f64_e32 v[30:31], v[21:22]
	v_fma_f64 v[32:33], -v[21:22], v[30:31], 1.0
	v_fma_f64 v[30:31], v[30:31], v[32:33], v[30:31]
	v_fma_f64 v[32:33], -v[21:22], v[30:31], 1.0
	v_fma_f64 v[30:31], v[30:31], v[32:33], v[30:31]
	v_div_scale_f64 v[32:33], vcc_lo, 1.0, v[0:1], 1.0
	v_mul_f64 v[34:35], v[32:33], v[30:31]
	v_fma_f64 v[21:22], -v[21:22], v[34:35], v[32:33]
	v_div_fmas_f64 v[21:22], v[21:22], v[30:31], v[34:35]
	v_div_fixup_f64 v[0:1], v[21:22], v[0:1], 1.0
.LBB12_87:
	s_or_b32 exec_lo, exec_lo, s0
	s_mov_b32 s0, exec_lo
	v_cmpx_ne_u32_e64 v28, v20
	s_xor_b32 s0, exec_lo, s0
	s_cbranch_execz .LBB12_93
; %bb.88:
	s_mov_b32 s1, exec_lo
	v_cmpx_eq_u32_e32 5, v28
	s_cbranch_execz .LBB12_92
; %bb.89:
	v_cmp_ne_u32_e32 vcc_lo, 5, v20
	s_xor_b32 s3, s6, -1
	s_and_b32 s7, s3, vcc_lo
	s_and_saveexec_b32 s3, s7
	s_cbranch_execz .LBB12_91
; %bb.90:
	v_ashrrev_i32_e32 v21, 31, v20
	v_lshlrev_b64 v[21:22], 2, v[20:21]
	v_add_co_u32 v21, vcc_lo, v18, v21
	v_add_co_ci_u32_e64 v22, null, v19, v22, vcc_lo
	s_clause 0x1
	global_load_dword v23, v[21:22], off
	global_load_dword v28, v[18:19], off offset:20
	s_waitcnt vmcnt(1)
	global_store_dword v[18:19], v23, off offset:20
	s_waitcnt vmcnt(0)
	global_store_dword v[21:22], v28, off
.LBB12_91:
	s_or_b32 exec_lo, exec_lo, s3
	v_mov_b32_e32 v23, v20
	v_mov_b32_e32 v28, v20
.LBB12_92:
	s_or_b32 exec_lo, exec_lo, s1
.LBB12_93:
	s_andn2_saveexec_b32 s0, s0
; %bb.94:
	v_mov_b32_e32 v28, 5
	ds_write_b64 v26, v[16:17] offset:48
; %bb.95:
	s_or_b32 exec_lo, exec_lo, s0
	s_mov_b32 s0, exec_lo
	s_waitcnt lgkmcnt(0)
	s_waitcnt_vscnt null, 0x0
	s_barrier
	buffer_gl0_inv
	v_cmpx_lt_i32_e32 5, v28
	s_cbranch_execz .LBB12_97
; %bb.96:
	v_mul_f64 v[12:13], v[12:13], v[0:1]
	ds_read_b64 v[0:1], v26 offset:48
	s_waitcnt lgkmcnt(0)
	v_fma_f64 v[16:17], -v[12:13], v[0:1], v[16:17]
.LBB12_97:
	s_or_b32 exec_lo, exec_lo, s0
	v_lshl_add_u32 v0, v28, 3, v26
	s_barrier
	buffer_gl0_inv
	v_mov_b32_e32 v20, 6
	ds_write_b64 v0, v[16:17]
	s_waitcnt lgkmcnt(0)
	s_barrier
	buffer_gl0_inv
	ds_read_b64 v[0:1], v26 offset:48
	s_cmp_lt_i32 s2, 8
	s_cbranch_scc1 .LBB12_100
; %bb.98:
	v_add3_u32 v21, v27, 0, 56
	v_mov_b32_e32 v20, 6
	s_mov_b32 s0, 7
.LBB12_99:                              ; =>This Inner Loop Header: Depth=1
	ds_read_b64 v[26:27], v21
	v_add_nc_u32_e32 v21, 8, v21
	s_waitcnt lgkmcnt(0)
	v_cmp_lt_f64_e64 vcc_lo, |v[0:1]|, |v[26:27]|
	v_cndmask_b32_e32 v1, v1, v27, vcc_lo
	v_cndmask_b32_e32 v0, v0, v26, vcc_lo
	v_cndmask_b32_e64 v20, v20, s0, vcc_lo
	s_add_i32 s0, s0, 1
	s_cmp_lg_u32 s2, s0
	s_cbranch_scc1 .LBB12_99
.LBB12_100:
	s_mov_b32 s0, exec_lo
	s_waitcnt lgkmcnt(0)
	v_cmpx_eq_f64_e32 0, v[0:1]
	s_xor_b32 s0, exec_lo, s0
; %bb.101:
	v_cmp_ne_u32_e32 vcc_lo, 0, v29
	v_cndmask_b32_e32 v29, 7, v29, vcc_lo
; %bb.102:
	s_andn2_saveexec_b32 s0, s0
	s_cbranch_execz .LBB12_104
; %bb.103:
	v_div_scale_f64 v[21:22], null, v[0:1], v[0:1], 1.0
	v_rcp_f64_e32 v[26:27], v[21:22]
	v_fma_f64 v[30:31], -v[21:22], v[26:27], 1.0
	v_fma_f64 v[26:27], v[26:27], v[30:31], v[26:27]
	v_fma_f64 v[30:31], -v[21:22], v[26:27], 1.0
	v_fma_f64 v[26:27], v[26:27], v[30:31], v[26:27]
	v_div_scale_f64 v[30:31], vcc_lo, 1.0, v[0:1], 1.0
	v_mul_f64 v[32:33], v[30:31], v[26:27]
	v_fma_f64 v[21:22], -v[21:22], v[32:33], v[30:31]
	v_div_fmas_f64 v[21:22], v[21:22], v[26:27], v[32:33]
	v_div_fixup_f64 v[0:1], v[21:22], v[0:1], 1.0
.LBB12_104:
	s_or_b32 exec_lo, exec_lo, s0
	v_mov_b32_e32 v21, 6
	s_mov_b32 s0, exec_lo
	v_cmpx_ne_u32_e64 v28, v20
	s_cbranch_execz .LBB12_110
; %bb.105:
	s_mov_b32 s1, exec_lo
	v_cmpx_eq_u32_e32 6, v28
	s_cbranch_execz .LBB12_109
; %bb.106:
	v_cmp_ne_u32_e32 vcc_lo, 6, v20
	s_xor_b32 s2, s6, -1
	s_and_b32 s3, s2, vcc_lo
	s_and_saveexec_b32 s2, s3
	s_cbranch_execz .LBB12_108
; %bb.107:
	v_ashrrev_i32_e32 v21, 31, v20
	v_lshlrev_b64 v[21:22], 2, v[20:21]
	v_add_co_u32 v21, vcc_lo, v18, v21
	v_add_co_ci_u32_e64 v22, null, v19, v22, vcc_lo
	s_clause 0x1
	global_load_dword v23, v[21:22], off
	global_load_dword v26, v[18:19], off offset:24
	s_waitcnt vmcnt(1)
	global_store_dword v[18:19], v23, off offset:24
	s_waitcnt vmcnt(0)
	global_store_dword v[21:22], v26, off
.LBB12_108:
	s_or_b32 exec_lo, exec_lo, s2
	v_mov_b32_e32 v23, v20
	v_mov_b32_e32 v28, v20
.LBB12_109:
	s_or_b32 exec_lo, exec_lo, s1
	v_mov_b32_e32 v21, v28
.LBB12_110:
	s_or_b32 exec_lo, exec_lo, s0
	s_load_dwordx8 s[0:7], s[4:5], 0x28
	v_ashrrev_i32_e32 v22, 31, v21
	s_mov_b32 s9, exec_lo
	s_waitcnt lgkmcnt(0)
	s_waitcnt_vscnt null, 0x0
	s_barrier
	buffer_gl0_inv
	s_barrier
	buffer_gl0_inv
	v_cmpx_gt_i32_e32 7, v21
	s_cbranch_execz .LBB12_112
; %bb.111:
	v_mul_lo_u32 v20, s5, v2
	v_mul_lo_u32 v26, s4, v3
	v_mad_u64_u32 v[18:19], null, s4, v2, 0
	s_lshl_b64 s[2:3], s[2:3], 2
	v_add3_u32 v19, v19, v26, v20
	v_lshlrev_b64 v[18:19], 2, v[18:19]
	v_add_co_u32 v20, vcc_lo, s0, v18
	v_add_co_ci_u32_e64 v26, null, s1, v19, vcc_lo
	v_lshlrev_b64 v[18:19], 2, v[21:22]
	v_add_co_u32 v20, vcc_lo, v20, s2
	v_add_co_ci_u32_e64 v26, null, s3, v26, vcc_lo
	v_add_co_u32 v18, vcc_lo, v20, v18
	v_add_co_ci_u32_e64 v19, null, v26, v19, vcc_lo
	v_add3_u32 v20, v23, s13, 1
	global_store_dword v[18:19], v20, off
.LBB12_112:
	s_or_b32 exec_lo, exec_lo, s9
	s_mov_b32 s1, exec_lo
	v_cmpx_eq_u32_e32 0, v21
	s_cbranch_execz .LBB12_115
; %bb.113:
	v_lshlrev_b64 v[2:3], 2, v[2:3]
	v_cmp_ne_u32_e64 s0, 0, v29
	v_add_co_u32 v2, vcc_lo, s6, v2
	v_add_co_ci_u32_e64 v3, null, s7, v3, vcc_lo
	global_load_dword v18, v[2:3], off
	s_waitcnt vmcnt(0)
	v_cmp_eq_u32_e32 vcc_lo, 0, v18
	s_and_b32 s0, vcc_lo, s0
	s_and_b32 exec_lo, exec_lo, s0
	s_cbranch_execz .LBB12_115
; %bb.114:
	v_add_nc_u32_e32 v18, s13, v29
	global_store_dword v[2:3], v18, off
.LBB12_115:
	s_or_b32 exec_lo, exec_lo, s1
	v_lshlrev_b64 v[18:19], 3, v[21:22]
	v_add3_u32 v2, s8, s8, v21
	v_mul_f64 v[0:1], v[16:17], v[0:1]
	v_cmp_lt_i32_e32 vcc_lo, 6, v21
	v_add_nc_u32_e32 v20, s8, v2
	v_add_co_u32 v18, s0, v24, v18
	v_add_co_ci_u32_e64 v19, null, v25, v19, s0
	v_add_nc_u32_e32 v22, s8, v20
	v_add_co_u32 v26, s0, v18, s10
	v_add_co_ci_u32_e64 v27, null, s11, v19, s0
	flat_store_dwordx2 v[18:19], v[4:5]
	v_ashrrev_i32_e32 v3, 31, v2
	v_ashrrev_i32_e32 v21, 31, v20
	flat_store_dwordx2 v[26:27], v[14:15]
	v_add_nc_u32_e32 v14, s8, v22
	v_ashrrev_i32_e32 v23, 31, v22
	v_lshlrev_b64 v[2:3], 3, v[2:3]
	v_lshlrev_b64 v[4:5], 3, v[20:21]
	v_cndmask_b32_e32 v1, v17, v1, vcc_lo
	v_add_nc_u32_e32 v18, s8, v14
	v_ashrrev_i32_e32 v15, 31, v14
	v_cndmask_b32_e32 v0, v16, v0, vcc_lo
	v_lshlrev_b64 v[16:17], 3, v[22:23]
	v_add_co_u32 v2, vcc_lo, v24, v2
	v_ashrrev_i32_e32 v19, 31, v18
	v_lshlrev_b64 v[14:15], 3, v[14:15]
	v_add_co_ci_u32_e64 v3, null, v25, v3, vcc_lo
	v_add_co_u32 v4, vcc_lo, v24, v4
	v_lshlrev_b64 v[18:19], 3, v[18:19]
	v_add_co_ci_u32_e64 v5, null, v25, v5, vcc_lo
	v_add_co_u32 v16, vcc_lo, v24, v16
	v_add_co_ci_u32_e64 v17, null, v25, v17, vcc_lo
	v_add_co_u32 v14, vcc_lo, v24, v14
	;; [unrolled: 2-line block ×3, first 2 shown]
	v_add_co_ci_u32_e64 v19, null, v25, v19, vcc_lo
	flat_store_dwordx2 v[2:3], v[6:7]
	flat_store_dwordx2 v[4:5], v[8:9]
	;; [unrolled: 1-line block ×5, first 2 shown]
.LBB12_116:
	s_endpgm
	.section	.rodata,"a",@progbits
	.p2align	6, 0x0
	.amdhsa_kernel _ZN9rocsolver6v33100L18getf2_small_kernelILi7EdiiPKPdEEvT1_T3_lS5_lPS5_llPT2_S5_S5_S7_l
		.amdhsa_group_segment_fixed_size 0
		.amdhsa_private_segment_fixed_size 0
		.amdhsa_kernarg_size 352
		.amdhsa_user_sgpr_count 6
		.amdhsa_user_sgpr_private_segment_buffer 1
		.amdhsa_user_sgpr_dispatch_ptr 0
		.amdhsa_user_sgpr_queue_ptr 0
		.amdhsa_user_sgpr_kernarg_segment_ptr 1
		.amdhsa_user_sgpr_dispatch_id 0
		.amdhsa_user_sgpr_flat_scratch_init 0
		.amdhsa_user_sgpr_private_segment_size 0
		.amdhsa_wavefront_size32 1
		.amdhsa_uses_dynamic_stack 0
		.amdhsa_system_sgpr_private_segment_wavefront_offset 0
		.amdhsa_system_sgpr_workgroup_id_x 1
		.amdhsa_system_sgpr_workgroup_id_y 1
		.amdhsa_system_sgpr_workgroup_id_z 0
		.amdhsa_system_sgpr_workgroup_info 0
		.amdhsa_system_vgpr_workitem_id 1
		.amdhsa_next_free_vgpr 41
		.amdhsa_next_free_sgpr 14
		.amdhsa_reserve_vcc 1
		.amdhsa_reserve_flat_scratch 1
		.amdhsa_float_round_mode_32 0
		.amdhsa_float_round_mode_16_64 0
		.amdhsa_float_denorm_mode_32 3
		.amdhsa_float_denorm_mode_16_64 3
		.amdhsa_dx10_clamp 1
		.amdhsa_ieee_mode 1
		.amdhsa_fp16_overflow 0
		.amdhsa_workgroup_processor_mode 1
		.amdhsa_memory_ordered 1
		.amdhsa_forward_progress 1
		.amdhsa_shared_vgpr_count 0
		.amdhsa_exception_fp_ieee_invalid_op 0
		.amdhsa_exception_fp_denorm_src 0
		.amdhsa_exception_fp_ieee_div_zero 0
		.amdhsa_exception_fp_ieee_overflow 0
		.amdhsa_exception_fp_ieee_underflow 0
		.amdhsa_exception_fp_ieee_inexact 0
		.amdhsa_exception_int_div_zero 0
	.end_amdhsa_kernel
	.section	.text._ZN9rocsolver6v33100L18getf2_small_kernelILi7EdiiPKPdEEvT1_T3_lS5_lPS5_llPT2_S5_S5_S7_l,"axG",@progbits,_ZN9rocsolver6v33100L18getf2_small_kernelILi7EdiiPKPdEEvT1_T3_lS5_lPS5_llPT2_S5_S5_S7_l,comdat
.Lfunc_end12:
	.size	_ZN9rocsolver6v33100L18getf2_small_kernelILi7EdiiPKPdEEvT1_T3_lS5_lPS5_llPT2_S5_S5_S7_l, .Lfunc_end12-_ZN9rocsolver6v33100L18getf2_small_kernelILi7EdiiPKPdEEvT1_T3_lS5_lPS5_llPT2_S5_S5_S7_l
                                        ; -- End function
	.set _ZN9rocsolver6v33100L18getf2_small_kernelILi7EdiiPKPdEEvT1_T3_lS5_lPS5_llPT2_S5_S5_S7_l.num_vgpr, 41
	.set _ZN9rocsolver6v33100L18getf2_small_kernelILi7EdiiPKPdEEvT1_T3_lS5_lPS5_llPT2_S5_S5_S7_l.num_agpr, 0
	.set _ZN9rocsolver6v33100L18getf2_small_kernelILi7EdiiPKPdEEvT1_T3_lS5_lPS5_llPT2_S5_S5_S7_l.numbered_sgpr, 14
	.set _ZN9rocsolver6v33100L18getf2_small_kernelILi7EdiiPKPdEEvT1_T3_lS5_lPS5_llPT2_S5_S5_S7_l.num_named_barrier, 0
	.set _ZN9rocsolver6v33100L18getf2_small_kernelILi7EdiiPKPdEEvT1_T3_lS5_lPS5_llPT2_S5_S5_S7_l.private_seg_size, 0
	.set _ZN9rocsolver6v33100L18getf2_small_kernelILi7EdiiPKPdEEvT1_T3_lS5_lPS5_llPT2_S5_S5_S7_l.uses_vcc, 1
	.set _ZN9rocsolver6v33100L18getf2_small_kernelILi7EdiiPKPdEEvT1_T3_lS5_lPS5_llPT2_S5_S5_S7_l.uses_flat_scratch, 1
	.set _ZN9rocsolver6v33100L18getf2_small_kernelILi7EdiiPKPdEEvT1_T3_lS5_lPS5_llPT2_S5_S5_S7_l.has_dyn_sized_stack, 0
	.set _ZN9rocsolver6v33100L18getf2_small_kernelILi7EdiiPKPdEEvT1_T3_lS5_lPS5_llPT2_S5_S5_S7_l.has_recursion, 0
	.set _ZN9rocsolver6v33100L18getf2_small_kernelILi7EdiiPKPdEEvT1_T3_lS5_lPS5_llPT2_S5_S5_S7_l.has_indirect_call, 0
	.section	.AMDGPU.csdata,"",@progbits
; Kernel info:
; codeLenInByte = 4588
; TotalNumSgprs: 16
; NumVgprs: 41
; ScratchSize: 0
; MemoryBound: 0
; FloatMode: 240
; IeeeMode: 1
; LDSByteSize: 0 bytes/workgroup (compile time only)
; SGPRBlocks: 0
; VGPRBlocks: 5
; NumSGPRsForWavesPerEU: 16
; NumVGPRsForWavesPerEU: 41
; Occupancy: 16
; WaveLimiterHint : 1
; COMPUTE_PGM_RSRC2:SCRATCH_EN: 0
; COMPUTE_PGM_RSRC2:USER_SGPR: 6
; COMPUTE_PGM_RSRC2:TRAP_HANDLER: 0
; COMPUTE_PGM_RSRC2:TGID_X_EN: 1
; COMPUTE_PGM_RSRC2:TGID_Y_EN: 1
; COMPUTE_PGM_RSRC2:TGID_Z_EN: 0
; COMPUTE_PGM_RSRC2:TIDIG_COMP_CNT: 1
	.section	.text._ZN9rocsolver6v33100L23getf2_npvt_small_kernelILi7EdiiPKPdEEvT1_T3_lS5_lPT2_S5_S5_,"axG",@progbits,_ZN9rocsolver6v33100L23getf2_npvt_small_kernelILi7EdiiPKPdEEvT1_T3_lS5_lPT2_S5_S5_,comdat
	.globl	_ZN9rocsolver6v33100L23getf2_npvt_small_kernelILi7EdiiPKPdEEvT1_T3_lS5_lPT2_S5_S5_ ; -- Begin function _ZN9rocsolver6v33100L23getf2_npvt_small_kernelILi7EdiiPKPdEEvT1_T3_lS5_lPT2_S5_S5_
	.p2align	8
	.type	_ZN9rocsolver6v33100L23getf2_npvt_small_kernelILi7EdiiPKPdEEvT1_T3_lS5_lPT2_S5_S5_,@function
_ZN9rocsolver6v33100L23getf2_npvt_small_kernelILi7EdiiPKPdEEvT1_T3_lS5_lPT2_S5_S5_: ; @_ZN9rocsolver6v33100L23getf2_npvt_small_kernelILi7EdiiPKPdEEvT1_T3_lS5_lPT2_S5_S5_
; %bb.0:
	s_clause 0x1
	s_load_dword s0, s[4:5], 0x44
	s_load_dwordx2 s[8:9], s[4:5], 0x30
	s_waitcnt lgkmcnt(0)
	s_lshr_b32 s6, s0, 16
	s_mov_b32 s0, exec_lo
	v_mad_u64_u32 v[2:3], null, s7, s6, v[1:2]
	v_cmpx_gt_i32_e64 s8, v2
	s_cbranch_execz .LBB13_39
; %bb.1:
	s_clause 0x1
	s_load_dwordx4 s[0:3], s[4:5], 0x8
	s_load_dword s10, s[4:5], 0x18
	v_ashrrev_i32_e32 v3, 31, v2
	v_lshlrev_b32_e32 v18, 3, v0
	v_lshlrev_b32_e32 v32, 3, v1
	v_mul_u32_u24_e32 v33, 56, v1
	s_mul_i32 s6, s6, 56
	v_lshlrev_b64 v[4:5], 3, v[2:3]
	v_add3_u32 v1, 0, s6, v32
	v_add_nc_u32_e32 v44, 0, v33
	s_waitcnt lgkmcnt(0)
	v_add_co_u32 v4, vcc_lo, s0, v4
	v_add_co_ci_u32_e64 v5, null, s1, v5, vcc_lo
	v_add3_u32 v6, s10, s10, v0
	s_lshl_b64 s[0:1], s[2:3], 3
	s_ashr_i32 s11, s10, 31
	global_load_dwordx2 v[4:5], v[4:5], off
	s_lshl_b64 s[2:3], s[10:11], 3
	v_add_nc_u32_e32 v8, s10, v6
	v_ashrrev_i32_e32 v7, 31, v6
	v_add_nc_u32_e32 v10, s10, v8
	v_ashrrev_i32_e32 v9, 31, v8
	v_lshlrev_b64 v[6:7], 3, v[6:7]
	v_add_nc_u32_e32 v12, s10, v10
	v_ashrrev_i32_e32 v11, 31, v10
	v_lshlrev_b64 v[16:17], 3, v[8:9]
	v_ashrrev_i32_e32 v13, 31, v12
	v_add_nc_u32_e32 v14, s10, v12
	v_lshlrev_b64 v[10:11], 3, v[10:11]
	v_lshlrev_b64 v[12:13], 3, v[12:13]
	v_ashrrev_i32_e32 v15, 31, v14
	v_lshlrev_b64 v[14:15], 3, v[14:15]
	s_waitcnt vmcnt(0)
	v_add_co_u32 v19, vcc_lo, v4, s0
	v_add_co_ci_u32_e64 v20, null, s1, v5, vcc_lo
	v_cmp_ne_u32_e64 s1, 0, v0
	v_add_co_u32 v8, vcc_lo, v19, v18
	v_add_co_ci_u32_e64 v9, null, 0, v20, vcc_lo
	v_add_co_u32 v4, vcc_lo, v19, v6
	v_add_co_ci_u32_e64 v5, null, v20, v7, vcc_lo
	;; [unrolled: 2-line block ×7, first 2 shown]
	s_clause 0x6
	flat_load_dwordx2 v[28:29], v[8:9]
	flat_load_dwordx2 v[18:19], v[16:17]
	;; [unrolled: 1-line block ×7, first 2 shown]
	v_cmp_eq_u32_e64 s0, 0, v0
	s_and_saveexec_b32 s2, s0
	s_cbranch_execz .LBB13_4
; %bb.2:
	s_waitcnt vmcnt(6) lgkmcnt(6)
	ds_write_b64 v1, v[28:29]
	s_waitcnt vmcnt(4) lgkmcnt(5)
	ds_write2_b64 v44, v[18:19], v[20:21] offset0:1 offset1:2
	s_waitcnt vmcnt(2) lgkmcnt(4)
	ds_write2_b64 v44, v[22:23], v[24:25] offset0:3 offset1:4
	;; [unrolled: 2-line block ×3, first 2 shown]
	ds_read_b64 v[32:33], v1
	s_waitcnt lgkmcnt(0)
	v_cmp_neq_f64_e32 vcc_lo, 0, v[32:33]
	s_and_b32 exec_lo, exec_lo, vcc_lo
	s_cbranch_execz .LBB13_4
; %bb.3:
	v_div_scale_f64 v[34:35], null, v[32:33], v[32:33], 1.0
	v_rcp_f64_e32 v[36:37], v[34:35]
	v_fma_f64 v[38:39], -v[34:35], v[36:37], 1.0
	v_fma_f64 v[36:37], v[36:37], v[38:39], v[36:37]
	v_fma_f64 v[38:39], -v[34:35], v[36:37], 1.0
	v_fma_f64 v[36:37], v[36:37], v[38:39], v[36:37]
	v_div_scale_f64 v[38:39], vcc_lo, 1.0, v[32:33], 1.0
	v_mul_f64 v[40:41], v[38:39], v[36:37]
	v_fma_f64 v[34:35], -v[34:35], v[40:41], v[38:39]
	v_div_fmas_f64 v[34:35], v[34:35], v[36:37], v[40:41]
	v_div_fixup_f64 v[32:33], v[34:35], v[32:33], 1.0
	ds_write_b64 v1, v[32:33]
.LBB13_4:
	s_or_b32 exec_lo, exec_lo, s2
	s_waitcnt vmcnt(0) lgkmcnt(0)
	s_barrier
	buffer_gl0_inv
	ds_read_b64 v[32:33], v1
	s_and_saveexec_b32 s2, s1
	s_cbranch_execz .LBB13_6
; %bb.5:
	s_waitcnt lgkmcnt(0)
	v_mul_f64 v[28:29], v[28:29], v[32:33]
	ds_read2_b64 v[34:37], v44 offset0:1 offset1:2
	ds_read2_b64 v[38:41], v44 offset0:3 offset1:4
	;; [unrolled: 1-line block ×3, first 2 shown]
	s_waitcnt lgkmcnt(2)
	v_fma_f64 v[18:19], -v[28:29], v[34:35], v[18:19]
	v_fma_f64 v[20:21], -v[28:29], v[36:37], v[20:21]
	s_waitcnt lgkmcnt(1)
	v_fma_f64 v[22:23], -v[28:29], v[38:39], v[22:23]
	v_fma_f64 v[24:25], -v[28:29], v[40:41], v[24:25]
	;; [unrolled: 3-line block ×3, first 2 shown]
.LBB13_6:
	s_or_b32 exec_lo, exec_lo, s2
	s_mov_b32 s1, exec_lo
	s_waitcnt lgkmcnt(0)
	s_barrier
	buffer_gl0_inv
	v_cmpx_eq_u32_e32 1, v0
	s_cbranch_execz .LBB13_9
; %bb.7:
	ds_write_b64 v1, v[18:19]
	ds_write2_b64 v44, v[20:21], v[22:23] offset0:2 offset1:3
	ds_write2_b64 v44, v[24:25], v[26:27] offset0:4 offset1:5
	ds_write_b64 v44, v[30:31] offset:48
	ds_read_b64 v[34:35], v1
	s_waitcnt lgkmcnt(0)
	v_cmp_neq_f64_e32 vcc_lo, 0, v[34:35]
	s_and_b32 exec_lo, exec_lo, vcc_lo
	s_cbranch_execz .LBB13_9
; %bb.8:
	v_div_scale_f64 v[36:37], null, v[34:35], v[34:35], 1.0
	v_rcp_f64_e32 v[38:39], v[36:37]
	v_fma_f64 v[40:41], -v[36:37], v[38:39], 1.0
	v_fma_f64 v[38:39], v[38:39], v[40:41], v[38:39]
	v_fma_f64 v[40:41], -v[36:37], v[38:39], 1.0
	v_fma_f64 v[38:39], v[38:39], v[40:41], v[38:39]
	v_div_scale_f64 v[40:41], vcc_lo, 1.0, v[34:35], 1.0
	v_mul_f64 v[42:43], v[40:41], v[38:39]
	v_fma_f64 v[36:37], -v[36:37], v[42:43], v[40:41]
	v_div_fmas_f64 v[36:37], v[36:37], v[38:39], v[42:43]
	v_div_fixup_f64 v[34:35], v[36:37], v[34:35], 1.0
	ds_write_b64 v1, v[34:35]
.LBB13_9:
	s_or_b32 exec_lo, exec_lo, s1
	s_waitcnt lgkmcnt(0)
	s_barrier
	buffer_gl0_inv
	ds_read_b64 v[34:35], v1
	s_mov_b32 s1, exec_lo
	v_cmpx_lt_u32_e32 1, v0
	s_cbranch_execz .LBB13_11
; %bb.10:
	s_waitcnt lgkmcnt(0)
	v_mul_f64 v[18:19], v[18:19], v[34:35]
	ds_read2_b64 v[36:39], v44 offset0:2 offset1:3
	ds_read2_b64 v[40:43], v44 offset0:4 offset1:5
	ds_read_b64 v[45:46], v44 offset:48
	s_waitcnt lgkmcnt(2)
	v_fma_f64 v[20:21], -v[18:19], v[36:37], v[20:21]
	v_fma_f64 v[22:23], -v[18:19], v[38:39], v[22:23]
	s_waitcnt lgkmcnt(1)
	v_fma_f64 v[24:25], -v[18:19], v[40:41], v[24:25]
	v_fma_f64 v[26:27], -v[18:19], v[42:43], v[26:27]
	s_waitcnt lgkmcnt(0)
	v_fma_f64 v[30:31], -v[18:19], v[45:46], v[30:31]
.LBB13_11:
	s_or_b32 exec_lo, exec_lo, s1
	s_mov_b32 s1, exec_lo
	s_waitcnt lgkmcnt(0)
	s_barrier
	buffer_gl0_inv
	v_cmpx_eq_u32_e32 2, v0
	s_cbranch_execz .LBB13_14
; %bb.12:
	ds_write_b64 v1, v[20:21]
	ds_write2_b64 v44, v[22:23], v[24:25] offset0:3 offset1:4
	ds_write2_b64 v44, v[26:27], v[30:31] offset0:5 offset1:6
	ds_read_b64 v[36:37], v1
	s_waitcnt lgkmcnt(0)
	v_cmp_neq_f64_e32 vcc_lo, 0, v[36:37]
	s_and_b32 exec_lo, exec_lo, vcc_lo
	s_cbranch_execz .LBB13_14
; %bb.13:
	v_div_scale_f64 v[38:39], null, v[36:37], v[36:37], 1.0
	v_rcp_f64_e32 v[40:41], v[38:39]
	v_fma_f64 v[42:43], -v[38:39], v[40:41], 1.0
	v_fma_f64 v[40:41], v[40:41], v[42:43], v[40:41]
	v_fma_f64 v[42:43], -v[38:39], v[40:41], 1.0
	v_fma_f64 v[40:41], v[40:41], v[42:43], v[40:41]
	v_div_scale_f64 v[42:43], vcc_lo, 1.0, v[36:37], 1.0
	v_mul_f64 v[45:46], v[42:43], v[40:41]
	v_fma_f64 v[38:39], -v[38:39], v[45:46], v[42:43]
	v_div_fmas_f64 v[38:39], v[38:39], v[40:41], v[45:46]
	v_div_fixup_f64 v[36:37], v[38:39], v[36:37], 1.0
	ds_write_b64 v1, v[36:37]
.LBB13_14:
	s_or_b32 exec_lo, exec_lo, s1
	s_waitcnt lgkmcnt(0)
	s_barrier
	buffer_gl0_inv
	ds_read_b64 v[36:37], v1
	s_mov_b32 s1, exec_lo
	v_cmpx_lt_u32_e32 2, v0
	s_cbranch_execz .LBB13_16
; %bb.15:
	s_waitcnt lgkmcnt(0)
	v_mul_f64 v[20:21], v[20:21], v[36:37]
	ds_read2_b64 v[38:41], v44 offset0:3 offset1:4
	ds_read2_b64 v[45:48], v44 offset0:5 offset1:6
	s_waitcnt lgkmcnt(1)
	v_fma_f64 v[22:23], -v[20:21], v[38:39], v[22:23]
	v_fma_f64 v[24:25], -v[20:21], v[40:41], v[24:25]
	s_waitcnt lgkmcnt(0)
	v_fma_f64 v[26:27], -v[20:21], v[45:46], v[26:27]
	v_fma_f64 v[30:31], -v[20:21], v[47:48], v[30:31]
.LBB13_16:
	s_or_b32 exec_lo, exec_lo, s1
	s_mov_b32 s1, exec_lo
	s_waitcnt lgkmcnt(0)
	s_barrier
	buffer_gl0_inv
	v_cmpx_eq_u32_e32 3, v0
	s_cbranch_execz .LBB13_19
; %bb.17:
	ds_write_b64 v1, v[22:23]
	ds_write2_b64 v44, v[24:25], v[26:27] offset0:4 offset1:5
	ds_write_b64 v44, v[30:31] offset:48
	ds_read_b64 v[38:39], v1
	s_waitcnt lgkmcnt(0)
	v_cmp_neq_f64_e32 vcc_lo, 0, v[38:39]
	s_and_b32 exec_lo, exec_lo, vcc_lo
	s_cbranch_execz .LBB13_19
; %bb.18:
	v_div_scale_f64 v[40:41], null, v[38:39], v[38:39], 1.0
	v_rcp_f64_e32 v[42:43], v[40:41]
	v_fma_f64 v[45:46], -v[40:41], v[42:43], 1.0
	v_fma_f64 v[42:43], v[42:43], v[45:46], v[42:43]
	v_fma_f64 v[45:46], -v[40:41], v[42:43], 1.0
	v_fma_f64 v[42:43], v[42:43], v[45:46], v[42:43]
	v_div_scale_f64 v[45:46], vcc_lo, 1.0, v[38:39], 1.0
	v_mul_f64 v[47:48], v[45:46], v[42:43]
	v_fma_f64 v[40:41], -v[40:41], v[47:48], v[45:46]
	v_div_fmas_f64 v[40:41], v[40:41], v[42:43], v[47:48]
	v_div_fixup_f64 v[38:39], v[40:41], v[38:39], 1.0
	ds_write_b64 v1, v[38:39]
.LBB13_19:
	s_or_b32 exec_lo, exec_lo, s1
	s_waitcnt lgkmcnt(0)
	s_barrier
	buffer_gl0_inv
	ds_read_b64 v[38:39], v1
	s_mov_b32 s1, exec_lo
	v_cmpx_lt_u32_e32 3, v0
	s_cbranch_execz .LBB13_21
; %bb.20:
	s_waitcnt lgkmcnt(0)
	v_mul_f64 v[22:23], v[22:23], v[38:39]
	ds_read2_b64 v[40:43], v44 offset0:4 offset1:5
	ds_read_b64 v[45:46], v44 offset:48
	s_waitcnt lgkmcnt(1)
	v_fma_f64 v[24:25], -v[22:23], v[40:41], v[24:25]
	v_fma_f64 v[26:27], -v[22:23], v[42:43], v[26:27]
	s_waitcnt lgkmcnt(0)
	v_fma_f64 v[30:31], -v[22:23], v[45:46], v[30:31]
.LBB13_21:
	s_or_b32 exec_lo, exec_lo, s1
	s_mov_b32 s1, exec_lo
	s_waitcnt lgkmcnt(0)
	s_barrier
	buffer_gl0_inv
	v_cmpx_eq_u32_e32 4, v0
	s_cbranch_execz .LBB13_24
; %bb.22:
	ds_write_b64 v1, v[24:25]
	ds_write2_b64 v44, v[26:27], v[30:31] offset0:5 offset1:6
	ds_read_b64 v[40:41], v1
	s_waitcnt lgkmcnt(0)
	v_cmp_neq_f64_e32 vcc_lo, 0, v[40:41]
	s_and_b32 exec_lo, exec_lo, vcc_lo
	s_cbranch_execz .LBB13_24
; %bb.23:
	v_div_scale_f64 v[42:43], null, v[40:41], v[40:41], 1.0
	v_rcp_f64_e32 v[45:46], v[42:43]
	v_fma_f64 v[47:48], -v[42:43], v[45:46], 1.0
	v_fma_f64 v[45:46], v[45:46], v[47:48], v[45:46]
	v_fma_f64 v[47:48], -v[42:43], v[45:46], 1.0
	v_fma_f64 v[45:46], v[45:46], v[47:48], v[45:46]
	v_div_scale_f64 v[47:48], vcc_lo, 1.0, v[40:41], 1.0
	v_mul_f64 v[49:50], v[47:48], v[45:46]
	v_fma_f64 v[42:43], -v[42:43], v[49:50], v[47:48]
	v_div_fmas_f64 v[42:43], v[42:43], v[45:46], v[49:50]
	v_div_fixup_f64 v[40:41], v[42:43], v[40:41], 1.0
	ds_write_b64 v1, v[40:41]
.LBB13_24:
	s_or_b32 exec_lo, exec_lo, s1
	s_waitcnt lgkmcnt(0)
	s_barrier
	buffer_gl0_inv
	ds_read_b64 v[40:41], v1
	s_mov_b32 s1, exec_lo
	v_cmpx_lt_u32_e32 4, v0
	s_cbranch_execz .LBB13_26
; %bb.25:
	s_waitcnt lgkmcnt(0)
	v_mul_f64 v[24:25], v[24:25], v[40:41]
	ds_read2_b64 v[45:48], v44 offset0:5 offset1:6
	s_waitcnt lgkmcnt(0)
	v_fma_f64 v[26:27], -v[24:25], v[45:46], v[26:27]
	v_fma_f64 v[30:31], -v[24:25], v[47:48], v[30:31]
.LBB13_26:
	s_or_b32 exec_lo, exec_lo, s1
	s_mov_b32 s1, exec_lo
	s_waitcnt lgkmcnt(0)
	s_barrier
	buffer_gl0_inv
	v_cmpx_eq_u32_e32 5, v0
	s_cbranch_execz .LBB13_29
; %bb.27:
	ds_write_b64 v1, v[26:27]
	ds_write_b64 v44, v[30:31] offset:48
	ds_read_b64 v[42:43], v1
	s_waitcnt lgkmcnt(0)
	v_cmp_neq_f64_e32 vcc_lo, 0, v[42:43]
	s_and_b32 exec_lo, exec_lo, vcc_lo
	s_cbranch_execz .LBB13_29
; %bb.28:
	v_div_scale_f64 v[45:46], null, v[42:43], v[42:43], 1.0
	v_rcp_f64_e32 v[47:48], v[45:46]
	v_fma_f64 v[49:50], -v[45:46], v[47:48], 1.0
	v_fma_f64 v[47:48], v[47:48], v[49:50], v[47:48]
	v_fma_f64 v[49:50], -v[45:46], v[47:48], 1.0
	v_fma_f64 v[47:48], v[47:48], v[49:50], v[47:48]
	v_div_scale_f64 v[49:50], vcc_lo, 1.0, v[42:43], 1.0
	v_mul_f64 v[51:52], v[49:50], v[47:48]
	v_fma_f64 v[45:46], -v[45:46], v[51:52], v[49:50]
	v_div_fmas_f64 v[45:46], v[45:46], v[47:48], v[51:52]
	v_div_fixup_f64 v[42:43], v[45:46], v[42:43], 1.0
	ds_write_b64 v1, v[42:43]
.LBB13_29:
	s_or_b32 exec_lo, exec_lo, s1
	s_waitcnt lgkmcnt(0)
	s_barrier
	buffer_gl0_inv
	ds_read_b64 v[42:43], v1
	s_mov_b32 s1, exec_lo
	v_cmpx_lt_u32_e32 5, v0
	s_cbranch_execz .LBB13_31
; %bb.30:
	s_waitcnt lgkmcnt(0)
	v_mul_f64 v[26:27], v[26:27], v[42:43]
	ds_read_b64 v[44:45], v44 offset:48
	s_waitcnt lgkmcnt(0)
	v_fma_f64 v[30:31], -v[26:27], v[44:45], v[30:31]
.LBB13_31:
	s_or_b32 exec_lo, exec_lo, s1
	s_mov_b32 s1, exec_lo
	s_waitcnt lgkmcnt(0)
	s_barrier
	buffer_gl0_inv
	v_cmpx_ne_u32_e32 6, v0
	s_xor_b32 s1, exec_lo, s1
	s_andn2_saveexec_b32 s1, s1
	s_cbranch_execz .LBB13_35
; %bb.32:
	s_mov_b32 s2, exec_lo
	ds_write_b64 v1, v[30:31]
	v_cmpx_neq_f64_e32 0, v[30:31]
	s_cbranch_execz .LBB13_34
; %bb.33:
	v_div_scale_f64 v[44:45], null, v[30:31], v[30:31], 1.0
	v_rcp_f64_e32 v[46:47], v[44:45]
	v_fma_f64 v[48:49], -v[44:45], v[46:47], 1.0
	v_fma_f64 v[46:47], v[46:47], v[48:49], v[46:47]
	v_fma_f64 v[48:49], -v[44:45], v[46:47], 1.0
	v_fma_f64 v[46:47], v[46:47], v[48:49], v[46:47]
	v_div_scale_f64 v[48:49], vcc_lo, 1.0, v[30:31], 1.0
	v_mul_f64 v[50:51], v[48:49], v[46:47]
	v_fma_f64 v[44:45], -v[44:45], v[50:51], v[48:49]
	v_div_fmas_f64 v[44:45], v[44:45], v[46:47], v[50:51]
	v_div_fixup_f64 v[44:45], v[44:45], v[30:31], 1.0
	ds_write_b64 v1, v[44:45]
.LBB13_34:
	s_or_b32 exec_lo, exec_lo, s2
.LBB13_35:
	s_or_b32 exec_lo, exec_lo, s1
	s_waitcnt lgkmcnt(0)
	s_barrier
	buffer_gl0_inv
	ds_read_b64 v[44:45], v1
	s_waitcnt lgkmcnt(0)
	s_barrier
	buffer_gl0_inv
	s_and_saveexec_b32 s3, s0
	s_cbranch_execz .LBB13_38
; %bb.36:
	s_load_dwordx2 s[0:1], s[4:5], 0x28
	v_lshlrev_b64 v[1:2], 2, v[2:3]
	v_cmp_eq_f64_e64 s2, 0, v[38:39]
	s_waitcnt lgkmcnt(0)
	v_add_co_u32 v1, vcc_lo, s0, v1
	v_add_co_ci_u32_e64 v2, null, s1, v2, vcc_lo
	v_cmp_eq_f64_e32 vcc_lo, 0, v[32:33]
	v_cmp_neq_f64_e64 s0, 0, v[34:35]
	v_cmp_eq_f64_e64 s1, 0, v[36:37]
	global_load_dword v46, v[1:2], off
	v_cndmask_b32_e64 v3, 0, 1, vcc_lo
	s_or_b32 vcc_lo, s0, vcc_lo
	v_cmp_eq_f64_e64 s0, 0, v[40:41]
	v_cndmask_b32_e32 v3, 2, v3, vcc_lo
	v_cmp_eq_u32_e32 vcc_lo, 0, v3
	s_and_b32 s1, s1, vcc_lo
	v_cndmask_b32_e64 v3, v3, 3, s1
	v_cmp_eq_f64_e64 s1, 0, v[42:43]
	v_cmp_eq_u32_e32 vcc_lo, 0, v3
	s_and_b32 s2, s2, vcc_lo
	v_cndmask_b32_e64 v3, v3, 4, s2
	v_cmp_eq_f64_e64 s2, 0, v[44:45]
	v_cmp_eq_u32_e32 vcc_lo, 0, v3
	s_and_b32 s0, s0, vcc_lo
	v_cndmask_b32_e64 v3, v3, 5, s0
	v_cmp_eq_u32_e32 vcc_lo, 0, v3
	s_and_b32 s0, s1, vcc_lo
	v_cndmask_b32_e64 v3, v3, 6, s0
	;; [unrolled: 3-line block ×3, first 2 shown]
	v_cmp_ne_u32_e64 s0, 0, v3
	s_waitcnt vmcnt(0)
	v_cmp_eq_u32_e32 vcc_lo, 0, v46
	s_and_b32 s0, vcc_lo, s0
	s_and_b32 exec_lo, exec_lo, s0
	s_cbranch_execz .LBB13_38
; %bb.37:
	v_add_nc_u32_e32 v3, s9, v3
	global_store_dword v[1:2], v3, off
.LBB13_38:
	s_or_b32 exec_lo, exec_lo, s3
	v_mul_f64 v[1:2], v[30:31], v[44:45]
	v_cmp_lt_u32_e32 vcc_lo, 6, v0
	flat_store_dwordx2 v[8:9], v[28:29]
	v_cndmask_b32_e32 v2, v31, v2, vcc_lo
	v_cndmask_b32_e32 v1, v30, v1, vcc_lo
	flat_store_dwordx2 v[16:17], v[18:19]
	flat_store_dwordx2 v[4:5], v[20:21]
	;; [unrolled: 1-line block ×6, first 2 shown]
.LBB13_39:
	s_endpgm
	.section	.rodata,"a",@progbits
	.p2align	6, 0x0
	.amdhsa_kernel _ZN9rocsolver6v33100L23getf2_npvt_small_kernelILi7EdiiPKPdEEvT1_T3_lS5_lPT2_S5_S5_
		.amdhsa_group_segment_fixed_size 0
		.amdhsa_private_segment_fixed_size 0
		.amdhsa_kernarg_size 312
		.amdhsa_user_sgpr_count 6
		.amdhsa_user_sgpr_private_segment_buffer 1
		.amdhsa_user_sgpr_dispatch_ptr 0
		.amdhsa_user_sgpr_queue_ptr 0
		.amdhsa_user_sgpr_kernarg_segment_ptr 1
		.amdhsa_user_sgpr_dispatch_id 0
		.amdhsa_user_sgpr_flat_scratch_init 0
		.amdhsa_user_sgpr_private_segment_size 0
		.amdhsa_wavefront_size32 1
		.amdhsa_uses_dynamic_stack 0
		.amdhsa_system_sgpr_private_segment_wavefront_offset 0
		.amdhsa_system_sgpr_workgroup_id_x 1
		.amdhsa_system_sgpr_workgroup_id_y 1
		.amdhsa_system_sgpr_workgroup_id_z 0
		.amdhsa_system_sgpr_workgroup_info 0
		.amdhsa_system_vgpr_workitem_id 1
		.amdhsa_next_free_vgpr 53
		.amdhsa_next_free_sgpr 12
		.amdhsa_reserve_vcc 1
		.amdhsa_reserve_flat_scratch 1
		.amdhsa_float_round_mode_32 0
		.amdhsa_float_round_mode_16_64 0
		.amdhsa_float_denorm_mode_32 3
		.amdhsa_float_denorm_mode_16_64 3
		.amdhsa_dx10_clamp 1
		.amdhsa_ieee_mode 1
		.amdhsa_fp16_overflow 0
		.amdhsa_workgroup_processor_mode 1
		.amdhsa_memory_ordered 1
		.amdhsa_forward_progress 1
		.amdhsa_shared_vgpr_count 0
		.amdhsa_exception_fp_ieee_invalid_op 0
		.amdhsa_exception_fp_denorm_src 0
		.amdhsa_exception_fp_ieee_div_zero 0
		.amdhsa_exception_fp_ieee_overflow 0
		.amdhsa_exception_fp_ieee_underflow 0
		.amdhsa_exception_fp_ieee_inexact 0
		.amdhsa_exception_int_div_zero 0
	.end_amdhsa_kernel
	.section	.text._ZN9rocsolver6v33100L23getf2_npvt_small_kernelILi7EdiiPKPdEEvT1_T3_lS5_lPT2_S5_S5_,"axG",@progbits,_ZN9rocsolver6v33100L23getf2_npvt_small_kernelILi7EdiiPKPdEEvT1_T3_lS5_lPT2_S5_S5_,comdat
.Lfunc_end13:
	.size	_ZN9rocsolver6v33100L23getf2_npvt_small_kernelILi7EdiiPKPdEEvT1_T3_lS5_lPT2_S5_S5_, .Lfunc_end13-_ZN9rocsolver6v33100L23getf2_npvt_small_kernelILi7EdiiPKPdEEvT1_T3_lS5_lPT2_S5_S5_
                                        ; -- End function
	.set _ZN9rocsolver6v33100L23getf2_npvt_small_kernelILi7EdiiPKPdEEvT1_T3_lS5_lPT2_S5_S5_.num_vgpr, 53
	.set _ZN9rocsolver6v33100L23getf2_npvt_small_kernelILi7EdiiPKPdEEvT1_T3_lS5_lPT2_S5_S5_.num_agpr, 0
	.set _ZN9rocsolver6v33100L23getf2_npvt_small_kernelILi7EdiiPKPdEEvT1_T3_lS5_lPT2_S5_S5_.numbered_sgpr, 12
	.set _ZN9rocsolver6v33100L23getf2_npvt_small_kernelILi7EdiiPKPdEEvT1_T3_lS5_lPT2_S5_S5_.num_named_barrier, 0
	.set _ZN9rocsolver6v33100L23getf2_npvt_small_kernelILi7EdiiPKPdEEvT1_T3_lS5_lPT2_S5_S5_.private_seg_size, 0
	.set _ZN9rocsolver6v33100L23getf2_npvt_small_kernelILi7EdiiPKPdEEvT1_T3_lS5_lPT2_S5_S5_.uses_vcc, 1
	.set _ZN9rocsolver6v33100L23getf2_npvt_small_kernelILi7EdiiPKPdEEvT1_T3_lS5_lPT2_S5_S5_.uses_flat_scratch, 1
	.set _ZN9rocsolver6v33100L23getf2_npvt_small_kernelILi7EdiiPKPdEEvT1_T3_lS5_lPT2_S5_S5_.has_dyn_sized_stack, 0
	.set _ZN9rocsolver6v33100L23getf2_npvt_small_kernelILi7EdiiPKPdEEvT1_T3_lS5_lPT2_S5_S5_.has_recursion, 0
	.set _ZN9rocsolver6v33100L23getf2_npvt_small_kernelILi7EdiiPKPdEEvT1_T3_lS5_lPT2_S5_S5_.has_indirect_call, 0
	.section	.AMDGPU.csdata,"",@progbits
; Kernel info:
; codeLenInByte = 2612
; TotalNumSgprs: 14
; NumVgprs: 53
; ScratchSize: 0
; MemoryBound: 0
; FloatMode: 240
; IeeeMode: 1
; LDSByteSize: 0 bytes/workgroup (compile time only)
; SGPRBlocks: 0
; VGPRBlocks: 6
; NumSGPRsForWavesPerEU: 14
; NumVGPRsForWavesPerEU: 53
; Occupancy: 16
; WaveLimiterHint : 1
; COMPUTE_PGM_RSRC2:SCRATCH_EN: 0
; COMPUTE_PGM_RSRC2:USER_SGPR: 6
; COMPUTE_PGM_RSRC2:TRAP_HANDLER: 0
; COMPUTE_PGM_RSRC2:TGID_X_EN: 1
; COMPUTE_PGM_RSRC2:TGID_Y_EN: 1
; COMPUTE_PGM_RSRC2:TGID_Z_EN: 0
; COMPUTE_PGM_RSRC2:TIDIG_COMP_CNT: 1
	.section	.text._ZN9rocsolver6v33100L18getf2_small_kernelILi8EdiiPKPdEEvT1_T3_lS5_lPS5_llPT2_S5_S5_S7_l,"axG",@progbits,_ZN9rocsolver6v33100L18getf2_small_kernelILi8EdiiPKPdEEvT1_T3_lS5_lPS5_llPT2_S5_S5_S7_l,comdat
	.globl	_ZN9rocsolver6v33100L18getf2_small_kernelILi8EdiiPKPdEEvT1_T3_lS5_lPS5_llPT2_S5_S5_S7_l ; -- Begin function _ZN9rocsolver6v33100L18getf2_small_kernelILi8EdiiPKPdEEvT1_T3_lS5_lPS5_llPT2_S5_S5_S7_l
	.p2align	8
	.type	_ZN9rocsolver6v33100L18getf2_small_kernelILi8EdiiPKPdEEvT1_T3_lS5_lPS5_llPT2_S5_S5_S7_l,@function
_ZN9rocsolver6v33100L18getf2_small_kernelILi8EdiiPKPdEEvT1_T3_lS5_lPS5_llPT2_S5_S5_S7_l: ; @_ZN9rocsolver6v33100L18getf2_small_kernelILi8EdiiPKPdEEvT1_T3_lS5_lPS5_llPT2_S5_S5_S7_l
; %bb.0:
	s_clause 0x1
	s_load_dword s0, s[4:5], 0x6c
	s_load_dwordx2 s[12:13], s[4:5], 0x48
	s_waitcnt lgkmcnt(0)
	s_lshr_b32 s0, s0, 16
	v_mad_u64_u32 v[2:3], null, s7, s0, v[1:2]
	s_mov_b32 s0, exec_lo
	v_cmpx_gt_i32_e64 s12, v2
	s_cbranch_execz .LBB14_133
; %bb.1:
	s_clause 0x1
	s_load_dwordx4 s[0:3], s[4:5], 0x8
	s_load_dwordx4 s[8:11], s[4:5], 0x50
	v_ashrrev_i32_e32 v3, 31, v2
	v_mov_b32_e32 v20, 0
	v_mov_b32_e32 v21, 0
	v_lshlrev_b64 v[4:5], 3, v[2:3]
	s_waitcnt lgkmcnt(0)
	v_add_co_u32 v4, vcc_lo, s0, v4
	v_add_co_ci_u32_e64 v5, null, s1, v5, vcc_lo
	s_cmp_eq_u64 s[8:9], 0
	s_cselect_b32 s6, -1, 0
	global_load_dwordx2 v[4:5], v[4:5], off
	s_and_b32 vcc_lo, exec_lo, s6
	s_cbranch_vccnz .LBB14_3
; %bb.2:
	v_mul_lo_u32 v8, s11, v2
	v_mul_lo_u32 v9, s10, v3
	v_mad_u64_u32 v[6:7], null, s10, v2, 0
	v_add3_u32 v7, v7, v9, v8
	v_lshlrev_b64 v[6:7], 2, v[6:7]
	v_add_co_u32 v20, vcc_lo, s8, v6
	v_add_co_ci_u32_e64 v21, null, s9, v7, vcc_lo
.LBB14_3:
	s_load_dword s8, s[4:5], 0x18
	s_lshl_b64 s[0:1], s[2:3], 3
	s_load_dword s2, s[4:5], 0x0
	v_lshlrev_b32_e32 v30, 3, v0
	s_waitcnt vmcnt(0)
	v_add_co_u32 v26, vcc_lo, v4, s0
	v_add_co_ci_u32_e64 v27, null, s1, v5, vcc_lo
	v_add_co_u32 v8, vcc_lo, v26, v30
	v_add_co_ci_u32_e64 v9, null, 0, v27, vcc_lo
	flat_load_dwordx2 v[4:5], v[8:9]
	s_waitcnt lgkmcnt(0)
	v_add3_u32 v6, s8, s8, v0
	s_ashr_i32 s9, s8, 31
	s_max_i32 s0, s2, 8
	s_lshl_b64 s[10:11], s[8:9], 3
	v_mul_lo_u32 v1, s0, v1
	v_add_nc_u32_e32 v10, s8, v6
	v_ashrrev_i32_e32 v7, 31, v6
	v_add_co_u32 v8, vcc_lo, v8, s10
	v_add_co_ci_u32_e64 v9, null, s11, v9, vcc_lo
	v_add_nc_u32_e32 v12, s8, v10
	v_ashrrev_i32_e32 v11, 31, v10
	v_lshlrev_b64 v[6:7], 3, v[6:7]
	s_cmp_lt_i32 s2, 2
	v_add_nc_u32_e32 v14, s8, v12
	v_ashrrev_i32_e32 v13, 31, v12
	v_lshlrev_b64 v[10:11], 3, v[10:11]
	v_add_co_u32 v6, vcc_lo, v26, v6
	v_add_nc_u32_e32 v16, s8, v14
	v_ashrrev_i32_e32 v15, 31, v14
	v_lshlrev_b64 v[12:13], 3, v[12:13]
	v_add_co_ci_u32_e64 v7, null, v27, v7, vcc_lo
	v_add_nc_u32_e32 v18, s8, v16
	v_lshlrev_b64 v[14:15], 3, v[14:15]
	v_ashrrev_i32_e32 v17, 31, v16
	v_add_co_u32 v10, vcc_lo, v26, v10
	v_ashrrev_i32_e32 v19, 31, v18
	v_add_co_ci_u32_e64 v11, null, v27, v11, vcc_lo
	v_add_co_u32 v22, vcc_lo, v26, v12
	v_add_co_ci_u32_e64 v23, null, v27, v13, vcc_lo
	v_lshlrev_b64 v[12:13], 3, v[16:17]
	v_add_co_u32 v24, vcc_lo, v26, v14
	v_add_co_ci_u32_e64 v25, null, v27, v15, vcc_lo
	v_lshlrev_b64 v[14:15], 3, v[18:19]
	v_add_co_u32 v18, vcc_lo, v26, v12
	v_add_co_ci_u32_e64 v19, null, v27, v13, vcc_lo
	v_add_co_u32 v28, vcc_lo, v26, v14
	v_add_co_ci_u32_e64 v29, null, v27, v15, vcc_lo
	s_clause 0x6
	flat_load_dwordx2 v[16:17], v[8:9]
	flat_load_dwordx2 v[14:15], v[6:7]
	;; [unrolled: 1-line block ×7, first 2 shown]
	v_lshl_add_u32 v28, v1, 3, 0
	v_mov_b32_e32 v24, 0
	v_lshlrev_b32_e32 v29, 3, v1
	v_add_nc_u32_e32 v22, v28, v30
	s_waitcnt vmcnt(7)
	ds_write_b64 v22, v[4:5]
	s_waitcnt vmcnt(0) lgkmcnt(0)
	s_barrier
	buffer_gl0_inv
	ds_read_b64 v[22:23], v28
	s_cbranch_scc1 .LBB14_6
; %bb.4:
	v_add3_u32 v1, v29, 0, 8
	v_mov_b32_e32 v24, 0
	s_mov_b32 s0, 1
.LBB14_5:                               ; =>This Inner Loop Header: Depth=1
	ds_read_b64 v[30:31], v1
	v_add_nc_u32_e32 v1, 8, v1
	s_waitcnt lgkmcnt(0)
	v_cmp_lt_f64_e64 vcc_lo, |v[22:23]|, |v[30:31]|
	v_cndmask_b32_e32 v23, v23, v31, vcc_lo
	v_cndmask_b32_e32 v22, v22, v30, vcc_lo
	v_cndmask_b32_e64 v24, v24, s0, vcc_lo
	s_add_i32 s0, s0, 1
	s_cmp_eq_u32 s2, s0
	s_cbranch_scc0 .LBB14_5
.LBB14_6:
	s_mov_b32 s0, exec_lo
                                        ; implicit-def: $vgpr30
	v_cmpx_ne_u32_e64 v0, v24
	s_xor_b32 s0, exec_lo, s0
	s_cbranch_execz .LBB14_12
; %bb.7:
	s_mov_b32 s1, exec_lo
	v_cmpx_eq_u32_e32 0, v0
	s_cbranch_execz .LBB14_11
; %bb.8:
	v_cmp_ne_u32_e32 vcc_lo, 0, v24
	s_xor_b32 s3, s6, -1
	s_and_b32 s7, s3, vcc_lo
	s_and_saveexec_b32 s3, s7
	s_cbranch_execz .LBB14_10
; %bb.9:
	v_ashrrev_i32_e32 v25, 31, v24
	v_lshlrev_b64 v[0:1], 2, v[24:25]
	v_add_co_u32 v0, vcc_lo, v20, v0
	v_add_co_ci_u32_e64 v1, null, v21, v1, vcc_lo
	s_clause 0x1
	global_load_dword v25, v[0:1], off
	global_load_dword v30, v[20:21], off
	s_waitcnt vmcnt(1)
	global_store_dword v[20:21], v25, off
	s_waitcnt vmcnt(0)
	global_store_dword v[0:1], v30, off
.LBB14_10:
	s_or_b32 exec_lo, exec_lo, s3
	v_mov_b32_e32 v0, v24
.LBB14_11:
	s_or_b32 exec_lo, exec_lo, s1
	v_mov_b32_e32 v30, v0
                                        ; implicit-def: $vgpr0
.LBB14_12:
	s_or_saveexec_b32 s0, s0
	v_mov_b32_e32 v25, v30
	s_xor_b32 exec_lo, exec_lo, s0
	s_cbranch_execz .LBB14_14
; %bb.13:
	v_mov_b32_e32 v30, 0
	v_mov_b32_e32 v25, v0
	ds_write2_b64 v28, v[16:17], v[14:15] offset0:1 offset1:2
	ds_write2_b64 v28, v[12:13], v[10:11] offset0:3 offset1:4
	;; [unrolled: 1-line block ×3, first 2 shown]
	ds_write_b64 v28, v[18:19] offset:56
.LBB14_14:
	s_or_b32 exec_lo, exec_lo, s0
	s_waitcnt lgkmcnt(0)
	v_cmp_eq_f64_e64 s0, 0, v[22:23]
	s_mov_b32 s1, exec_lo
	s_waitcnt_vscnt null, 0x0
	s_barrier
	buffer_gl0_inv
	v_cmpx_lt_i32_e32 0, v30
	s_cbranch_execz .LBB14_16
; %bb.15:
	v_div_scale_f64 v[0:1], null, v[22:23], v[22:23], 1.0
	v_div_scale_f64 v[35:36], vcc_lo, 1.0, v[22:23], 1.0
	v_rcp_f64_e32 v[31:32], v[0:1]
	v_fma_f64 v[33:34], -v[0:1], v[31:32], 1.0
	v_fma_f64 v[31:32], v[31:32], v[33:34], v[31:32]
	v_fma_f64 v[33:34], -v[0:1], v[31:32], 1.0
	v_fma_f64 v[31:32], v[31:32], v[33:34], v[31:32]
	v_mul_f64 v[33:34], v[35:36], v[31:32]
	v_fma_f64 v[0:1], -v[0:1], v[33:34], v[35:36]
	v_div_fmas_f64 v[0:1], v[0:1], v[31:32], v[33:34]
	v_div_fixup_f64 v[0:1], v[0:1], v[22:23], 1.0
	v_cndmask_b32_e64 v1, v1, v23, s0
	v_cndmask_b32_e64 v0, v0, v22, s0
	v_mul_f64 v[4:5], v[4:5], v[0:1]
	ds_read2_b64 v[31:34], v28 offset0:1 offset1:2
	ds_read2_b64 v[35:38], v28 offset0:3 offset1:4
	;; [unrolled: 1-line block ×3, first 2 shown]
	ds_read_b64 v[0:1], v28 offset:56
	s_waitcnt lgkmcnt(3)
	v_fma_f64 v[16:17], -v[4:5], v[31:32], v[16:17]
	v_fma_f64 v[14:15], -v[4:5], v[33:34], v[14:15]
	s_waitcnt lgkmcnt(2)
	v_fma_f64 v[12:13], -v[4:5], v[35:36], v[12:13]
	v_fma_f64 v[10:11], -v[4:5], v[37:38], v[10:11]
	;; [unrolled: 3-line block ×3, first 2 shown]
	s_waitcnt lgkmcnt(0)
	v_fma_f64 v[18:19], -v[4:5], v[0:1], v[18:19]
.LBB14_16:
	s_or_b32 exec_lo, exec_lo, s1
	v_lshl_add_u32 v0, v30, 3, v28
	s_barrier
	buffer_gl0_inv
	v_mov_b32_e32 v22, 1
	ds_write_b64 v0, v[16:17]
	s_waitcnt lgkmcnt(0)
	s_barrier
	buffer_gl0_inv
	ds_read_b64 v[0:1], v28 offset:8
	s_cmp_lt_i32 s2, 3
	s_cbranch_scc1 .LBB14_19
; %bb.17:
	v_add3_u32 v23, v29, 0, 16
	v_mov_b32_e32 v22, 1
	s_mov_b32 s1, 2
.LBB14_18:                              ; =>This Inner Loop Header: Depth=1
	ds_read_b64 v[31:32], v23
	v_add_nc_u32_e32 v23, 8, v23
	s_waitcnt lgkmcnt(0)
	v_cmp_lt_f64_e64 vcc_lo, |v[0:1]|, |v[31:32]|
	v_cndmask_b32_e32 v1, v1, v32, vcc_lo
	v_cndmask_b32_e32 v0, v0, v31, vcc_lo
	v_cndmask_b32_e64 v22, v22, s1, vcc_lo
	s_add_i32 s1, s1, 1
	s_cmp_lg_u32 s2, s1
	s_cbranch_scc1 .LBB14_18
.LBB14_19:
	s_mov_b32 s1, exec_lo
	v_cmpx_ne_u32_e64 v30, v22
	s_xor_b32 s1, exec_lo, s1
	s_cbranch_execz .LBB14_25
; %bb.20:
	s_mov_b32 s3, exec_lo
	v_cmpx_eq_u32_e32 1, v30
	s_cbranch_execz .LBB14_24
; %bb.21:
	v_cmp_ne_u32_e32 vcc_lo, 1, v22
	s_xor_b32 s7, s6, -1
	s_and_b32 s9, s7, vcc_lo
	s_and_saveexec_b32 s7, s9
	s_cbranch_execz .LBB14_23
; %bb.22:
	v_ashrrev_i32_e32 v23, 31, v22
	v_lshlrev_b64 v[23:24], 2, v[22:23]
	v_add_co_u32 v23, vcc_lo, v20, v23
	v_add_co_ci_u32_e64 v24, null, v21, v24, vcc_lo
	s_clause 0x1
	global_load_dword v25, v[23:24], off
	global_load_dword v30, v[20:21], off offset:4
	s_waitcnt vmcnt(1)
	global_store_dword v[20:21], v25, off offset:4
	s_waitcnt vmcnt(0)
	global_store_dword v[23:24], v30, off
.LBB14_23:
	s_or_b32 exec_lo, exec_lo, s7
	v_mov_b32_e32 v25, v22
	v_mov_b32_e32 v30, v22
.LBB14_24:
	s_or_b32 exec_lo, exec_lo, s3
.LBB14_25:
	s_andn2_saveexec_b32 s1, s1
	s_cbranch_execz .LBB14_27
; %bb.26:
	v_mov_b32_e32 v30, 1
	ds_write2_b64 v28, v[14:15], v[12:13] offset0:2 offset1:3
	ds_write2_b64 v28, v[10:11], v[8:9] offset0:4 offset1:5
	;; [unrolled: 1-line block ×3, first 2 shown]
.LBB14_27:
	s_or_b32 exec_lo, exec_lo, s1
	s_waitcnt lgkmcnt(0)
	v_cmp_neq_f64_e64 s1, 0, v[0:1]
	s_mov_b32 s3, exec_lo
	s_waitcnt_vscnt null, 0x0
	s_barrier
	buffer_gl0_inv
	v_cmpx_lt_i32_e32 1, v30
	s_cbranch_execz .LBB14_29
; %bb.28:
	v_div_scale_f64 v[22:23], null, v[0:1], v[0:1], 1.0
	v_div_scale_f64 v[35:36], vcc_lo, 1.0, v[0:1], 1.0
	v_rcp_f64_e32 v[31:32], v[22:23]
	v_fma_f64 v[33:34], -v[22:23], v[31:32], 1.0
	v_fma_f64 v[31:32], v[31:32], v[33:34], v[31:32]
	v_fma_f64 v[33:34], -v[22:23], v[31:32], 1.0
	v_fma_f64 v[31:32], v[31:32], v[33:34], v[31:32]
	v_mul_f64 v[33:34], v[35:36], v[31:32]
	v_fma_f64 v[22:23], -v[22:23], v[33:34], v[35:36]
	v_div_fmas_f64 v[22:23], v[22:23], v[31:32], v[33:34]
	ds_read2_b64 v[31:34], v28 offset0:2 offset1:3
	ds_read2_b64 v[35:38], v28 offset0:4 offset1:5
	;; [unrolled: 1-line block ×3, first 2 shown]
	v_div_fixup_f64 v[22:23], v[22:23], v[0:1], 1.0
	v_cndmask_b32_e64 v1, v1, v23, s1
	v_cndmask_b32_e64 v0, v0, v22, s1
	v_mul_f64 v[16:17], v[16:17], v[0:1]
	s_waitcnt lgkmcnt(2)
	v_fma_f64 v[14:15], -v[16:17], v[31:32], v[14:15]
	v_fma_f64 v[12:13], -v[16:17], v[33:34], v[12:13]
	s_waitcnt lgkmcnt(1)
	v_fma_f64 v[10:11], -v[16:17], v[35:36], v[10:11]
	v_fma_f64 v[8:9], -v[16:17], v[37:38], v[8:9]
	;; [unrolled: 3-line block ×3, first 2 shown]
.LBB14_29:
	s_or_b32 exec_lo, exec_lo, s3
	v_lshl_add_u32 v0, v30, 3, v28
	s_barrier
	buffer_gl0_inv
	v_mov_b32_e32 v22, 2
	ds_write_b64 v0, v[14:15]
	s_waitcnt lgkmcnt(0)
	s_barrier
	buffer_gl0_inv
	ds_read_b64 v[0:1], v28 offset:16
	s_cmp_lt_i32 s2, 4
	s_mov_b32 s3, 3
	s_cbranch_scc1 .LBB14_32
; %bb.30:
	v_add3_u32 v23, v29, 0, 24
	v_mov_b32_e32 v22, 2
.LBB14_31:                              ; =>This Inner Loop Header: Depth=1
	ds_read_b64 v[31:32], v23
	v_add_nc_u32_e32 v23, 8, v23
	s_waitcnt lgkmcnt(0)
	v_cmp_lt_f64_e64 vcc_lo, |v[0:1]|, |v[31:32]|
	v_cndmask_b32_e32 v1, v1, v32, vcc_lo
	v_cndmask_b32_e32 v0, v0, v31, vcc_lo
	v_cndmask_b32_e64 v22, v22, s3, vcc_lo
	s_add_i32 s3, s3, 1
	s_cmp_lg_u32 s2, s3
	s_cbranch_scc1 .LBB14_31
.LBB14_32:
	v_cndmask_b32_e64 v23, 2, 1, s0
	v_cndmask_b32_e64 v24, 0, 1, s0
	s_mov_b32 s0, exec_lo
	v_cndmask_b32_e64 v31, v23, v24, s1
	s_waitcnt lgkmcnt(0)
	v_cmpx_eq_f64_e32 0, v[0:1]
	s_xor_b32 s0, exec_lo, s0
; %bb.33:
	v_cmp_ne_u32_e32 vcc_lo, 0, v31
	v_cndmask_b32_e32 v31, 3, v31, vcc_lo
; %bb.34:
	s_andn2_saveexec_b32 s0, s0
	s_cbranch_execz .LBB14_36
; %bb.35:
	v_div_scale_f64 v[23:24], null, v[0:1], v[0:1], 1.0
	v_rcp_f64_e32 v[32:33], v[23:24]
	v_fma_f64 v[34:35], -v[23:24], v[32:33], 1.0
	v_fma_f64 v[32:33], v[32:33], v[34:35], v[32:33]
	v_fma_f64 v[34:35], -v[23:24], v[32:33], 1.0
	v_fma_f64 v[32:33], v[32:33], v[34:35], v[32:33]
	v_div_scale_f64 v[34:35], vcc_lo, 1.0, v[0:1], 1.0
	v_mul_f64 v[36:37], v[34:35], v[32:33]
	v_fma_f64 v[23:24], -v[23:24], v[36:37], v[34:35]
	v_div_fmas_f64 v[23:24], v[23:24], v[32:33], v[36:37]
	v_div_fixup_f64 v[0:1], v[23:24], v[0:1], 1.0
.LBB14_36:
	s_or_b32 exec_lo, exec_lo, s0
	s_mov_b32 s0, exec_lo
	v_cmpx_ne_u32_e64 v30, v22
	s_xor_b32 s0, exec_lo, s0
	s_cbranch_execz .LBB14_42
; %bb.37:
	s_mov_b32 s1, exec_lo
	v_cmpx_eq_u32_e32 2, v30
	s_cbranch_execz .LBB14_41
; %bb.38:
	v_cmp_ne_u32_e32 vcc_lo, 2, v22
	s_xor_b32 s3, s6, -1
	s_and_b32 s7, s3, vcc_lo
	s_and_saveexec_b32 s3, s7
	s_cbranch_execz .LBB14_40
; %bb.39:
	v_ashrrev_i32_e32 v23, 31, v22
	v_lshlrev_b64 v[23:24], 2, v[22:23]
	v_add_co_u32 v23, vcc_lo, v20, v23
	v_add_co_ci_u32_e64 v24, null, v21, v24, vcc_lo
	s_clause 0x1
	global_load_dword v25, v[23:24], off
	global_load_dword v30, v[20:21], off offset:8
	s_waitcnt vmcnt(1)
	global_store_dword v[20:21], v25, off offset:8
	s_waitcnt vmcnt(0)
	global_store_dword v[23:24], v30, off
.LBB14_40:
	s_or_b32 exec_lo, exec_lo, s3
	v_mov_b32_e32 v25, v22
	v_mov_b32_e32 v30, v22
.LBB14_41:
	s_or_b32 exec_lo, exec_lo, s1
.LBB14_42:
	s_andn2_saveexec_b32 s0, s0
	s_cbranch_execz .LBB14_44
; %bb.43:
	v_mov_b32_e32 v30, 2
	ds_write2_b64 v28, v[12:13], v[10:11] offset0:3 offset1:4
	ds_write2_b64 v28, v[8:9], v[6:7] offset0:5 offset1:6
	ds_write_b64 v28, v[18:19] offset:56
.LBB14_44:
	s_or_b32 exec_lo, exec_lo, s0
	s_mov_b32 s0, exec_lo
	s_waitcnt lgkmcnt(0)
	s_waitcnt_vscnt null, 0x0
	s_barrier
	buffer_gl0_inv
	v_cmpx_lt_i32_e32 2, v30
	s_cbranch_execz .LBB14_46
; %bb.45:
	v_mul_f64 v[14:15], v[14:15], v[0:1]
	ds_read2_b64 v[32:35], v28 offset0:3 offset1:4
	ds_read2_b64 v[36:39], v28 offset0:5 offset1:6
	ds_read_b64 v[0:1], v28 offset:56
	s_waitcnt lgkmcnt(2)
	v_fma_f64 v[12:13], -v[14:15], v[32:33], v[12:13]
	v_fma_f64 v[10:11], -v[14:15], v[34:35], v[10:11]
	s_waitcnt lgkmcnt(1)
	v_fma_f64 v[8:9], -v[14:15], v[36:37], v[8:9]
	v_fma_f64 v[6:7], -v[14:15], v[38:39], v[6:7]
	s_waitcnt lgkmcnt(0)
	v_fma_f64 v[18:19], -v[14:15], v[0:1], v[18:19]
.LBB14_46:
	s_or_b32 exec_lo, exec_lo, s0
	v_lshl_add_u32 v0, v30, 3, v28
	s_barrier
	buffer_gl0_inv
	v_mov_b32_e32 v22, 3
	ds_write_b64 v0, v[12:13]
	s_waitcnt lgkmcnt(0)
	s_barrier
	buffer_gl0_inv
	ds_read_b64 v[0:1], v28 offset:24
	s_cmp_lt_i32 s2, 5
	s_cbranch_scc1 .LBB14_49
; %bb.47:
	v_mov_b32_e32 v22, 3
	v_add3_u32 v23, v29, 0, 32
	s_mov_b32 s0, 4
.LBB14_48:                              ; =>This Inner Loop Header: Depth=1
	ds_read_b64 v[32:33], v23
	v_add_nc_u32_e32 v23, 8, v23
	s_waitcnt lgkmcnt(0)
	v_cmp_lt_f64_e64 vcc_lo, |v[0:1]|, |v[32:33]|
	v_cndmask_b32_e32 v1, v1, v33, vcc_lo
	v_cndmask_b32_e32 v0, v0, v32, vcc_lo
	v_cndmask_b32_e64 v22, v22, s0, vcc_lo
	s_add_i32 s0, s0, 1
	s_cmp_lg_u32 s2, s0
	s_cbranch_scc1 .LBB14_48
.LBB14_49:
	s_mov_b32 s0, exec_lo
	s_waitcnt lgkmcnt(0)
	v_cmpx_eq_f64_e32 0, v[0:1]
	s_xor_b32 s0, exec_lo, s0
; %bb.50:
	v_cmp_ne_u32_e32 vcc_lo, 0, v31
	v_cndmask_b32_e32 v31, 4, v31, vcc_lo
; %bb.51:
	s_andn2_saveexec_b32 s0, s0
	s_cbranch_execz .LBB14_53
; %bb.52:
	v_div_scale_f64 v[23:24], null, v[0:1], v[0:1], 1.0
	v_rcp_f64_e32 v[32:33], v[23:24]
	v_fma_f64 v[34:35], -v[23:24], v[32:33], 1.0
	v_fma_f64 v[32:33], v[32:33], v[34:35], v[32:33]
	v_fma_f64 v[34:35], -v[23:24], v[32:33], 1.0
	v_fma_f64 v[32:33], v[32:33], v[34:35], v[32:33]
	v_div_scale_f64 v[34:35], vcc_lo, 1.0, v[0:1], 1.0
	v_mul_f64 v[36:37], v[34:35], v[32:33]
	v_fma_f64 v[23:24], -v[23:24], v[36:37], v[34:35]
	v_div_fmas_f64 v[23:24], v[23:24], v[32:33], v[36:37]
	v_div_fixup_f64 v[0:1], v[23:24], v[0:1], 1.0
.LBB14_53:
	s_or_b32 exec_lo, exec_lo, s0
	s_mov_b32 s0, exec_lo
	v_cmpx_ne_u32_e64 v30, v22
	s_xor_b32 s0, exec_lo, s0
	s_cbranch_execz .LBB14_59
; %bb.54:
	s_mov_b32 s1, exec_lo
	v_cmpx_eq_u32_e32 3, v30
	s_cbranch_execz .LBB14_58
; %bb.55:
	v_cmp_ne_u32_e32 vcc_lo, 3, v22
	s_xor_b32 s3, s6, -1
	s_and_b32 s7, s3, vcc_lo
	s_and_saveexec_b32 s3, s7
	s_cbranch_execz .LBB14_57
; %bb.56:
	v_ashrrev_i32_e32 v23, 31, v22
	v_lshlrev_b64 v[23:24], 2, v[22:23]
	v_add_co_u32 v23, vcc_lo, v20, v23
	v_add_co_ci_u32_e64 v24, null, v21, v24, vcc_lo
	s_clause 0x1
	global_load_dword v25, v[23:24], off
	global_load_dword v30, v[20:21], off offset:12
	s_waitcnt vmcnt(1)
	global_store_dword v[20:21], v25, off offset:12
	s_waitcnt vmcnt(0)
	global_store_dword v[23:24], v30, off
.LBB14_57:
	s_or_b32 exec_lo, exec_lo, s3
	v_mov_b32_e32 v25, v22
	v_mov_b32_e32 v30, v22
.LBB14_58:
	s_or_b32 exec_lo, exec_lo, s1
.LBB14_59:
	s_andn2_saveexec_b32 s0, s0
	s_cbranch_execz .LBB14_61
; %bb.60:
	v_mov_b32_e32 v30, 3
	ds_write2_b64 v28, v[10:11], v[8:9] offset0:4 offset1:5
	ds_write2_b64 v28, v[6:7], v[18:19] offset0:6 offset1:7
.LBB14_61:
	s_or_b32 exec_lo, exec_lo, s0
	s_mov_b32 s0, exec_lo
	s_waitcnt lgkmcnt(0)
	s_waitcnt_vscnt null, 0x0
	s_barrier
	buffer_gl0_inv
	v_cmpx_lt_i32_e32 3, v30
	s_cbranch_execz .LBB14_63
; %bb.62:
	v_mul_f64 v[12:13], v[12:13], v[0:1]
	ds_read2_b64 v[32:35], v28 offset0:4 offset1:5
	ds_read2_b64 v[36:39], v28 offset0:6 offset1:7
	s_waitcnt lgkmcnt(1)
	v_fma_f64 v[10:11], -v[12:13], v[32:33], v[10:11]
	v_fma_f64 v[8:9], -v[12:13], v[34:35], v[8:9]
	s_waitcnt lgkmcnt(0)
	v_fma_f64 v[6:7], -v[12:13], v[36:37], v[6:7]
	v_fma_f64 v[18:19], -v[12:13], v[38:39], v[18:19]
.LBB14_63:
	s_or_b32 exec_lo, exec_lo, s0
	v_lshl_add_u32 v0, v30, 3, v28
	s_barrier
	buffer_gl0_inv
	v_mov_b32_e32 v22, 4
	ds_write_b64 v0, v[10:11]
	s_waitcnt lgkmcnt(0)
	s_barrier
	buffer_gl0_inv
	ds_read_b64 v[0:1], v28 offset:32
	s_cmp_lt_i32 s2, 6
	s_cbranch_scc1 .LBB14_66
; %bb.64:
	v_add3_u32 v23, v29, 0, 40
	v_mov_b32_e32 v22, 4
	s_mov_b32 s0, 5
.LBB14_65:                              ; =>This Inner Loop Header: Depth=1
	ds_read_b64 v[32:33], v23
	v_add_nc_u32_e32 v23, 8, v23
	s_waitcnt lgkmcnt(0)
	v_cmp_lt_f64_e64 vcc_lo, |v[0:1]|, |v[32:33]|
	v_cndmask_b32_e32 v1, v1, v33, vcc_lo
	v_cndmask_b32_e32 v0, v0, v32, vcc_lo
	v_cndmask_b32_e64 v22, v22, s0, vcc_lo
	s_add_i32 s0, s0, 1
	s_cmp_lg_u32 s2, s0
	s_cbranch_scc1 .LBB14_65
.LBB14_66:
	s_mov_b32 s0, exec_lo
	s_waitcnt lgkmcnt(0)
	v_cmpx_eq_f64_e32 0, v[0:1]
	s_xor_b32 s0, exec_lo, s0
; %bb.67:
	v_cmp_ne_u32_e32 vcc_lo, 0, v31
	v_cndmask_b32_e32 v31, 5, v31, vcc_lo
; %bb.68:
	s_andn2_saveexec_b32 s0, s0
	s_cbranch_execz .LBB14_70
; %bb.69:
	v_div_scale_f64 v[23:24], null, v[0:1], v[0:1], 1.0
	v_rcp_f64_e32 v[32:33], v[23:24]
	v_fma_f64 v[34:35], -v[23:24], v[32:33], 1.0
	v_fma_f64 v[32:33], v[32:33], v[34:35], v[32:33]
	v_fma_f64 v[34:35], -v[23:24], v[32:33], 1.0
	v_fma_f64 v[32:33], v[32:33], v[34:35], v[32:33]
	v_div_scale_f64 v[34:35], vcc_lo, 1.0, v[0:1], 1.0
	v_mul_f64 v[36:37], v[34:35], v[32:33]
	v_fma_f64 v[23:24], -v[23:24], v[36:37], v[34:35]
	v_div_fmas_f64 v[23:24], v[23:24], v[32:33], v[36:37]
	v_div_fixup_f64 v[0:1], v[23:24], v[0:1], 1.0
.LBB14_70:
	s_or_b32 exec_lo, exec_lo, s0
	s_mov_b32 s0, exec_lo
	v_cmpx_ne_u32_e64 v30, v22
	s_xor_b32 s0, exec_lo, s0
	s_cbranch_execz .LBB14_76
; %bb.71:
	s_mov_b32 s1, exec_lo
	v_cmpx_eq_u32_e32 4, v30
	s_cbranch_execz .LBB14_75
; %bb.72:
	v_cmp_ne_u32_e32 vcc_lo, 4, v22
	s_xor_b32 s3, s6, -1
	s_and_b32 s7, s3, vcc_lo
	s_and_saveexec_b32 s3, s7
	s_cbranch_execz .LBB14_74
; %bb.73:
	v_ashrrev_i32_e32 v23, 31, v22
	v_lshlrev_b64 v[23:24], 2, v[22:23]
	v_add_co_u32 v23, vcc_lo, v20, v23
	v_add_co_ci_u32_e64 v24, null, v21, v24, vcc_lo
	s_clause 0x1
	global_load_dword v25, v[23:24], off
	global_load_dword v30, v[20:21], off offset:16
	s_waitcnt vmcnt(1)
	global_store_dword v[20:21], v25, off offset:16
	s_waitcnt vmcnt(0)
	global_store_dword v[23:24], v30, off
.LBB14_74:
	s_or_b32 exec_lo, exec_lo, s3
	v_mov_b32_e32 v25, v22
	v_mov_b32_e32 v30, v22
.LBB14_75:
	s_or_b32 exec_lo, exec_lo, s1
.LBB14_76:
	s_andn2_saveexec_b32 s0, s0
	s_cbranch_execz .LBB14_78
; %bb.77:
	v_mov_b32_e32 v30, 4
	ds_write2_b64 v28, v[8:9], v[6:7] offset0:5 offset1:6
	ds_write_b64 v28, v[18:19] offset:56
.LBB14_78:
	s_or_b32 exec_lo, exec_lo, s0
	s_mov_b32 s0, exec_lo
	s_waitcnt lgkmcnt(0)
	s_waitcnt_vscnt null, 0x0
	s_barrier
	buffer_gl0_inv
	v_cmpx_lt_i32_e32 4, v30
	s_cbranch_execz .LBB14_80
; %bb.79:
	v_mul_f64 v[10:11], v[10:11], v[0:1]
	ds_read2_b64 v[32:35], v28 offset0:5 offset1:6
	ds_read_b64 v[0:1], v28 offset:56
	s_waitcnt lgkmcnt(1)
	v_fma_f64 v[8:9], -v[10:11], v[32:33], v[8:9]
	v_fma_f64 v[6:7], -v[10:11], v[34:35], v[6:7]
	s_waitcnt lgkmcnt(0)
	v_fma_f64 v[18:19], -v[10:11], v[0:1], v[18:19]
.LBB14_80:
	s_or_b32 exec_lo, exec_lo, s0
	v_lshl_add_u32 v0, v30, 3, v28
	s_barrier
	buffer_gl0_inv
	v_mov_b32_e32 v22, 5
	ds_write_b64 v0, v[8:9]
	s_waitcnt lgkmcnt(0)
	s_barrier
	buffer_gl0_inv
	ds_read_b64 v[0:1], v28 offset:40
	s_cmp_lt_i32 s2, 7
	s_cbranch_scc1 .LBB14_83
; %bb.81:
	v_add3_u32 v23, v29, 0, 48
	v_mov_b32_e32 v22, 5
	s_mov_b32 s0, 6
.LBB14_82:                              ; =>This Inner Loop Header: Depth=1
	ds_read_b64 v[32:33], v23
	v_add_nc_u32_e32 v23, 8, v23
	s_waitcnt lgkmcnt(0)
	v_cmp_lt_f64_e64 vcc_lo, |v[0:1]|, |v[32:33]|
	v_cndmask_b32_e32 v1, v1, v33, vcc_lo
	v_cndmask_b32_e32 v0, v0, v32, vcc_lo
	v_cndmask_b32_e64 v22, v22, s0, vcc_lo
	s_add_i32 s0, s0, 1
	s_cmp_lg_u32 s2, s0
	s_cbranch_scc1 .LBB14_82
.LBB14_83:
	s_mov_b32 s0, exec_lo
	s_waitcnt lgkmcnt(0)
	v_cmpx_eq_f64_e32 0, v[0:1]
	s_xor_b32 s0, exec_lo, s0
; %bb.84:
	v_cmp_ne_u32_e32 vcc_lo, 0, v31
	v_cndmask_b32_e32 v31, 6, v31, vcc_lo
; %bb.85:
	s_andn2_saveexec_b32 s0, s0
	s_cbranch_execz .LBB14_87
; %bb.86:
	v_div_scale_f64 v[23:24], null, v[0:1], v[0:1], 1.0
	v_rcp_f64_e32 v[32:33], v[23:24]
	v_fma_f64 v[34:35], -v[23:24], v[32:33], 1.0
	v_fma_f64 v[32:33], v[32:33], v[34:35], v[32:33]
	v_fma_f64 v[34:35], -v[23:24], v[32:33], 1.0
	v_fma_f64 v[32:33], v[32:33], v[34:35], v[32:33]
	v_div_scale_f64 v[34:35], vcc_lo, 1.0, v[0:1], 1.0
	v_mul_f64 v[36:37], v[34:35], v[32:33]
	v_fma_f64 v[23:24], -v[23:24], v[36:37], v[34:35]
	v_div_fmas_f64 v[23:24], v[23:24], v[32:33], v[36:37]
	v_div_fixup_f64 v[0:1], v[23:24], v[0:1], 1.0
.LBB14_87:
	s_or_b32 exec_lo, exec_lo, s0
	s_mov_b32 s0, exec_lo
	v_cmpx_ne_u32_e64 v30, v22
	s_xor_b32 s0, exec_lo, s0
	s_cbranch_execz .LBB14_93
; %bb.88:
	s_mov_b32 s1, exec_lo
	v_cmpx_eq_u32_e32 5, v30
	s_cbranch_execz .LBB14_92
; %bb.89:
	v_cmp_ne_u32_e32 vcc_lo, 5, v22
	s_xor_b32 s3, s6, -1
	s_and_b32 s7, s3, vcc_lo
	s_and_saveexec_b32 s3, s7
	s_cbranch_execz .LBB14_91
; %bb.90:
	v_ashrrev_i32_e32 v23, 31, v22
	v_lshlrev_b64 v[23:24], 2, v[22:23]
	v_add_co_u32 v23, vcc_lo, v20, v23
	v_add_co_ci_u32_e64 v24, null, v21, v24, vcc_lo
	s_clause 0x1
	global_load_dword v25, v[23:24], off
	global_load_dword v30, v[20:21], off offset:20
	s_waitcnt vmcnt(1)
	global_store_dword v[20:21], v25, off offset:20
	s_waitcnt vmcnt(0)
	global_store_dword v[23:24], v30, off
.LBB14_91:
	s_or_b32 exec_lo, exec_lo, s3
	v_mov_b32_e32 v25, v22
	v_mov_b32_e32 v30, v22
.LBB14_92:
	s_or_b32 exec_lo, exec_lo, s1
.LBB14_93:
	s_andn2_saveexec_b32 s0, s0
; %bb.94:
	v_mov_b32_e32 v30, 5
	ds_write2_b64 v28, v[6:7], v[18:19] offset0:6 offset1:7
; %bb.95:
	s_or_b32 exec_lo, exec_lo, s0
	s_mov_b32 s0, exec_lo
	s_waitcnt lgkmcnt(0)
	s_waitcnt_vscnt null, 0x0
	s_barrier
	buffer_gl0_inv
	v_cmpx_lt_i32_e32 5, v30
	s_cbranch_execz .LBB14_97
; %bb.96:
	v_mul_f64 v[8:9], v[8:9], v[0:1]
	ds_read2_b64 v[32:35], v28 offset0:6 offset1:7
	s_waitcnt lgkmcnt(0)
	v_fma_f64 v[6:7], -v[8:9], v[32:33], v[6:7]
	v_fma_f64 v[18:19], -v[8:9], v[34:35], v[18:19]
.LBB14_97:
	s_or_b32 exec_lo, exec_lo, s0
	v_lshl_add_u32 v0, v30, 3, v28
	s_barrier
	buffer_gl0_inv
	v_mov_b32_e32 v22, 6
	ds_write_b64 v0, v[6:7]
	s_waitcnt lgkmcnt(0)
	s_barrier
	buffer_gl0_inv
	ds_read_b64 v[0:1], v28 offset:48
	s_cmp_lt_i32 s2, 8
	s_cbranch_scc1 .LBB14_100
; %bb.98:
	v_add3_u32 v23, v29, 0, 56
	v_mov_b32_e32 v22, 6
	s_mov_b32 s0, 7
.LBB14_99:                              ; =>This Inner Loop Header: Depth=1
	ds_read_b64 v[32:33], v23
	v_add_nc_u32_e32 v23, 8, v23
	s_waitcnt lgkmcnt(0)
	v_cmp_lt_f64_e64 vcc_lo, |v[0:1]|, |v[32:33]|
	v_cndmask_b32_e32 v1, v1, v33, vcc_lo
	v_cndmask_b32_e32 v0, v0, v32, vcc_lo
	v_cndmask_b32_e64 v22, v22, s0, vcc_lo
	s_add_i32 s0, s0, 1
	s_cmp_lg_u32 s2, s0
	s_cbranch_scc1 .LBB14_99
.LBB14_100:
	s_mov_b32 s0, exec_lo
	s_waitcnt lgkmcnt(0)
	v_cmpx_eq_f64_e32 0, v[0:1]
	s_xor_b32 s0, exec_lo, s0
; %bb.101:
	v_cmp_ne_u32_e32 vcc_lo, 0, v31
	v_cndmask_b32_e32 v31, 7, v31, vcc_lo
; %bb.102:
	s_andn2_saveexec_b32 s0, s0
	s_cbranch_execz .LBB14_104
; %bb.103:
	v_div_scale_f64 v[23:24], null, v[0:1], v[0:1], 1.0
	v_rcp_f64_e32 v[32:33], v[23:24]
	v_fma_f64 v[34:35], -v[23:24], v[32:33], 1.0
	v_fma_f64 v[32:33], v[32:33], v[34:35], v[32:33]
	v_fma_f64 v[34:35], -v[23:24], v[32:33], 1.0
	v_fma_f64 v[32:33], v[32:33], v[34:35], v[32:33]
	v_div_scale_f64 v[34:35], vcc_lo, 1.0, v[0:1], 1.0
	v_mul_f64 v[36:37], v[34:35], v[32:33]
	v_fma_f64 v[23:24], -v[23:24], v[36:37], v[34:35]
	v_div_fmas_f64 v[23:24], v[23:24], v[32:33], v[36:37]
	v_div_fixup_f64 v[0:1], v[23:24], v[0:1], 1.0
.LBB14_104:
	s_or_b32 exec_lo, exec_lo, s0
	s_mov_b32 s0, exec_lo
	v_cmpx_ne_u32_e64 v30, v22
	s_xor_b32 s0, exec_lo, s0
	s_cbranch_execz .LBB14_110
; %bb.105:
	s_mov_b32 s1, exec_lo
	v_cmpx_eq_u32_e32 6, v30
	s_cbranch_execz .LBB14_109
; %bb.106:
	v_cmp_ne_u32_e32 vcc_lo, 6, v22
	s_xor_b32 s3, s6, -1
	s_and_b32 s7, s3, vcc_lo
	s_and_saveexec_b32 s3, s7
	s_cbranch_execz .LBB14_108
; %bb.107:
	v_ashrrev_i32_e32 v23, 31, v22
	v_lshlrev_b64 v[23:24], 2, v[22:23]
	v_add_co_u32 v23, vcc_lo, v20, v23
	v_add_co_ci_u32_e64 v24, null, v21, v24, vcc_lo
	s_clause 0x1
	global_load_dword v25, v[23:24], off
	global_load_dword v30, v[20:21], off offset:24
	s_waitcnt vmcnt(1)
	global_store_dword v[20:21], v25, off offset:24
	s_waitcnt vmcnt(0)
	global_store_dword v[23:24], v30, off
.LBB14_108:
	s_or_b32 exec_lo, exec_lo, s3
	v_mov_b32_e32 v25, v22
	v_mov_b32_e32 v30, v22
.LBB14_109:
	s_or_b32 exec_lo, exec_lo, s1
.LBB14_110:
	s_andn2_saveexec_b32 s0, s0
; %bb.111:
	v_mov_b32_e32 v30, 6
	ds_write_b64 v28, v[18:19] offset:56
; %bb.112:
	s_or_b32 exec_lo, exec_lo, s0
	s_mov_b32 s0, exec_lo
	s_waitcnt lgkmcnt(0)
	s_waitcnt_vscnt null, 0x0
	s_barrier
	buffer_gl0_inv
	v_cmpx_lt_i32_e32 6, v30
	s_cbranch_execz .LBB14_114
; %bb.113:
	v_mul_f64 v[6:7], v[6:7], v[0:1]
	ds_read_b64 v[0:1], v28 offset:56
	s_waitcnt lgkmcnt(0)
	v_fma_f64 v[18:19], -v[6:7], v[0:1], v[18:19]
.LBB14_114:
	s_or_b32 exec_lo, exec_lo, s0
	v_lshl_add_u32 v0, v30, 3, v28
	s_barrier
	buffer_gl0_inv
	v_mov_b32_e32 v22, 7
	ds_write_b64 v0, v[18:19]
	s_waitcnt lgkmcnt(0)
	s_barrier
	buffer_gl0_inv
	ds_read_b64 v[0:1], v28 offset:56
	s_cmp_lt_i32 s2, 9
	s_cbranch_scc1 .LBB14_117
; %bb.115:
	v_add3_u32 v23, v29, 0, 64
	v_mov_b32_e32 v22, 7
	s_mov_b32 s0, 8
.LBB14_116:                             ; =>This Inner Loop Header: Depth=1
	ds_read_b64 v[28:29], v23
	v_add_nc_u32_e32 v23, 8, v23
	s_waitcnt lgkmcnt(0)
	v_cmp_lt_f64_e64 vcc_lo, |v[0:1]|, |v[28:29]|
	v_cndmask_b32_e32 v1, v1, v29, vcc_lo
	v_cndmask_b32_e32 v0, v0, v28, vcc_lo
	v_cndmask_b32_e64 v22, v22, s0, vcc_lo
	s_add_i32 s0, s0, 1
	s_cmp_lg_u32 s2, s0
	s_cbranch_scc1 .LBB14_116
.LBB14_117:
	s_mov_b32 s0, exec_lo
	s_waitcnt lgkmcnt(0)
	v_cmpx_eq_f64_e32 0, v[0:1]
	s_xor_b32 s0, exec_lo, s0
; %bb.118:
	v_cmp_ne_u32_e32 vcc_lo, 0, v31
	v_cndmask_b32_e32 v31, 8, v31, vcc_lo
; %bb.119:
	s_andn2_saveexec_b32 s0, s0
	s_cbranch_execz .LBB14_121
; %bb.120:
	v_div_scale_f64 v[23:24], null, v[0:1], v[0:1], 1.0
	v_rcp_f64_e32 v[28:29], v[23:24]
	v_fma_f64 v[32:33], -v[23:24], v[28:29], 1.0
	v_fma_f64 v[28:29], v[28:29], v[32:33], v[28:29]
	v_fma_f64 v[32:33], -v[23:24], v[28:29], 1.0
	v_fma_f64 v[28:29], v[28:29], v[32:33], v[28:29]
	v_div_scale_f64 v[32:33], vcc_lo, 1.0, v[0:1], 1.0
	v_mul_f64 v[34:35], v[32:33], v[28:29]
	v_fma_f64 v[23:24], -v[23:24], v[34:35], v[32:33]
	v_div_fmas_f64 v[23:24], v[23:24], v[28:29], v[34:35]
	v_div_fixup_f64 v[0:1], v[23:24], v[0:1], 1.0
.LBB14_121:
	s_or_b32 exec_lo, exec_lo, s0
	v_mov_b32_e32 v23, 7
	s_mov_b32 s0, exec_lo
	v_cmpx_ne_u32_e64 v30, v22
	s_cbranch_execz .LBB14_127
; %bb.122:
	s_mov_b32 s1, exec_lo
	v_cmpx_eq_u32_e32 7, v30
	s_cbranch_execz .LBB14_126
; %bb.123:
	v_cmp_ne_u32_e32 vcc_lo, 7, v22
	s_xor_b32 s2, s6, -1
	s_and_b32 s3, s2, vcc_lo
	s_and_saveexec_b32 s2, s3
	s_cbranch_execz .LBB14_125
; %bb.124:
	v_ashrrev_i32_e32 v23, 31, v22
	v_lshlrev_b64 v[23:24], 2, v[22:23]
	v_add_co_u32 v23, vcc_lo, v20, v23
	v_add_co_ci_u32_e64 v24, null, v21, v24, vcc_lo
	s_clause 0x1
	global_load_dword v25, v[23:24], off
	global_load_dword v28, v[20:21], off offset:28
	s_waitcnt vmcnt(1)
	global_store_dword v[20:21], v25, off offset:28
	s_waitcnt vmcnt(0)
	global_store_dword v[23:24], v28, off
.LBB14_125:
	s_or_b32 exec_lo, exec_lo, s2
	v_mov_b32_e32 v25, v22
	v_mov_b32_e32 v30, v22
.LBB14_126:
	s_or_b32 exec_lo, exec_lo, s1
	v_mov_b32_e32 v23, v30
.LBB14_127:
	s_or_b32 exec_lo, exec_lo, s0
	s_load_dwordx8 s[0:7], s[4:5], 0x28
	v_ashrrev_i32_e32 v24, 31, v23
	s_mov_b32 s9, exec_lo
	s_waitcnt lgkmcnt(0)
	s_waitcnt_vscnt null, 0x0
	s_barrier
	buffer_gl0_inv
	s_barrier
	buffer_gl0_inv
	v_cmpx_gt_i32_e32 8, v23
	s_cbranch_execz .LBB14_129
; %bb.128:
	v_mul_lo_u32 v22, s5, v2
	v_mul_lo_u32 v28, s4, v3
	v_mad_u64_u32 v[20:21], null, s4, v2, 0
	s_lshl_b64 s[2:3], s[2:3], 2
	v_add3_u32 v21, v21, v28, v22
	v_lshlrev_b64 v[20:21], 2, v[20:21]
	v_add_co_u32 v22, vcc_lo, s0, v20
	v_add_co_ci_u32_e64 v28, null, s1, v21, vcc_lo
	v_lshlrev_b64 v[20:21], 2, v[23:24]
	v_add_co_u32 v22, vcc_lo, v22, s2
	v_add_co_ci_u32_e64 v28, null, s3, v28, vcc_lo
	v_add_co_u32 v20, vcc_lo, v22, v20
	v_add_co_ci_u32_e64 v21, null, v28, v21, vcc_lo
	v_add3_u32 v22, v25, s13, 1
	global_store_dword v[20:21], v22, off
.LBB14_129:
	s_or_b32 exec_lo, exec_lo, s9
	s_mov_b32 s1, exec_lo
	v_cmpx_eq_u32_e32 0, v23
	s_cbranch_execz .LBB14_132
; %bb.130:
	v_lshlrev_b64 v[2:3], 2, v[2:3]
	v_cmp_ne_u32_e64 s0, 0, v31
	v_add_co_u32 v2, vcc_lo, s6, v2
	v_add_co_ci_u32_e64 v3, null, s7, v3, vcc_lo
	global_load_dword v20, v[2:3], off
	s_waitcnt vmcnt(0)
	v_cmp_eq_u32_e32 vcc_lo, 0, v20
	s_and_b32 s0, vcc_lo, s0
	s_and_b32 exec_lo, exec_lo, s0
	s_cbranch_execz .LBB14_132
; %bb.131:
	v_add_nc_u32_e32 v20, s13, v31
	global_store_dword v[2:3], v20, off
.LBB14_132:
	s_or_b32 exec_lo, exec_lo, s1
	v_mul_f64 v[0:1], v[18:19], v[0:1]
	v_add3_u32 v2, s8, s8, v23
	v_lshlrev_b64 v[20:21], 3, v[23:24]
	v_ashrrev_i32_e32 v3, 31, v2
	v_add_nc_u32_e32 v22, s8, v2
	v_add_co_u32 v20, vcc_lo, v26, v20
	v_add_co_ci_u32_e64 v21, null, v27, v21, vcc_lo
	v_lshlrev_b64 v[2:3], 3, v[2:3]
	v_cmp_lt_i32_e32 vcc_lo, 7, v23
	v_add_nc_u32_e32 v24, s8, v22
	flat_store_dwordx2 v[20:21], v[4:5]
	v_add_co_u32 v4, s0, v20, s10
	v_add_co_ci_u32_e64 v5, null, s11, v21, s0
	v_ashrrev_i32_e32 v23, 31, v22
	v_ashrrev_i32_e32 v25, 31, v24
	v_cndmask_b32_e32 v1, v19, v1, vcc_lo
	v_cndmask_b32_e32 v0, v18, v0, vcc_lo
	v_add_co_u32 v2, vcc_lo, v26, v2
	v_add_co_ci_u32_e64 v3, null, v27, v3, vcc_lo
	v_add_nc_u32_e32 v18, s8, v24
	flat_store_dwordx2 v[4:5], v[16:17]
	v_lshlrev_b64 v[4:5], 3, v[22:23]
	flat_store_dwordx2 v[2:3], v[14:15]
	v_lshlrev_b64 v[2:3], 3, v[24:25]
	v_ashrrev_i32_e32 v19, 31, v18
	v_add_nc_u32_e32 v14, s8, v18
	v_add_co_u32 v4, vcc_lo, v26, v4
	v_lshlrev_b64 v[16:17], 3, v[18:19]
	v_add_nc_u32_e32 v18, s8, v14
	v_ashrrev_i32_e32 v15, 31, v14
	v_add_co_ci_u32_e64 v5, null, v27, v5, vcc_lo
	v_add_co_u32 v2, vcc_lo, v26, v2
	v_ashrrev_i32_e32 v19, 31, v18
	v_lshlrev_b64 v[14:15], 3, v[14:15]
	v_add_co_ci_u32_e64 v3, null, v27, v3, vcc_lo
	v_add_co_u32 v16, vcc_lo, v26, v16
	v_lshlrev_b64 v[18:19], 3, v[18:19]
	v_add_co_ci_u32_e64 v17, null, v27, v17, vcc_lo
	v_add_co_u32 v14, vcc_lo, v26, v14
	v_add_co_ci_u32_e64 v15, null, v27, v15, vcc_lo
	v_add_co_u32 v18, vcc_lo, v26, v18
	v_add_co_ci_u32_e64 v19, null, v27, v19, vcc_lo
	flat_store_dwordx2 v[4:5], v[12:13]
	flat_store_dwordx2 v[2:3], v[10:11]
	;; [unrolled: 1-line block ×5, first 2 shown]
.LBB14_133:
	s_endpgm
	.section	.rodata,"a",@progbits
	.p2align	6, 0x0
	.amdhsa_kernel _ZN9rocsolver6v33100L18getf2_small_kernelILi8EdiiPKPdEEvT1_T3_lS5_lPS5_llPT2_S5_S5_S7_l
		.amdhsa_group_segment_fixed_size 0
		.amdhsa_private_segment_fixed_size 0
		.amdhsa_kernarg_size 352
		.amdhsa_user_sgpr_count 6
		.amdhsa_user_sgpr_private_segment_buffer 1
		.amdhsa_user_sgpr_dispatch_ptr 0
		.amdhsa_user_sgpr_queue_ptr 0
		.amdhsa_user_sgpr_kernarg_segment_ptr 1
		.amdhsa_user_sgpr_dispatch_id 0
		.amdhsa_user_sgpr_flat_scratch_init 0
		.amdhsa_user_sgpr_private_segment_size 0
		.amdhsa_wavefront_size32 1
		.amdhsa_uses_dynamic_stack 0
		.amdhsa_system_sgpr_private_segment_wavefront_offset 0
		.amdhsa_system_sgpr_workgroup_id_x 1
		.amdhsa_system_sgpr_workgroup_id_y 1
		.amdhsa_system_sgpr_workgroup_id_z 0
		.amdhsa_system_sgpr_workgroup_info 0
		.amdhsa_system_vgpr_workitem_id 1
		.amdhsa_next_free_vgpr 43
		.amdhsa_next_free_sgpr 14
		.amdhsa_reserve_vcc 1
		.amdhsa_reserve_flat_scratch 1
		.amdhsa_float_round_mode_32 0
		.amdhsa_float_round_mode_16_64 0
		.amdhsa_float_denorm_mode_32 3
		.amdhsa_float_denorm_mode_16_64 3
		.amdhsa_dx10_clamp 1
		.amdhsa_ieee_mode 1
		.amdhsa_fp16_overflow 0
		.amdhsa_workgroup_processor_mode 1
		.amdhsa_memory_ordered 1
		.amdhsa_forward_progress 1
		.amdhsa_shared_vgpr_count 0
		.amdhsa_exception_fp_ieee_invalid_op 0
		.amdhsa_exception_fp_denorm_src 0
		.amdhsa_exception_fp_ieee_div_zero 0
		.amdhsa_exception_fp_ieee_overflow 0
		.amdhsa_exception_fp_ieee_underflow 0
		.amdhsa_exception_fp_ieee_inexact 0
		.amdhsa_exception_int_div_zero 0
	.end_amdhsa_kernel
	.section	.text._ZN9rocsolver6v33100L18getf2_small_kernelILi8EdiiPKPdEEvT1_T3_lS5_lPS5_llPT2_S5_S5_S7_l,"axG",@progbits,_ZN9rocsolver6v33100L18getf2_small_kernelILi8EdiiPKPdEEvT1_T3_lS5_lPS5_llPT2_S5_S5_S7_l,comdat
.Lfunc_end14:
	.size	_ZN9rocsolver6v33100L18getf2_small_kernelILi8EdiiPKPdEEvT1_T3_lS5_lPS5_llPT2_S5_S5_S7_l, .Lfunc_end14-_ZN9rocsolver6v33100L18getf2_small_kernelILi8EdiiPKPdEEvT1_T3_lS5_lPS5_llPT2_S5_S5_S7_l
                                        ; -- End function
	.set _ZN9rocsolver6v33100L18getf2_small_kernelILi8EdiiPKPdEEvT1_T3_lS5_lPS5_llPT2_S5_S5_S7_l.num_vgpr, 43
	.set _ZN9rocsolver6v33100L18getf2_small_kernelILi8EdiiPKPdEEvT1_T3_lS5_lPS5_llPT2_S5_S5_S7_l.num_agpr, 0
	.set _ZN9rocsolver6v33100L18getf2_small_kernelILi8EdiiPKPdEEvT1_T3_lS5_lPS5_llPT2_S5_S5_S7_l.numbered_sgpr, 14
	.set _ZN9rocsolver6v33100L18getf2_small_kernelILi8EdiiPKPdEEvT1_T3_lS5_lPS5_llPT2_S5_S5_S7_l.num_named_barrier, 0
	.set _ZN9rocsolver6v33100L18getf2_small_kernelILi8EdiiPKPdEEvT1_T3_lS5_lPS5_llPT2_S5_S5_S7_l.private_seg_size, 0
	.set _ZN9rocsolver6v33100L18getf2_small_kernelILi8EdiiPKPdEEvT1_T3_lS5_lPS5_llPT2_S5_S5_S7_l.uses_vcc, 1
	.set _ZN9rocsolver6v33100L18getf2_small_kernelILi8EdiiPKPdEEvT1_T3_lS5_lPS5_llPT2_S5_S5_S7_l.uses_flat_scratch, 1
	.set _ZN9rocsolver6v33100L18getf2_small_kernelILi8EdiiPKPdEEvT1_T3_lS5_lPS5_llPT2_S5_S5_S7_l.has_dyn_sized_stack, 0
	.set _ZN9rocsolver6v33100L18getf2_small_kernelILi8EdiiPKPdEEvT1_T3_lS5_lPS5_llPT2_S5_S5_S7_l.has_recursion, 0
	.set _ZN9rocsolver6v33100L18getf2_small_kernelILi8EdiiPKPdEEvT1_T3_lS5_lPS5_llPT2_S5_S5_S7_l.has_indirect_call, 0
	.section	.AMDGPU.csdata,"",@progbits
; Kernel info:
; codeLenInByte = 5256
; TotalNumSgprs: 16
; NumVgprs: 43
; ScratchSize: 0
; MemoryBound: 0
; FloatMode: 240
; IeeeMode: 1
; LDSByteSize: 0 bytes/workgroup (compile time only)
; SGPRBlocks: 0
; VGPRBlocks: 5
; NumSGPRsForWavesPerEU: 16
; NumVGPRsForWavesPerEU: 43
; Occupancy: 16
; WaveLimiterHint : 1
; COMPUTE_PGM_RSRC2:SCRATCH_EN: 0
; COMPUTE_PGM_RSRC2:USER_SGPR: 6
; COMPUTE_PGM_RSRC2:TRAP_HANDLER: 0
; COMPUTE_PGM_RSRC2:TGID_X_EN: 1
; COMPUTE_PGM_RSRC2:TGID_Y_EN: 1
; COMPUTE_PGM_RSRC2:TGID_Z_EN: 0
; COMPUTE_PGM_RSRC2:TIDIG_COMP_CNT: 1
	.section	.text._ZN9rocsolver6v33100L23getf2_npvt_small_kernelILi8EdiiPKPdEEvT1_T3_lS5_lPT2_S5_S5_,"axG",@progbits,_ZN9rocsolver6v33100L23getf2_npvt_small_kernelILi8EdiiPKPdEEvT1_T3_lS5_lPT2_S5_S5_,comdat
	.globl	_ZN9rocsolver6v33100L23getf2_npvt_small_kernelILi8EdiiPKPdEEvT1_T3_lS5_lPT2_S5_S5_ ; -- Begin function _ZN9rocsolver6v33100L23getf2_npvt_small_kernelILi8EdiiPKPdEEvT1_T3_lS5_lPT2_S5_S5_
	.p2align	8
	.type	_ZN9rocsolver6v33100L23getf2_npvt_small_kernelILi8EdiiPKPdEEvT1_T3_lS5_lPT2_S5_S5_,@function
_ZN9rocsolver6v33100L23getf2_npvt_small_kernelILi8EdiiPKPdEEvT1_T3_lS5_lPT2_S5_S5_: ; @_ZN9rocsolver6v33100L23getf2_npvt_small_kernelILi8EdiiPKPdEEvT1_T3_lS5_lPT2_S5_S5_
; %bb.0:
	s_clause 0x1
	s_load_dword s0, s[4:5], 0x44
	s_load_dwordx2 s[8:9], s[4:5], 0x30
	s_waitcnt lgkmcnt(0)
	s_lshr_b32 s6, s0, 16
	s_mov_b32 s0, exec_lo
	v_mad_u64_u32 v[2:3], null, s7, s6, v[1:2]
	v_cmpx_gt_i32_e64 s8, v2
	s_cbranch_execz .LBB15_44
; %bb.1:
	s_clause 0x1
	s_load_dwordx4 s[0:3], s[4:5], 0x8
	s_load_dword s10, s[4:5], 0x18
	v_ashrrev_i32_e32 v3, 31, v2
	v_lshlrev_b32_e32 v20, 3, v0
	v_lshlrev_b32_e32 v36, 3, v1
	v_lshl_add_u32 v50, v1, 6, 0
	v_lshlrev_b64 v[4:5], 3, v[2:3]
	s_waitcnt lgkmcnt(0)
	v_add_co_u32 v4, vcc_lo, s0, v4
	v_add_co_ci_u32_e64 v5, null, s1, v5, vcc_lo
	v_add3_u32 v6, s10, s10, v0
	s_lshl_b64 s[0:1], s[2:3], 3
	s_ashr_i32 s11, s10, 31
	global_load_dwordx2 v[4:5], v[4:5], off
	s_lshl_b64 s[2:3], s[10:11], 3
	v_add_nc_u32_e32 v8, s10, v6
	v_ashrrev_i32_e32 v7, 31, v6
	v_add_nc_u32_e32 v10, s10, v8
	v_ashrrev_i32_e32 v9, 31, v8
	v_lshlrev_b64 v[6:7], 3, v[6:7]
	v_add_nc_u32_e32 v12, s10, v10
	v_ashrrev_i32_e32 v11, 31, v10
	v_lshlrev_b64 v[18:19], 3, v[8:9]
	;; [unrolled: 3-line block ×3, first 2 shown]
	v_ashrrev_i32_e32 v15, 31, v14
	v_add_nc_u32_e32 v16, s10, v14
	v_lshlrev_b64 v[12:13], 3, v[12:13]
	v_lshlrev_b64 v[14:15], 3, v[14:15]
	v_ashrrev_i32_e32 v17, 31, v16
	v_lshlrev_b64 v[16:17], 3, v[16:17]
	s_waitcnt vmcnt(0)
	v_add_co_u32 v21, vcc_lo, v4, s0
	v_add_co_ci_u32_e64 v22, null, s1, v5, vcc_lo
	s_lshl_b32 s0, s6, 6
	v_add_co_u32 v8, vcc_lo, v21, v20
	v_add_co_ci_u32_e64 v9, null, 0, v22, vcc_lo
	v_add_co_u32 v4, vcc_lo, v21, v6
	v_add_co_ci_u32_e64 v5, null, v22, v7, vcc_lo
	;; [unrolled: 2-line block ×8, first 2 shown]
	s_clause 0x7
	flat_load_dwordx2 v[30:31], v[8:9]
	flat_load_dwordx2 v[32:33], v[18:19]
	flat_load_dwordx2 v[20:21], v[4:5]
	flat_load_dwordx2 v[22:23], v[6:7]
	flat_load_dwordx2 v[24:25], v[10:11]
	flat_load_dwordx2 v[26:27], v[12:13]
	flat_load_dwordx2 v[28:29], v[14:15]
	flat_load_dwordx2 v[34:35], v[16:17]
	v_add3_u32 v1, 0, s0, v36
	v_cmp_ne_u32_e64 s1, 0, v0
	v_cmp_eq_u32_e64 s0, 0, v0
	s_and_saveexec_b32 s2, s0
	s_cbranch_execz .LBB15_4
; %bb.2:
	s_waitcnt vmcnt(7) lgkmcnt(7)
	ds_write_b64 v1, v[30:31]
	s_waitcnt vmcnt(5) lgkmcnt(6)
	ds_write2_b64 v50, v[32:33], v[20:21] offset0:1 offset1:2
	s_waitcnt vmcnt(3) lgkmcnt(5)
	ds_write2_b64 v50, v[22:23], v[24:25] offset0:3 offset1:4
	s_waitcnt vmcnt(1) lgkmcnt(4)
	ds_write2_b64 v50, v[26:27], v[28:29] offset0:5 offset1:6
	s_waitcnt vmcnt(0) lgkmcnt(4)
	ds_write_b64 v50, v[34:35] offset:56
	ds_read_b64 v[36:37], v1
	s_waitcnt lgkmcnt(0)
	v_cmp_neq_f64_e32 vcc_lo, 0, v[36:37]
	s_and_b32 exec_lo, exec_lo, vcc_lo
	s_cbranch_execz .LBB15_4
; %bb.3:
	v_div_scale_f64 v[38:39], null, v[36:37], v[36:37], 1.0
	v_rcp_f64_e32 v[40:41], v[38:39]
	v_fma_f64 v[42:43], -v[38:39], v[40:41], 1.0
	v_fma_f64 v[40:41], v[40:41], v[42:43], v[40:41]
	v_fma_f64 v[42:43], -v[38:39], v[40:41], 1.0
	v_fma_f64 v[40:41], v[40:41], v[42:43], v[40:41]
	v_div_scale_f64 v[42:43], vcc_lo, 1.0, v[36:37], 1.0
	v_mul_f64 v[44:45], v[42:43], v[40:41]
	v_fma_f64 v[38:39], -v[38:39], v[44:45], v[42:43]
	v_div_fmas_f64 v[38:39], v[38:39], v[40:41], v[44:45]
	v_div_fixup_f64 v[36:37], v[38:39], v[36:37], 1.0
	ds_write_b64 v1, v[36:37]
.LBB15_4:
	s_or_b32 exec_lo, exec_lo, s2
	s_waitcnt vmcnt(0) lgkmcnt(0)
	s_barrier
	buffer_gl0_inv
	ds_read_b64 v[36:37], v1
	s_and_saveexec_b32 s2, s1
	s_cbranch_execz .LBB15_6
; %bb.5:
	s_waitcnt lgkmcnt(0)
	v_mul_f64 v[30:31], v[30:31], v[36:37]
	ds_read2_b64 v[38:41], v50 offset0:1 offset1:2
	ds_read2_b64 v[42:45], v50 offset0:3 offset1:4
	;; [unrolled: 1-line block ×3, first 2 shown]
	ds_read_b64 v[51:52], v50 offset:56
	s_waitcnt lgkmcnt(3)
	v_fma_f64 v[32:33], -v[30:31], v[38:39], v[32:33]
	v_fma_f64 v[20:21], -v[30:31], v[40:41], v[20:21]
	s_waitcnt lgkmcnt(2)
	v_fma_f64 v[22:23], -v[30:31], v[42:43], v[22:23]
	v_fma_f64 v[24:25], -v[30:31], v[44:45], v[24:25]
	;; [unrolled: 3-line block ×3, first 2 shown]
	s_waitcnt lgkmcnt(0)
	v_fma_f64 v[34:35], -v[30:31], v[51:52], v[34:35]
.LBB15_6:
	s_or_b32 exec_lo, exec_lo, s2
	s_mov_b32 s1, exec_lo
	s_waitcnt lgkmcnt(0)
	s_barrier
	buffer_gl0_inv
	v_cmpx_eq_u32_e32 1, v0
	s_cbranch_execz .LBB15_9
; %bb.7:
	ds_write_b64 v1, v[32:33]
	ds_write2_b64 v50, v[20:21], v[22:23] offset0:2 offset1:3
	ds_write2_b64 v50, v[24:25], v[26:27] offset0:4 offset1:5
	;; [unrolled: 1-line block ×3, first 2 shown]
	ds_read_b64 v[38:39], v1
	s_waitcnt lgkmcnt(0)
	v_cmp_neq_f64_e32 vcc_lo, 0, v[38:39]
	s_and_b32 exec_lo, exec_lo, vcc_lo
	s_cbranch_execz .LBB15_9
; %bb.8:
	v_div_scale_f64 v[40:41], null, v[38:39], v[38:39], 1.0
	v_rcp_f64_e32 v[42:43], v[40:41]
	v_fma_f64 v[44:45], -v[40:41], v[42:43], 1.0
	v_fma_f64 v[42:43], v[42:43], v[44:45], v[42:43]
	v_fma_f64 v[44:45], -v[40:41], v[42:43], 1.0
	v_fma_f64 v[42:43], v[42:43], v[44:45], v[42:43]
	v_div_scale_f64 v[44:45], vcc_lo, 1.0, v[38:39], 1.0
	v_mul_f64 v[46:47], v[44:45], v[42:43]
	v_fma_f64 v[40:41], -v[40:41], v[46:47], v[44:45]
	v_div_fmas_f64 v[40:41], v[40:41], v[42:43], v[46:47]
	v_div_fixup_f64 v[38:39], v[40:41], v[38:39], 1.0
	ds_write_b64 v1, v[38:39]
.LBB15_9:
	s_or_b32 exec_lo, exec_lo, s1
	s_waitcnt lgkmcnt(0)
	s_barrier
	buffer_gl0_inv
	ds_read_b64 v[38:39], v1
	s_mov_b32 s1, exec_lo
	v_cmpx_lt_u32_e32 1, v0
	s_cbranch_execz .LBB15_11
; %bb.10:
	s_waitcnt lgkmcnt(0)
	v_mul_f64 v[32:33], v[32:33], v[38:39]
	ds_read2_b64 v[40:43], v50 offset0:2 offset1:3
	ds_read2_b64 v[44:47], v50 offset0:4 offset1:5
	;; [unrolled: 1-line block ×3, first 2 shown]
	s_waitcnt lgkmcnt(2)
	v_fma_f64 v[20:21], -v[32:33], v[40:41], v[20:21]
	v_fma_f64 v[22:23], -v[32:33], v[42:43], v[22:23]
	s_waitcnt lgkmcnt(1)
	v_fma_f64 v[24:25], -v[32:33], v[44:45], v[24:25]
	v_fma_f64 v[26:27], -v[32:33], v[46:47], v[26:27]
	;; [unrolled: 3-line block ×3, first 2 shown]
.LBB15_11:
	s_or_b32 exec_lo, exec_lo, s1
	s_mov_b32 s1, exec_lo
	s_waitcnt lgkmcnt(0)
	s_barrier
	buffer_gl0_inv
	v_cmpx_eq_u32_e32 2, v0
	s_cbranch_execz .LBB15_14
; %bb.12:
	ds_write_b64 v1, v[20:21]
	ds_write2_b64 v50, v[22:23], v[24:25] offset0:3 offset1:4
	ds_write2_b64 v50, v[26:27], v[28:29] offset0:5 offset1:6
	ds_write_b64 v50, v[34:35] offset:56
	ds_read_b64 v[40:41], v1
	s_waitcnt lgkmcnt(0)
	v_cmp_neq_f64_e32 vcc_lo, 0, v[40:41]
	s_and_b32 exec_lo, exec_lo, vcc_lo
	s_cbranch_execz .LBB15_14
; %bb.13:
	v_div_scale_f64 v[42:43], null, v[40:41], v[40:41], 1.0
	v_rcp_f64_e32 v[44:45], v[42:43]
	v_fma_f64 v[46:47], -v[42:43], v[44:45], 1.0
	v_fma_f64 v[44:45], v[44:45], v[46:47], v[44:45]
	v_fma_f64 v[46:47], -v[42:43], v[44:45], 1.0
	v_fma_f64 v[44:45], v[44:45], v[46:47], v[44:45]
	v_div_scale_f64 v[46:47], vcc_lo, 1.0, v[40:41], 1.0
	v_mul_f64 v[48:49], v[46:47], v[44:45]
	v_fma_f64 v[42:43], -v[42:43], v[48:49], v[46:47]
	v_div_fmas_f64 v[42:43], v[42:43], v[44:45], v[48:49]
	v_div_fixup_f64 v[40:41], v[42:43], v[40:41], 1.0
	ds_write_b64 v1, v[40:41]
.LBB15_14:
	s_or_b32 exec_lo, exec_lo, s1
	s_waitcnt lgkmcnt(0)
	s_barrier
	buffer_gl0_inv
	ds_read_b64 v[40:41], v1
	s_mov_b32 s1, exec_lo
	v_cmpx_lt_u32_e32 2, v0
	s_cbranch_execz .LBB15_16
; %bb.15:
	s_waitcnt lgkmcnt(0)
	v_mul_f64 v[20:21], v[20:21], v[40:41]
	ds_read2_b64 v[42:45], v50 offset0:3 offset1:4
	ds_read2_b64 v[46:49], v50 offset0:5 offset1:6
	ds_read_b64 v[51:52], v50 offset:56
	s_waitcnt lgkmcnt(2)
	v_fma_f64 v[22:23], -v[20:21], v[42:43], v[22:23]
	v_fma_f64 v[24:25], -v[20:21], v[44:45], v[24:25]
	s_waitcnt lgkmcnt(1)
	v_fma_f64 v[26:27], -v[20:21], v[46:47], v[26:27]
	v_fma_f64 v[28:29], -v[20:21], v[48:49], v[28:29]
	s_waitcnt lgkmcnt(0)
	v_fma_f64 v[34:35], -v[20:21], v[51:52], v[34:35]
.LBB15_16:
	s_or_b32 exec_lo, exec_lo, s1
	s_mov_b32 s1, exec_lo
	s_waitcnt lgkmcnt(0)
	s_barrier
	buffer_gl0_inv
	v_cmpx_eq_u32_e32 3, v0
	s_cbranch_execz .LBB15_19
; %bb.17:
	ds_write_b64 v1, v[22:23]
	ds_write2_b64 v50, v[24:25], v[26:27] offset0:4 offset1:5
	ds_write2_b64 v50, v[28:29], v[34:35] offset0:6 offset1:7
	ds_read_b64 v[42:43], v1
	s_waitcnt lgkmcnt(0)
	v_cmp_neq_f64_e32 vcc_lo, 0, v[42:43]
	s_and_b32 exec_lo, exec_lo, vcc_lo
	s_cbranch_execz .LBB15_19
; %bb.18:
	v_div_scale_f64 v[44:45], null, v[42:43], v[42:43], 1.0
	v_rcp_f64_e32 v[46:47], v[44:45]
	v_fma_f64 v[48:49], -v[44:45], v[46:47], 1.0
	v_fma_f64 v[46:47], v[46:47], v[48:49], v[46:47]
	v_fma_f64 v[48:49], -v[44:45], v[46:47], 1.0
	v_fma_f64 v[46:47], v[46:47], v[48:49], v[46:47]
	v_div_scale_f64 v[48:49], vcc_lo, 1.0, v[42:43], 1.0
	v_mul_f64 v[51:52], v[48:49], v[46:47]
	v_fma_f64 v[44:45], -v[44:45], v[51:52], v[48:49]
	v_div_fmas_f64 v[44:45], v[44:45], v[46:47], v[51:52]
	v_div_fixup_f64 v[42:43], v[44:45], v[42:43], 1.0
	ds_write_b64 v1, v[42:43]
.LBB15_19:
	s_or_b32 exec_lo, exec_lo, s1
	s_waitcnt lgkmcnt(0)
	s_barrier
	buffer_gl0_inv
	ds_read_b64 v[42:43], v1
	s_mov_b32 s1, exec_lo
	v_cmpx_lt_u32_e32 3, v0
	s_cbranch_execz .LBB15_21
; %bb.20:
	s_waitcnt lgkmcnt(0)
	v_mul_f64 v[22:23], v[22:23], v[42:43]
	ds_read2_b64 v[44:47], v50 offset0:4 offset1:5
	ds_read2_b64 v[51:54], v50 offset0:6 offset1:7
	s_waitcnt lgkmcnt(1)
	v_fma_f64 v[24:25], -v[22:23], v[44:45], v[24:25]
	v_fma_f64 v[26:27], -v[22:23], v[46:47], v[26:27]
	s_waitcnt lgkmcnt(0)
	v_fma_f64 v[28:29], -v[22:23], v[51:52], v[28:29]
	v_fma_f64 v[34:35], -v[22:23], v[53:54], v[34:35]
.LBB15_21:
	s_or_b32 exec_lo, exec_lo, s1
	s_mov_b32 s1, exec_lo
	s_waitcnt lgkmcnt(0)
	s_barrier
	buffer_gl0_inv
	v_cmpx_eq_u32_e32 4, v0
	s_cbranch_execz .LBB15_24
; %bb.22:
	ds_write_b64 v1, v[24:25]
	ds_write2_b64 v50, v[26:27], v[28:29] offset0:5 offset1:6
	ds_write_b64 v50, v[34:35] offset:56
	ds_read_b64 v[44:45], v1
	s_waitcnt lgkmcnt(0)
	v_cmp_neq_f64_e32 vcc_lo, 0, v[44:45]
	s_and_b32 exec_lo, exec_lo, vcc_lo
	s_cbranch_execz .LBB15_24
; %bb.23:
	v_div_scale_f64 v[46:47], null, v[44:45], v[44:45], 1.0
	v_rcp_f64_e32 v[48:49], v[46:47]
	v_fma_f64 v[51:52], -v[46:47], v[48:49], 1.0
	v_fma_f64 v[48:49], v[48:49], v[51:52], v[48:49]
	v_fma_f64 v[51:52], -v[46:47], v[48:49], 1.0
	v_fma_f64 v[48:49], v[48:49], v[51:52], v[48:49]
	v_div_scale_f64 v[51:52], vcc_lo, 1.0, v[44:45], 1.0
	v_mul_f64 v[53:54], v[51:52], v[48:49]
	v_fma_f64 v[46:47], -v[46:47], v[53:54], v[51:52]
	v_div_fmas_f64 v[46:47], v[46:47], v[48:49], v[53:54]
	v_div_fixup_f64 v[44:45], v[46:47], v[44:45], 1.0
	ds_write_b64 v1, v[44:45]
.LBB15_24:
	s_or_b32 exec_lo, exec_lo, s1
	s_waitcnt lgkmcnt(0)
	s_barrier
	buffer_gl0_inv
	ds_read_b64 v[44:45], v1
	s_mov_b32 s1, exec_lo
	v_cmpx_lt_u32_e32 4, v0
	s_cbranch_execz .LBB15_26
; %bb.25:
	s_waitcnt lgkmcnt(0)
	v_mul_f64 v[24:25], v[24:25], v[44:45]
	ds_read2_b64 v[46:49], v50 offset0:5 offset1:6
	ds_read_b64 v[51:52], v50 offset:56
	s_waitcnt lgkmcnt(1)
	v_fma_f64 v[26:27], -v[24:25], v[46:47], v[26:27]
	v_fma_f64 v[28:29], -v[24:25], v[48:49], v[28:29]
	s_waitcnt lgkmcnt(0)
	v_fma_f64 v[34:35], -v[24:25], v[51:52], v[34:35]
.LBB15_26:
	s_or_b32 exec_lo, exec_lo, s1
	s_mov_b32 s1, exec_lo
	s_waitcnt lgkmcnt(0)
	s_barrier
	buffer_gl0_inv
	v_cmpx_eq_u32_e32 5, v0
	s_cbranch_execz .LBB15_29
; %bb.27:
	ds_write_b64 v1, v[26:27]
	ds_write2_b64 v50, v[28:29], v[34:35] offset0:6 offset1:7
	ds_read_b64 v[46:47], v1
	s_waitcnt lgkmcnt(0)
	v_cmp_neq_f64_e32 vcc_lo, 0, v[46:47]
	s_and_b32 exec_lo, exec_lo, vcc_lo
	s_cbranch_execz .LBB15_29
; %bb.28:
	v_div_scale_f64 v[48:49], null, v[46:47], v[46:47], 1.0
	v_rcp_f64_e32 v[51:52], v[48:49]
	v_fma_f64 v[53:54], -v[48:49], v[51:52], 1.0
	v_fma_f64 v[51:52], v[51:52], v[53:54], v[51:52]
	v_fma_f64 v[53:54], -v[48:49], v[51:52], 1.0
	v_fma_f64 v[51:52], v[51:52], v[53:54], v[51:52]
	v_div_scale_f64 v[53:54], vcc_lo, 1.0, v[46:47], 1.0
	v_mul_f64 v[55:56], v[53:54], v[51:52]
	v_fma_f64 v[48:49], -v[48:49], v[55:56], v[53:54]
	v_div_fmas_f64 v[48:49], v[48:49], v[51:52], v[55:56]
	v_div_fixup_f64 v[46:47], v[48:49], v[46:47], 1.0
	ds_write_b64 v1, v[46:47]
.LBB15_29:
	s_or_b32 exec_lo, exec_lo, s1
	s_waitcnt lgkmcnt(0)
	s_barrier
	buffer_gl0_inv
	ds_read_b64 v[46:47], v1
	s_mov_b32 s1, exec_lo
	v_cmpx_lt_u32_e32 5, v0
	s_cbranch_execz .LBB15_31
; %bb.30:
	s_waitcnt lgkmcnt(0)
	v_mul_f64 v[26:27], v[26:27], v[46:47]
	ds_read2_b64 v[51:54], v50 offset0:6 offset1:7
	s_waitcnt lgkmcnt(0)
	v_fma_f64 v[28:29], -v[26:27], v[51:52], v[28:29]
	v_fma_f64 v[34:35], -v[26:27], v[53:54], v[34:35]
.LBB15_31:
	s_or_b32 exec_lo, exec_lo, s1
	s_mov_b32 s1, exec_lo
	s_waitcnt lgkmcnt(0)
	s_barrier
	buffer_gl0_inv
	v_cmpx_eq_u32_e32 6, v0
	s_cbranch_execz .LBB15_34
; %bb.32:
	ds_write_b64 v1, v[28:29]
	ds_write_b64 v50, v[34:35] offset:56
	ds_read_b64 v[48:49], v1
	s_waitcnt lgkmcnt(0)
	v_cmp_neq_f64_e32 vcc_lo, 0, v[48:49]
	s_and_b32 exec_lo, exec_lo, vcc_lo
	s_cbranch_execz .LBB15_34
; %bb.33:
	v_div_scale_f64 v[51:52], null, v[48:49], v[48:49], 1.0
	v_rcp_f64_e32 v[53:54], v[51:52]
	v_fma_f64 v[55:56], -v[51:52], v[53:54], 1.0
	v_fma_f64 v[53:54], v[53:54], v[55:56], v[53:54]
	v_fma_f64 v[55:56], -v[51:52], v[53:54], 1.0
	v_fma_f64 v[53:54], v[53:54], v[55:56], v[53:54]
	v_div_scale_f64 v[55:56], vcc_lo, 1.0, v[48:49], 1.0
	v_mul_f64 v[57:58], v[55:56], v[53:54]
	v_fma_f64 v[51:52], -v[51:52], v[57:58], v[55:56]
	v_div_fmas_f64 v[51:52], v[51:52], v[53:54], v[57:58]
	v_div_fixup_f64 v[48:49], v[51:52], v[48:49], 1.0
	ds_write_b64 v1, v[48:49]
.LBB15_34:
	s_or_b32 exec_lo, exec_lo, s1
	s_waitcnt lgkmcnt(0)
	s_barrier
	buffer_gl0_inv
	ds_read_b64 v[48:49], v1
	s_mov_b32 s1, exec_lo
	v_cmpx_lt_u32_e32 6, v0
	s_cbranch_execz .LBB15_36
; %bb.35:
	s_waitcnt lgkmcnt(0)
	v_mul_f64 v[28:29], v[28:29], v[48:49]
	ds_read_b64 v[50:51], v50 offset:56
	s_waitcnt lgkmcnt(0)
	v_fma_f64 v[34:35], -v[28:29], v[50:51], v[34:35]
.LBB15_36:
	s_or_b32 exec_lo, exec_lo, s1
	s_mov_b32 s1, exec_lo
	s_waitcnt lgkmcnt(0)
	s_barrier
	buffer_gl0_inv
	v_cmpx_ne_u32_e32 7, v0
	s_xor_b32 s1, exec_lo, s1
	s_andn2_saveexec_b32 s1, s1
	s_cbranch_execz .LBB15_40
; %bb.37:
	s_mov_b32 s2, exec_lo
	ds_write_b64 v1, v[34:35]
	v_cmpx_neq_f64_e32 0, v[34:35]
	s_cbranch_execz .LBB15_39
; %bb.38:
	v_div_scale_f64 v[50:51], null, v[34:35], v[34:35], 1.0
	v_rcp_f64_e32 v[52:53], v[50:51]
	v_fma_f64 v[54:55], -v[50:51], v[52:53], 1.0
	v_fma_f64 v[52:53], v[52:53], v[54:55], v[52:53]
	v_fma_f64 v[54:55], -v[50:51], v[52:53], 1.0
	v_fma_f64 v[52:53], v[52:53], v[54:55], v[52:53]
	v_div_scale_f64 v[54:55], vcc_lo, 1.0, v[34:35], 1.0
	v_mul_f64 v[56:57], v[54:55], v[52:53]
	v_fma_f64 v[50:51], -v[50:51], v[56:57], v[54:55]
	v_div_fmas_f64 v[50:51], v[50:51], v[52:53], v[56:57]
	v_div_fixup_f64 v[50:51], v[50:51], v[34:35], 1.0
	ds_write_b64 v1, v[50:51]
.LBB15_39:
	s_or_b32 exec_lo, exec_lo, s2
.LBB15_40:
	s_or_b32 exec_lo, exec_lo, s1
	s_waitcnt lgkmcnt(0)
	s_barrier
	buffer_gl0_inv
	ds_read_b64 v[50:51], v1
	s_waitcnt lgkmcnt(0)
	s_barrier
	buffer_gl0_inv
	s_and_saveexec_b32 s3, s0
	s_cbranch_execz .LBB15_43
; %bb.41:
	s_load_dwordx2 s[0:1], s[4:5], 0x28
	v_lshlrev_b64 v[1:2], 2, v[2:3]
	v_cmp_eq_f64_e64 s2, 0, v[42:43]
	s_waitcnt lgkmcnt(0)
	v_add_co_u32 v1, vcc_lo, s0, v1
	v_add_co_ci_u32_e64 v2, null, s1, v2, vcc_lo
	v_cmp_eq_f64_e32 vcc_lo, 0, v[36:37]
	v_cmp_neq_f64_e64 s0, 0, v[38:39]
	v_cmp_eq_f64_e64 s1, 0, v[40:41]
	global_load_dword v52, v[1:2], off
	v_cndmask_b32_e64 v3, 0, 1, vcc_lo
	s_or_b32 vcc_lo, s0, vcc_lo
	v_cmp_eq_f64_e64 s0, 0, v[44:45]
	v_cndmask_b32_e32 v3, 2, v3, vcc_lo
	v_cmp_eq_u32_e32 vcc_lo, 0, v3
	s_and_b32 s1, s1, vcc_lo
	v_cndmask_b32_e64 v3, v3, 3, s1
	v_cmp_eq_f64_e64 s1, 0, v[46:47]
	v_cmp_eq_u32_e32 vcc_lo, 0, v3
	s_and_b32 s2, s2, vcc_lo
	v_cndmask_b32_e64 v3, v3, 4, s2
	v_cmp_eq_f64_e64 s2, 0, v[48:49]
	;; [unrolled: 4-line block ×3, first 2 shown]
	v_cmp_eq_u32_e32 vcc_lo, 0, v3
	s_and_b32 s1, s1, vcc_lo
	v_cndmask_b32_e64 v3, v3, 6, s1
	v_cmp_eq_u32_e32 vcc_lo, 0, v3
	s_and_b32 s1, s2, vcc_lo
	v_cndmask_b32_e64 v3, v3, 7, s1
	;; [unrolled: 3-line block ×3, first 2 shown]
	v_cmp_ne_u32_e64 s0, 0, v3
	s_waitcnt vmcnt(0)
	v_cmp_eq_u32_e32 vcc_lo, 0, v52
	s_and_b32 s0, vcc_lo, s0
	s_and_b32 exec_lo, exec_lo, s0
	s_cbranch_execz .LBB15_43
; %bb.42:
	v_add_nc_u32_e32 v3, s9, v3
	global_store_dword v[1:2], v3, off
.LBB15_43:
	s_or_b32 exec_lo, exec_lo, s3
	v_mul_f64 v[1:2], v[34:35], v[50:51]
	v_cmp_lt_u32_e32 vcc_lo, 7, v0
	flat_store_dwordx2 v[8:9], v[30:31]
	flat_store_dwordx2 v[18:19], v[32:33]
	v_cndmask_b32_e32 v2, v35, v2, vcc_lo
	v_cndmask_b32_e32 v1, v34, v1, vcc_lo
	flat_store_dwordx2 v[4:5], v[20:21]
	flat_store_dwordx2 v[6:7], v[22:23]
	;; [unrolled: 1-line block ×6, first 2 shown]
.LBB15_44:
	s_endpgm
	.section	.rodata,"a",@progbits
	.p2align	6, 0x0
	.amdhsa_kernel _ZN9rocsolver6v33100L23getf2_npvt_small_kernelILi8EdiiPKPdEEvT1_T3_lS5_lPT2_S5_S5_
		.amdhsa_group_segment_fixed_size 0
		.amdhsa_private_segment_fixed_size 0
		.amdhsa_kernarg_size 312
		.amdhsa_user_sgpr_count 6
		.amdhsa_user_sgpr_private_segment_buffer 1
		.amdhsa_user_sgpr_dispatch_ptr 0
		.amdhsa_user_sgpr_queue_ptr 0
		.amdhsa_user_sgpr_kernarg_segment_ptr 1
		.amdhsa_user_sgpr_dispatch_id 0
		.amdhsa_user_sgpr_flat_scratch_init 0
		.amdhsa_user_sgpr_private_segment_size 0
		.amdhsa_wavefront_size32 1
		.amdhsa_uses_dynamic_stack 0
		.amdhsa_system_sgpr_private_segment_wavefront_offset 0
		.amdhsa_system_sgpr_workgroup_id_x 1
		.amdhsa_system_sgpr_workgroup_id_y 1
		.amdhsa_system_sgpr_workgroup_id_z 0
		.amdhsa_system_sgpr_workgroup_info 0
		.amdhsa_system_vgpr_workitem_id 1
		.amdhsa_next_free_vgpr 59
		.amdhsa_next_free_sgpr 12
		.amdhsa_reserve_vcc 1
		.amdhsa_reserve_flat_scratch 1
		.amdhsa_float_round_mode_32 0
		.amdhsa_float_round_mode_16_64 0
		.amdhsa_float_denorm_mode_32 3
		.amdhsa_float_denorm_mode_16_64 3
		.amdhsa_dx10_clamp 1
		.amdhsa_ieee_mode 1
		.amdhsa_fp16_overflow 0
		.amdhsa_workgroup_processor_mode 1
		.amdhsa_memory_ordered 1
		.amdhsa_forward_progress 1
		.amdhsa_shared_vgpr_count 0
		.amdhsa_exception_fp_ieee_invalid_op 0
		.amdhsa_exception_fp_denorm_src 0
		.amdhsa_exception_fp_ieee_div_zero 0
		.amdhsa_exception_fp_ieee_overflow 0
		.amdhsa_exception_fp_ieee_underflow 0
		.amdhsa_exception_fp_ieee_inexact 0
		.amdhsa_exception_int_div_zero 0
	.end_amdhsa_kernel
	.section	.text._ZN9rocsolver6v33100L23getf2_npvt_small_kernelILi8EdiiPKPdEEvT1_T3_lS5_lPT2_S5_S5_,"axG",@progbits,_ZN9rocsolver6v33100L23getf2_npvt_small_kernelILi8EdiiPKPdEEvT1_T3_lS5_lPT2_S5_S5_,comdat
.Lfunc_end15:
	.size	_ZN9rocsolver6v33100L23getf2_npvt_small_kernelILi8EdiiPKPdEEvT1_T3_lS5_lPT2_S5_S5_, .Lfunc_end15-_ZN9rocsolver6v33100L23getf2_npvt_small_kernelILi8EdiiPKPdEEvT1_T3_lS5_lPT2_S5_S5_
                                        ; -- End function
	.set _ZN9rocsolver6v33100L23getf2_npvt_small_kernelILi8EdiiPKPdEEvT1_T3_lS5_lPT2_S5_S5_.num_vgpr, 59
	.set _ZN9rocsolver6v33100L23getf2_npvt_small_kernelILi8EdiiPKPdEEvT1_T3_lS5_lPT2_S5_S5_.num_agpr, 0
	.set _ZN9rocsolver6v33100L23getf2_npvt_small_kernelILi8EdiiPKPdEEvT1_T3_lS5_lPT2_S5_S5_.numbered_sgpr, 12
	.set _ZN9rocsolver6v33100L23getf2_npvt_small_kernelILi8EdiiPKPdEEvT1_T3_lS5_lPT2_S5_S5_.num_named_barrier, 0
	.set _ZN9rocsolver6v33100L23getf2_npvt_small_kernelILi8EdiiPKPdEEvT1_T3_lS5_lPT2_S5_S5_.private_seg_size, 0
	.set _ZN9rocsolver6v33100L23getf2_npvt_small_kernelILi8EdiiPKPdEEvT1_T3_lS5_lPT2_S5_S5_.uses_vcc, 1
	.set _ZN9rocsolver6v33100L23getf2_npvt_small_kernelILi8EdiiPKPdEEvT1_T3_lS5_lPT2_S5_S5_.uses_flat_scratch, 1
	.set _ZN9rocsolver6v33100L23getf2_npvt_small_kernelILi8EdiiPKPdEEvT1_T3_lS5_lPT2_S5_S5_.has_dyn_sized_stack, 0
	.set _ZN9rocsolver6v33100L23getf2_npvt_small_kernelILi8EdiiPKPdEEvT1_T3_lS5_lPT2_S5_S5_.has_recursion, 0
	.set _ZN9rocsolver6v33100L23getf2_npvt_small_kernelILi8EdiiPKPdEEvT1_T3_lS5_lPT2_S5_S5_.has_indirect_call, 0
	.section	.AMDGPU.csdata,"",@progbits
; Kernel info:
; codeLenInByte = 3032
; TotalNumSgprs: 14
; NumVgprs: 59
; ScratchSize: 0
; MemoryBound: 0
; FloatMode: 240
; IeeeMode: 1
; LDSByteSize: 0 bytes/workgroup (compile time only)
; SGPRBlocks: 0
; VGPRBlocks: 7
; NumSGPRsForWavesPerEU: 14
; NumVGPRsForWavesPerEU: 59
; Occupancy: 16
; WaveLimiterHint : 1
; COMPUTE_PGM_RSRC2:SCRATCH_EN: 0
; COMPUTE_PGM_RSRC2:USER_SGPR: 6
; COMPUTE_PGM_RSRC2:TRAP_HANDLER: 0
; COMPUTE_PGM_RSRC2:TGID_X_EN: 1
; COMPUTE_PGM_RSRC2:TGID_Y_EN: 1
; COMPUTE_PGM_RSRC2:TGID_Z_EN: 0
; COMPUTE_PGM_RSRC2:TIDIG_COMP_CNT: 1
	.section	.text._ZN9rocsolver6v33100L18getf2_small_kernelILi9EdiiPKPdEEvT1_T3_lS5_lPS5_llPT2_S5_S5_S7_l,"axG",@progbits,_ZN9rocsolver6v33100L18getf2_small_kernelILi9EdiiPKPdEEvT1_T3_lS5_lPS5_llPT2_S5_S5_S7_l,comdat
	.globl	_ZN9rocsolver6v33100L18getf2_small_kernelILi9EdiiPKPdEEvT1_T3_lS5_lPS5_llPT2_S5_S5_S7_l ; -- Begin function _ZN9rocsolver6v33100L18getf2_small_kernelILi9EdiiPKPdEEvT1_T3_lS5_lPS5_llPT2_S5_S5_S7_l
	.p2align	8
	.type	_ZN9rocsolver6v33100L18getf2_small_kernelILi9EdiiPKPdEEvT1_T3_lS5_lPS5_llPT2_S5_S5_S7_l,@function
_ZN9rocsolver6v33100L18getf2_small_kernelILi9EdiiPKPdEEvT1_T3_lS5_lPS5_llPT2_S5_S5_S7_l: ; @_ZN9rocsolver6v33100L18getf2_small_kernelILi9EdiiPKPdEEvT1_T3_lS5_lPS5_llPT2_S5_S5_S7_l
; %bb.0:
	s_clause 0x1
	s_load_dword s0, s[4:5], 0x6c
	s_load_dwordx2 s[12:13], s[4:5], 0x48
	s_waitcnt lgkmcnt(0)
	s_lshr_b32 s0, s0, 16
	v_mad_u64_u32 v[2:3], null, s7, s0, v[1:2]
	s_mov_b32 s0, exec_lo
	v_cmpx_gt_i32_e64 s12, v2
	s_cbranch_execz .LBB16_150
; %bb.1:
	s_clause 0x1
	s_load_dwordx4 s[0:3], s[4:5], 0x8
	s_load_dwordx4 s[8:11], s[4:5], 0x50
	v_ashrrev_i32_e32 v3, 31, v2
	v_mov_b32_e32 v22, 0
	v_mov_b32_e32 v23, 0
	v_lshlrev_b64 v[4:5], 3, v[2:3]
	s_waitcnt lgkmcnt(0)
	v_add_co_u32 v4, vcc_lo, s0, v4
	v_add_co_ci_u32_e64 v5, null, s1, v5, vcc_lo
	s_cmp_eq_u64 s[8:9], 0
	s_cselect_b32 s6, -1, 0
	global_load_dwordx2 v[4:5], v[4:5], off
	s_and_b32 vcc_lo, exec_lo, s6
	s_cbranch_vccnz .LBB16_3
; %bb.2:
	v_mul_lo_u32 v8, s11, v2
	v_mul_lo_u32 v9, s10, v3
	v_mad_u64_u32 v[6:7], null, s10, v2, 0
	v_add3_u32 v7, v7, v9, v8
	v_lshlrev_b64 v[6:7], 2, v[6:7]
	v_add_co_u32 v22, vcc_lo, s8, v6
	v_add_co_ci_u32_e64 v23, null, s9, v7, vcc_lo
.LBB16_3:
	s_load_dword s8, s[4:5], 0x18
	s_lshl_b64 s[0:1], s[2:3], 3
	s_load_dword s2, s[4:5], 0x0
	s_waitcnt vmcnt(0)
	v_add_co_u32 v28, vcc_lo, v4, s0
	v_lshlrev_b32_e32 v31, 3, v0
	v_add_co_ci_u32_e64 v29, null, s1, v5, vcc_lo
	v_add_co_u32 v8, vcc_lo, v28, v31
	v_add_co_ci_u32_e64 v9, null, 0, v29, vcc_lo
	s_waitcnt lgkmcnt(0)
	v_add3_u32 v6, s8, s8, v0
	s_ashr_i32 s9, s8, 31
	s_max_i32 s0, s2, 9
	s_lshl_b64 s[10:11], s[8:9], 3
	v_mul_lo_u32 v1, s0, v1
	v_add_nc_u32_e32 v4, s8, v6
	v_ashrrev_i32_e32 v7, 31, v6
	v_add_co_u32 v12, vcc_lo, v8, s10
	v_add_co_ci_u32_e64 v13, null, s11, v9, vcc_lo
	v_add_nc_u32_e32 v10, s8, v4
	v_ashrrev_i32_e32 v5, 31, v4
	v_lshlrev_b64 v[6:7], 3, v[6:7]
	v_lshl_add_u32 v30, v1, 3, 0
	s_cmp_lt_i32 s2, 2
	v_add_nc_u32_e32 v14, s8, v10
	v_lshlrev_b64 v[4:5], 3, v[4:5]
	v_ashrrev_i32_e32 v11, 31, v10
	v_add_co_u32 v6, vcc_lo, v28, v6
	v_add_nc_u32_e32 v20, s8, v14
	v_ashrrev_i32_e32 v15, 31, v14
	v_add_co_ci_u32_e64 v7, null, v29, v7, vcc_lo
	v_add_co_u32 v4, vcc_lo, v28, v4
	v_add_nc_u32_e32 v26, s8, v20
	v_ashrrev_i32_e32 v21, 31, v20
	v_lshlrev_b64 v[10:11], 3, v[10:11]
	v_add_co_ci_u32_e64 v5, null, v29, v5, vcc_lo
	v_lshlrev_b64 v[24:25], 3, v[14:15]
	s_clause 0x3
	flat_load_dwordx2 v[18:19], v[8:9]
	flat_load_dwordx2 v[16:17], v[12:13]
	flat_load_dwordx2 v[14:15], v[6:7]
	flat_load_dwordx2 v[12:13], v[4:5]
	v_add_nc_u32_e32 v8, s8, v26
	v_lshlrev_b64 v[6:7], 3, v[20:21]
	v_ashrrev_i32_e32 v27, 31, v26
	v_add_co_u32 v4, vcc_lo, v28, v10
	v_ashrrev_i32_e32 v9, 31, v8
	v_add_co_ci_u32_e64 v5, null, v29, v11, vcc_lo
	v_add_co_u32 v10, vcc_lo, v28, v24
	v_add_co_ci_u32_e64 v11, null, v29, v25, vcc_lo
	v_lshlrev_b64 v[20:21], 3, v[26:27]
	v_add_co_u32 v24, vcc_lo, v28, v6
	v_add_co_ci_u32_e64 v25, null, v29, v7, vcc_lo
	v_lshlrev_b64 v[6:7], 3, v[8:9]
	v_add_co_u32 v20, vcc_lo, v28, v20
	v_add_co_ci_u32_e64 v21, null, v29, v21, vcc_lo
	v_add_co_u32 v26, vcc_lo, v28, v6
	v_add_co_ci_u32_e64 v27, null, v29, v7, vcc_lo
	s_clause 0x4
	flat_load_dwordx2 v[4:5], v[4:5]
	flat_load_dwordx2 v[6:7], v[10:11]
	;; [unrolled: 1-line block ×5, first 2 shown]
	v_add_nc_u32_e32 v24, v30, v31
	v_mov_b32_e32 v26, 0
	v_lshlrev_b32_e32 v31, 3, v1
	s_waitcnt vmcnt(8) lgkmcnt(8)
	ds_write_b64 v24, v[18:19]
	s_waitcnt vmcnt(0) lgkmcnt(0)
	s_barrier
	buffer_gl0_inv
	ds_read_b64 v[24:25], v30
	s_cbranch_scc1 .LBB16_6
; %bb.4:
	v_add3_u32 v1, v31, 0, 8
	v_mov_b32_e32 v26, 0
	s_mov_b32 s0, 1
.LBB16_5:                               ; =>This Inner Loop Header: Depth=1
	ds_read_b64 v[32:33], v1
	v_add_nc_u32_e32 v1, 8, v1
	s_waitcnt lgkmcnt(0)
	v_cmp_lt_f64_e64 vcc_lo, |v[24:25]|, |v[32:33]|
	v_cndmask_b32_e32 v25, v25, v33, vcc_lo
	v_cndmask_b32_e32 v24, v24, v32, vcc_lo
	v_cndmask_b32_e64 v26, v26, s0, vcc_lo
	s_add_i32 s0, s0, 1
	s_cmp_eq_u32 s2, s0
	s_cbranch_scc0 .LBB16_5
.LBB16_6:
	s_mov_b32 s0, exec_lo
                                        ; implicit-def: $vgpr32
	v_cmpx_ne_u32_e64 v0, v26
	s_xor_b32 s0, exec_lo, s0
	s_cbranch_execz .LBB16_12
; %bb.7:
	s_mov_b32 s1, exec_lo
	v_cmpx_eq_u32_e32 0, v0
	s_cbranch_execz .LBB16_11
; %bb.8:
	v_cmp_ne_u32_e32 vcc_lo, 0, v26
	s_xor_b32 s3, s6, -1
	s_and_b32 s7, s3, vcc_lo
	s_and_saveexec_b32 s3, s7
	s_cbranch_execz .LBB16_10
; %bb.9:
	v_ashrrev_i32_e32 v27, 31, v26
	v_lshlrev_b64 v[0:1], 2, v[26:27]
	v_add_co_u32 v0, vcc_lo, v22, v0
	v_add_co_ci_u32_e64 v1, null, v23, v1, vcc_lo
	s_clause 0x1
	global_load_dword v27, v[0:1], off
	global_load_dword v32, v[22:23], off
	s_waitcnt vmcnt(1)
	global_store_dword v[22:23], v27, off
	s_waitcnt vmcnt(0)
	global_store_dword v[0:1], v32, off
.LBB16_10:
	s_or_b32 exec_lo, exec_lo, s3
	v_mov_b32_e32 v0, v26
.LBB16_11:
	s_or_b32 exec_lo, exec_lo, s1
	v_mov_b32_e32 v32, v0
                                        ; implicit-def: $vgpr0
.LBB16_12:
	s_or_saveexec_b32 s0, s0
	v_mov_b32_e32 v27, v32
	s_xor_b32 exec_lo, exec_lo, s0
	s_cbranch_execz .LBB16_14
; %bb.13:
	v_mov_b32_e32 v32, 0
	v_mov_b32_e32 v27, v0
	ds_write2_b64 v30, v[16:17], v[14:15] offset0:1 offset1:2
	ds_write2_b64 v30, v[12:13], v[4:5] offset0:3 offset1:4
	;; [unrolled: 1-line block ×4, first 2 shown]
.LBB16_14:
	s_or_b32 exec_lo, exec_lo, s0
	s_waitcnt lgkmcnt(0)
	v_cmp_eq_f64_e64 s0, 0, v[24:25]
	s_mov_b32 s1, exec_lo
	s_waitcnt_vscnt null, 0x0
	s_barrier
	buffer_gl0_inv
	v_cmpx_lt_i32_e32 0, v32
	s_cbranch_execz .LBB16_16
; %bb.15:
	v_div_scale_f64 v[0:1], null, v[24:25], v[24:25], 1.0
	v_div_scale_f64 v[37:38], vcc_lo, 1.0, v[24:25], 1.0
	v_rcp_f64_e32 v[33:34], v[0:1]
	v_fma_f64 v[35:36], -v[0:1], v[33:34], 1.0
	v_fma_f64 v[33:34], v[33:34], v[35:36], v[33:34]
	v_fma_f64 v[35:36], -v[0:1], v[33:34], 1.0
	v_fma_f64 v[33:34], v[33:34], v[35:36], v[33:34]
	v_mul_f64 v[35:36], v[37:38], v[33:34]
	v_fma_f64 v[0:1], -v[0:1], v[35:36], v[37:38]
	v_div_fmas_f64 v[0:1], v[0:1], v[33:34], v[35:36]
	ds_read2_b64 v[33:36], v30 offset0:1 offset1:2
	ds_read2_b64 v[37:40], v30 offset0:3 offset1:4
	;; [unrolled: 1-line block ×4, first 2 shown]
	v_div_fixup_f64 v[0:1], v[0:1], v[24:25], 1.0
	v_cndmask_b32_e64 v1, v1, v25, s0
	v_cndmask_b32_e64 v0, v0, v24, s0
	v_mul_f64 v[18:19], v[18:19], v[0:1]
	s_waitcnt lgkmcnt(3)
	v_fma_f64 v[16:17], -v[18:19], v[33:34], v[16:17]
	v_fma_f64 v[14:15], -v[18:19], v[35:36], v[14:15]
	s_waitcnt lgkmcnt(2)
	v_fma_f64 v[12:13], -v[18:19], v[37:38], v[12:13]
	v_fma_f64 v[4:5], -v[18:19], v[39:40], v[4:5]
	;; [unrolled: 3-line block ×4, first 2 shown]
.LBB16_16:
	s_or_b32 exec_lo, exec_lo, s1
	v_lshl_add_u32 v0, v32, 3, v30
	s_barrier
	buffer_gl0_inv
	v_mov_b32_e32 v24, 1
	ds_write_b64 v0, v[16:17]
	s_waitcnt lgkmcnt(0)
	s_barrier
	buffer_gl0_inv
	ds_read_b64 v[0:1], v30 offset:8
	s_cmp_lt_i32 s2, 3
	s_cbranch_scc1 .LBB16_19
; %bb.17:
	v_add3_u32 v25, v31, 0, 16
	v_mov_b32_e32 v24, 1
	s_mov_b32 s1, 2
.LBB16_18:                              ; =>This Inner Loop Header: Depth=1
	ds_read_b64 v[33:34], v25
	v_add_nc_u32_e32 v25, 8, v25
	s_waitcnt lgkmcnt(0)
	v_cmp_lt_f64_e64 vcc_lo, |v[0:1]|, |v[33:34]|
	v_cndmask_b32_e32 v1, v1, v34, vcc_lo
	v_cndmask_b32_e32 v0, v0, v33, vcc_lo
	v_cndmask_b32_e64 v24, v24, s1, vcc_lo
	s_add_i32 s1, s1, 1
	s_cmp_lg_u32 s2, s1
	s_cbranch_scc1 .LBB16_18
.LBB16_19:
	s_mov_b32 s1, exec_lo
	v_cmpx_ne_u32_e64 v32, v24
	s_xor_b32 s1, exec_lo, s1
	s_cbranch_execz .LBB16_25
; %bb.20:
	s_mov_b32 s3, exec_lo
	v_cmpx_eq_u32_e32 1, v32
	s_cbranch_execz .LBB16_24
; %bb.21:
	v_cmp_ne_u32_e32 vcc_lo, 1, v24
	s_xor_b32 s7, s6, -1
	s_and_b32 s9, s7, vcc_lo
	s_and_saveexec_b32 s7, s9
	s_cbranch_execz .LBB16_23
; %bb.22:
	v_ashrrev_i32_e32 v25, 31, v24
	v_lshlrev_b64 v[25:26], 2, v[24:25]
	v_add_co_u32 v25, vcc_lo, v22, v25
	v_add_co_ci_u32_e64 v26, null, v23, v26, vcc_lo
	s_clause 0x1
	global_load_dword v27, v[25:26], off
	global_load_dword v32, v[22:23], off offset:4
	s_waitcnt vmcnt(1)
	global_store_dword v[22:23], v27, off offset:4
	s_waitcnt vmcnt(0)
	global_store_dword v[25:26], v32, off
.LBB16_23:
	s_or_b32 exec_lo, exec_lo, s7
	v_mov_b32_e32 v27, v24
	v_mov_b32_e32 v32, v24
.LBB16_24:
	s_or_b32 exec_lo, exec_lo, s3
.LBB16_25:
	s_andn2_saveexec_b32 s1, s1
	s_cbranch_execz .LBB16_27
; %bb.26:
	v_mov_b32_e32 v32, 1
	ds_write2_b64 v30, v[14:15], v[12:13] offset0:2 offset1:3
	ds_write2_b64 v30, v[4:5], v[6:7] offset0:4 offset1:5
	;; [unrolled: 1-line block ×3, first 2 shown]
	ds_write_b64 v30, v[20:21] offset:64
.LBB16_27:
	s_or_b32 exec_lo, exec_lo, s1
	s_waitcnt lgkmcnt(0)
	v_cmp_neq_f64_e64 s1, 0, v[0:1]
	s_mov_b32 s3, exec_lo
	s_waitcnt_vscnt null, 0x0
	s_barrier
	buffer_gl0_inv
	v_cmpx_lt_i32_e32 1, v32
	s_cbranch_execz .LBB16_29
; %bb.28:
	v_div_scale_f64 v[24:25], null, v[0:1], v[0:1], 1.0
	v_div_scale_f64 v[37:38], vcc_lo, 1.0, v[0:1], 1.0
	v_rcp_f64_e32 v[33:34], v[24:25]
	v_fma_f64 v[35:36], -v[24:25], v[33:34], 1.0
	v_fma_f64 v[33:34], v[33:34], v[35:36], v[33:34]
	v_fma_f64 v[35:36], -v[24:25], v[33:34], 1.0
	v_fma_f64 v[33:34], v[33:34], v[35:36], v[33:34]
	v_mul_f64 v[35:36], v[37:38], v[33:34]
	v_fma_f64 v[24:25], -v[24:25], v[35:36], v[37:38]
	v_div_fmas_f64 v[24:25], v[24:25], v[33:34], v[35:36]
	v_div_fixup_f64 v[24:25], v[24:25], v[0:1], 1.0
	v_cndmask_b32_e64 v1, v1, v25, s1
	v_cndmask_b32_e64 v0, v0, v24, s1
	v_mul_f64 v[16:17], v[16:17], v[0:1]
	ds_read2_b64 v[33:36], v30 offset0:2 offset1:3
	ds_read2_b64 v[37:40], v30 offset0:4 offset1:5
	;; [unrolled: 1-line block ×3, first 2 shown]
	ds_read_b64 v[0:1], v30 offset:64
	s_waitcnt lgkmcnt(3)
	v_fma_f64 v[14:15], -v[16:17], v[33:34], v[14:15]
	v_fma_f64 v[12:13], -v[16:17], v[35:36], v[12:13]
	s_waitcnt lgkmcnt(2)
	v_fma_f64 v[4:5], -v[16:17], v[37:38], v[4:5]
	v_fma_f64 v[6:7], -v[16:17], v[39:40], v[6:7]
	;; [unrolled: 3-line block ×3, first 2 shown]
	s_waitcnt lgkmcnt(0)
	v_fma_f64 v[20:21], -v[16:17], v[0:1], v[20:21]
.LBB16_29:
	s_or_b32 exec_lo, exec_lo, s3
	v_lshl_add_u32 v0, v32, 3, v30
	s_barrier
	buffer_gl0_inv
	v_mov_b32_e32 v24, 2
	ds_write_b64 v0, v[14:15]
	s_waitcnt lgkmcnt(0)
	s_barrier
	buffer_gl0_inv
	ds_read_b64 v[0:1], v30 offset:16
	s_cmp_lt_i32 s2, 4
	s_mov_b32 s3, 3
	s_cbranch_scc1 .LBB16_32
; %bb.30:
	v_add3_u32 v25, v31, 0, 24
	v_mov_b32_e32 v24, 2
.LBB16_31:                              ; =>This Inner Loop Header: Depth=1
	ds_read_b64 v[33:34], v25
	v_add_nc_u32_e32 v25, 8, v25
	s_waitcnt lgkmcnt(0)
	v_cmp_lt_f64_e64 vcc_lo, |v[0:1]|, |v[33:34]|
	v_cndmask_b32_e32 v1, v1, v34, vcc_lo
	v_cndmask_b32_e32 v0, v0, v33, vcc_lo
	v_cndmask_b32_e64 v24, v24, s3, vcc_lo
	s_add_i32 s3, s3, 1
	s_cmp_lg_u32 s2, s3
	s_cbranch_scc1 .LBB16_31
.LBB16_32:
	v_cndmask_b32_e64 v25, 2, 1, s0
	v_cndmask_b32_e64 v26, 0, 1, s0
	s_mov_b32 s0, exec_lo
	v_cndmask_b32_e64 v33, v25, v26, s1
	s_waitcnt lgkmcnt(0)
	v_cmpx_eq_f64_e32 0, v[0:1]
	s_xor_b32 s0, exec_lo, s0
; %bb.33:
	v_cmp_ne_u32_e32 vcc_lo, 0, v33
	v_cndmask_b32_e32 v33, 3, v33, vcc_lo
; %bb.34:
	s_andn2_saveexec_b32 s0, s0
	s_cbranch_execz .LBB16_36
; %bb.35:
	v_div_scale_f64 v[25:26], null, v[0:1], v[0:1], 1.0
	v_rcp_f64_e32 v[34:35], v[25:26]
	v_fma_f64 v[36:37], -v[25:26], v[34:35], 1.0
	v_fma_f64 v[34:35], v[34:35], v[36:37], v[34:35]
	v_fma_f64 v[36:37], -v[25:26], v[34:35], 1.0
	v_fma_f64 v[34:35], v[34:35], v[36:37], v[34:35]
	v_div_scale_f64 v[36:37], vcc_lo, 1.0, v[0:1], 1.0
	v_mul_f64 v[38:39], v[36:37], v[34:35]
	v_fma_f64 v[25:26], -v[25:26], v[38:39], v[36:37]
	v_div_fmas_f64 v[25:26], v[25:26], v[34:35], v[38:39]
	v_div_fixup_f64 v[0:1], v[25:26], v[0:1], 1.0
.LBB16_36:
	s_or_b32 exec_lo, exec_lo, s0
	s_mov_b32 s0, exec_lo
	v_cmpx_ne_u32_e64 v32, v24
	s_xor_b32 s0, exec_lo, s0
	s_cbranch_execz .LBB16_42
; %bb.37:
	s_mov_b32 s1, exec_lo
	v_cmpx_eq_u32_e32 2, v32
	s_cbranch_execz .LBB16_41
; %bb.38:
	v_cmp_ne_u32_e32 vcc_lo, 2, v24
	s_xor_b32 s3, s6, -1
	s_and_b32 s7, s3, vcc_lo
	s_and_saveexec_b32 s3, s7
	s_cbranch_execz .LBB16_40
; %bb.39:
	v_ashrrev_i32_e32 v25, 31, v24
	v_lshlrev_b64 v[25:26], 2, v[24:25]
	v_add_co_u32 v25, vcc_lo, v22, v25
	v_add_co_ci_u32_e64 v26, null, v23, v26, vcc_lo
	s_clause 0x1
	global_load_dword v27, v[25:26], off
	global_load_dword v32, v[22:23], off offset:8
	s_waitcnt vmcnt(1)
	global_store_dword v[22:23], v27, off offset:8
	s_waitcnt vmcnt(0)
	global_store_dword v[25:26], v32, off
.LBB16_40:
	s_or_b32 exec_lo, exec_lo, s3
	v_mov_b32_e32 v27, v24
	v_mov_b32_e32 v32, v24
.LBB16_41:
	s_or_b32 exec_lo, exec_lo, s1
.LBB16_42:
	s_andn2_saveexec_b32 s0, s0
	s_cbranch_execz .LBB16_44
; %bb.43:
	v_mov_b32_e32 v32, 2
	ds_write2_b64 v30, v[12:13], v[4:5] offset0:3 offset1:4
	ds_write2_b64 v30, v[6:7], v[8:9] offset0:5 offset1:6
	;; [unrolled: 1-line block ×3, first 2 shown]
.LBB16_44:
	s_or_b32 exec_lo, exec_lo, s0
	s_mov_b32 s0, exec_lo
	s_waitcnt lgkmcnt(0)
	s_waitcnt_vscnt null, 0x0
	s_barrier
	buffer_gl0_inv
	v_cmpx_lt_i32_e32 2, v32
	s_cbranch_execz .LBB16_46
; %bb.45:
	v_mul_f64 v[14:15], v[14:15], v[0:1]
	ds_read2_b64 v[34:37], v30 offset0:3 offset1:4
	ds_read2_b64 v[38:41], v30 offset0:5 offset1:6
	ds_read2_b64 v[42:45], v30 offset0:7 offset1:8
	s_waitcnt lgkmcnt(2)
	v_fma_f64 v[12:13], -v[14:15], v[34:35], v[12:13]
	v_fma_f64 v[4:5], -v[14:15], v[36:37], v[4:5]
	s_waitcnt lgkmcnt(1)
	v_fma_f64 v[6:7], -v[14:15], v[38:39], v[6:7]
	v_fma_f64 v[8:9], -v[14:15], v[40:41], v[8:9]
	;; [unrolled: 3-line block ×3, first 2 shown]
.LBB16_46:
	s_or_b32 exec_lo, exec_lo, s0
	v_lshl_add_u32 v0, v32, 3, v30
	s_barrier
	buffer_gl0_inv
	v_mov_b32_e32 v24, 3
	ds_write_b64 v0, v[12:13]
	s_waitcnt lgkmcnt(0)
	s_barrier
	buffer_gl0_inv
	ds_read_b64 v[0:1], v30 offset:24
	s_cmp_lt_i32 s2, 5
	s_cbranch_scc1 .LBB16_49
; %bb.47:
	v_mov_b32_e32 v24, 3
	v_add3_u32 v25, v31, 0, 32
	s_mov_b32 s0, 4
.LBB16_48:                              ; =>This Inner Loop Header: Depth=1
	ds_read_b64 v[34:35], v25
	v_add_nc_u32_e32 v25, 8, v25
	s_waitcnt lgkmcnt(0)
	v_cmp_lt_f64_e64 vcc_lo, |v[0:1]|, |v[34:35]|
	v_cndmask_b32_e32 v1, v1, v35, vcc_lo
	v_cndmask_b32_e32 v0, v0, v34, vcc_lo
	v_cndmask_b32_e64 v24, v24, s0, vcc_lo
	s_add_i32 s0, s0, 1
	s_cmp_lg_u32 s2, s0
	s_cbranch_scc1 .LBB16_48
.LBB16_49:
	s_mov_b32 s0, exec_lo
	s_waitcnt lgkmcnt(0)
	v_cmpx_eq_f64_e32 0, v[0:1]
	s_xor_b32 s0, exec_lo, s0
; %bb.50:
	v_cmp_ne_u32_e32 vcc_lo, 0, v33
	v_cndmask_b32_e32 v33, 4, v33, vcc_lo
; %bb.51:
	s_andn2_saveexec_b32 s0, s0
	s_cbranch_execz .LBB16_53
; %bb.52:
	v_div_scale_f64 v[25:26], null, v[0:1], v[0:1], 1.0
	v_rcp_f64_e32 v[34:35], v[25:26]
	v_fma_f64 v[36:37], -v[25:26], v[34:35], 1.0
	v_fma_f64 v[34:35], v[34:35], v[36:37], v[34:35]
	v_fma_f64 v[36:37], -v[25:26], v[34:35], 1.0
	v_fma_f64 v[34:35], v[34:35], v[36:37], v[34:35]
	v_div_scale_f64 v[36:37], vcc_lo, 1.0, v[0:1], 1.0
	v_mul_f64 v[38:39], v[36:37], v[34:35]
	v_fma_f64 v[25:26], -v[25:26], v[38:39], v[36:37]
	v_div_fmas_f64 v[25:26], v[25:26], v[34:35], v[38:39]
	v_div_fixup_f64 v[0:1], v[25:26], v[0:1], 1.0
.LBB16_53:
	s_or_b32 exec_lo, exec_lo, s0
	s_mov_b32 s0, exec_lo
	v_cmpx_ne_u32_e64 v32, v24
	s_xor_b32 s0, exec_lo, s0
	s_cbranch_execz .LBB16_59
; %bb.54:
	s_mov_b32 s1, exec_lo
	v_cmpx_eq_u32_e32 3, v32
	s_cbranch_execz .LBB16_58
; %bb.55:
	v_cmp_ne_u32_e32 vcc_lo, 3, v24
	s_xor_b32 s3, s6, -1
	s_and_b32 s7, s3, vcc_lo
	s_and_saveexec_b32 s3, s7
	s_cbranch_execz .LBB16_57
; %bb.56:
	v_ashrrev_i32_e32 v25, 31, v24
	v_lshlrev_b64 v[25:26], 2, v[24:25]
	v_add_co_u32 v25, vcc_lo, v22, v25
	v_add_co_ci_u32_e64 v26, null, v23, v26, vcc_lo
	s_clause 0x1
	global_load_dword v27, v[25:26], off
	global_load_dword v32, v[22:23], off offset:12
	s_waitcnt vmcnt(1)
	global_store_dword v[22:23], v27, off offset:12
	s_waitcnt vmcnt(0)
	global_store_dword v[25:26], v32, off
.LBB16_57:
	s_or_b32 exec_lo, exec_lo, s3
	v_mov_b32_e32 v27, v24
	v_mov_b32_e32 v32, v24
.LBB16_58:
	s_or_b32 exec_lo, exec_lo, s1
.LBB16_59:
	s_andn2_saveexec_b32 s0, s0
	s_cbranch_execz .LBB16_61
; %bb.60:
	v_mov_b32_e32 v32, 3
	ds_write2_b64 v30, v[4:5], v[6:7] offset0:4 offset1:5
	ds_write2_b64 v30, v[8:9], v[10:11] offset0:6 offset1:7
	ds_write_b64 v30, v[20:21] offset:64
.LBB16_61:
	s_or_b32 exec_lo, exec_lo, s0
	s_mov_b32 s0, exec_lo
	s_waitcnt lgkmcnt(0)
	s_waitcnt_vscnt null, 0x0
	s_barrier
	buffer_gl0_inv
	v_cmpx_lt_i32_e32 3, v32
	s_cbranch_execz .LBB16_63
; %bb.62:
	v_mul_f64 v[12:13], v[12:13], v[0:1]
	ds_read2_b64 v[34:37], v30 offset0:4 offset1:5
	ds_read2_b64 v[38:41], v30 offset0:6 offset1:7
	ds_read_b64 v[0:1], v30 offset:64
	s_waitcnt lgkmcnt(2)
	v_fma_f64 v[4:5], -v[12:13], v[34:35], v[4:5]
	v_fma_f64 v[6:7], -v[12:13], v[36:37], v[6:7]
	s_waitcnt lgkmcnt(1)
	v_fma_f64 v[8:9], -v[12:13], v[38:39], v[8:9]
	v_fma_f64 v[10:11], -v[12:13], v[40:41], v[10:11]
	s_waitcnt lgkmcnt(0)
	v_fma_f64 v[20:21], -v[12:13], v[0:1], v[20:21]
.LBB16_63:
	s_or_b32 exec_lo, exec_lo, s0
	v_lshl_add_u32 v0, v32, 3, v30
	s_barrier
	buffer_gl0_inv
	v_mov_b32_e32 v24, 4
	ds_write_b64 v0, v[4:5]
	s_waitcnt lgkmcnt(0)
	s_barrier
	buffer_gl0_inv
	ds_read_b64 v[0:1], v30 offset:32
	s_cmp_lt_i32 s2, 6
	s_cbranch_scc1 .LBB16_66
; %bb.64:
	v_add3_u32 v25, v31, 0, 40
	v_mov_b32_e32 v24, 4
	s_mov_b32 s0, 5
.LBB16_65:                              ; =>This Inner Loop Header: Depth=1
	ds_read_b64 v[34:35], v25
	v_add_nc_u32_e32 v25, 8, v25
	s_waitcnt lgkmcnt(0)
	v_cmp_lt_f64_e64 vcc_lo, |v[0:1]|, |v[34:35]|
	v_cndmask_b32_e32 v1, v1, v35, vcc_lo
	v_cndmask_b32_e32 v0, v0, v34, vcc_lo
	v_cndmask_b32_e64 v24, v24, s0, vcc_lo
	s_add_i32 s0, s0, 1
	s_cmp_lg_u32 s2, s0
	s_cbranch_scc1 .LBB16_65
.LBB16_66:
	s_mov_b32 s0, exec_lo
	s_waitcnt lgkmcnt(0)
	v_cmpx_eq_f64_e32 0, v[0:1]
	s_xor_b32 s0, exec_lo, s0
; %bb.67:
	v_cmp_ne_u32_e32 vcc_lo, 0, v33
	v_cndmask_b32_e32 v33, 5, v33, vcc_lo
; %bb.68:
	s_andn2_saveexec_b32 s0, s0
	s_cbranch_execz .LBB16_70
; %bb.69:
	v_div_scale_f64 v[25:26], null, v[0:1], v[0:1], 1.0
	v_rcp_f64_e32 v[34:35], v[25:26]
	v_fma_f64 v[36:37], -v[25:26], v[34:35], 1.0
	v_fma_f64 v[34:35], v[34:35], v[36:37], v[34:35]
	v_fma_f64 v[36:37], -v[25:26], v[34:35], 1.0
	v_fma_f64 v[34:35], v[34:35], v[36:37], v[34:35]
	v_div_scale_f64 v[36:37], vcc_lo, 1.0, v[0:1], 1.0
	v_mul_f64 v[38:39], v[36:37], v[34:35]
	v_fma_f64 v[25:26], -v[25:26], v[38:39], v[36:37]
	v_div_fmas_f64 v[25:26], v[25:26], v[34:35], v[38:39]
	v_div_fixup_f64 v[0:1], v[25:26], v[0:1], 1.0
.LBB16_70:
	s_or_b32 exec_lo, exec_lo, s0
	s_mov_b32 s0, exec_lo
	v_cmpx_ne_u32_e64 v32, v24
	s_xor_b32 s0, exec_lo, s0
	s_cbranch_execz .LBB16_76
; %bb.71:
	s_mov_b32 s1, exec_lo
	v_cmpx_eq_u32_e32 4, v32
	s_cbranch_execz .LBB16_75
; %bb.72:
	v_cmp_ne_u32_e32 vcc_lo, 4, v24
	s_xor_b32 s3, s6, -1
	s_and_b32 s7, s3, vcc_lo
	s_and_saveexec_b32 s3, s7
	s_cbranch_execz .LBB16_74
; %bb.73:
	v_ashrrev_i32_e32 v25, 31, v24
	v_lshlrev_b64 v[25:26], 2, v[24:25]
	v_add_co_u32 v25, vcc_lo, v22, v25
	v_add_co_ci_u32_e64 v26, null, v23, v26, vcc_lo
	s_clause 0x1
	global_load_dword v27, v[25:26], off
	global_load_dword v32, v[22:23], off offset:16
	s_waitcnt vmcnt(1)
	global_store_dword v[22:23], v27, off offset:16
	s_waitcnt vmcnt(0)
	global_store_dword v[25:26], v32, off
.LBB16_74:
	s_or_b32 exec_lo, exec_lo, s3
	v_mov_b32_e32 v27, v24
	v_mov_b32_e32 v32, v24
.LBB16_75:
	s_or_b32 exec_lo, exec_lo, s1
.LBB16_76:
	s_andn2_saveexec_b32 s0, s0
	s_cbranch_execz .LBB16_78
; %bb.77:
	v_mov_b32_e32 v32, 4
	ds_write2_b64 v30, v[6:7], v[8:9] offset0:5 offset1:6
	ds_write2_b64 v30, v[10:11], v[20:21] offset0:7 offset1:8
.LBB16_78:
	s_or_b32 exec_lo, exec_lo, s0
	s_mov_b32 s0, exec_lo
	s_waitcnt lgkmcnt(0)
	s_waitcnt_vscnt null, 0x0
	s_barrier
	buffer_gl0_inv
	v_cmpx_lt_i32_e32 4, v32
	s_cbranch_execz .LBB16_80
; %bb.79:
	v_mul_f64 v[4:5], v[4:5], v[0:1]
	ds_read2_b64 v[34:37], v30 offset0:5 offset1:6
	ds_read2_b64 v[38:41], v30 offset0:7 offset1:8
	s_waitcnt lgkmcnt(1)
	v_fma_f64 v[6:7], -v[4:5], v[34:35], v[6:7]
	v_fma_f64 v[8:9], -v[4:5], v[36:37], v[8:9]
	s_waitcnt lgkmcnt(0)
	v_fma_f64 v[10:11], -v[4:5], v[38:39], v[10:11]
	v_fma_f64 v[20:21], -v[4:5], v[40:41], v[20:21]
.LBB16_80:
	s_or_b32 exec_lo, exec_lo, s0
	v_lshl_add_u32 v0, v32, 3, v30
	s_barrier
	buffer_gl0_inv
	v_mov_b32_e32 v24, 5
	ds_write_b64 v0, v[6:7]
	s_waitcnt lgkmcnt(0)
	s_barrier
	buffer_gl0_inv
	ds_read_b64 v[0:1], v30 offset:40
	s_cmp_lt_i32 s2, 7
	s_cbranch_scc1 .LBB16_83
; %bb.81:
	v_add3_u32 v25, v31, 0, 48
	v_mov_b32_e32 v24, 5
	s_mov_b32 s0, 6
.LBB16_82:                              ; =>This Inner Loop Header: Depth=1
	ds_read_b64 v[34:35], v25
	v_add_nc_u32_e32 v25, 8, v25
	s_waitcnt lgkmcnt(0)
	v_cmp_lt_f64_e64 vcc_lo, |v[0:1]|, |v[34:35]|
	v_cndmask_b32_e32 v1, v1, v35, vcc_lo
	v_cndmask_b32_e32 v0, v0, v34, vcc_lo
	v_cndmask_b32_e64 v24, v24, s0, vcc_lo
	s_add_i32 s0, s0, 1
	s_cmp_lg_u32 s2, s0
	s_cbranch_scc1 .LBB16_82
.LBB16_83:
	s_mov_b32 s0, exec_lo
	s_waitcnt lgkmcnt(0)
	v_cmpx_eq_f64_e32 0, v[0:1]
	s_xor_b32 s0, exec_lo, s0
; %bb.84:
	v_cmp_ne_u32_e32 vcc_lo, 0, v33
	v_cndmask_b32_e32 v33, 6, v33, vcc_lo
; %bb.85:
	s_andn2_saveexec_b32 s0, s0
	s_cbranch_execz .LBB16_87
; %bb.86:
	v_div_scale_f64 v[25:26], null, v[0:1], v[0:1], 1.0
	v_rcp_f64_e32 v[34:35], v[25:26]
	v_fma_f64 v[36:37], -v[25:26], v[34:35], 1.0
	v_fma_f64 v[34:35], v[34:35], v[36:37], v[34:35]
	v_fma_f64 v[36:37], -v[25:26], v[34:35], 1.0
	v_fma_f64 v[34:35], v[34:35], v[36:37], v[34:35]
	v_div_scale_f64 v[36:37], vcc_lo, 1.0, v[0:1], 1.0
	v_mul_f64 v[38:39], v[36:37], v[34:35]
	v_fma_f64 v[25:26], -v[25:26], v[38:39], v[36:37]
	v_div_fmas_f64 v[25:26], v[25:26], v[34:35], v[38:39]
	v_div_fixup_f64 v[0:1], v[25:26], v[0:1], 1.0
.LBB16_87:
	s_or_b32 exec_lo, exec_lo, s0
	s_mov_b32 s0, exec_lo
	v_cmpx_ne_u32_e64 v32, v24
	s_xor_b32 s0, exec_lo, s0
	s_cbranch_execz .LBB16_93
; %bb.88:
	s_mov_b32 s1, exec_lo
	v_cmpx_eq_u32_e32 5, v32
	s_cbranch_execz .LBB16_92
; %bb.89:
	v_cmp_ne_u32_e32 vcc_lo, 5, v24
	s_xor_b32 s3, s6, -1
	s_and_b32 s7, s3, vcc_lo
	s_and_saveexec_b32 s3, s7
	s_cbranch_execz .LBB16_91
; %bb.90:
	v_ashrrev_i32_e32 v25, 31, v24
	v_lshlrev_b64 v[25:26], 2, v[24:25]
	v_add_co_u32 v25, vcc_lo, v22, v25
	v_add_co_ci_u32_e64 v26, null, v23, v26, vcc_lo
	s_clause 0x1
	global_load_dword v27, v[25:26], off
	global_load_dword v32, v[22:23], off offset:20
	s_waitcnt vmcnt(1)
	global_store_dword v[22:23], v27, off offset:20
	s_waitcnt vmcnt(0)
	global_store_dword v[25:26], v32, off
.LBB16_91:
	s_or_b32 exec_lo, exec_lo, s3
	v_mov_b32_e32 v27, v24
	v_mov_b32_e32 v32, v24
.LBB16_92:
	s_or_b32 exec_lo, exec_lo, s1
.LBB16_93:
	s_andn2_saveexec_b32 s0, s0
	s_cbranch_execz .LBB16_95
; %bb.94:
	v_mov_b32_e32 v32, 5
	ds_write2_b64 v30, v[8:9], v[10:11] offset0:6 offset1:7
	ds_write_b64 v30, v[20:21] offset:64
.LBB16_95:
	s_or_b32 exec_lo, exec_lo, s0
	s_mov_b32 s0, exec_lo
	s_waitcnt lgkmcnt(0)
	s_waitcnt_vscnt null, 0x0
	s_barrier
	buffer_gl0_inv
	v_cmpx_lt_i32_e32 5, v32
	s_cbranch_execz .LBB16_97
; %bb.96:
	v_mul_f64 v[6:7], v[6:7], v[0:1]
	ds_read2_b64 v[34:37], v30 offset0:6 offset1:7
	ds_read_b64 v[0:1], v30 offset:64
	s_waitcnt lgkmcnt(1)
	v_fma_f64 v[8:9], -v[6:7], v[34:35], v[8:9]
	v_fma_f64 v[10:11], -v[6:7], v[36:37], v[10:11]
	s_waitcnt lgkmcnt(0)
	v_fma_f64 v[20:21], -v[6:7], v[0:1], v[20:21]
.LBB16_97:
	s_or_b32 exec_lo, exec_lo, s0
	v_lshl_add_u32 v0, v32, 3, v30
	s_barrier
	buffer_gl0_inv
	v_mov_b32_e32 v24, 6
	ds_write_b64 v0, v[8:9]
	s_waitcnt lgkmcnt(0)
	s_barrier
	buffer_gl0_inv
	ds_read_b64 v[0:1], v30 offset:48
	s_cmp_lt_i32 s2, 8
	s_cbranch_scc1 .LBB16_100
; %bb.98:
	v_add3_u32 v25, v31, 0, 56
	v_mov_b32_e32 v24, 6
	s_mov_b32 s0, 7
.LBB16_99:                              ; =>This Inner Loop Header: Depth=1
	ds_read_b64 v[34:35], v25
	v_add_nc_u32_e32 v25, 8, v25
	s_waitcnt lgkmcnt(0)
	v_cmp_lt_f64_e64 vcc_lo, |v[0:1]|, |v[34:35]|
	v_cndmask_b32_e32 v1, v1, v35, vcc_lo
	v_cndmask_b32_e32 v0, v0, v34, vcc_lo
	v_cndmask_b32_e64 v24, v24, s0, vcc_lo
	s_add_i32 s0, s0, 1
	s_cmp_lg_u32 s2, s0
	s_cbranch_scc1 .LBB16_99
.LBB16_100:
	s_mov_b32 s0, exec_lo
	s_waitcnt lgkmcnt(0)
	v_cmpx_eq_f64_e32 0, v[0:1]
	s_xor_b32 s0, exec_lo, s0
; %bb.101:
	v_cmp_ne_u32_e32 vcc_lo, 0, v33
	v_cndmask_b32_e32 v33, 7, v33, vcc_lo
; %bb.102:
	s_andn2_saveexec_b32 s0, s0
	s_cbranch_execz .LBB16_104
; %bb.103:
	v_div_scale_f64 v[25:26], null, v[0:1], v[0:1], 1.0
	v_rcp_f64_e32 v[34:35], v[25:26]
	v_fma_f64 v[36:37], -v[25:26], v[34:35], 1.0
	v_fma_f64 v[34:35], v[34:35], v[36:37], v[34:35]
	v_fma_f64 v[36:37], -v[25:26], v[34:35], 1.0
	v_fma_f64 v[34:35], v[34:35], v[36:37], v[34:35]
	v_div_scale_f64 v[36:37], vcc_lo, 1.0, v[0:1], 1.0
	v_mul_f64 v[38:39], v[36:37], v[34:35]
	v_fma_f64 v[25:26], -v[25:26], v[38:39], v[36:37]
	v_div_fmas_f64 v[25:26], v[25:26], v[34:35], v[38:39]
	v_div_fixup_f64 v[0:1], v[25:26], v[0:1], 1.0
.LBB16_104:
	s_or_b32 exec_lo, exec_lo, s0
	s_mov_b32 s0, exec_lo
	v_cmpx_ne_u32_e64 v32, v24
	s_xor_b32 s0, exec_lo, s0
	s_cbranch_execz .LBB16_110
; %bb.105:
	s_mov_b32 s1, exec_lo
	v_cmpx_eq_u32_e32 6, v32
	s_cbranch_execz .LBB16_109
; %bb.106:
	v_cmp_ne_u32_e32 vcc_lo, 6, v24
	s_xor_b32 s3, s6, -1
	s_and_b32 s7, s3, vcc_lo
	s_and_saveexec_b32 s3, s7
	s_cbranch_execz .LBB16_108
; %bb.107:
	v_ashrrev_i32_e32 v25, 31, v24
	v_lshlrev_b64 v[25:26], 2, v[24:25]
	v_add_co_u32 v25, vcc_lo, v22, v25
	v_add_co_ci_u32_e64 v26, null, v23, v26, vcc_lo
	s_clause 0x1
	global_load_dword v27, v[25:26], off
	global_load_dword v32, v[22:23], off offset:24
	s_waitcnt vmcnt(1)
	global_store_dword v[22:23], v27, off offset:24
	s_waitcnt vmcnt(0)
	global_store_dword v[25:26], v32, off
.LBB16_108:
	s_or_b32 exec_lo, exec_lo, s3
	v_mov_b32_e32 v27, v24
	v_mov_b32_e32 v32, v24
.LBB16_109:
	s_or_b32 exec_lo, exec_lo, s1
.LBB16_110:
	s_andn2_saveexec_b32 s0, s0
; %bb.111:
	v_mov_b32_e32 v32, 6
	ds_write2_b64 v30, v[10:11], v[20:21] offset0:7 offset1:8
; %bb.112:
	s_or_b32 exec_lo, exec_lo, s0
	s_mov_b32 s0, exec_lo
	s_waitcnt lgkmcnt(0)
	s_waitcnt_vscnt null, 0x0
	s_barrier
	buffer_gl0_inv
	v_cmpx_lt_i32_e32 6, v32
	s_cbranch_execz .LBB16_114
; %bb.113:
	v_mul_f64 v[8:9], v[8:9], v[0:1]
	ds_read2_b64 v[34:37], v30 offset0:7 offset1:8
	s_waitcnt lgkmcnt(0)
	v_fma_f64 v[10:11], -v[8:9], v[34:35], v[10:11]
	v_fma_f64 v[20:21], -v[8:9], v[36:37], v[20:21]
.LBB16_114:
	s_or_b32 exec_lo, exec_lo, s0
	v_lshl_add_u32 v0, v32, 3, v30
	s_barrier
	buffer_gl0_inv
	v_mov_b32_e32 v24, 7
	ds_write_b64 v0, v[10:11]
	s_waitcnt lgkmcnt(0)
	s_barrier
	buffer_gl0_inv
	ds_read_b64 v[0:1], v30 offset:56
	s_cmp_lt_i32 s2, 9
	s_cbranch_scc1 .LBB16_117
; %bb.115:
	v_add3_u32 v25, v31, 0, 64
	v_mov_b32_e32 v24, 7
	s_mov_b32 s0, 8
.LBB16_116:                             ; =>This Inner Loop Header: Depth=1
	ds_read_b64 v[34:35], v25
	v_add_nc_u32_e32 v25, 8, v25
	s_waitcnt lgkmcnt(0)
	v_cmp_lt_f64_e64 vcc_lo, |v[0:1]|, |v[34:35]|
	v_cndmask_b32_e32 v1, v1, v35, vcc_lo
	v_cndmask_b32_e32 v0, v0, v34, vcc_lo
	v_cndmask_b32_e64 v24, v24, s0, vcc_lo
	s_add_i32 s0, s0, 1
	s_cmp_lg_u32 s2, s0
	s_cbranch_scc1 .LBB16_116
.LBB16_117:
	s_mov_b32 s0, exec_lo
	s_waitcnt lgkmcnt(0)
	v_cmpx_eq_f64_e32 0, v[0:1]
	s_xor_b32 s0, exec_lo, s0
; %bb.118:
	v_cmp_ne_u32_e32 vcc_lo, 0, v33
	v_cndmask_b32_e32 v33, 8, v33, vcc_lo
; %bb.119:
	s_andn2_saveexec_b32 s0, s0
	s_cbranch_execz .LBB16_121
; %bb.120:
	v_div_scale_f64 v[25:26], null, v[0:1], v[0:1], 1.0
	v_rcp_f64_e32 v[34:35], v[25:26]
	v_fma_f64 v[36:37], -v[25:26], v[34:35], 1.0
	v_fma_f64 v[34:35], v[34:35], v[36:37], v[34:35]
	v_fma_f64 v[36:37], -v[25:26], v[34:35], 1.0
	v_fma_f64 v[34:35], v[34:35], v[36:37], v[34:35]
	v_div_scale_f64 v[36:37], vcc_lo, 1.0, v[0:1], 1.0
	v_mul_f64 v[38:39], v[36:37], v[34:35]
	v_fma_f64 v[25:26], -v[25:26], v[38:39], v[36:37]
	v_div_fmas_f64 v[25:26], v[25:26], v[34:35], v[38:39]
	v_div_fixup_f64 v[0:1], v[25:26], v[0:1], 1.0
.LBB16_121:
	s_or_b32 exec_lo, exec_lo, s0
	s_mov_b32 s0, exec_lo
	v_cmpx_ne_u32_e64 v32, v24
	s_xor_b32 s0, exec_lo, s0
	s_cbranch_execz .LBB16_127
; %bb.122:
	s_mov_b32 s1, exec_lo
	v_cmpx_eq_u32_e32 7, v32
	s_cbranch_execz .LBB16_126
; %bb.123:
	v_cmp_ne_u32_e32 vcc_lo, 7, v24
	s_xor_b32 s3, s6, -1
	s_and_b32 s7, s3, vcc_lo
	s_and_saveexec_b32 s3, s7
	s_cbranch_execz .LBB16_125
; %bb.124:
	v_ashrrev_i32_e32 v25, 31, v24
	v_lshlrev_b64 v[25:26], 2, v[24:25]
	v_add_co_u32 v25, vcc_lo, v22, v25
	v_add_co_ci_u32_e64 v26, null, v23, v26, vcc_lo
	s_clause 0x1
	global_load_dword v27, v[25:26], off
	global_load_dword v32, v[22:23], off offset:28
	s_waitcnt vmcnt(1)
	global_store_dword v[22:23], v27, off offset:28
	s_waitcnt vmcnt(0)
	global_store_dword v[25:26], v32, off
.LBB16_125:
	s_or_b32 exec_lo, exec_lo, s3
	v_mov_b32_e32 v27, v24
	v_mov_b32_e32 v32, v24
.LBB16_126:
	s_or_b32 exec_lo, exec_lo, s1
.LBB16_127:
	s_andn2_saveexec_b32 s0, s0
; %bb.128:
	v_mov_b32_e32 v32, 7
	ds_write_b64 v30, v[20:21] offset:64
; %bb.129:
	s_or_b32 exec_lo, exec_lo, s0
	s_mov_b32 s0, exec_lo
	s_waitcnt lgkmcnt(0)
	s_waitcnt_vscnt null, 0x0
	s_barrier
	buffer_gl0_inv
	v_cmpx_lt_i32_e32 7, v32
	s_cbranch_execz .LBB16_131
; %bb.130:
	v_mul_f64 v[10:11], v[10:11], v[0:1]
	ds_read_b64 v[0:1], v30 offset:64
	s_waitcnt lgkmcnt(0)
	v_fma_f64 v[20:21], -v[10:11], v[0:1], v[20:21]
.LBB16_131:
	s_or_b32 exec_lo, exec_lo, s0
	v_lshl_add_u32 v0, v32, 3, v30
	s_barrier
	buffer_gl0_inv
	v_mov_b32_e32 v24, 8
	ds_write_b64 v0, v[20:21]
	s_waitcnt lgkmcnt(0)
	s_barrier
	buffer_gl0_inv
	ds_read_b64 v[0:1], v30 offset:64
	s_cmp_lt_i32 s2, 10
	s_cbranch_scc1 .LBB16_134
; %bb.132:
	v_add3_u32 v25, v31, 0, 0x48
	v_mov_b32_e32 v24, 8
	s_mov_b32 s0, 9
.LBB16_133:                             ; =>This Inner Loop Header: Depth=1
	ds_read_b64 v[30:31], v25
	v_add_nc_u32_e32 v25, 8, v25
	s_waitcnt lgkmcnt(0)
	v_cmp_lt_f64_e64 vcc_lo, |v[0:1]|, |v[30:31]|
	v_cndmask_b32_e32 v1, v1, v31, vcc_lo
	v_cndmask_b32_e32 v0, v0, v30, vcc_lo
	v_cndmask_b32_e64 v24, v24, s0, vcc_lo
	s_add_i32 s0, s0, 1
	s_cmp_lg_u32 s2, s0
	s_cbranch_scc1 .LBB16_133
.LBB16_134:
	s_mov_b32 s0, exec_lo
	s_waitcnt lgkmcnt(0)
	v_cmpx_eq_f64_e32 0, v[0:1]
	s_xor_b32 s0, exec_lo, s0
; %bb.135:
	v_cmp_ne_u32_e32 vcc_lo, 0, v33
	v_cndmask_b32_e32 v33, 9, v33, vcc_lo
; %bb.136:
	s_andn2_saveexec_b32 s0, s0
	s_cbranch_execz .LBB16_138
; %bb.137:
	v_div_scale_f64 v[25:26], null, v[0:1], v[0:1], 1.0
	v_rcp_f64_e32 v[30:31], v[25:26]
	v_fma_f64 v[34:35], -v[25:26], v[30:31], 1.0
	v_fma_f64 v[30:31], v[30:31], v[34:35], v[30:31]
	v_fma_f64 v[34:35], -v[25:26], v[30:31], 1.0
	v_fma_f64 v[30:31], v[30:31], v[34:35], v[30:31]
	v_div_scale_f64 v[34:35], vcc_lo, 1.0, v[0:1], 1.0
	v_mul_f64 v[36:37], v[34:35], v[30:31]
	v_fma_f64 v[25:26], -v[25:26], v[36:37], v[34:35]
	v_div_fmas_f64 v[25:26], v[25:26], v[30:31], v[36:37]
	v_div_fixup_f64 v[0:1], v[25:26], v[0:1], 1.0
.LBB16_138:
	s_or_b32 exec_lo, exec_lo, s0
	v_mov_b32_e32 v25, 8
	s_mov_b32 s0, exec_lo
	v_cmpx_ne_u32_e64 v32, v24
	s_cbranch_execz .LBB16_144
; %bb.139:
	s_mov_b32 s1, exec_lo
	v_cmpx_eq_u32_e32 8, v32
	s_cbranch_execz .LBB16_143
; %bb.140:
	v_cmp_ne_u32_e32 vcc_lo, 8, v24
	s_xor_b32 s2, s6, -1
	s_and_b32 s3, s2, vcc_lo
	s_and_saveexec_b32 s2, s3
	s_cbranch_execz .LBB16_142
; %bb.141:
	v_ashrrev_i32_e32 v25, 31, v24
	v_lshlrev_b64 v[25:26], 2, v[24:25]
	v_add_co_u32 v25, vcc_lo, v22, v25
	v_add_co_ci_u32_e64 v26, null, v23, v26, vcc_lo
	s_clause 0x1
	global_load_dword v27, v[25:26], off
	global_load_dword v30, v[22:23], off offset:32
	s_waitcnt vmcnt(1)
	global_store_dword v[22:23], v27, off offset:32
	s_waitcnt vmcnt(0)
	global_store_dword v[25:26], v30, off
.LBB16_142:
	s_or_b32 exec_lo, exec_lo, s2
	v_mov_b32_e32 v27, v24
	v_mov_b32_e32 v32, v24
.LBB16_143:
	s_or_b32 exec_lo, exec_lo, s1
	v_mov_b32_e32 v25, v32
.LBB16_144:
	s_or_b32 exec_lo, exec_lo, s0
	s_load_dwordx8 s[0:7], s[4:5], 0x28
	v_ashrrev_i32_e32 v26, 31, v25
	s_mov_b32 s9, exec_lo
	s_waitcnt lgkmcnt(0)
	s_waitcnt_vscnt null, 0x0
	s_barrier
	buffer_gl0_inv
	s_barrier
	buffer_gl0_inv
	v_cmpx_gt_i32_e32 9, v25
	s_cbranch_execz .LBB16_146
; %bb.145:
	v_mul_lo_u32 v24, s5, v2
	v_mul_lo_u32 v30, s4, v3
	v_mad_u64_u32 v[22:23], null, s4, v2, 0
	s_lshl_b64 s[2:3], s[2:3], 2
	v_add3_u32 v23, v23, v30, v24
	v_lshlrev_b64 v[22:23], 2, v[22:23]
	v_add_co_u32 v24, vcc_lo, s0, v22
	v_add_co_ci_u32_e64 v30, null, s1, v23, vcc_lo
	v_lshlrev_b64 v[22:23], 2, v[25:26]
	v_add_co_u32 v24, vcc_lo, v24, s2
	v_add_co_ci_u32_e64 v30, null, s3, v30, vcc_lo
	v_add_co_u32 v22, vcc_lo, v24, v22
	v_add_co_ci_u32_e64 v23, null, v30, v23, vcc_lo
	v_add3_u32 v24, v27, s13, 1
	global_store_dword v[22:23], v24, off
.LBB16_146:
	s_or_b32 exec_lo, exec_lo, s9
	s_mov_b32 s1, exec_lo
	v_cmpx_eq_u32_e32 0, v25
	s_cbranch_execz .LBB16_149
; %bb.147:
	v_lshlrev_b64 v[2:3], 2, v[2:3]
	v_cmp_ne_u32_e64 s0, 0, v33
	v_add_co_u32 v2, vcc_lo, s6, v2
	v_add_co_ci_u32_e64 v3, null, s7, v3, vcc_lo
	global_load_dword v22, v[2:3], off
	s_waitcnt vmcnt(0)
	v_cmp_eq_u32_e32 vcc_lo, 0, v22
	s_and_b32 s0, vcc_lo, s0
	s_and_b32 exec_lo, exec_lo, s0
	s_cbranch_execz .LBB16_149
; %bb.148:
	v_add_nc_u32_e32 v22, s13, v33
	global_store_dword v[2:3], v22, off
.LBB16_149:
	s_or_b32 exec_lo, exec_lo, s1
	v_mul_f64 v[0:1], v[20:21], v[0:1]
	v_lshlrev_b64 v[22:23], 3, v[25:26]
	v_add3_u32 v2, s8, s8, v25
	v_cmp_lt_i32_e32 vcc_lo, 8, v25
	v_add_nc_u32_e32 v24, s8, v2
	v_add_co_u32 v22, s0, v28, v22
	v_add_co_ci_u32_e64 v23, null, v29, v23, s0
	v_ashrrev_i32_e32 v3, 31, v2
	v_add_co_u32 v26, s0, v22, s10
	v_add_co_ci_u32_e64 v27, null, s11, v23, s0
	v_add_nc_u32_e32 v30, s8, v24
	v_ashrrev_i32_e32 v25, 31, v24
	v_lshlrev_b64 v[2:3], 3, v[2:3]
	flat_store_dwordx2 v[22:23], v[18:19]
	flat_store_dwordx2 v[26:27], v[16:17]
	v_add_nc_u32_e32 v16, s8, v30
	v_lshlrev_b64 v[18:19], 3, v[24:25]
	v_cndmask_b32_e32 v1, v21, v1, vcc_lo
	v_cndmask_b32_e32 v0, v20, v0, vcc_lo
	v_add_co_u32 v2, vcc_lo, v28, v2
	v_add_co_ci_u32_e64 v3, null, v29, v3, vcc_lo
	v_add_nc_u32_e32 v20, s8, v16
	v_add_co_u32 v18, vcc_lo, v28, v18
	v_add_co_ci_u32_e64 v19, null, v29, v19, vcc_lo
	flat_store_dwordx2 v[2:3], v[14:15]
	v_add_nc_u32_e32 v14, s8, v20
	v_ashrrev_i32_e32 v31, 31, v30
	v_ashrrev_i32_e32 v17, 31, v16
	flat_store_dwordx2 v[18:19], v[12:13]
	v_ashrrev_i32_e32 v21, 31, v20
	v_add_nc_u32_e32 v18, s8, v14
	v_lshlrev_b64 v[2:3], 3, v[30:31]
	v_ashrrev_i32_e32 v15, 31, v14
	v_lshlrev_b64 v[12:13], 3, v[16:17]
	v_lshlrev_b64 v[16:17], 3, v[20:21]
	v_ashrrev_i32_e32 v19, 31, v18
	v_add_co_u32 v2, vcc_lo, v28, v2
	v_lshlrev_b64 v[14:15], 3, v[14:15]
	v_add_co_ci_u32_e64 v3, null, v29, v3, vcc_lo
	v_add_co_u32 v12, vcc_lo, v28, v12
	v_lshlrev_b64 v[18:19], 3, v[18:19]
	v_add_co_ci_u32_e64 v13, null, v29, v13, vcc_lo
	v_add_co_u32 v16, vcc_lo, v28, v16
	v_add_co_ci_u32_e64 v17, null, v29, v17, vcc_lo
	v_add_co_u32 v14, vcc_lo, v28, v14
	;; [unrolled: 2-line block ×3, first 2 shown]
	v_add_co_ci_u32_e64 v19, null, v29, v19, vcc_lo
	flat_store_dwordx2 v[2:3], v[4:5]
	flat_store_dwordx2 v[12:13], v[6:7]
	;; [unrolled: 1-line block ×5, first 2 shown]
.LBB16_150:
	s_endpgm
	.section	.rodata,"a",@progbits
	.p2align	6, 0x0
	.amdhsa_kernel _ZN9rocsolver6v33100L18getf2_small_kernelILi9EdiiPKPdEEvT1_T3_lS5_lPS5_llPT2_S5_S5_S7_l
		.amdhsa_group_segment_fixed_size 0
		.amdhsa_private_segment_fixed_size 0
		.amdhsa_kernarg_size 352
		.amdhsa_user_sgpr_count 6
		.amdhsa_user_sgpr_private_segment_buffer 1
		.amdhsa_user_sgpr_dispatch_ptr 0
		.amdhsa_user_sgpr_queue_ptr 0
		.amdhsa_user_sgpr_kernarg_segment_ptr 1
		.amdhsa_user_sgpr_dispatch_id 0
		.amdhsa_user_sgpr_flat_scratch_init 0
		.amdhsa_user_sgpr_private_segment_size 0
		.amdhsa_wavefront_size32 1
		.amdhsa_uses_dynamic_stack 0
		.amdhsa_system_sgpr_private_segment_wavefront_offset 0
		.amdhsa_system_sgpr_workgroup_id_x 1
		.amdhsa_system_sgpr_workgroup_id_y 1
		.amdhsa_system_sgpr_workgroup_id_z 0
		.amdhsa_system_sgpr_workgroup_info 0
		.amdhsa_system_vgpr_workitem_id 1
		.amdhsa_next_free_vgpr 49
		.amdhsa_next_free_sgpr 14
		.amdhsa_reserve_vcc 1
		.amdhsa_reserve_flat_scratch 1
		.amdhsa_float_round_mode_32 0
		.amdhsa_float_round_mode_16_64 0
		.amdhsa_float_denorm_mode_32 3
		.amdhsa_float_denorm_mode_16_64 3
		.amdhsa_dx10_clamp 1
		.amdhsa_ieee_mode 1
		.amdhsa_fp16_overflow 0
		.amdhsa_workgroup_processor_mode 1
		.amdhsa_memory_ordered 1
		.amdhsa_forward_progress 1
		.amdhsa_shared_vgpr_count 0
		.amdhsa_exception_fp_ieee_invalid_op 0
		.amdhsa_exception_fp_denorm_src 0
		.amdhsa_exception_fp_ieee_div_zero 0
		.amdhsa_exception_fp_ieee_overflow 0
		.amdhsa_exception_fp_ieee_underflow 0
		.amdhsa_exception_fp_ieee_inexact 0
		.amdhsa_exception_int_div_zero 0
	.end_amdhsa_kernel
	.section	.text._ZN9rocsolver6v33100L18getf2_small_kernelILi9EdiiPKPdEEvT1_T3_lS5_lPS5_llPT2_S5_S5_S7_l,"axG",@progbits,_ZN9rocsolver6v33100L18getf2_small_kernelILi9EdiiPKPdEEvT1_T3_lS5_lPS5_llPT2_S5_S5_S7_l,comdat
.Lfunc_end16:
	.size	_ZN9rocsolver6v33100L18getf2_small_kernelILi9EdiiPKPdEEvT1_T3_lS5_lPS5_llPT2_S5_S5_S7_l, .Lfunc_end16-_ZN9rocsolver6v33100L18getf2_small_kernelILi9EdiiPKPdEEvT1_T3_lS5_lPS5_llPT2_S5_S5_S7_l
                                        ; -- End function
	.set _ZN9rocsolver6v33100L18getf2_small_kernelILi9EdiiPKPdEEvT1_T3_lS5_lPS5_llPT2_S5_S5_S7_l.num_vgpr, 49
	.set _ZN9rocsolver6v33100L18getf2_small_kernelILi9EdiiPKPdEEvT1_T3_lS5_lPS5_llPT2_S5_S5_S7_l.num_agpr, 0
	.set _ZN9rocsolver6v33100L18getf2_small_kernelILi9EdiiPKPdEEvT1_T3_lS5_lPS5_llPT2_S5_S5_S7_l.numbered_sgpr, 14
	.set _ZN9rocsolver6v33100L18getf2_small_kernelILi9EdiiPKPdEEvT1_T3_lS5_lPS5_llPT2_S5_S5_S7_l.num_named_barrier, 0
	.set _ZN9rocsolver6v33100L18getf2_small_kernelILi9EdiiPKPdEEvT1_T3_lS5_lPS5_llPT2_S5_S5_S7_l.private_seg_size, 0
	.set _ZN9rocsolver6v33100L18getf2_small_kernelILi9EdiiPKPdEEvT1_T3_lS5_lPS5_llPT2_S5_S5_S7_l.uses_vcc, 1
	.set _ZN9rocsolver6v33100L18getf2_small_kernelILi9EdiiPKPdEEvT1_T3_lS5_lPS5_llPT2_S5_S5_S7_l.uses_flat_scratch, 1
	.set _ZN9rocsolver6v33100L18getf2_small_kernelILi9EdiiPKPdEEvT1_T3_lS5_lPS5_llPT2_S5_S5_S7_l.has_dyn_sized_stack, 0
	.set _ZN9rocsolver6v33100L18getf2_small_kernelILi9EdiiPKPdEEvT1_T3_lS5_lPS5_llPT2_S5_S5_S7_l.has_recursion, 0
	.set _ZN9rocsolver6v33100L18getf2_small_kernelILi9EdiiPKPdEEvT1_T3_lS5_lPS5_llPT2_S5_S5_S7_l.has_indirect_call, 0
	.section	.AMDGPU.csdata,"",@progbits
; Kernel info:
; codeLenInByte = 5940
; TotalNumSgprs: 16
; NumVgprs: 49
; ScratchSize: 0
; MemoryBound: 0
; FloatMode: 240
; IeeeMode: 1
; LDSByteSize: 0 bytes/workgroup (compile time only)
; SGPRBlocks: 0
; VGPRBlocks: 6
; NumSGPRsForWavesPerEU: 16
; NumVGPRsForWavesPerEU: 49
; Occupancy: 16
; WaveLimiterHint : 1
; COMPUTE_PGM_RSRC2:SCRATCH_EN: 0
; COMPUTE_PGM_RSRC2:USER_SGPR: 6
; COMPUTE_PGM_RSRC2:TRAP_HANDLER: 0
; COMPUTE_PGM_RSRC2:TGID_X_EN: 1
; COMPUTE_PGM_RSRC2:TGID_Y_EN: 1
; COMPUTE_PGM_RSRC2:TGID_Z_EN: 0
; COMPUTE_PGM_RSRC2:TIDIG_COMP_CNT: 1
	.section	.text._ZN9rocsolver6v33100L23getf2_npvt_small_kernelILi9EdiiPKPdEEvT1_T3_lS5_lPT2_S5_S5_,"axG",@progbits,_ZN9rocsolver6v33100L23getf2_npvt_small_kernelILi9EdiiPKPdEEvT1_T3_lS5_lPT2_S5_S5_,comdat
	.globl	_ZN9rocsolver6v33100L23getf2_npvt_small_kernelILi9EdiiPKPdEEvT1_T3_lS5_lPT2_S5_S5_ ; -- Begin function _ZN9rocsolver6v33100L23getf2_npvt_small_kernelILi9EdiiPKPdEEvT1_T3_lS5_lPT2_S5_S5_
	.p2align	8
	.type	_ZN9rocsolver6v33100L23getf2_npvt_small_kernelILi9EdiiPKPdEEvT1_T3_lS5_lPT2_S5_S5_,@function
_ZN9rocsolver6v33100L23getf2_npvt_small_kernelILi9EdiiPKPdEEvT1_T3_lS5_lPT2_S5_S5_: ; @_ZN9rocsolver6v33100L23getf2_npvt_small_kernelILi9EdiiPKPdEEvT1_T3_lS5_lPT2_S5_S5_
; %bb.0:
	s_clause 0x1
	s_load_dword s0, s[4:5], 0x44
	s_load_dwordx2 s[8:9], s[4:5], 0x30
	s_waitcnt lgkmcnt(0)
	s_lshr_b32 s6, s0, 16
	s_mov_b32 s0, exec_lo
	v_mad_u64_u32 v[2:3], null, s7, s6, v[1:2]
	v_cmpx_gt_i32_e64 s8, v2
	s_cbranch_execz .LBB17_49
; %bb.1:
	s_clause 0x1
	s_load_dwordx4 s[0:3], s[4:5], 0x8
	s_load_dword s10, s[4:5], 0x18
	v_ashrrev_i32_e32 v3, 31, v2
	v_lshlrev_b32_e32 v24, 3, v0
	v_lshlrev_b32_e32 v40, 3, v1
	s_mulk_i32 s6, 0x48
	v_mad_u32_u24 v56, 0x48, v1, 0
	v_lshlrev_b64 v[4:5], 3, v[2:3]
	v_add3_u32 v1, 0, s6, v40
	s_waitcnt lgkmcnt(0)
	v_add_co_u32 v4, vcc_lo, s0, v4
	v_add_co_ci_u32_e64 v5, null, s1, v5, vcc_lo
	v_add3_u32 v6, s10, s10, v0
	s_lshl_b64 s[0:1], s[2:3], 3
	s_ashr_i32 s11, s10, 31
	global_load_dwordx2 v[4:5], v[4:5], off
	s_lshl_b64 s[2:3], s[10:11], 3
	v_add_nc_u32_e32 v8, s10, v6
	v_ashrrev_i32_e32 v7, 31, v6
	v_add_nc_u32_e32 v10, s10, v8
	v_ashrrev_i32_e32 v9, 31, v8
	v_lshlrev_b64 v[16:17], 3, v[6:7]
	v_add_nc_u32_e32 v12, s10, v10
	v_lshlrev_b64 v[18:19], 3, v[8:9]
	v_ashrrev_i32_e32 v11, 31, v10
	v_add_nc_u32_e32 v14, s10, v12
	v_ashrrev_i32_e32 v13, 31, v12
	v_lshlrev_b64 v[10:11], 3, v[10:11]
	v_add_nc_u32_e32 v6, s10, v14
	v_ashrrev_i32_e32 v15, 31, v14
	v_lshlrev_b64 v[12:13], 3, v[12:13]
	;; [unrolled: 3-line block ×3, first 2 shown]
	v_ashrrev_i32_e32 v9, 31, v8
	v_lshlrev_b64 v[20:21], 3, v[6:7]
	v_lshlrev_b64 v[22:23], 3, v[8:9]
	s_waitcnt vmcnt(0)
	v_add_co_u32 v25, vcc_lo, v4, s0
	v_add_co_ci_u32_e64 v26, null, s1, v5, vcc_lo
	v_cmp_ne_u32_e64 s1, 0, v0
	v_add_co_u32 v6, vcc_lo, v25, v24
	v_add_co_ci_u32_e64 v7, null, 0, v26, vcc_lo
	v_add_co_u32 v8, vcc_lo, v25, v16
	v_add_co_ci_u32_e64 v9, null, v26, v17, vcc_lo
	;; [unrolled: 2-line block ×9, first 2 shown]
	s_clause 0x8
	flat_load_dwordx2 v[20:21], v[10:11]
	flat_load_dwordx2 v[22:23], v[12:13]
	;; [unrolled: 1-line block ×9, first 2 shown]
	v_cmp_eq_u32_e64 s0, 0, v0
	s_and_saveexec_b32 s2, s0
	s_cbranch_execz .LBB17_4
; %bb.2:
	s_waitcnt vmcnt(4) lgkmcnt(4)
	ds_write_b64 v1, v[32:33]
	s_waitcnt vmcnt(2) lgkmcnt(3)
	ds_write2_b64 v56, v[34:35], v[36:37] offset0:1 offset1:2
	s_waitcnt vmcnt(1) lgkmcnt(3)
	ds_write2_b64 v56, v[30:31], v[20:21] offset0:3 offset1:4
	ds_write2_b64 v56, v[22:23], v[24:25] offset0:5 offset1:6
	s_waitcnt vmcnt(0) lgkmcnt(4)
	ds_write2_b64 v56, v[26:27], v[38:39] offset0:7 offset1:8
	ds_read_b64 v[40:41], v1
	s_waitcnt lgkmcnt(0)
	v_cmp_neq_f64_e32 vcc_lo, 0, v[40:41]
	s_and_b32 exec_lo, exec_lo, vcc_lo
	s_cbranch_execz .LBB17_4
; %bb.3:
	v_div_scale_f64 v[42:43], null, v[40:41], v[40:41], 1.0
	v_rcp_f64_e32 v[44:45], v[42:43]
	v_fma_f64 v[46:47], -v[42:43], v[44:45], 1.0
	v_fma_f64 v[44:45], v[44:45], v[46:47], v[44:45]
	v_fma_f64 v[46:47], -v[42:43], v[44:45], 1.0
	v_fma_f64 v[44:45], v[44:45], v[46:47], v[44:45]
	v_div_scale_f64 v[46:47], vcc_lo, 1.0, v[40:41], 1.0
	v_mul_f64 v[48:49], v[46:47], v[44:45]
	v_fma_f64 v[42:43], -v[42:43], v[48:49], v[46:47]
	v_div_fmas_f64 v[42:43], v[42:43], v[44:45], v[48:49]
	v_div_fixup_f64 v[40:41], v[42:43], v[40:41], 1.0
	ds_write_b64 v1, v[40:41]
.LBB17_4:
	s_or_b32 exec_lo, exec_lo, s2
	s_waitcnt vmcnt(0) lgkmcnt(0)
	s_barrier
	buffer_gl0_inv
	ds_read_b64 v[40:41], v1
	s_and_saveexec_b32 s2, s1
	s_cbranch_execz .LBB17_6
; %bb.5:
	s_waitcnt lgkmcnt(0)
	v_mul_f64 v[32:33], v[32:33], v[40:41]
	ds_read2_b64 v[42:45], v56 offset0:1 offset1:2
	ds_read2_b64 v[46:49], v56 offset0:3 offset1:4
	;; [unrolled: 1-line block ×4, first 2 shown]
	s_waitcnt lgkmcnt(3)
	v_fma_f64 v[34:35], -v[32:33], v[42:43], v[34:35]
	v_fma_f64 v[36:37], -v[32:33], v[44:45], v[36:37]
	s_waitcnt lgkmcnt(2)
	v_fma_f64 v[30:31], -v[32:33], v[46:47], v[30:31]
	v_fma_f64 v[20:21], -v[32:33], v[48:49], v[20:21]
	s_waitcnt lgkmcnt(1)
	v_fma_f64 v[22:23], -v[32:33], v[50:51], v[22:23]
	v_fma_f64 v[24:25], -v[32:33], v[52:53], v[24:25]
	s_waitcnt lgkmcnt(0)
	v_fma_f64 v[26:27], -v[32:33], v[57:58], v[26:27]
	v_fma_f64 v[38:39], -v[32:33], v[59:60], v[38:39]
.LBB17_6:
	s_or_b32 exec_lo, exec_lo, s2
	s_mov_b32 s1, exec_lo
	s_waitcnt lgkmcnt(0)
	s_barrier
	buffer_gl0_inv
	v_cmpx_eq_u32_e32 1, v0
	s_cbranch_execz .LBB17_9
; %bb.7:
	ds_write_b64 v1, v[34:35]
	ds_write2_b64 v56, v[36:37], v[30:31] offset0:2 offset1:3
	ds_write2_b64 v56, v[20:21], v[22:23] offset0:4 offset1:5
	;; [unrolled: 1-line block ×3, first 2 shown]
	ds_write_b64 v56, v[38:39] offset:64
	ds_read_b64 v[42:43], v1
	s_waitcnt lgkmcnt(0)
	v_cmp_neq_f64_e32 vcc_lo, 0, v[42:43]
	s_and_b32 exec_lo, exec_lo, vcc_lo
	s_cbranch_execz .LBB17_9
; %bb.8:
	v_div_scale_f64 v[44:45], null, v[42:43], v[42:43], 1.0
	v_rcp_f64_e32 v[46:47], v[44:45]
	v_fma_f64 v[48:49], -v[44:45], v[46:47], 1.0
	v_fma_f64 v[46:47], v[46:47], v[48:49], v[46:47]
	v_fma_f64 v[48:49], -v[44:45], v[46:47], 1.0
	v_fma_f64 v[46:47], v[46:47], v[48:49], v[46:47]
	v_div_scale_f64 v[48:49], vcc_lo, 1.0, v[42:43], 1.0
	v_mul_f64 v[50:51], v[48:49], v[46:47]
	v_fma_f64 v[44:45], -v[44:45], v[50:51], v[48:49]
	v_div_fmas_f64 v[44:45], v[44:45], v[46:47], v[50:51]
	v_div_fixup_f64 v[42:43], v[44:45], v[42:43], 1.0
	ds_write_b64 v1, v[42:43]
.LBB17_9:
	s_or_b32 exec_lo, exec_lo, s1
	s_waitcnt lgkmcnt(0)
	s_barrier
	buffer_gl0_inv
	ds_read_b64 v[42:43], v1
	s_mov_b32 s1, exec_lo
	v_cmpx_lt_u32_e32 1, v0
	s_cbranch_execz .LBB17_11
; %bb.10:
	s_waitcnt lgkmcnt(0)
	v_mul_f64 v[34:35], v[34:35], v[42:43]
	ds_read2_b64 v[44:47], v56 offset0:2 offset1:3
	ds_read2_b64 v[48:51], v56 offset0:4 offset1:5
	;; [unrolled: 1-line block ×3, first 2 shown]
	ds_read_b64 v[57:58], v56 offset:64
	s_waitcnt lgkmcnt(3)
	v_fma_f64 v[36:37], -v[34:35], v[44:45], v[36:37]
	v_fma_f64 v[30:31], -v[34:35], v[46:47], v[30:31]
	s_waitcnt lgkmcnt(2)
	v_fma_f64 v[20:21], -v[34:35], v[48:49], v[20:21]
	v_fma_f64 v[22:23], -v[34:35], v[50:51], v[22:23]
	;; [unrolled: 3-line block ×3, first 2 shown]
	s_waitcnt lgkmcnt(0)
	v_fma_f64 v[38:39], -v[34:35], v[57:58], v[38:39]
.LBB17_11:
	s_or_b32 exec_lo, exec_lo, s1
	s_mov_b32 s1, exec_lo
	s_waitcnt lgkmcnt(0)
	s_barrier
	buffer_gl0_inv
	v_cmpx_eq_u32_e32 2, v0
	s_cbranch_execz .LBB17_14
; %bb.12:
	ds_write_b64 v1, v[36:37]
	ds_write2_b64 v56, v[30:31], v[20:21] offset0:3 offset1:4
	ds_write2_b64 v56, v[22:23], v[24:25] offset0:5 offset1:6
	;; [unrolled: 1-line block ×3, first 2 shown]
	ds_read_b64 v[44:45], v1
	s_waitcnt lgkmcnt(0)
	v_cmp_neq_f64_e32 vcc_lo, 0, v[44:45]
	s_and_b32 exec_lo, exec_lo, vcc_lo
	s_cbranch_execz .LBB17_14
; %bb.13:
	v_div_scale_f64 v[46:47], null, v[44:45], v[44:45], 1.0
	v_rcp_f64_e32 v[48:49], v[46:47]
	v_fma_f64 v[50:51], -v[46:47], v[48:49], 1.0
	v_fma_f64 v[48:49], v[48:49], v[50:51], v[48:49]
	v_fma_f64 v[50:51], -v[46:47], v[48:49], 1.0
	v_fma_f64 v[48:49], v[48:49], v[50:51], v[48:49]
	v_div_scale_f64 v[50:51], vcc_lo, 1.0, v[44:45], 1.0
	v_mul_f64 v[52:53], v[50:51], v[48:49]
	v_fma_f64 v[46:47], -v[46:47], v[52:53], v[50:51]
	v_div_fmas_f64 v[46:47], v[46:47], v[48:49], v[52:53]
	v_div_fixup_f64 v[44:45], v[46:47], v[44:45], 1.0
	ds_write_b64 v1, v[44:45]
.LBB17_14:
	s_or_b32 exec_lo, exec_lo, s1
	s_waitcnt lgkmcnt(0)
	s_barrier
	buffer_gl0_inv
	ds_read_b64 v[44:45], v1
	s_mov_b32 s1, exec_lo
	v_cmpx_lt_u32_e32 2, v0
	s_cbranch_execz .LBB17_16
; %bb.15:
	s_waitcnt lgkmcnt(0)
	v_mul_f64 v[36:37], v[36:37], v[44:45]
	ds_read2_b64 v[46:49], v56 offset0:3 offset1:4
	ds_read2_b64 v[50:53], v56 offset0:5 offset1:6
	;; [unrolled: 1-line block ×3, first 2 shown]
	s_waitcnt lgkmcnt(2)
	v_fma_f64 v[30:31], -v[36:37], v[46:47], v[30:31]
	v_fma_f64 v[20:21], -v[36:37], v[48:49], v[20:21]
	s_waitcnt lgkmcnt(1)
	v_fma_f64 v[22:23], -v[36:37], v[50:51], v[22:23]
	v_fma_f64 v[24:25], -v[36:37], v[52:53], v[24:25]
	;; [unrolled: 3-line block ×3, first 2 shown]
.LBB17_16:
	s_or_b32 exec_lo, exec_lo, s1
	s_mov_b32 s1, exec_lo
	s_waitcnt lgkmcnt(0)
	s_barrier
	buffer_gl0_inv
	v_cmpx_eq_u32_e32 3, v0
	s_cbranch_execz .LBB17_19
; %bb.17:
	ds_write_b64 v1, v[30:31]
	ds_write2_b64 v56, v[20:21], v[22:23] offset0:4 offset1:5
	ds_write2_b64 v56, v[24:25], v[26:27] offset0:6 offset1:7
	ds_write_b64 v56, v[38:39] offset:64
	ds_read_b64 v[46:47], v1
	s_waitcnt lgkmcnt(0)
	v_cmp_neq_f64_e32 vcc_lo, 0, v[46:47]
	s_and_b32 exec_lo, exec_lo, vcc_lo
	s_cbranch_execz .LBB17_19
; %bb.18:
	v_div_scale_f64 v[48:49], null, v[46:47], v[46:47], 1.0
	v_rcp_f64_e32 v[50:51], v[48:49]
	v_fma_f64 v[52:53], -v[48:49], v[50:51], 1.0
	v_fma_f64 v[50:51], v[50:51], v[52:53], v[50:51]
	v_fma_f64 v[52:53], -v[48:49], v[50:51], 1.0
	v_fma_f64 v[50:51], v[50:51], v[52:53], v[50:51]
	v_div_scale_f64 v[52:53], vcc_lo, 1.0, v[46:47], 1.0
	v_mul_f64 v[54:55], v[52:53], v[50:51]
	v_fma_f64 v[48:49], -v[48:49], v[54:55], v[52:53]
	v_div_fmas_f64 v[48:49], v[48:49], v[50:51], v[54:55]
	v_div_fixup_f64 v[46:47], v[48:49], v[46:47], 1.0
	ds_write_b64 v1, v[46:47]
.LBB17_19:
	s_or_b32 exec_lo, exec_lo, s1
	s_waitcnt lgkmcnt(0)
	s_barrier
	buffer_gl0_inv
	ds_read_b64 v[46:47], v1
	s_mov_b32 s1, exec_lo
	v_cmpx_lt_u32_e32 3, v0
	s_cbranch_execz .LBB17_21
; %bb.20:
	s_waitcnt lgkmcnt(0)
	v_mul_f64 v[30:31], v[30:31], v[46:47]
	ds_read2_b64 v[48:51], v56 offset0:4 offset1:5
	ds_read2_b64 v[52:55], v56 offset0:6 offset1:7
	ds_read_b64 v[57:58], v56 offset:64
	s_waitcnt lgkmcnt(2)
	v_fma_f64 v[20:21], -v[30:31], v[48:49], v[20:21]
	v_fma_f64 v[22:23], -v[30:31], v[50:51], v[22:23]
	s_waitcnt lgkmcnt(1)
	v_fma_f64 v[24:25], -v[30:31], v[52:53], v[24:25]
	v_fma_f64 v[26:27], -v[30:31], v[54:55], v[26:27]
	s_waitcnt lgkmcnt(0)
	v_fma_f64 v[38:39], -v[30:31], v[57:58], v[38:39]
.LBB17_21:
	s_or_b32 exec_lo, exec_lo, s1
	s_mov_b32 s1, exec_lo
	s_waitcnt lgkmcnt(0)
	s_barrier
	buffer_gl0_inv
	v_cmpx_eq_u32_e32 4, v0
	s_cbranch_execz .LBB17_24
; %bb.22:
	ds_write_b64 v1, v[20:21]
	ds_write2_b64 v56, v[22:23], v[24:25] offset0:5 offset1:6
	ds_write2_b64 v56, v[26:27], v[38:39] offset0:7 offset1:8
	ds_read_b64 v[48:49], v1
	s_waitcnt lgkmcnt(0)
	v_cmp_neq_f64_e32 vcc_lo, 0, v[48:49]
	s_and_b32 exec_lo, exec_lo, vcc_lo
	s_cbranch_execz .LBB17_24
; %bb.23:
	v_div_scale_f64 v[50:51], null, v[48:49], v[48:49], 1.0
	v_rcp_f64_e32 v[52:53], v[50:51]
	v_fma_f64 v[54:55], -v[50:51], v[52:53], 1.0
	v_fma_f64 v[52:53], v[52:53], v[54:55], v[52:53]
	v_fma_f64 v[54:55], -v[50:51], v[52:53], 1.0
	v_fma_f64 v[52:53], v[52:53], v[54:55], v[52:53]
	v_div_scale_f64 v[54:55], vcc_lo, 1.0, v[48:49], 1.0
	v_mul_f64 v[57:58], v[54:55], v[52:53]
	v_fma_f64 v[50:51], -v[50:51], v[57:58], v[54:55]
	v_div_fmas_f64 v[50:51], v[50:51], v[52:53], v[57:58]
	v_div_fixup_f64 v[48:49], v[50:51], v[48:49], 1.0
	ds_write_b64 v1, v[48:49]
.LBB17_24:
	s_or_b32 exec_lo, exec_lo, s1
	s_waitcnt lgkmcnt(0)
	s_barrier
	buffer_gl0_inv
	ds_read_b64 v[48:49], v1
	s_mov_b32 s1, exec_lo
	v_cmpx_lt_u32_e32 4, v0
	s_cbranch_execz .LBB17_26
; %bb.25:
	s_waitcnt lgkmcnt(0)
	v_mul_f64 v[20:21], v[20:21], v[48:49]
	ds_read2_b64 v[50:53], v56 offset0:5 offset1:6
	ds_read2_b64 v[57:60], v56 offset0:7 offset1:8
	s_waitcnt lgkmcnt(1)
	v_fma_f64 v[22:23], -v[20:21], v[50:51], v[22:23]
	v_fma_f64 v[24:25], -v[20:21], v[52:53], v[24:25]
	s_waitcnt lgkmcnt(0)
	v_fma_f64 v[26:27], -v[20:21], v[57:58], v[26:27]
	v_fma_f64 v[38:39], -v[20:21], v[59:60], v[38:39]
.LBB17_26:
	s_or_b32 exec_lo, exec_lo, s1
	s_mov_b32 s1, exec_lo
	s_waitcnt lgkmcnt(0)
	s_barrier
	buffer_gl0_inv
	v_cmpx_eq_u32_e32 5, v0
	s_cbranch_execz .LBB17_29
; %bb.27:
	ds_write_b64 v1, v[22:23]
	ds_write2_b64 v56, v[24:25], v[26:27] offset0:6 offset1:7
	ds_write_b64 v56, v[38:39] offset:64
	ds_read_b64 v[50:51], v1
	s_waitcnt lgkmcnt(0)
	v_cmp_neq_f64_e32 vcc_lo, 0, v[50:51]
	s_and_b32 exec_lo, exec_lo, vcc_lo
	s_cbranch_execz .LBB17_29
; %bb.28:
	v_div_scale_f64 v[52:53], null, v[50:51], v[50:51], 1.0
	v_rcp_f64_e32 v[54:55], v[52:53]
	v_fma_f64 v[57:58], -v[52:53], v[54:55], 1.0
	v_fma_f64 v[54:55], v[54:55], v[57:58], v[54:55]
	v_fma_f64 v[57:58], -v[52:53], v[54:55], 1.0
	v_fma_f64 v[54:55], v[54:55], v[57:58], v[54:55]
	v_div_scale_f64 v[57:58], vcc_lo, 1.0, v[50:51], 1.0
	v_mul_f64 v[59:60], v[57:58], v[54:55]
	v_fma_f64 v[52:53], -v[52:53], v[59:60], v[57:58]
	v_div_fmas_f64 v[52:53], v[52:53], v[54:55], v[59:60]
	v_div_fixup_f64 v[50:51], v[52:53], v[50:51], 1.0
	ds_write_b64 v1, v[50:51]
.LBB17_29:
	s_or_b32 exec_lo, exec_lo, s1
	s_waitcnt lgkmcnt(0)
	s_barrier
	buffer_gl0_inv
	ds_read_b64 v[50:51], v1
	s_mov_b32 s1, exec_lo
	v_cmpx_lt_u32_e32 5, v0
	s_cbranch_execz .LBB17_31
; %bb.30:
	s_waitcnt lgkmcnt(0)
	v_mul_f64 v[22:23], v[22:23], v[50:51]
	ds_read2_b64 v[52:55], v56 offset0:6 offset1:7
	ds_read_b64 v[57:58], v56 offset:64
	s_waitcnt lgkmcnt(1)
	v_fma_f64 v[24:25], -v[22:23], v[52:53], v[24:25]
	v_fma_f64 v[26:27], -v[22:23], v[54:55], v[26:27]
	s_waitcnt lgkmcnt(0)
	v_fma_f64 v[38:39], -v[22:23], v[57:58], v[38:39]
.LBB17_31:
	s_or_b32 exec_lo, exec_lo, s1
	s_mov_b32 s1, exec_lo
	s_waitcnt lgkmcnt(0)
	s_barrier
	buffer_gl0_inv
	v_cmpx_eq_u32_e32 6, v0
	s_cbranch_execz .LBB17_34
; %bb.32:
	ds_write_b64 v1, v[24:25]
	ds_write2_b64 v56, v[26:27], v[38:39] offset0:7 offset1:8
	ds_read_b64 v[52:53], v1
	s_waitcnt lgkmcnt(0)
	v_cmp_neq_f64_e32 vcc_lo, 0, v[52:53]
	s_and_b32 exec_lo, exec_lo, vcc_lo
	s_cbranch_execz .LBB17_34
; %bb.33:
	v_div_scale_f64 v[54:55], null, v[52:53], v[52:53], 1.0
	v_rcp_f64_e32 v[57:58], v[54:55]
	v_fma_f64 v[59:60], -v[54:55], v[57:58], 1.0
	v_fma_f64 v[57:58], v[57:58], v[59:60], v[57:58]
	v_fma_f64 v[59:60], -v[54:55], v[57:58], 1.0
	v_fma_f64 v[57:58], v[57:58], v[59:60], v[57:58]
	v_div_scale_f64 v[59:60], vcc_lo, 1.0, v[52:53], 1.0
	v_mul_f64 v[61:62], v[59:60], v[57:58]
	v_fma_f64 v[54:55], -v[54:55], v[61:62], v[59:60]
	v_div_fmas_f64 v[54:55], v[54:55], v[57:58], v[61:62]
	v_div_fixup_f64 v[52:53], v[54:55], v[52:53], 1.0
	ds_write_b64 v1, v[52:53]
.LBB17_34:
	s_or_b32 exec_lo, exec_lo, s1
	s_waitcnt lgkmcnt(0)
	s_barrier
	buffer_gl0_inv
	ds_read_b64 v[52:53], v1
	s_mov_b32 s1, exec_lo
	v_cmpx_lt_u32_e32 6, v0
	s_cbranch_execz .LBB17_36
; %bb.35:
	s_waitcnt lgkmcnt(0)
	v_mul_f64 v[24:25], v[24:25], v[52:53]
	ds_read2_b64 v[57:60], v56 offset0:7 offset1:8
	s_waitcnt lgkmcnt(0)
	v_fma_f64 v[26:27], -v[24:25], v[57:58], v[26:27]
	v_fma_f64 v[38:39], -v[24:25], v[59:60], v[38:39]
.LBB17_36:
	s_or_b32 exec_lo, exec_lo, s1
	s_mov_b32 s1, exec_lo
	s_waitcnt lgkmcnt(0)
	s_barrier
	buffer_gl0_inv
	v_cmpx_eq_u32_e32 7, v0
	s_cbranch_execz .LBB17_39
; %bb.37:
	ds_write_b64 v1, v[26:27]
	ds_write_b64 v56, v[38:39] offset:64
	ds_read_b64 v[54:55], v1
	s_waitcnt lgkmcnt(0)
	v_cmp_neq_f64_e32 vcc_lo, 0, v[54:55]
	s_and_b32 exec_lo, exec_lo, vcc_lo
	s_cbranch_execz .LBB17_39
; %bb.38:
	v_div_scale_f64 v[57:58], null, v[54:55], v[54:55], 1.0
	v_rcp_f64_e32 v[59:60], v[57:58]
	v_fma_f64 v[61:62], -v[57:58], v[59:60], 1.0
	v_fma_f64 v[59:60], v[59:60], v[61:62], v[59:60]
	v_fma_f64 v[61:62], -v[57:58], v[59:60], 1.0
	v_fma_f64 v[59:60], v[59:60], v[61:62], v[59:60]
	v_div_scale_f64 v[61:62], vcc_lo, 1.0, v[54:55], 1.0
	v_mul_f64 v[63:64], v[61:62], v[59:60]
	v_fma_f64 v[57:58], -v[57:58], v[63:64], v[61:62]
	v_div_fmas_f64 v[57:58], v[57:58], v[59:60], v[63:64]
	v_div_fixup_f64 v[54:55], v[57:58], v[54:55], 1.0
	ds_write_b64 v1, v[54:55]
.LBB17_39:
	s_or_b32 exec_lo, exec_lo, s1
	s_waitcnt lgkmcnt(0)
	s_barrier
	buffer_gl0_inv
	ds_read_b64 v[54:55], v1
	s_mov_b32 s1, exec_lo
	v_cmpx_lt_u32_e32 7, v0
	s_cbranch_execz .LBB17_41
; %bb.40:
	s_waitcnt lgkmcnt(0)
	v_mul_f64 v[26:27], v[26:27], v[54:55]
	ds_read_b64 v[56:57], v56 offset:64
	s_waitcnt lgkmcnt(0)
	v_fma_f64 v[38:39], -v[26:27], v[56:57], v[38:39]
.LBB17_41:
	s_or_b32 exec_lo, exec_lo, s1
	s_mov_b32 s1, exec_lo
	s_waitcnt lgkmcnt(0)
	s_barrier
	buffer_gl0_inv
	v_cmpx_ne_u32_e32 8, v0
	s_xor_b32 s1, exec_lo, s1
	s_andn2_saveexec_b32 s1, s1
	s_cbranch_execz .LBB17_45
; %bb.42:
	s_mov_b32 s2, exec_lo
	ds_write_b64 v1, v[38:39]
	v_cmpx_neq_f64_e32 0, v[38:39]
	s_cbranch_execz .LBB17_44
; %bb.43:
	v_div_scale_f64 v[56:57], null, v[38:39], v[38:39], 1.0
	v_rcp_f64_e32 v[58:59], v[56:57]
	v_fma_f64 v[60:61], -v[56:57], v[58:59], 1.0
	v_fma_f64 v[58:59], v[58:59], v[60:61], v[58:59]
	v_fma_f64 v[60:61], -v[56:57], v[58:59], 1.0
	v_fma_f64 v[58:59], v[58:59], v[60:61], v[58:59]
	v_div_scale_f64 v[60:61], vcc_lo, 1.0, v[38:39], 1.0
	v_mul_f64 v[62:63], v[60:61], v[58:59]
	v_fma_f64 v[56:57], -v[56:57], v[62:63], v[60:61]
	v_div_fmas_f64 v[56:57], v[56:57], v[58:59], v[62:63]
	v_div_fixup_f64 v[56:57], v[56:57], v[38:39], 1.0
	ds_write_b64 v1, v[56:57]
.LBB17_44:
	s_or_b32 exec_lo, exec_lo, s2
.LBB17_45:
	s_or_b32 exec_lo, exec_lo, s1
	s_waitcnt lgkmcnt(0)
	s_barrier
	buffer_gl0_inv
	ds_read_b64 v[56:57], v1
	s_waitcnt lgkmcnt(0)
	s_barrier
	buffer_gl0_inv
	s_and_saveexec_b32 s3, s0
	s_cbranch_execz .LBB17_48
; %bb.46:
	s_load_dwordx2 s[0:1], s[4:5], 0x28
	v_lshlrev_b64 v[1:2], 2, v[2:3]
	v_cmp_eq_f64_e64 s2, 0, v[46:47]
	s_waitcnt lgkmcnt(0)
	v_add_co_u32 v1, vcc_lo, s0, v1
	v_add_co_ci_u32_e64 v2, null, s1, v2, vcc_lo
	v_cmp_eq_f64_e32 vcc_lo, 0, v[40:41]
	v_cmp_neq_f64_e64 s0, 0, v[42:43]
	v_cmp_eq_f64_e64 s1, 0, v[44:45]
	global_load_dword v58, v[1:2], off
	v_cndmask_b32_e64 v3, 0, 1, vcc_lo
	s_or_b32 vcc_lo, s0, vcc_lo
	v_cmp_eq_f64_e64 s0, 0, v[48:49]
	v_cndmask_b32_e32 v3, 2, v3, vcc_lo
	v_cmp_eq_u32_e32 vcc_lo, 0, v3
	s_and_b32 s1, s1, vcc_lo
	v_cndmask_b32_e64 v3, v3, 3, s1
	v_cmp_eq_f64_e64 s1, 0, v[50:51]
	v_cmp_eq_u32_e32 vcc_lo, 0, v3
	s_and_b32 s2, s2, vcc_lo
	v_cndmask_b32_e64 v3, v3, 4, s2
	v_cmp_eq_f64_e64 s2, 0, v[52:53]
	;; [unrolled: 4-line block ×4, first 2 shown]
	v_cmp_eq_u32_e32 vcc_lo, 0, v3
	s_and_b32 s2, s2, vcc_lo
	v_cndmask_b32_e64 v3, v3, 7, s2
	v_cmp_eq_u32_e32 vcc_lo, 0, v3
	s_and_b32 s0, s0, vcc_lo
	v_cndmask_b32_e64 v3, v3, 8, s0
	;; [unrolled: 3-line block ×3, first 2 shown]
	v_cmp_ne_u32_e64 s0, 0, v3
	s_waitcnt vmcnt(0)
	v_cmp_eq_u32_e32 vcc_lo, 0, v58
	s_and_b32 s0, vcc_lo, s0
	s_and_b32 exec_lo, exec_lo, s0
	s_cbranch_execz .LBB17_48
; %bb.47:
	v_add_nc_u32_e32 v3, s9, v3
	global_store_dword v[1:2], v3, off
.LBB17_48:
	s_or_b32 exec_lo, exec_lo, s3
	v_mul_f64 v[1:2], v[38:39], v[56:57]
	v_cmp_lt_u32_e32 vcc_lo, 8, v0
	flat_store_dwordx2 v[6:7], v[32:33]
	flat_store_dwordx2 v[28:29], v[34:35]
	;; [unrolled: 1-line block ×3, first 2 shown]
	v_cndmask_b32_e32 v2, v39, v2, vcc_lo
	v_cndmask_b32_e32 v1, v38, v1, vcc_lo
	flat_store_dwordx2 v[4:5], v[30:31]
	flat_store_dwordx2 v[10:11], v[20:21]
	;; [unrolled: 1-line block ×6, first 2 shown]
.LBB17_49:
	s_endpgm
	.section	.rodata,"a",@progbits
	.p2align	6, 0x0
	.amdhsa_kernel _ZN9rocsolver6v33100L23getf2_npvt_small_kernelILi9EdiiPKPdEEvT1_T3_lS5_lPT2_S5_S5_
		.amdhsa_group_segment_fixed_size 0
		.amdhsa_private_segment_fixed_size 0
		.amdhsa_kernarg_size 312
		.amdhsa_user_sgpr_count 6
		.amdhsa_user_sgpr_private_segment_buffer 1
		.amdhsa_user_sgpr_dispatch_ptr 0
		.amdhsa_user_sgpr_queue_ptr 0
		.amdhsa_user_sgpr_kernarg_segment_ptr 1
		.amdhsa_user_sgpr_dispatch_id 0
		.amdhsa_user_sgpr_flat_scratch_init 0
		.amdhsa_user_sgpr_private_segment_size 0
		.amdhsa_wavefront_size32 1
		.amdhsa_uses_dynamic_stack 0
		.amdhsa_system_sgpr_private_segment_wavefront_offset 0
		.amdhsa_system_sgpr_workgroup_id_x 1
		.amdhsa_system_sgpr_workgroup_id_y 1
		.amdhsa_system_sgpr_workgroup_id_z 0
		.amdhsa_system_sgpr_workgroup_info 0
		.amdhsa_system_vgpr_workitem_id 1
		.amdhsa_next_free_vgpr 65
		.amdhsa_next_free_sgpr 12
		.amdhsa_reserve_vcc 1
		.amdhsa_reserve_flat_scratch 1
		.amdhsa_float_round_mode_32 0
		.amdhsa_float_round_mode_16_64 0
		.amdhsa_float_denorm_mode_32 3
		.amdhsa_float_denorm_mode_16_64 3
		.amdhsa_dx10_clamp 1
		.amdhsa_ieee_mode 1
		.amdhsa_fp16_overflow 0
		.amdhsa_workgroup_processor_mode 1
		.amdhsa_memory_ordered 1
		.amdhsa_forward_progress 1
		.amdhsa_shared_vgpr_count 0
		.amdhsa_exception_fp_ieee_invalid_op 0
		.amdhsa_exception_fp_denorm_src 0
		.amdhsa_exception_fp_ieee_div_zero 0
		.amdhsa_exception_fp_ieee_overflow 0
		.amdhsa_exception_fp_ieee_underflow 0
		.amdhsa_exception_fp_ieee_inexact 0
		.amdhsa_exception_int_div_zero 0
	.end_amdhsa_kernel
	.section	.text._ZN9rocsolver6v33100L23getf2_npvt_small_kernelILi9EdiiPKPdEEvT1_T3_lS5_lPT2_S5_S5_,"axG",@progbits,_ZN9rocsolver6v33100L23getf2_npvt_small_kernelILi9EdiiPKPdEEvT1_T3_lS5_lPT2_S5_S5_,comdat
.Lfunc_end17:
	.size	_ZN9rocsolver6v33100L23getf2_npvt_small_kernelILi9EdiiPKPdEEvT1_T3_lS5_lPT2_S5_S5_, .Lfunc_end17-_ZN9rocsolver6v33100L23getf2_npvt_small_kernelILi9EdiiPKPdEEvT1_T3_lS5_lPT2_S5_S5_
                                        ; -- End function
	.set _ZN9rocsolver6v33100L23getf2_npvt_small_kernelILi9EdiiPKPdEEvT1_T3_lS5_lPT2_S5_S5_.num_vgpr, 65
	.set _ZN9rocsolver6v33100L23getf2_npvt_small_kernelILi9EdiiPKPdEEvT1_T3_lS5_lPT2_S5_S5_.num_agpr, 0
	.set _ZN9rocsolver6v33100L23getf2_npvt_small_kernelILi9EdiiPKPdEEvT1_T3_lS5_lPT2_S5_S5_.numbered_sgpr, 12
	.set _ZN9rocsolver6v33100L23getf2_npvt_small_kernelILi9EdiiPKPdEEvT1_T3_lS5_lPT2_S5_S5_.num_named_barrier, 0
	.set _ZN9rocsolver6v33100L23getf2_npvt_small_kernelILi9EdiiPKPdEEvT1_T3_lS5_lPT2_S5_S5_.private_seg_size, 0
	.set _ZN9rocsolver6v33100L23getf2_npvt_small_kernelILi9EdiiPKPdEEvT1_T3_lS5_lPT2_S5_S5_.uses_vcc, 1
	.set _ZN9rocsolver6v33100L23getf2_npvt_small_kernelILi9EdiiPKPdEEvT1_T3_lS5_lPT2_S5_S5_.uses_flat_scratch, 1
	.set _ZN9rocsolver6v33100L23getf2_npvt_small_kernelILi9EdiiPKPdEEvT1_T3_lS5_lPT2_S5_S5_.has_dyn_sized_stack, 0
	.set _ZN9rocsolver6v33100L23getf2_npvt_small_kernelILi9EdiiPKPdEEvT1_T3_lS5_lPT2_S5_S5_.has_recursion, 0
	.set _ZN9rocsolver6v33100L23getf2_npvt_small_kernelILi9EdiiPKPdEEvT1_T3_lS5_lPT2_S5_S5_.has_indirect_call, 0
	.section	.AMDGPU.csdata,"",@progbits
; Kernel info:
; codeLenInByte = 3456
; TotalNumSgprs: 14
; NumVgprs: 65
; ScratchSize: 0
; MemoryBound: 0
; FloatMode: 240
; IeeeMode: 1
; LDSByteSize: 0 bytes/workgroup (compile time only)
; SGPRBlocks: 0
; VGPRBlocks: 8
; NumSGPRsForWavesPerEU: 14
; NumVGPRsForWavesPerEU: 65
; Occupancy: 12
; WaveLimiterHint : 1
; COMPUTE_PGM_RSRC2:SCRATCH_EN: 0
; COMPUTE_PGM_RSRC2:USER_SGPR: 6
; COMPUTE_PGM_RSRC2:TRAP_HANDLER: 0
; COMPUTE_PGM_RSRC2:TGID_X_EN: 1
; COMPUTE_PGM_RSRC2:TGID_Y_EN: 1
; COMPUTE_PGM_RSRC2:TGID_Z_EN: 0
; COMPUTE_PGM_RSRC2:TIDIG_COMP_CNT: 1
	.section	.text._ZN9rocsolver6v33100L18getf2_small_kernelILi10EdiiPKPdEEvT1_T3_lS5_lPS5_llPT2_S5_S5_S7_l,"axG",@progbits,_ZN9rocsolver6v33100L18getf2_small_kernelILi10EdiiPKPdEEvT1_T3_lS5_lPS5_llPT2_S5_S5_S7_l,comdat
	.globl	_ZN9rocsolver6v33100L18getf2_small_kernelILi10EdiiPKPdEEvT1_T3_lS5_lPS5_llPT2_S5_S5_S7_l ; -- Begin function _ZN9rocsolver6v33100L18getf2_small_kernelILi10EdiiPKPdEEvT1_T3_lS5_lPS5_llPT2_S5_S5_S7_l
	.p2align	8
	.type	_ZN9rocsolver6v33100L18getf2_small_kernelILi10EdiiPKPdEEvT1_T3_lS5_lPS5_llPT2_S5_S5_S7_l,@function
_ZN9rocsolver6v33100L18getf2_small_kernelILi10EdiiPKPdEEvT1_T3_lS5_lPS5_llPT2_S5_S5_S7_l: ; @_ZN9rocsolver6v33100L18getf2_small_kernelILi10EdiiPKPdEEvT1_T3_lS5_lPS5_llPT2_S5_S5_S7_l
; %bb.0:
	s_clause 0x1
	s_load_dword s0, s[4:5], 0x6c
	s_load_dwordx2 s[12:13], s[4:5], 0x48
	s_waitcnt lgkmcnt(0)
	s_lshr_b32 s0, s0, 16
	v_mad_u64_u32 v[2:3], null, s7, s0, v[1:2]
	s_mov_b32 s0, exec_lo
	v_cmpx_gt_i32_e64 s12, v2
	s_cbranch_execz .LBB18_167
; %bb.1:
	s_clause 0x1
	s_load_dwordx4 s[0:3], s[4:5], 0x8
	s_load_dwordx4 s[8:11], s[4:5], 0x50
	v_ashrrev_i32_e32 v3, 31, v2
	v_mov_b32_e32 v24, 0
	v_mov_b32_e32 v25, 0
	v_lshlrev_b64 v[4:5], 3, v[2:3]
	s_waitcnt lgkmcnt(0)
	v_add_co_u32 v4, vcc_lo, s0, v4
	v_add_co_ci_u32_e64 v5, null, s1, v5, vcc_lo
	s_cmp_eq_u64 s[8:9], 0
	s_cselect_b32 s6, -1, 0
	global_load_dwordx2 v[4:5], v[4:5], off
	s_and_b32 vcc_lo, exec_lo, s6
	s_cbranch_vccnz .LBB18_3
; %bb.2:
	v_mul_lo_u32 v8, s11, v2
	v_mul_lo_u32 v9, s10, v3
	v_mad_u64_u32 v[6:7], null, s10, v2, 0
	v_add3_u32 v7, v7, v9, v8
	v_lshlrev_b64 v[6:7], 2, v[6:7]
	v_add_co_u32 v24, vcc_lo, s8, v6
	v_add_co_ci_u32_e64 v25, null, s9, v7, vcc_lo
.LBB18_3:
	s_load_dword s8, s[4:5], 0x18
	s_lshl_b64 s[0:1], s[2:3], 3
	s_load_dword s2, s[4:5], 0x0
	s_waitcnt vmcnt(0)
	v_add_co_u32 v30, vcc_lo, v4, s0
	v_lshlrev_b32_e32 v33, 3, v0
	v_add_co_ci_u32_e64 v31, null, s1, v5, vcc_lo
	v_add_co_u32 v8, vcc_lo, v30, v33
	v_add_co_ci_u32_e64 v9, null, 0, v31, vcc_lo
	s_waitcnt lgkmcnt(0)
	v_add3_u32 v6, s8, s8, v0
	s_ashr_i32 s9, s8, 31
	s_max_i32 s0, s2, 10
	s_lshl_b64 s[10:11], s[8:9], 3
	v_mul_lo_u32 v1, s0, v1
	v_add_nc_u32_e32 v4, s8, v6
	v_ashrrev_i32_e32 v7, 31, v6
	v_add_co_u32 v12, vcc_lo, v8, s10
	v_add_co_ci_u32_e64 v13, null, s11, v9, vcc_lo
	v_add_nc_u32_e32 v10, s8, v4
	v_ashrrev_i32_e32 v5, 31, v4
	v_lshlrev_b64 v[6:7], 3, v[6:7]
	v_lshl_add_u32 v32, v1, 3, 0
	s_cmp_lt_i32 s2, 2
	v_add_nc_u32_e32 v14, s8, v10
	v_ashrrev_i32_e32 v11, 31, v10
	v_lshlrev_b64 v[4:5], 3, v[4:5]
	v_add_co_u32 v6, vcc_lo, v30, v6
	v_add_nc_u32_e32 v20, s8, v14
	v_lshlrev_b64 v[10:11], 3, v[10:11]
	v_ashrrev_i32_e32 v15, 31, v14
	v_add_co_ci_u32_e64 v7, null, v31, v7, vcc_lo
	v_add_nc_u32_e32 v26, s8, v20
	v_add_co_u32 v4, vcc_lo, v30, v4
	v_add_co_ci_u32_e64 v5, null, v31, v5, vcc_lo
	v_lshlrev_b64 v[22:23], 3, v[14:15]
	v_ashrrev_i32_e32 v21, 31, v20
	s_clause 0x3
	flat_load_dwordx2 v[18:19], v[8:9]
	flat_load_dwordx2 v[14:15], v[12:13]
	;; [unrolled: 1-line block ×4, first 2 shown]
	v_add_co_u32 v6, vcc_lo, v30, v10
	v_add_nc_u32_e32 v10, s8, v26
	v_ashrrev_i32_e32 v27, 31, v26
	v_add_co_ci_u32_e64 v7, null, v31, v11, vcc_lo
	v_lshlrev_b64 v[8:9], 3, v[20:21]
	v_add_co_u32 v12, vcc_lo, v30, v22
	v_add_nc_u32_e32 v22, s8, v10
	v_lshlrev_b64 v[20:21], 3, v[26:27]
	v_ashrrev_i32_e32 v11, 31, v10
	v_add_co_ci_u32_e64 v13, null, v31, v23, vcc_lo
	v_ashrrev_i32_e32 v23, 31, v22
	v_add_co_u32 v8, vcc_lo, v30, v8
	v_add_co_ci_u32_e64 v9, null, v31, v9, vcc_lo
	v_lshlrev_b64 v[10:11], 3, v[10:11]
	v_add_co_u32 v26, vcc_lo, v30, v20
	v_add_co_ci_u32_e64 v27, null, v31, v21, vcc_lo
	v_lshlrev_b64 v[20:21], 3, v[22:23]
	v_add_co_u32 v22, vcc_lo, v30, v10
	v_add_co_ci_u32_e64 v23, null, v31, v11, vcc_lo
	v_add_co_u32 v28, vcc_lo, v30, v20
	v_add_co_ci_u32_e64 v29, null, v31, v21, vcc_lo
	s_clause 0x5
	flat_load_dwordx2 v[20:21], v[6:7]
	flat_load_dwordx2 v[6:7], v[12:13]
	;; [unrolled: 1-line block ×6, first 2 shown]
	v_add_nc_u32_e32 v26, v32, v33
	v_mov_b32_e32 v28, 0
	v_lshlrev_b32_e32 v33, 3, v1
	s_waitcnt vmcnt(9) lgkmcnt(9)
	ds_write_b64 v26, v[18:19]
	s_waitcnt vmcnt(0) lgkmcnt(0)
	s_barrier
	buffer_gl0_inv
	ds_read_b64 v[26:27], v32
	s_cbranch_scc1 .LBB18_6
; %bb.4:
	v_add3_u32 v1, v33, 0, 8
	v_mov_b32_e32 v28, 0
	s_mov_b32 s0, 1
.LBB18_5:                               ; =>This Inner Loop Header: Depth=1
	ds_read_b64 v[34:35], v1
	v_add_nc_u32_e32 v1, 8, v1
	s_waitcnt lgkmcnt(0)
	v_cmp_lt_f64_e64 vcc_lo, |v[26:27]|, |v[34:35]|
	v_cndmask_b32_e32 v27, v27, v35, vcc_lo
	v_cndmask_b32_e32 v26, v26, v34, vcc_lo
	v_cndmask_b32_e64 v28, v28, s0, vcc_lo
	s_add_i32 s0, s0, 1
	s_cmp_eq_u32 s2, s0
	s_cbranch_scc0 .LBB18_5
.LBB18_6:
	s_mov_b32 s0, exec_lo
                                        ; implicit-def: $vgpr34
	v_cmpx_ne_u32_e64 v0, v28
	s_xor_b32 s0, exec_lo, s0
	s_cbranch_execz .LBB18_12
; %bb.7:
	s_mov_b32 s1, exec_lo
	v_cmpx_eq_u32_e32 0, v0
	s_cbranch_execz .LBB18_11
; %bb.8:
	v_cmp_ne_u32_e32 vcc_lo, 0, v28
	s_xor_b32 s3, s6, -1
	s_and_b32 s7, s3, vcc_lo
	s_and_saveexec_b32 s3, s7
	s_cbranch_execz .LBB18_10
; %bb.9:
	v_ashrrev_i32_e32 v29, 31, v28
	v_lshlrev_b64 v[0:1], 2, v[28:29]
	v_add_co_u32 v0, vcc_lo, v24, v0
	v_add_co_ci_u32_e64 v1, null, v25, v1, vcc_lo
	s_clause 0x1
	global_load_dword v29, v[0:1], off
	global_load_dword v34, v[24:25], off
	s_waitcnt vmcnt(1)
	global_store_dword v[24:25], v29, off
	s_waitcnt vmcnt(0)
	global_store_dword v[0:1], v34, off
.LBB18_10:
	s_or_b32 exec_lo, exec_lo, s3
	v_mov_b32_e32 v0, v28
.LBB18_11:
	s_or_b32 exec_lo, exec_lo, s1
	v_mov_b32_e32 v34, v0
                                        ; implicit-def: $vgpr0
.LBB18_12:
	s_or_saveexec_b32 s0, s0
	v_mov_b32_e32 v29, v34
	s_xor_b32 exec_lo, exec_lo, s0
	s_cbranch_execz .LBB18_14
; %bb.13:
	v_mov_b32_e32 v34, 0
	v_mov_b32_e32 v29, v0
	ds_write2_b64 v32, v[14:15], v[16:17] offset0:1 offset1:2
	ds_write2_b64 v32, v[4:5], v[20:21] offset0:3 offset1:4
	ds_write2_b64 v32, v[6:7], v[8:9] offset0:5 offset1:6
	ds_write2_b64 v32, v[10:11], v[12:13] offset0:7 offset1:8
	ds_write_b64 v32, v[22:23] offset:72
.LBB18_14:
	s_or_b32 exec_lo, exec_lo, s0
	s_waitcnt lgkmcnt(0)
	v_cmp_eq_f64_e64 s0, 0, v[26:27]
	s_mov_b32 s1, exec_lo
	s_waitcnt_vscnt null, 0x0
	s_barrier
	buffer_gl0_inv
	v_cmpx_lt_i32_e32 0, v34
	s_cbranch_execz .LBB18_16
; %bb.15:
	v_div_scale_f64 v[0:1], null, v[26:27], v[26:27], 1.0
	v_div_scale_f64 v[39:40], vcc_lo, 1.0, v[26:27], 1.0
	v_rcp_f64_e32 v[35:36], v[0:1]
	v_fma_f64 v[37:38], -v[0:1], v[35:36], 1.0
	v_fma_f64 v[35:36], v[35:36], v[37:38], v[35:36]
	v_fma_f64 v[37:38], -v[0:1], v[35:36], 1.0
	v_fma_f64 v[35:36], v[35:36], v[37:38], v[35:36]
	v_mul_f64 v[37:38], v[39:40], v[35:36]
	v_fma_f64 v[0:1], -v[0:1], v[37:38], v[39:40]
	v_div_fmas_f64 v[0:1], v[0:1], v[35:36], v[37:38]
	v_div_fixup_f64 v[0:1], v[0:1], v[26:27], 1.0
	v_cndmask_b32_e64 v1, v1, v27, s0
	v_cndmask_b32_e64 v0, v0, v26, s0
	v_mul_f64 v[18:19], v[18:19], v[0:1]
	ds_read2_b64 v[35:38], v32 offset0:1 offset1:2
	ds_read2_b64 v[39:42], v32 offset0:3 offset1:4
	;; [unrolled: 1-line block ×4, first 2 shown]
	ds_read_b64 v[0:1], v32 offset:72
	s_waitcnt lgkmcnt(4)
	v_fma_f64 v[14:15], -v[18:19], v[35:36], v[14:15]
	v_fma_f64 v[16:17], -v[18:19], v[37:38], v[16:17]
	s_waitcnt lgkmcnt(3)
	v_fma_f64 v[4:5], -v[18:19], v[39:40], v[4:5]
	v_fma_f64 v[20:21], -v[18:19], v[41:42], v[20:21]
	;; [unrolled: 3-line block ×4, first 2 shown]
	s_waitcnt lgkmcnt(0)
	v_fma_f64 v[22:23], -v[18:19], v[0:1], v[22:23]
.LBB18_16:
	s_or_b32 exec_lo, exec_lo, s1
	v_lshl_add_u32 v0, v34, 3, v32
	s_barrier
	buffer_gl0_inv
	v_mov_b32_e32 v26, 1
	ds_write_b64 v0, v[14:15]
	s_waitcnt lgkmcnt(0)
	s_barrier
	buffer_gl0_inv
	ds_read_b64 v[0:1], v32 offset:8
	s_cmp_lt_i32 s2, 3
	s_cbranch_scc1 .LBB18_19
; %bb.17:
	v_add3_u32 v27, v33, 0, 16
	v_mov_b32_e32 v26, 1
	s_mov_b32 s1, 2
.LBB18_18:                              ; =>This Inner Loop Header: Depth=1
	ds_read_b64 v[35:36], v27
	v_add_nc_u32_e32 v27, 8, v27
	s_waitcnt lgkmcnt(0)
	v_cmp_lt_f64_e64 vcc_lo, |v[0:1]|, |v[35:36]|
	v_cndmask_b32_e32 v1, v1, v36, vcc_lo
	v_cndmask_b32_e32 v0, v0, v35, vcc_lo
	v_cndmask_b32_e64 v26, v26, s1, vcc_lo
	s_add_i32 s1, s1, 1
	s_cmp_lg_u32 s2, s1
	s_cbranch_scc1 .LBB18_18
.LBB18_19:
	s_mov_b32 s1, exec_lo
	v_cmpx_ne_u32_e64 v34, v26
	s_xor_b32 s1, exec_lo, s1
	s_cbranch_execz .LBB18_25
; %bb.20:
	s_mov_b32 s3, exec_lo
	v_cmpx_eq_u32_e32 1, v34
	s_cbranch_execz .LBB18_24
; %bb.21:
	v_cmp_ne_u32_e32 vcc_lo, 1, v26
	s_xor_b32 s7, s6, -1
	s_and_b32 s9, s7, vcc_lo
	s_and_saveexec_b32 s7, s9
	s_cbranch_execz .LBB18_23
; %bb.22:
	v_ashrrev_i32_e32 v27, 31, v26
	v_lshlrev_b64 v[27:28], 2, v[26:27]
	v_add_co_u32 v27, vcc_lo, v24, v27
	v_add_co_ci_u32_e64 v28, null, v25, v28, vcc_lo
	s_clause 0x1
	global_load_dword v29, v[27:28], off
	global_load_dword v34, v[24:25], off offset:4
	s_waitcnt vmcnt(1)
	global_store_dword v[24:25], v29, off offset:4
	s_waitcnt vmcnt(0)
	global_store_dword v[27:28], v34, off
.LBB18_23:
	s_or_b32 exec_lo, exec_lo, s7
	v_mov_b32_e32 v29, v26
	v_mov_b32_e32 v34, v26
.LBB18_24:
	s_or_b32 exec_lo, exec_lo, s3
.LBB18_25:
	s_andn2_saveexec_b32 s1, s1
	s_cbranch_execz .LBB18_27
; %bb.26:
	v_mov_b32_e32 v34, 1
	ds_write2_b64 v32, v[16:17], v[4:5] offset0:2 offset1:3
	ds_write2_b64 v32, v[20:21], v[6:7] offset0:4 offset1:5
	;; [unrolled: 1-line block ×4, first 2 shown]
.LBB18_27:
	s_or_b32 exec_lo, exec_lo, s1
	s_waitcnt lgkmcnt(0)
	v_cmp_neq_f64_e64 s1, 0, v[0:1]
	s_mov_b32 s3, exec_lo
	s_waitcnt_vscnt null, 0x0
	s_barrier
	buffer_gl0_inv
	v_cmpx_lt_i32_e32 1, v34
	s_cbranch_execz .LBB18_29
; %bb.28:
	v_div_scale_f64 v[26:27], null, v[0:1], v[0:1], 1.0
	v_div_scale_f64 v[39:40], vcc_lo, 1.0, v[0:1], 1.0
	v_rcp_f64_e32 v[35:36], v[26:27]
	v_fma_f64 v[37:38], -v[26:27], v[35:36], 1.0
	v_fma_f64 v[35:36], v[35:36], v[37:38], v[35:36]
	v_fma_f64 v[37:38], -v[26:27], v[35:36], 1.0
	v_fma_f64 v[35:36], v[35:36], v[37:38], v[35:36]
	v_mul_f64 v[37:38], v[39:40], v[35:36]
	v_fma_f64 v[26:27], -v[26:27], v[37:38], v[39:40]
	v_div_fmas_f64 v[26:27], v[26:27], v[35:36], v[37:38]
	ds_read2_b64 v[35:38], v32 offset0:2 offset1:3
	ds_read2_b64 v[39:42], v32 offset0:4 offset1:5
	;; [unrolled: 1-line block ×4, first 2 shown]
	v_div_fixup_f64 v[26:27], v[26:27], v[0:1], 1.0
	v_cndmask_b32_e64 v1, v1, v27, s1
	v_cndmask_b32_e64 v0, v0, v26, s1
	v_mul_f64 v[14:15], v[14:15], v[0:1]
	s_waitcnt lgkmcnt(3)
	v_fma_f64 v[16:17], -v[14:15], v[35:36], v[16:17]
	v_fma_f64 v[4:5], -v[14:15], v[37:38], v[4:5]
	s_waitcnt lgkmcnt(2)
	v_fma_f64 v[20:21], -v[14:15], v[39:40], v[20:21]
	v_fma_f64 v[6:7], -v[14:15], v[41:42], v[6:7]
	;; [unrolled: 3-line block ×4, first 2 shown]
.LBB18_29:
	s_or_b32 exec_lo, exec_lo, s3
	v_lshl_add_u32 v0, v34, 3, v32
	s_barrier
	buffer_gl0_inv
	v_mov_b32_e32 v26, 2
	ds_write_b64 v0, v[16:17]
	s_waitcnt lgkmcnt(0)
	s_barrier
	buffer_gl0_inv
	ds_read_b64 v[0:1], v32 offset:16
	s_cmp_lt_i32 s2, 4
	s_mov_b32 s3, 3
	s_cbranch_scc1 .LBB18_32
; %bb.30:
	v_add3_u32 v27, v33, 0, 24
	v_mov_b32_e32 v26, 2
.LBB18_31:                              ; =>This Inner Loop Header: Depth=1
	ds_read_b64 v[35:36], v27
	v_add_nc_u32_e32 v27, 8, v27
	s_waitcnt lgkmcnt(0)
	v_cmp_lt_f64_e64 vcc_lo, |v[0:1]|, |v[35:36]|
	v_cndmask_b32_e32 v1, v1, v36, vcc_lo
	v_cndmask_b32_e32 v0, v0, v35, vcc_lo
	v_cndmask_b32_e64 v26, v26, s3, vcc_lo
	s_add_i32 s3, s3, 1
	s_cmp_lg_u32 s2, s3
	s_cbranch_scc1 .LBB18_31
.LBB18_32:
	v_cndmask_b32_e64 v27, 2, 1, s0
	v_cndmask_b32_e64 v28, 0, 1, s0
	s_mov_b32 s0, exec_lo
	v_cndmask_b32_e64 v35, v27, v28, s1
	s_waitcnt lgkmcnt(0)
	v_cmpx_eq_f64_e32 0, v[0:1]
	s_xor_b32 s0, exec_lo, s0
; %bb.33:
	v_cmp_ne_u32_e32 vcc_lo, 0, v35
	v_cndmask_b32_e32 v35, 3, v35, vcc_lo
; %bb.34:
	s_andn2_saveexec_b32 s0, s0
	s_cbranch_execz .LBB18_36
; %bb.35:
	v_div_scale_f64 v[27:28], null, v[0:1], v[0:1], 1.0
	v_rcp_f64_e32 v[36:37], v[27:28]
	v_fma_f64 v[38:39], -v[27:28], v[36:37], 1.0
	v_fma_f64 v[36:37], v[36:37], v[38:39], v[36:37]
	v_fma_f64 v[38:39], -v[27:28], v[36:37], 1.0
	v_fma_f64 v[36:37], v[36:37], v[38:39], v[36:37]
	v_div_scale_f64 v[38:39], vcc_lo, 1.0, v[0:1], 1.0
	v_mul_f64 v[40:41], v[38:39], v[36:37]
	v_fma_f64 v[27:28], -v[27:28], v[40:41], v[38:39]
	v_div_fmas_f64 v[27:28], v[27:28], v[36:37], v[40:41]
	v_div_fixup_f64 v[0:1], v[27:28], v[0:1], 1.0
.LBB18_36:
	s_or_b32 exec_lo, exec_lo, s0
	s_mov_b32 s0, exec_lo
	v_cmpx_ne_u32_e64 v34, v26
	s_xor_b32 s0, exec_lo, s0
	s_cbranch_execz .LBB18_42
; %bb.37:
	s_mov_b32 s1, exec_lo
	v_cmpx_eq_u32_e32 2, v34
	s_cbranch_execz .LBB18_41
; %bb.38:
	v_cmp_ne_u32_e32 vcc_lo, 2, v26
	s_xor_b32 s3, s6, -1
	s_and_b32 s7, s3, vcc_lo
	s_and_saveexec_b32 s3, s7
	s_cbranch_execz .LBB18_40
; %bb.39:
	v_ashrrev_i32_e32 v27, 31, v26
	v_lshlrev_b64 v[27:28], 2, v[26:27]
	v_add_co_u32 v27, vcc_lo, v24, v27
	v_add_co_ci_u32_e64 v28, null, v25, v28, vcc_lo
	s_clause 0x1
	global_load_dword v29, v[27:28], off
	global_load_dword v34, v[24:25], off offset:8
	s_waitcnt vmcnt(1)
	global_store_dword v[24:25], v29, off offset:8
	s_waitcnt vmcnt(0)
	global_store_dword v[27:28], v34, off
.LBB18_40:
	s_or_b32 exec_lo, exec_lo, s3
	v_mov_b32_e32 v29, v26
	v_mov_b32_e32 v34, v26
.LBB18_41:
	s_or_b32 exec_lo, exec_lo, s1
.LBB18_42:
	s_andn2_saveexec_b32 s0, s0
	s_cbranch_execz .LBB18_44
; %bb.43:
	v_mov_b32_e32 v34, 2
	ds_write2_b64 v32, v[4:5], v[20:21] offset0:3 offset1:4
	ds_write2_b64 v32, v[6:7], v[8:9] offset0:5 offset1:6
	;; [unrolled: 1-line block ×3, first 2 shown]
	ds_write_b64 v32, v[22:23] offset:72
.LBB18_44:
	s_or_b32 exec_lo, exec_lo, s0
	s_mov_b32 s0, exec_lo
	s_waitcnt lgkmcnt(0)
	s_waitcnt_vscnt null, 0x0
	s_barrier
	buffer_gl0_inv
	v_cmpx_lt_i32_e32 2, v34
	s_cbranch_execz .LBB18_46
; %bb.45:
	v_mul_f64 v[16:17], v[16:17], v[0:1]
	ds_read2_b64 v[36:39], v32 offset0:3 offset1:4
	ds_read2_b64 v[40:43], v32 offset0:5 offset1:6
	;; [unrolled: 1-line block ×3, first 2 shown]
	ds_read_b64 v[0:1], v32 offset:72
	s_waitcnt lgkmcnt(3)
	v_fma_f64 v[4:5], -v[16:17], v[36:37], v[4:5]
	v_fma_f64 v[20:21], -v[16:17], v[38:39], v[20:21]
	s_waitcnt lgkmcnt(2)
	v_fma_f64 v[6:7], -v[16:17], v[40:41], v[6:7]
	v_fma_f64 v[8:9], -v[16:17], v[42:43], v[8:9]
	;; [unrolled: 3-line block ×3, first 2 shown]
	s_waitcnt lgkmcnt(0)
	v_fma_f64 v[22:23], -v[16:17], v[0:1], v[22:23]
.LBB18_46:
	s_or_b32 exec_lo, exec_lo, s0
	v_lshl_add_u32 v0, v34, 3, v32
	s_barrier
	buffer_gl0_inv
	v_mov_b32_e32 v26, 3
	ds_write_b64 v0, v[4:5]
	s_waitcnt lgkmcnt(0)
	s_barrier
	buffer_gl0_inv
	ds_read_b64 v[0:1], v32 offset:24
	s_cmp_lt_i32 s2, 5
	s_cbranch_scc1 .LBB18_49
; %bb.47:
	v_mov_b32_e32 v26, 3
	v_add3_u32 v27, v33, 0, 32
	s_mov_b32 s0, 4
.LBB18_48:                              ; =>This Inner Loop Header: Depth=1
	ds_read_b64 v[36:37], v27
	v_add_nc_u32_e32 v27, 8, v27
	s_waitcnt lgkmcnt(0)
	v_cmp_lt_f64_e64 vcc_lo, |v[0:1]|, |v[36:37]|
	v_cndmask_b32_e32 v1, v1, v37, vcc_lo
	v_cndmask_b32_e32 v0, v0, v36, vcc_lo
	v_cndmask_b32_e64 v26, v26, s0, vcc_lo
	s_add_i32 s0, s0, 1
	s_cmp_lg_u32 s2, s0
	s_cbranch_scc1 .LBB18_48
.LBB18_49:
	s_mov_b32 s0, exec_lo
	s_waitcnt lgkmcnt(0)
	v_cmpx_eq_f64_e32 0, v[0:1]
	s_xor_b32 s0, exec_lo, s0
; %bb.50:
	v_cmp_ne_u32_e32 vcc_lo, 0, v35
	v_cndmask_b32_e32 v35, 4, v35, vcc_lo
; %bb.51:
	s_andn2_saveexec_b32 s0, s0
	s_cbranch_execz .LBB18_53
; %bb.52:
	v_div_scale_f64 v[27:28], null, v[0:1], v[0:1], 1.0
	v_rcp_f64_e32 v[36:37], v[27:28]
	v_fma_f64 v[38:39], -v[27:28], v[36:37], 1.0
	v_fma_f64 v[36:37], v[36:37], v[38:39], v[36:37]
	v_fma_f64 v[38:39], -v[27:28], v[36:37], 1.0
	v_fma_f64 v[36:37], v[36:37], v[38:39], v[36:37]
	v_div_scale_f64 v[38:39], vcc_lo, 1.0, v[0:1], 1.0
	v_mul_f64 v[40:41], v[38:39], v[36:37]
	v_fma_f64 v[27:28], -v[27:28], v[40:41], v[38:39]
	v_div_fmas_f64 v[27:28], v[27:28], v[36:37], v[40:41]
	v_div_fixup_f64 v[0:1], v[27:28], v[0:1], 1.0
.LBB18_53:
	s_or_b32 exec_lo, exec_lo, s0
	s_mov_b32 s0, exec_lo
	v_cmpx_ne_u32_e64 v34, v26
	s_xor_b32 s0, exec_lo, s0
	s_cbranch_execz .LBB18_59
; %bb.54:
	s_mov_b32 s1, exec_lo
	v_cmpx_eq_u32_e32 3, v34
	s_cbranch_execz .LBB18_58
; %bb.55:
	v_cmp_ne_u32_e32 vcc_lo, 3, v26
	s_xor_b32 s3, s6, -1
	s_and_b32 s7, s3, vcc_lo
	s_and_saveexec_b32 s3, s7
	s_cbranch_execz .LBB18_57
; %bb.56:
	v_ashrrev_i32_e32 v27, 31, v26
	v_lshlrev_b64 v[27:28], 2, v[26:27]
	v_add_co_u32 v27, vcc_lo, v24, v27
	v_add_co_ci_u32_e64 v28, null, v25, v28, vcc_lo
	s_clause 0x1
	global_load_dword v29, v[27:28], off
	global_load_dword v34, v[24:25], off offset:12
	s_waitcnt vmcnt(1)
	global_store_dword v[24:25], v29, off offset:12
	s_waitcnt vmcnt(0)
	global_store_dword v[27:28], v34, off
.LBB18_57:
	s_or_b32 exec_lo, exec_lo, s3
	v_mov_b32_e32 v29, v26
	v_mov_b32_e32 v34, v26
.LBB18_58:
	s_or_b32 exec_lo, exec_lo, s1
.LBB18_59:
	s_andn2_saveexec_b32 s0, s0
	s_cbranch_execz .LBB18_61
; %bb.60:
	v_mov_b32_e32 v34, 3
	ds_write2_b64 v32, v[20:21], v[6:7] offset0:4 offset1:5
	ds_write2_b64 v32, v[8:9], v[10:11] offset0:6 offset1:7
	;; [unrolled: 1-line block ×3, first 2 shown]
.LBB18_61:
	s_or_b32 exec_lo, exec_lo, s0
	s_mov_b32 s0, exec_lo
	s_waitcnt lgkmcnt(0)
	s_waitcnt_vscnt null, 0x0
	s_barrier
	buffer_gl0_inv
	v_cmpx_lt_i32_e32 3, v34
	s_cbranch_execz .LBB18_63
; %bb.62:
	v_mul_f64 v[4:5], v[4:5], v[0:1]
	ds_read2_b64 v[36:39], v32 offset0:4 offset1:5
	ds_read2_b64 v[40:43], v32 offset0:6 offset1:7
	;; [unrolled: 1-line block ×3, first 2 shown]
	s_waitcnt lgkmcnt(2)
	v_fma_f64 v[20:21], -v[4:5], v[36:37], v[20:21]
	v_fma_f64 v[6:7], -v[4:5], v[38:39], v[6:7]
	s_waitcnt lgkmcnt(1)
	v_fma_f64 v[8:9], -v[4:5], v[40:41], v[8:9]
	v_fma_f64 v[10:11], -v[4:5], v[42:43], v[10:11]
	;; [unrolled: 3-line block ×3, first 2 shown]
.LBB18_63:
	s_or_b32 exec_lo, exec_lo, s0
	v_lshl_add_u32 v0, v34, 3, v32
	s_barrier
	buffer_gl0_inv
	v_mov_b32_e32 v26, 4
	ds_write_b64 v0, v[20:21]
	s_waitcnt lgkmcnt(0)
	s_barrier
	buffer_gl0_inv
	ds_read_b64 v[0:1], v32 offset:32
	s_cmp_lt_i32 s2, 6
	s_cbranch_scc1 .LBB18_66
; %bb.64:
	v_add3_u32 v27, v33, 0, 40
	v_mov_b32_e32 v26, 4
	s_mov_b32 s0, 5
.LBB18_65:                              ; =>This Inner Loop Header: Depth=1
	ds_read_b64 v[36:37], v27
	v_add_nc_u32_e32 v27, 8, v27
	s_waitcnt lgkmcnt(0)
	v_cmp_lt_f64_e64 vcc_lo, |v[0:1]|, |v[36:37]|
	v_cndmask_b32_e32 v1, v1, v37, vcc_lo
	v_cndmask_b32_e32 v0, v0, v36, vcc_lo
	v_cndmask_b32_e64 v26, v26, s0, vcc_lo
	s_add_i32 s0, s0, 1
	s_cmp_lg_u32 s2, s0
	s_cbranch_scc1 .LBB18_65
.LBB18_66:
	s_mov_b32 s0, exec_lo
	s_waitcnt lgkmcnt(0)
	v_cmpx_eq_f64_e32 0, v[0:1]
	s_xor_b32 s0, exec_lo, s0
; %bb.67:
	v_cmp_ne_u32_e32 vcc_lo, 0, v35
	v_cndmask_b32_e32 v35, 5, v35, vcc_lo
; %bb.68:
	s_andn2_saveexec_b32 s0, s0
	s_cbranch_execz .LBB18_70
; %bb.69:
	v_div_scale_f64 v[27:28], null, v[0:1], v[0:1], 1.0
	v_rcp_f64_e32 v[36:37], v[27:28]
	v_fma_f64 v[38:39], -v[27:28], v[36:37], 1.0
	v_fma_f64 v[36:37], v[36:37], v[38:39], v[36:37]
	v_fma_f64 v[38:39], -v[27:28], v[36:37], 1.0
	v_fma_f64 v[36:37], v[36:37], v[38:39], v[36:37]
	v_div_scale_f64 v[38:39], vcc_lo, 1.0, v[0:1], 1.0
	v_mul_f64 v[40:41], v[38:39], v[36:37]
	v_fma_f64 v[27:28], -v[27:28], v[40:41], v[38:39]
	v_div_fmas_f64 v[27:28], v[27:28], v[36:37], v[40:41]
	v_div_fixup_f64 v[0:1], v[27:28], v[0:1], 1.0
.LBB18_70:
	s_or_b32 exec_lo, exec_lo, s0
	s_mov_b32 s0, exec_lo
	v_cmpx_ne_u32_e64 v34, v26
	s_xor_b32 s0, exec_lo, s0
	s_cbranch_execz .LBB18_76
; %bb.71:
	s_mov_b32 s1, exec_lo
	v_cmpx_eq_u32_e32 4, v34
	s_cbranch_execz .LBB18_75
; %bb.72:
	v_cmp_ne_u32_e32 vcc_lo, 4, v26
	s_xor_b32 s3, s6, -1
	s_and_b32 s7, s3, vcc_lo
	s_and_saveexec_b32 s3, s7
	s_cbranch_execz .LBB18_74
; %bb.73:
	v_ashrrev_i32_e32 v27, 31, v26
	v_lshlrev_b64 v[27:28], 2, v[26:27]
	v_add_co_u32 v27, vcc_lo, v24, v27
	v_add_co_ci_u32_e64 v28, null, v25, v28, vcc_lo
	s_clause 0x1
	global_load_dword v29, v[27:28], off
	global_load_dword v34, v[24:25], off offset:16
	s_waitcnt vmcnt(1)
	global_store_dword v[24:25], v29, off offset:16
	s_waitcnt vmcnt(0)
	global_store_dword v[27:28], v34, off
.LBB18_74:
	s_or_b32 exec_lo, exec_lo, s3
	v_mov_b32_e32 v29, v26
	v_mov_b32_e32 v34, v26
.LBB18_75:
	s_or_b32 exec_lo, exec_lo, s1
.LBB18_76:
	s_andn2_saveexec_b32 s0, s0
	s_cbranch_execz .LBB18_78
; %bb.77:
	v_mov_b32_e32 v34, 4
	ds_write2_b64 v32, v[6:7], v[8:9] offset0:5 offset1:6
	ds_write2_b64 v32, v[10:11], v[12:13] offset0:7 offset1:8
	ds_write_b64 v32, v[22:23] offset:72
.LBB18_78:
	s_or_b32 exec_lo, exec_lo, s0
	s_mov_b32 s0, exec_lo
	s_waitcnt lgkmcnt(0)
	s_waitcnt_vscnt null, 0x0
	s_barrier
	buffer_gl0_inv
	v_cmpx_lt_i32_e32 4, v34
	s_cbranch_execz .LBB18_80
; %bb.79:
	v_mul_f64 v[20:21], v[20:21], v[0:1]
	ds_read2_b64 v[36:39], v32 offset0:5 offset1:6
	ds_read2_b64 v[40:43], v32 offset0:7 offset1:8
	ds_read_b64 v[0:1], v32 offset:72
	s_waitcnt lgkmcnt(2)
	v_fma_f64 v[6:7], -v[20:21], v[36:37], v[6:7]
	v_fma_f64 v[8:9], -v[20:21], v[38:39], v[8:9]
	s_waitcnt lgkmcnt(1)
	v_fma_f64 v[10:11], -v[20:21], v[40:41], v[10:11]
	v_fma_f64 v[12:13], -v[20:21], v[42:43], v[12:13]
	s_waitcnt lgkmcnt(0)
	v_fma_f64 v[22:23], -v[20:21], v[0:1], v[22:23]
.LBB18_80:
	s_or_b32 exec_lo, exec_lo, s0
	v_lshl_add_u32 v0, v34, 3, v32
	s_barrier
	buffer_gl0_inv
	v_mov_b32_e32 v26, 5
	ds_write_b64 v0, v[6:7]
	s_waitcnt lgkmcnt(0)
	s_barrier
	buffer_gl0_inv
	ds_read_b64 v[0:1], v32 offset:40
	s_cmp_lt_i32 s2, 7
	s_cbranch_scc1 .LBB18_83
; %bb.81:
	v_add3_u32 v27, v33, 0, 48
	v_mov_b32_e32 v26, 5
	s_mov_b32 s0, 6
.LBB18_82:                              ; =>This Inner Loop Header: Depth=1
	ds_read_b64 v[36:37], v27
	v_add_nc_u32_e32 v27, 8, v27
	s_waitcnt lgkmcnt(0)
	v_cmp_lt_f64_e64 vcc_lo, |v[0:1]|, |v[36:37]|
	v_cndmask_b32_e32 v1, v1, v37, vcc_lo
	v_cndmask_b32_e32 v0, v0, v36, vcc_lo
	v_cndmask_b32_e64 v26, v26, s0, vcc_lo
	s_add_i32 s0, s0, 1
	s_cmp_lg_u32 s2, s0
	s_cbranch_scc1 .LBB18_82
.LBB18_83:
	s_mov_b32 s0, exec_lo
	s_waitcnt lgkmcnt(0)
	v_cmpx_eq_f64_e32 0, v[0:1]
	s_xor_b32 s0, exec_lo, s0
; %bb.84:
	v_cmp_ne_u32_e32 vcc_lo, 0, v35
	v_cndmask_b32_e32 v35, 6, v35, vcc_lo
; %bb.85:
	s_andn2_saveexec_b32 s0, s0
	s_cbranch_execz .LBB18_87
; %bb.86:
	v_div_scale_f64 v[27:28], null, v[0:1], v[0:1], 1.0
	v_rcp_f64_e32 v[36:37], v[27:28]
	v_fma_f64 v[38:39], -v[27:28], v[36:37], 1.0
	v_fma_f64 v[36:37], v[36:37], v[38:39], v[36:37]
	v_fma_f64 v[38:39], -v[27:28], v[36:37], 1.0
	v_fma_f64 v[36:37], v[36:37], v[38:39], v[36:37]
	v_div_scale_f64 v[38:39], vcc_lo, 1.0, v[0:1], 1.0
	v_mul_f64 v[40:41], v[38:39], v[36:37]
	v_fma_f64 v[27:28], -v[27:28], v[40:41], v[38:39]
	v_div_fmas_f64 v[27:28], v[27:28], v[36:37], v[40:41]
	v_div_fixup_f64 v[0:1], v[27:28], v[0:1], 1.0
.LBB18_87:
	s_or_b32 exec_lo, exec_lo, s0
	s_mov_b32 s0, exec_lo
	v_cmpx_ne_u32_e64 v34, v26
	s_xor_b32 s0, exec_lo, s0
	s_cbranch_execz .LBB18_93
; %bb.88:
	s_mov_b32 s1, exec_lo
	v_cmpx_eq_u32_e32 5, v34
	s_cbranch_execz .LBB18_92
; %bb.89:
	v_cmp_ne_u32_e32 vcc_lo, 5, v26
	s_xor_b32 s3, s6, -1
	s_and_b32 s7, s3, vcc_lo
	s_and_saveexec_b32 s3, s7
	s_cbranch_execz .LBB18_91
; %bb.90:
	v_ashrrev_i32_e32 v27, 31, v26
	v_lshlrev_b64 v[27:28], 2, v[26:27]
	v_add_co_u32 v27, vcc_lo, v24, v27
	v_add_co_ci_u32_e64 v28, null, v25, v28, vcc_lo
	s_clause 0x1
	global_load_dword v29, v[27:28], off
	global_load_dword v34, v[24:25], off offset:20
	s_waitcnt vmcnt(1)
	global_store_dword v[24:25], v29, off offset:20
	s_waitcnt vmcnt(0)
	global_store_dword v[27:28], v34, off
.LBB18_91:
	s_or_b32 exec_lo, exec_lo, s3
	v_mov_b32_e32 v29, v26
	v_mov_b32_e32 v34, v26
.LBB18_92:
	s_or_b32 exec_lo, exec_lo, s1
.LBB18_93:
	s_andn2_saveexec_b32 s0, s0
	s_cbranch_execz .LBB18_95
; %bb.94:
	v_mov_b32_e32 v34, 5
	ds_write2_b64 v32, v[8:9], v[10:11] offset0:6 offset1:7
	ds_write2_b64 v32, v[12:13], v[22:23] offset0:8 offset1:9
.LBB18_95:
	s_or_b32 exec_lo, exec_lo, s0
	s_mov_b32 s0, exec_lo
	s_waitcnt lgkmcnt(0)
	s_waitcnt_vscnt null, 0x0
	s_barrier
	buffer_gl0_inv
	v_cmpx_lt_i32_e32 5, v34
	s_cbranch_execz .LBB18_97
; %bb.96:
	v_mul_f64 v[6:7], v[6:7], v[0:1]
	ds_read2_b64 v[36:39], v32 offset0:6 offset1:7
	ds_read2_b64 v[40:43], v32 offset0:8 offset1:9
	s_waitcnt lgkmcnt(1)
	v_fma_f64 v[8:9], -v[6:7], v[36:37], v[8:9]
	v_fma_f64 v[10:11], -v[6:7], v[38:39], v[10:11]
	s_waitcnt lgkmcnt(0)
	v_fma_f64 v[12:13], -v[6:7], v[40:41], v[12:13]
	v_fma_f64 v[22:23], -v[6:7], v[42:43], v[22:23]
.LBB18_97:
	s_or_b32 exec_lo, exec_lo, s0
	v_lshl_add_u32 v0, v34, 3, v32
	s_barrier
	buffer_gl0_inv
	v_mov_b32_e32 v26, 6
	ds_write_b64 v0, v[8:9]
	s_waitcnt lgkmcnt(0)
	s_barrier
	buffer_gl0_inv
	ds_read_b64 v[0:1], v32 offset:48
	s_cmp_lt_i32 s2, 8
	s_cbranch_scc1 .LBB18_100
; %bb.98:
	v_add3_u32 v27, v33, 0, 56
	v_mov_b32_e32 v26, 6
	s_mov_b32 s0, 7
.LBB18_99:                              ; =>This Inner Loop Header: Depth=1
	ds_read_b64 v[36:37], v27
	v_add_nc_u32_e32 v27, 8, v27
	s_waitcnt lgkmcnt(0)
	v_cmp_lt_f64_e64 vcc_lo, |v[0:1]|, |v[36:37]|
	v_cndmask_b32_e32 v1, v1, v37, vcc_lo
	v_cndmask_b32_e32 v0, v0, v36, vcc_lo
	v_cndmask_b32_e64 v26, v26, s0, vcc_lo
	s_add_i32 s0, s0, 1
	s_cmp_lg_u32 s2, s0
	s_cbranch_scc1 .LBB18_99
.LBB18_100:
	s_mov_b32 s0, exec_lo
	s_waitcnt lgkmcnt(0)
	v_cmpx_eq_f64_e32 0, v[0:1]
	s_xor_b32 s0, exec_lo, s0
; %bb.101:
	v_cmp_ne_u32_e32 vcc_lo, 0, v35
	v_cndmask_b32_e32 v35, 7, v35, vcc_lo
; %bb.102:
	s_andn2_saveexec_b32 s0, s0
	s_cbranch_execz .LBB18_104
; %bb.103:
	v_div_scale_f64 v[27:28], null, v[0:1], v[0:1], 1.0
	v_rcp_f64_e32 v[36:37], v[27:28]
	v_fma_f64 v[38:39], -v[27:28], v[36:37], 1.0
	v_fma_f64 v[36:37], v[36:37], v[38:39], v[36:37]
	v_fma_f64 v[38:39], -v[27:28], v[36:37], 1.0
	v_fma_f64 v[36:37], v[36:37], v[38:39], v[36:37]
	v_div_scale_f64 v[38:39], vcc_lo, 1.0, v[0:1], 1.0
	v_mul_f64 v[40:41], v[38:39], v[36:37]
	v_fma_f64 v[27:28], -v[27:28], v[40:41], v[38:39]
	v_div_fmas_f64 v[27:28], v[27:28], v[36:37], v[40:41]
	v_div_fixup_f64 v[0:1], v[27:28], v[0:1], 1.0
.LBB18_104:
	s_or_b32 exec_lo, exec_lo, s0
	s_mov_b32 s0, exec_lo
	v_cmpx_ne_u32_e64 v34, v26
	s_xor_b32 s0, exec_lo, s0
	s_cbranch_execz .LBB18_110
; %bb.105:
	s_mov_b32 s1, exec_lo
	v_cmpx_eq_u32_e32 6, v34
	s_cbranch_execz .LBB18_109
; %bb.106:
	v_cmp_ne_u32_e32 vcc_lo, 6, v26
	s_xor_b32 s3, s6, -1
	s_and_b32 s7, s3, vcc_lo
	s_and_saveexec_b32 s3, s7
	s_cbranch_execz .LBB18_108
; %bb.107:
	v_ashrrev_i32_e32 v27, 31, v26
	v_lshlrev_b64 v[27:28], 2, v[26:27]
	v_add_co_u32 v27, vcc_lo, v24, v27
	v_add_co_ci_u32_e64 v28, null, v25, v28, vcc_lo
	s_clause 0x1
	global_load_dword v29, v[27:28], off
	global_load_dword v34, v[24:25], off offset:24
	s_waitcnt vmcnt(1)
	global_store_dword v[24:25], v29, off offset:24
	s_waitcnt vmcnt(0)
	global_store_dword v[27:28], v34, off
.LBB18_108:
	s_or_b32 exec_lo, exec_lo, s3
	v_mov_b32_e32 v29, v26
	v_mov_b32_e32 v34, v26
.LBB18_109:
	s_or_b32 exec_lo, exec_lo, s1
.LBB18_110:
	s_andn2_saveexec_b32 s0, s0
	s_cbranch_execz .LBB18_112
; %bb.111:
	v_mov_b32_e32 v34, 6
	ds_write2_b64 v32, v[10:11], v[12:13] offset0:7 offset1:8
	ds_write_b64 v32, v[22:23] offset:72
.LBB18_112:
	s_or_b32 exec_lo, exec_lo, s0
	s_mov_b32 s0, exec_lo
	s_waitcnt lgkmcnt(0)
	s_waitcnt_vscnt null, 0x0
	s_barrier
	buffer_gl0_inv
	v_cmpx_lt_i32_e32 6, v34
	s_cbranch_execz .LBB18_114
; %bb.113:
	v_mul_f64 v[8:9], v[8:9], v[0:1]
	ds_read2_b64 v[36:39], v32 offset0:7 offset1:8
	ds_read_b64 v[0:1], v32 offset:72
	s_waitcnt lgkmcnt(1)
	v_fma_f64 v[10:11], -v[8:9], v[36:37], v[10:11]
	v_fma_f64 v[12:13], -v[8:9], v[38:39], v[12:13]
	s_waitcnt lgkmcnt(0)
	v_fma_f64 v[22:23], -v[8:9], v[0:1], v[22:23]
.LBB18_114:
	s_or_b32 exec_lo, exec_lo, s0
	v_lshl_add_u32 v0, v34, 3, v32
	s_barrier
	buffer_gl0_inv
	v_mov_b32_e32 v26, 7
	ds_write_b64 v0, v[10:11]
	s_waitcnt lgkmcnt(0)
	s_barrier
	buffer_gl0_inv
	ds_read_b64 v[0:1], v32 offset:56
	s_cmp_lt_i32 s2, 9
	s_cbranch_scc1 .LBB18_117
; %bb.115:
	v_add3_u32 v27, v33, 0, 64
	v_mov_b32_e32 v26, 7
	s_mov_b32 s0, 8
.LBB18_116:                             ; =>This Inner Loop Header: Depth=1
	ds_read_b64 v[36:37], v27
	v_add_nc_u32_e32 v27, 8, v27
	s_waitcnt lgkmcnt(0)
	v_cmp_lt_f64_e64 vcc_lo, |v[0:1]|, |v[36:37]|
	v_cndmask_b32_e32 v1, v1, v37, vcc_lo
	v_cndmask_b32_e32 v0, v0, v36, vcc_lo
	v_cndmask_b32_e64 v26, v26, s0, vcc_lo
	s_add_i32 s0, s0, 1
	s_cmp_lg_u32 s2, s0
	s_cbranch_scc1 .LBB18_116
.LBB18_117:
	s_mov_b32 s0, exec_lo
	s_waitcnt lgkmcnt(0)
	v_cmpx_eq_f64_e32 0, v[0:1]
	s_xor_b32 s0, exec_lo, s0
; %bb.118:
	v_cmp_ne_u32_e32 vcc_lo, 0, v35
	v_cndmask_b32_e32 v35, 8, v35, vcc_lo
; %bb.119:
	s_andn2_saveexec_b32 s0, s0
	s_cbranch_execz .LBB18_121
; %bb.120:
	v_div_scale_f64 v[27:28], null, v[0:1], v[0:1], 1.0
	v_rcp_f64_e32 v[36:37], v[27:28]
	v_fma_f64 v[38:39], -v[27:28], v[36:37], 1.0
	v_fma_f64 v[36:37], v[36:37], v[38:39], v[36:37]
	v_fma_f64 v[38:39], -v[27:28], v[36:37], 1.0
	v_fma_f64 v[36:37], v[36:37], v[38:39], v[36:37]
	v_div_scale_f64 v[38:39], vcc_lo, 1.0, v[0:1], 1.0
	v_mul_f64 v[40:41], v[38:39], v[36:37]
	v_fma_f64 v[27:28], -v[27:28], v[40:41], v[38:39]
	v_div_fmas_f64 v[27:28], v[27:28], v[36:37], v[40:41]
	v_div_fixup_f64 v[0:1], v[27:28], v[0:1], 1.0
.LBB18_121:
	s_or_b32 exec_lo, exec_lo, s0
	s_mov_b32 s0, exec_lo
	v_cmpx_ne_u32_e64 v34, v26
	s_xor_b32 s0, exec_lo, s0
	s_cbranch_execz .LBB18_127
; %bb.122:
	s_mov_b32 s1, exec_lo
	v_cmpx_eq_u32_e32 7, v34
	s_cbranch_execz .LBB18_126
; %bb.123:
	v_cmp_ne_u32_e32 vcc_lo, 7, v26
	s_xor_b32 s3, s6, -1
	s_and_b32 s7, s3, vcc_lo
	s_and_saveexec_b32 s3, s7
	s_cbranch_execz .LBB18_125
; %bb.124:
	v_ashrrev_i32_e32 v27, 31, v26
	v_lshlrev_b64 v[27:28], 2, v[26:27]
	v_add_co_u32 v27, vcc_lo, v24, v27
	v_add_co_ci_u32_e64 v28, null, v25, v28, vcc_lo
	s_clause 0x1
	global_load_dword v29, v[27:28], off
	global_load_dword v34, v[24:25], off offset:28
	s_waitcnt vmcnt(1)
	global_store_dword v[24:25], v29, off offset:28
	s_waitcnt vmcnt(0)
	global_store_dword v[27:28], v34, off
.LBB18_125:
	s_or_b32 exec_lo, exec_lo, s3
	v_mov_b32_e32 v29, v26
	v_mov_b32_e32 v34, v26
.LBB18_126:
	s_or_b32 exec_lo, exec_lo, s1
.LBB18_127:
	s_andn2_saveexec_b32 s0, s0
; %bb.128:
	v_mov_b32_e32 v34, 7
	ds_write2_b64 v32, v[12:13], v[22:23] offset0:8 offset1:9
; %bb.129:
	s_or_b32 exec_lo, exec_lo, s0
	s_mov_b32 s0, exec_lo
	s_waitcnt lgkmcnt(0)
	s_waitcnt_vscnt null, 0x0
	s_barrier
	buffer_gl0_inv
	v_cmpx_lt_i32_e32 7, v34
	s_cbranch_execz .LBB18_131
; %bb.130:
	v_mul_f64 v[10:11], v[10:11], v[0:1]
	ds_read2_b64 v[36:39], v32 offset0:8 offset1:9
	s_waitcnt lgkmcnt(0)
	v_fma_f64 v[12:13], -v[10:11], v[36:37], v[12:13]
	v_fma_f64 v[22:23], -v[10:11], v[38:39], v[22:23]
.LBB18_131:
	s_or_b32 exec_lo, exec_lo, s0
	v_lshl_add_u32 v0, v34, 3, v32
	s_barrier
	buffer_gl0_inv
	v_mov_b32_e32 v26, 8
	ds_write_b64 v0, v[12:13]
	s_waitcnt lgkmcnt(0)
	s_barrier
	buffer_gl0_inv
	ds_read_b64 v[0:1], v32 offset:64
	s_cmp_lt_i32 s2, 10
	s_cbranch_scc1 .LBB18_134
; %bb.132:
	v_add3_u32 v27, v33, 0, 0x48
	v_mov_b32_e32 v26, 8
	s_mov_b32 s0, 9
.LBB18_133:                             ; =>This Inner Loop Header: Depth=1
	ds_read_b64 v[36:37], v27
	v_add_nc_u32_e32 v27, 8, v27
	s_waitcnt lgkmcnt(0)
	v_cmp_lt_f64_e64 vcc_lo, |v[0:1]|, |v[36:37]|
	v_cndmask_b32_e32 v1, v1, v37, vcc_lo
	v_cndmask_b32_e32 v0, v0, v36, vcc_lo
	v_cndmask_b32_e64 v26, v26, s0, vcc_lo
	s_add_i32 s0, s0, 1
	s_cmp_lg_u32 s2, s0
	s_cbranch_scc1 .LBB18_133
.LBB18_134:
	s_mov_b32 s0, exec_lo
	s_waitcnt lgkmcnt(0)
	v_cmpx_eq_f64_e32 0, v[0:1]
	s_xor_b32 s0, exec_lo, s0
; %bb.135:
	v_cmp_ne_u32_e32 vcc_lo, 0, v35
	v_cndmask_b32_e32 v35, 9, v35, vcc_lo
; %bb.136:
	s_andn2_saveexec_b32 s0, s0
	s_cbranch_execz .LBB18_138
; %bb.137:
	v_div_scale_f64 v[27:28], null, v[0:1], v[0:1], 1.0
	v_rcp_f64_e32 v[36:37], v[27:28]
	v_fma_f64 v[38:39], -v[27:28], v[36:37], 1.0
	v_fma_f64 v[36:37], v[36:37], v[38:39], v[36:37]
	v_fma_f64 v[38:39], -v[27:28], v[36:37], 1.0
	v_fma_f64 v[36:37], v[36:37], v[38:39], v[36:37]
	v_div_scale_f64 v[38:39], vcc_lo, 1.0, v[0:1], 1.0
	v_mul_f64 v[40:41], v[38:39], v[36:37]
	v_fma_f64 v[27:28], -v[27:28], v[40:41], v[38:39]
	v_div_fmas_f64 v[27:28], v[27:28], v[36:37], v[40:41]
	v_div_fixup_f64 v[0:1], v[27:28], v[0:1], 1.0
.LBB18_138:
	s_or_b32 exec_lo, exec_lo, s0
	s_mov_b32 s0, exec_lo
	v_cmpx_ne_u32_e64 v34, v26
	s_xor_b32 s0, exec_lo, s0
	s_cbranch_execz .LBB18_144
; %bb.139:
	s_mov_b32 s1, exec_lo
	v_cmpx_eq_u32_e32 8, v34
	s_cbranch_execz .LBB18_143
; %bb.140:
	v_cmp_ne_u32_e32 vcc_lo, 8, v26
	s_xor_b32 s3, s6, -1
	s_and_b32 s7, s3, vcc_lo
	s_and_saveexec_b32 s3, s7
	s_cbranch_execz .LBB18_142
; %bb.141:
	v_ashrrev_i32_e32 v27, 31, v26
	v_lshlrev_b64 v[27:28], 2, v[26:27]
	v_add_co_u32 v27, vcc_lo, v24, v27
	v_add_co_ci_u32_e64 v28, null, v25, v28, vcc_lo
	s_clause 0x1
	global_load_dword v29, v[27:28], off
	global_load_dword v34, v[24:25], off offset:32
	s_waitcnt vmcnt(1)
	global_store_dword v[24:25], v29, off offset:32
	s_waitcnt vmcnt(0)
	global_store_dword v[27:28], v34, off
.LBB18_142:
	s_or_b32 exec_lo, exec_lo, s3
	v_mov_b32_e32 v29, v26
	v_mov_b32_e32 v34, v26
.LBB18_143:
	s_or_b32 exec_lo, exec_lo, s1
.LBB18_144:
	s_andn2_saveexec_b32 s0, s0
; %bb.145:
	v_mov_b32_e32 v34, 8
	ds_write_b64 v32, v[22:23] offset:72
; %bb.146:
	s_or_b32 exec_lo, exec_lo, s0
	s_mov_b32 s0, exec_lo
	s_waitcnt lgkmcnt(0)
	s_waitcnt_vscnt null, 0x0
	s_barrier
	buffer_gl0_inv
	v_cmpx_lt_i32_e32 8, v34
	s_cbranch_execz .LBB18_148
; %bb.147:
	v_mul_f64 v[12:13], v[12:13], v[0:1]
	ds_read_b64 v[0:1], v32 offset:72
	s_waitcnt lgkmcnt(0)
	v_fma_f64 v[22:23], -v[12:13], v[0:1], v[22:23]
.LBB18_148:
	s_or_b32 exec_lo, exec_lo, s0
	v_lshl_add_u32 v0, v34, 3, v32
	s_barrier
	buffer_gl0_inv
	v_mov_b32_e32 v26, 9
	ds_write_b64 v0, v[22:23]
	s_waitcnt lgkmcnt(0)
	s_barrier
	buffer_gl0_inv
	ds_read_b64 v[0:1], v32 offset:72
	s_cmp_lt_i32 s2, 11
	s_cbranch_scc1 .LBB18_151
; %bb.149:
	v_add3_u32 v27, v33, 0, 0x50
	v_mov_b32_e32 v26, 9
	s_mov_b32 s0, 10
.LBB18_150:                             ; =>This Inner Loop Header: Depth=1
	ds_read_b64 v[32:33], v27
	v_add_nc_u32_e32 v27, 8, v27
	s_waitcnt lgkmcnt(0)
	v_cmp_lt_f64_e64 vcc_lo, |v[0:1]|, |v[32:33]|
	v_cndmask_b32_e32 v1, v1, v33, vcc_lo
	v_cndmask_b32_e32 v0, v0, v32, vcc_lo
	v_cndmask_b32_e64 v26, v26, s0, vcc_lo
	s_add_i32 s0, s0, 1
	s_cmp_lg_u32 s2, s0
	s_cbranch_scc1 .LBB18_150
.LBB18_151:
	s_mov_b32 s0, exec_lo
	s_waitcnt lgkmcnt(0)
	v_cmpx_eq_f64_e32 0, v[0:1]
	s_xor_b32 s0, exec_lo, s0
; %bb.152:
	v_cmp_ne_u32_e32 vcc_lo, 0, v35
	v_cndmask_b32_e32 v35, 10, v35, vcc_lo
; %bb.153:
	s_andn2_saveexec_b32 s0, s0
	s_cbranch_execz .LBB18_155
; %bb.154:
	v_div_scale_f64 v[27:28], null, v[0:1], v[0:1], 1.0
	v_rcp_f64_e32 v[32:33], v[27:28]
	v_fma_f64 v[36:37], -v[27:28], v[32:33], 1.0
	v_fma_f64 v[32:33], v[32:33], v[36:37], v[32:33]
	v_fma_f64 v[36:37], -v[27:28], v[32:33], 1.0
	v_fma_f64 v[32:33], v[32:33], v[36:37], v[32:33]
	v_div_scale_f64 v[36:37], vcc_lo, 1.0, v[0:1], 1.0
	v_mul_f64 v[38:39], v[36:37], v[32:33]
	v_fma_f64 v[27:28], -v[27:28], v[38:39], v[36:37]
	v_div_fmas_f64 v[27:28], v[27:28], v[32:33], v[38:39]
	v_div_fixup_f64 v[0:1], v[27:28], v[0:1], 1.0
.LBB18_155:
	s_or_b32 exec_lo, exec_lo, s0
	v_mov_b32_e32 v27, 9
	s_mov_b32 s0, exec_lo
	v_cmpx_ne_u32_e64 v34, v26
	s_cbranch_execz .LBB18_161
; %bb.156:
	s_mov_b32 s1, exec_lo
	v_cmpx_eq_u32_e32 9, v34
	s_cbranch_execz .LBB18_160
; %bb.157:
	v_cmp_ne_u32_e32 vcc_lo, 9, v26
	s_xor_b32 s2, s6, -1
	s_and_b32 s3, s2, vcc_lo
	s_and_saveexec_b32 s2, s3
	s_cbranch_execz .LBB18_159
; %bb.158:
	v_ashrrev_i32_e32 v27, 31, v26
	v_lshlrev_b64 v[27:28], 2, v[26:27]
	v_add_co_u32 v27, vcc_lo, v24, v27
	v_add_co_ci_u32_e64 v28, null, v25, v28, vcc_lo
	s_clause 0x1
	global_load_dword v29, v[27:28], off
	global_load_dword v32, v[24:25], off offset:36
	s_waitcnt vmcnt(1)
	global_store_dword v[24:25], v29, off offset:36
	s_waitcnt vmcnt(0)
	global_store_dword v[27:28], v32, off
.LBB18_159:
	s_or_b32 exec_lo, exec_lo, s2
	v_mov_b32_e32 v29, v26
	v_mov_b32_e32 v34, v26
.LBB18_160:
	s_or_b32 exec_lo, exec_lo, s1
	v_mov_b32_e32 v27, v34
.LBB18_161:
	s_or_b32 exec_lo, exec_lo, s0
	s_load_dwordx8 s[0:7], s[4:5], 0x28
	v_ashrrev_i32_e32 v28, 31, v27
	s_mov_b32 s9, exec_lo
	s_waitcnt lgkmcnt(0)
	s_waitcnt_vscnt null, 0x0
	s_barrier
	buffer_gl0_inv
	s_barrier
	buffer_gl0_inv
	v_cmpx_gt_i32_e32 10, v27
	s_cbranch_execz .LBB18_163
; %bb.162:
	v_mul_lo_u32 v26, s5, v2
	v_mul_lo_u32 v32, s4, v3
	v_mad_u64_u32 v[24:25], null, s4, v2, 0
	s_lshl_b64 s[2:3], s[2:3], 2
	v_add3_u32 v25, v25, v32, v26
	v_lshlrev_b64 v[24:25], 2, v[24:25]
	v_add_co_u32 v26, vcc_lo, s0, v24
	v_add_co_ci_u32_e64 v32, null, s1, v25, vcc_lo
	v_lshlrev_b64 v[24:25], 2, v[27:28]
	v_add_co_u32 v26, vcc_lo, v26, s2
	v_add_co_ci_u32_e64 v32, null, s3, v32, vcc_lo
	v_add_co_u32 v24, vcc_lo, v26, v24
	v_add_co_ci_u32_e64 v25, null, v32, v25, vcc_lo
	v_add3_u32 v26, v29, s13, 1
	global_store_dword v[24:25], v26, off
.LBB18_163:
	s_or_b32 exec_lo, exec_lo, s9
	s_mov_b32 s1, exec_lo
	v_cmpx_eq_u32_e32 0, v27
	s_cbranch_execz .LBB18_166
; %bb.164:
	v_lshlrev_b64 v[2:3], 2, v[2:3]
	v_cmp_ne_u32_e64 s0, 0, v35
	v_add_co_u32 v2, vcc_lo, s6, v2
	v_add_co_ci_u32_e64 v3, null, s7, v3, vcc_lo
	global_load_dword v24, v[2:3], off
	s_waitcnt vmcnt(0)
	v_cmp_eq_u32_e32 vcc_lo, 0, v24
	s_and_b32 s0, vcc_lo, s0
	s_and_b32 exec_lo, exec_lo, s0
	s_cbranch_execz .LBB18_166
; %bb.165:
	v_add_nc_u32_e32 v24, s13, v35
	global_store_dword v[2:3], v24, off
.LBB18_166:
	s_or_b32 exec_lo, exec_lo, s1
	v_add3_u32 v2, s8, s8, v27
	v_lshlrev_b64 v[24:25], 3, v[27:28]
	v_mul_f64 v[0:1], v[22:23], v[0:1]
	v_cmp_lt_i32_e32 vcc_lo, 9, v27
	v_ashrrev_i32_e32 v3, 31, v2
	v_add_nc_u32_e32 v26, s8, v2
	v_add_co_u32 v24, s0, v30, v24
	v_add_co_ci_u32_e64 v25, null, v31, v25, s0
	v_lshlrev_b64 v[2:3], 3, v[2:3]
	v_add_co_u32 v32, s0, v24, s10
	v_ashrrev_i32_e32 v27, 31, v26
	v_add_co_ci_u32_e64 v33, null, s11, v25, s0
	v_add_co_u32 v2, s0, v30, v2
	v_add_nc_u32_e32 v28, s8, v26
	v_add_co_ci_u32_e64 v3, null, v31, v3, s0
	flat_store_dwordx2 v[24:25], v[18:19]
	v_lshlrev_b64 v[18:19], 3, v[26:27]
	flat_store_dwordx2 v[32:33], v[14:15]
	flat_store_dwordx2 v[2:3], v[16:17]
	v_add_nc_u32_e32 v14, s8, v28
	v_ashrrev_i32_e32 v29, 31, v28
	v_cndmask_b32_e32 v1, v23, v1, vcc_lo
	v_cndmask_b32_e32 v0, v22, v0, vcc_lo
	v_add_co_u32 v16, vcc_lo, v30, v18
	v_add_nc_u32_e32 v18, s8, v14
	v_lshlrev_b64 v[2:3], 3, v[28:29]
	v_add_co_ci_u32_e64 v17, null, v31, v19, vcc_lo
	v_ashrrev_i32_e32 v15, 31, v14
	v_add_nc_u32_e32 v22, s8, v18
	v_ashrrev_i32_e32 v19, 31, v18
	v_add_co_u32 v2, vcc_lo, v30, v2
	v_add_co_ci_u32_e64 v3, null, v31, v3, vcc_lo
	flat_store_dwordx2 v[16:17], v[4:5]
	v_lshlrev_b64 v[4:5], 3, v[14:15]
	v_add_nc_u32_e32 v14, s8, v22
	flat_store_dwordx2 v[2:3], v[20:21]
	v_lshlrev_b64 v[2:3], 3, v[18:19]
	v_ashrrev_i32_e32 v23, 31, v22
	v_add_nc_u32_e32 v18, s8, v14
	v_ashrrev_i32_e32 v15, 31, v14
	v_add_co_u32 v4, vcc_lo, v30, v4
	v_lshlrev_b64 v[16:17], 3, v[22:23]
	v_ashrrev_i32_e32 v19, 31, v18
	v_lshlrev_b64 v[14:15], 3, v[14:15]
	v_add_co_ci_u32_e64 v5, null, v31, v5, vcc_lo
	v_add_co_u32 v2, vcc_lo, v30, v2
	v_lshlrev_b64 v[18:19], 3, v[18:19]
	v_add_co_ci_u32_e64 v3, null, v31, v3, vcc_lo
	v_add_co_u32 v16, vcc_lo, v30, v16
	v_add_co_ci_u32_e64 v17, null, v31, v17, vcc_lo
	v_add_co_u32 v14, vcc_lo, v30, v14
	;; [unrolled: 2-line block ×3, first 2 shown]
	v_add_co_ci_u32_e64 v19, null, v31, v19, vcc_lo
	flat_store_dwordx2 v[4:5], v[6:7]
	flat_store_dwordx2 v[2:3], v[8:9]
	flat_store_dwordx2 v[16:17], v[10:11]
	flat_store_dwordx2 v[14:15], v[12:13]
	flat_store_dwordx2 v[18:19], v[0:1]
.LBB18_167:
	s_endpgm
	.section	.rodata,"a",@progbits
	.p2align	6, 0x0
	.amdhsa_kernel _ZN9rocsolver6v33100L18getf2_small_kernelILi10EdiiPKPdEEvT1_T3_lS5_lPS5_llPT2_S5_S5_S7_l
		.amdhsa_group_segment_fixed_size 0
		.amdhsa_private_segment_fixed_size 0
		.amdhsa_kernarg_size 352
		.amdhsa_user_sgpr_count 6
		.amdhsa_user_sgpr_private_segment_buffer 1
		.amdhsa_user_sgpr_dispatch_ptr 0
		.amdhsa_user_sgpr_queue_ptr 0
		.amdhsa_user_sgpr_kernarg_segment_ptr 1
		.amdhsa_user_sgpr_dispatch_id 0
		.amdhsa_user_sgpr_flat_scratch_init 0
		.amdhsa_user_sgpr_private_segment_size 0
		.amdhsa_wavefront_size32 1
		.amdhsa_uses_dynamic_stack 0
		.amdhsa_system_sgpr_private_segment_wavefront_offset 0
		.amdhsa_system_sgpr_workgroup_id_x 1
		.amdhsa_system_sgpr_workgroup_id_y 1
		.amdhsa_system_sgpr_workgroup_id_z 0
		.amdhsa_system_sgpr_workgroup_info 0
		.amdhsa_system_vgpr_workitem_id 1
		.amdhsa_next_free_vgpr 51
		.amdhsa_next_free_sgpr 14
		.amdhsa_reserve_vcc 1
		.amdhsa_reserve_flat_scratch 1
		.amdhsa_float_round_mode_32 0
		.amdhsa_float_round_mode_16_64 0
		.amdhsa_float_denorm_mode_32 3
		.amdhsa_float_denorm_mode_16_64 3
		.amdhsa_dx10_clamp 1
		.amdhsa_ieee_mode 1
		.amdhsa_fp16_overflow 0
		.amdhsa_workgroup_processor_mode 1
		.amdhsa_memory_ordered 1
		.amdhsa_forward_progress 1
		.amdhsa_shared_vgpr_count 0
		.amdhsa_exception_fp_ieee_invalid_op 0
		.amdhsa_exception_fp_denorm_src 0
		.amdhsa_exception_fp_ieee_div_zero 0
		.amdhsa_exception_fp_ieee_overflow 0
		.amdhsa_exception_fp_ieee_underflow 0
		.amdhsa_exception_fp_ieee_inexact 0
		.amdhsa_exception_int_div_zero 0
	.end_amdhsa_kernel
	.section	.text._ZN9rocsolver6v33100L18getf2_small_kernelILi10EdiiPKPdEEvT1_T3_lS5_lPS5_llPT2_S5_S5_S7_l,"axG",@progbits,_ZN9rocsolver6v33100L18getf2_small_kernelILi10EdiiPKPdEEvT1_T3_lS5_lPS5_llPT2_S5_S5_S7_l,comdat
.Lfunc_end18:
	.size	_ZN9rocsolver6v33100L18getf2_small_kernelILi10EdiiPKPdEEvT1_T3_lS5_lPS5_llPT2_S5_S5_S7_l, .Lfunc_end18-_ZN9rocsolver6v33100L18getf2_small_kernelILi10EdiiPKPdEEvT1_T3_lS5_lPS5_llPT2_S5_S5_S7_l
                                        ; -- End function
	.set _ZN9rocsolver6v33100L18getf2_small_kernelILi10EdiiPKPdEEvT1_T3_lS5_lPS5_llPT2_S5_S5_S7_l.num_vgpr, 51
	.set _ZN9rocsolver6v33100L18getf2_small_kernelILi10EdiiPKPdEEvT1_T3_lS5_lPS5_llPT2_S5_S5_S7_l.num_agpr, 0
	.set _ZN9rocsolver6v33100L18getf2_small_kernelILi10EdiiPKPdEEvT1_T3_lS5_lPS5_llPT2_S5_S5_S7_l.numbered_sgpr, 14
	.set _ZN9rocsolver6v33100L18getf2_small_kernelILi10EdiiPKPdEEvT1_T3_lS5_lPS5_llPT2_S5_S5_S7_l.num_named_barrier, 0
	.set _ZN9rocsolver6v33100L18getf2_small_kernelILi10EdiiPKPdEEvT1_T3_lS5_lPS5_llPT2_S5_S5_S7_l.private_seg_size, 0
	.set _ZN9rocsolver6v33100L18getf2_small_kernelILi10EdiiPKPdEEvT1_T3_lS5_lPS5_llPT2_S5_S5_S7_l.uses_vcc, 1
	.set _ZN9rocsolver6v33100L18getf2_small_kernelILi10EdiiPKPdEEvT1_T3_lS5_lPS5_llPT2_S5_S5_S7_l.uses_flat_scratch, 1
	.set _ZN9rocsolver6v33100L18getf2_small_kernelILi10EdiiPKPdEEvT1_T3_lS5_lPS5_llPT2_S5_S5_S7_l.has_dyn_sized_stack, 0
	.set _ZN9rocsolver6v33100L18getf2_small_kernelILi10EdiiPKPdEEvT1_T3_lS5_lPS5_llPT2_S5_S5_S7_l.has_recursion, 0
	.set _ZN9rocsolver6v33100L18getf2_small_kernelILi10EdiiPKPdEEvT1_T3_lS5_lPS5_llPT2_S5_S5_S7_l.has_indirect_call, 0
	.section	.AMDGPU.csdata,"",@progbits
; Kernel info:
; codeLenInByte = 6648
; TotalNumSgprs: 16
; NumVgprs: 51
; ScratchSize: 0
; MemoryBound: 0
; FloatMode: 240
; IeeeMode: 1
; LDSByteSize: 0 bytes/workgroup (compile time only)
; SGPRBlocks: 0
; VGPRBlocks: 6
; NumSGPRsForWavesPerEU: 16
; NumVGPRsForWavesPerEU: 51
; Occupancy: 16
; WaveLimiterHint : 1
; COMPUTE_PGM_RSRC2:SCRATCH_EN: 0
; COMPUTE_PGM_RSRC2:USER_SGPR: 6
; COMPUTE_PGM_RSRC2:TRAP_HANDLER: 0
; COMPUTE_PGM_RSRC2:TGID_X_EN: 1
; COMPUTE_PGM_RSRC2:TGID_Y_EN: 1
; COMPUTE_PGM_RSRC2:TGID_Z_EN: 0
; COMPUTE_PGM_RSRC2:TIDIG_COMP_CNT: 1
	.section	.text._ZN9rocsolver6v33100L23getf2_npvt_small_kernelILi10EdiiPKPdEEvT1_T3_lS5_lPT2_S5_S5_,"axG",@progbits,_ZN9rocsolver6v33100L23getf2_npvt_small_kernelILi10EdiiPKPdEEvT1_T3_lS5_lPT2_S5_S5_,comdat
	.globl	_ZN9rocsolver6v33100L23getf2_npvt_small_kernelILi10EdiiPKPdEEvT1_T3_lS5_lPT2_S5_S5_ ; -- Begin function _ZN9rocsolver6v33100L23getf2_npvt_small_kernelILi10EdiiPKPdEEvT1_T3_lS5_lPT2_S5_S5_
	.p2align	8
	.type	_ZN9rocsolver6v33100L23getf2_npvt_small_kernelILi10EdiiPKPdEEvT1_T3_lS5_lPT2_S5_S5_,@function
_ZN9rocsolver6v33100L23getf2_npvt_small_kernelILi10EdiiPKPdEEvT1_T3_lS5_lPT2_S5_S5_: ; @_ZN9rocsolver6v33100L23getf2_npvt_small_kernelILi10EdiiPKPdEEvT1_T3_lS5_lPT2_S5_S5_
; %bb.0:
	s_clause 0x1
	s_load_dword s0, s[4:5], 0x44
	s_load_dwordx2 s[8:9], s[4:5], 0x30
	s_waitcnt lgkmcnt(0)
	s_lshr_b32 s10, s0, 16
	s_mov_b32 s0, exec_lo
	v_mad_u64_u32 v[2:3], null, s7, s10, v[1:2]
	v_cmpx_gt_i32_e64 s8, v2
	s_cbranch_execz .LBB19_54
; %bb.1:
	s_clause 0x1
	s_load_dwordx4 s[0:3], s[4:5], 0x8
	s_load_dword s6, s[4:5], 0x18
	v_ashrrev_i32_e32 v3, 31, v2
	v_lshlrev_b32_e32 v24, 3, v0
	v_lshlrev_b32_e32 v44, 3, v1
	s_mulk_i32 s10, 0x50
	v_mad_u32_u24 v62, 0x50, v1, 0
	v_lshlrev_b64 v[4:5], 3, v[2:3]
	v_add3_u32 v1, 0, s10, v44
	s_waitcnt lgkmcnt(0)
	v_add_co_u32 v4, vcc_lo, s0, v4
	v_add_co_ci_u32_e64 v5, null, s1, v5, vcc_lo
	v_add3_u32 v6, s6, s6, v0
	s_lshl_b64 s[0:1], s[2:3], 3
	s_ashr_i32 s7, s6, 31
	global_load_dwordx2 v[4:5], v[4:5], off
	s_lshl_b64 s[2:3], s[6:7], 3
	v_add_nc_u32_e32 v8, s6, v6
	v_ashrrev_i32_e32 v7, 31, v6
	v_add_nc_u32_e32 v10, s6, v8
	v_ashrrev_i32_e32 v9, 31, v8
	v_lshlrev_b64 v[6:7], 3, v[6:7]
	v_add_nc_u32_e32 v12, s6, v10
	v_ashrrev_i32_e32 v11, 31, v10
	v_lshlrev_b64 v[8:9], 3, v[8:9]
	v_add_nc_u32_e32 v14, s6, v12
	v_lshlrev_b64 v[20:21], 3, v[10:11]
	v_ashrrev_i32_e32 v13, 31, v12
	v_add_nc_u32_e32 v16, s6, v14
	v_ashrrev_i32_e32 v15, 31, v14
	v_lshlrev_b64 v[12:13], 3, v[12:13]
	v_add_nc_u32_e32 v18, s6, v16
	v_ashrrev_i32_e32 v17, 31, v16
	v_lshlrev_b64 v[14:15], 3, v[14:15]
	v_add_nc_u32_e32 v10, s6, v18
	v_ashrrev_i32_e32 v19, 31, v18
	v_lshlrev_b64 v[16:17], 3, v[16:17]
	v_ashrrev_i32_e32 v11, 31, v10
	v_lshlrev_b64 v[18:19], 3, v[18:19]
	v_lshlrev_b64 v[22:23], 3, v[10:11]
	s_waitcnt vmcnt(0)
	v_add_co_u32 v25, vcc_lo, v4, s0
	v_add_co_ci_u32_e64 v26, null, s1, v5, vcc_lo
	v_cmp_ne_u32_e64 s1, 0, v0
	v_add_co_u32 v4, vcc_lo, v25, v24
	v_add_co_ci_u32_e64 v5, null, 0, v26, vcc_lo
	v_add_co_u32 v6, vcc_lo, v25, v6
	v_add_co_ci_u32_e64 v7, null, v26, v7, vcc_lo
	;; [unrolled: 2-line block ×10, first 2 shown]
	s_clause 0x9
	flat_load_dwordx2 v[22:23], v[8:9]
	flat_load_dwordx2 v[24:25], v[12:13]
	;; [unrolled: 1-line block ×10, first 2 shown]
	v_cmp_eq_u32_e64 s0, 0, v0
	s_and_saveexec_b32 s2, s0
	s_cbranch_execz .LBB19_4
; %bb.2:
	s_waitcnt vmcnt(5) lgkmcnt(5)
	ds_write_b64 v1, v[34:35]
	s_waitcnt vmcnt(3) lgkmcnt(4)
	ds_write2_b64 v62, v[36:37], v[38:39] offset0:1 offset1:2
	s_waitcnt vmcnt(2) lgkmcnt(4)
	ds_write2_b64 v62, v[40:41], v[22:23] offset0:3 offset1:4
	ds_write2_b64 v62, v[24:25], v[26:27] offset0:5 offset1:6
	s_waitcnt vmcnt(1) lgkmcnt(5)
	ds_write2_b64 v62, v[28:29], v[32:33] offset0:7 offset1:8
	s_waitcnt vmcnt(0) lgkmcnt(5)
	ds_write_b64 v62, v[42:43] offset:72
	ds_read_b64 v[44:45], v1
	s_waitcnt lgkmcnt(0)
	v_cmp_neq_f64_e32 vcc_lo, 0, v[44:45]
	s_and_b32 exec_lo, exec_lo, vcc_lo
	s_cbranch_execz .LBB19_4
; %bb.3:
	v_div_scale_f64 v[46:47], null, v[44:45], v[44:45], 1.0
	v_rcp_f64_e32 v[48:49], v[46:47]
	v_fma_f64 v[50:51], -v[46:47], v[48:49], 1.0
	v_fma_f64 v[48:49], v[48:49], v[50:51], v[48:49]
	v_fma_f64 v[50:51], -v[46:47], v[48:49], 1.0
	v_fma_f64 v[48:49], v[48:49], v[50:51], v[48:49]
	v_div_scale_f64 v[50:51], vcc_lo, 1.0, v[44:45], 1.0
	v_mul_f64 v[52:53], v[50:51], v[48:49]
	v_fma_f64 v[46:47], -v[46:47], v[52:53], v[50:51]
	v_div_fmas_f64 v[46:47], v[46:47], v[48:49], v[52:53]
	v_div_fixup_f64 v[44:45], v[46:47], v[44:45], 1.0
	ds_write_b64 v1, v[44:45]
.LBB19_4:
	s_or_b32 exec_lo, exec_lo, s2
	s_waitcnt vmcnt(0) lgkmcnt(0)
	s_barrier
	buffer_gl0_inv
	ds_read_b64 v[44:45], v1
	s_and_saveexec_b32 s2, s1
	s_cbranch_execz .LBB19_6
; %bb.5:
	s_waitcnt lgkmcnt(0)
	v_mul_f64 v[34:35], v[34:35], v[44:45]
	ds_read2_b64 v[46:49], v62 offset0:1 offset1:2
	ds_read2_b64 v[50:53], v62 offset0:3 offset1:4
	;; [unrolled: 1-line block ×4, first 2 shown]
	ds_read_b64 v[63:64], v62 offset:72
	s_waitcnt lgkmcnt(4)
	v_fma_f64 v[36:37], -v[34:35], v[46:47], v[36:37]
	v_fma_f64 v[38:39], -v[34:35], v[48:49], v[38:39]
	s_waitcnt lgkmcnt(3)
	v_fma_f64 v[40:41], -v[34:35], v[50:51], v[40:41]
	v_fma_f64 v[22:23], -v[34:35], v[52:53], v[22:23]
	;; [unrolled: 3-line block ×4, first 2 shown]
	s_waitcnt lgkmcnt(0)
	v_fma_f64 v[42:43], -v[34:35], v[63:64], v[42:43]
.LBB19_6:
	s_or_b32 exec_lo, exec_lo, s2
	s_mov_b32 s1, exec_lo
	s_waitcnt lgkmcnt(0)
	s_barrier
	buffer_gl0_inv
	v_cmpx_eq_u32_e32 1, v0
	s_cbranch_execz .LBB19_9
; %bb.7:
	ds_write_b64 v1, v[36:37]
	ds_write2_b64 v62, v[38:39], v[40:41] offset0:2 offset1:3
	ds_write2_b64 v62, v[22:23], v[24:25] offset0:4 offset1:5
	;; [unrolled: 1-line block ×4, first 2 shown]
	ds_read_b64 v[46:47], v1
	s_waitcnt lgkmcnt(0)
	v_cmp_neq_f64_e32 vcc_lo, 0, v[46:47]
	s_and_b32 exec_lo, exec_lo, vcc_lo
	s_cbranch_execz .LBB19_9
; %bb.8:
	v_div_scale_f64 v[48:49], null, v[46:47], v[46:47], 1.0
	v_rcp_f64_e32 v[50:51], v[48:49]
	v_fma_f64 v[52:53], -v[48:49], v[50:51], 1.0
	v_fma_f64 v[50:51], v[50:51], v[52:53], v[50:51]
	v_fma_f64 v[52:53], -v[48:49], v[50:51], 1.0
	v_fma_f64 v[50:51], v[50:51], v[52:53], v[50:51]
	v_div_scale_f64 v[52:53], vcc_lo, 1.0, v[46:47], 1.0
	v_mul_f64 v[54:55], v[52:53], v[50:51]
	v_fma_f64 v[48:49], -v[48:49], v[54:55], v[52:53]
	v_div_fmas_f64 v[48:49], v[48:49], v[50:51], v[54:55]
	v_div_fixup_f64 v[46:47], v[48:49], v[46:47], 1.0
	ds_write_b64 v1, v[46:47]
.LBB19_9:
	s_or_b32 exec_lo, exec_lo, s1
	s_waitcnt lgkmcnt(0)
	s_barrier
	buffer_gl0_inv
	ds_read_b64 v[46:47], v1
	s_mov_b32 s1, exec_lo
	v_cmpx_lt_u32_e32 1, v0
	s_cbranch_execz .LBB19_11
; %bb.10:
	s_waitcnt lgkmcnt(0)
	v_mul_f64 v[36:37], v[36:37], v[46:47]
	ds_read2_b64 v[48:51], v62 offset0:2 offset1:3
	ds_read2_b64 v[52:55], v62 offset0:4 offset1:5
	;; [unrolled: 1-line block ×4, first 2 shown]
	s_waitcnt lgkmcnt(3)
	v_fma_f64 v[38:39], -v[36:37], v[48:49], v[38:39]
	v_fma_f64 v[40:41], -v[36:37], v[50:51], v[40:41]
	s_waitcnt lgkmcnt(2)
	v_fma_f64 v[22:23], -v[36:37], v[52:53], v[22:23]
	v_fma_f64 v[24:25], -v[36:37], v[54:55], v[24:25]
	;; [unrolled: 3-line block ×4, first 2 shown]
.LBB19_11:
	s_or_b32 exec_lo, exec_lo, s1
	s_mov_b32 s1, exec_lo
	s_waitcnt lgkmcnt(0)
	s_barrier
	buffer_gl0_inv
	v_cmpx_eq_u32_e32 2, v0
	s_cbranch_execz .LBB19_14
; %bb.12:
	ds_write_b64 v1, v[38:39]
	ds_write2_b64 v62, v[40:41], v[22:23] offset0:3 offset1:4
	ds_write2_b64 v62, v[24:25], v[26:27] offset0:5 offset1:6
	;; [unrolled: 1-line block ×3, first 2 shown]
	ds_write_b64 v62, v[42:43] offset:72
	ds_read_b64 v[48:49], v1
	s_waitcnt lgkmcnt(0)
	v_cmp_neq_f64_e32 vcc_lo, 0, v[48:49]
	s_and_b32 exec_lo, exec_lo, vcc_lo
	s_cbranch_execz .LBB19_14
; %bb.13:
	v_div_scale_f64 v[50:51], null, v[48:49], v[48:49], 1.0
	v_rcp_f64_e32 v[52:53], v[50:51]
	v_fma_f64 v[54:55], -v[50:51], v[52:53], 1.0
	v_fma_f64 v[52:53], v[52:53], v[54:55], v[52:53]
	v_fma_f64 v[54:55], -v[50:51], v[52:53], 1.0
	v_fma_f64 v[52:53], v[52:53], v[54:55], v[52:53]
	v_div_scale_f64 v[54:55], vcc_lo, 1.0, v[48:49], 1.0
	v_mul_f64 v[56:57], v[54:55], v[52:53]
	v_fma_f64 v[50:51], -v[50:51], v[56:57], v[54:55]
	v_div_fmas_f64 v[50:51], v[50:51], v[52:53], v[56:57]
	v_div_fixup_f64 v[48:49], v[50:51], v[48:49], 1.0
	ds_write_b64 v1, v[48:49]
.LBB19_14:
	s_or_b32 exec_lo, exec_lo, s1
	s_waitcnt lgkmcnt(0)
	s_barrier
	buffer_gl0_inv
	ds_read_b64 v[48:49], v1
	s_mov_b32 s1, exec_lo
	v_cmpx_lt_u32_e32 2, v0
	s_cbranch_execz .LBB19_16
; %bb.15:
	s_waitcnt lgkmcnt(0)
	v_mul_f64 v[38:39], v[38:39], v[48:49]
	ds_read2_b64 v[50:53], v62 offset0:3 offset1:4
	ds_read2_b64 v[54:57], v62 offset0:5 offset1:6
	;; [unrolled: 1-line block ×3, first 2 shown]
	ds_read_b64 v[63:64], v62 offset:72
	s_waitcnt lgkmcnt(3)
	v_fma_f64 v[40:41], -v[38:39], v[50:51], v[40:41]
	v_fma_f64 v[22:23], -v[38:39], v[52:53], v[22:23]
	s_waitcnt lgkmcnt(2)
	v_fma_f64 v[24:25], -v[38:39], v[54:55], v[24:25]
	v_fma_f64 v[26:27], -v[38:39], v[56:57], v[26:27]
	;; [unrolled: 3-line block ×3, first 2 shown]
	s_waitcnt lgkmcnt(0)
	v_fma_f64 v[42:43], -v[38:39], v[63:64], v[42:43]
.LBB19_16:
	s_or_b32 exec_lo, exec_lo, s1
	s_mov_b32 s1, exec_lo
	s_waitcnt lgkmcnt(0)
	s_barrier
	buffer_gl0_inv
	v_cmpx_eq_u32_e32 3, v0
	s_cbranch_execz .LBB19_19
; %bb.17:
	ds_write_b64 v1, v[40:41]
	ds_write2_b64 v62, v[22:23], v[24:25] offset0:4 offset1:5
	ds_write2_b64 v62, v[26:27], v[28:29] offset0:6 offset1:7
	ds_write2_b64 v62, v[32:33], v[42:43] offset0:8 offset1:9
	ds_read_b64 v[50:51], v1
	s_waitcnt lgkmcnt(0)
	v_cmp_neq_f64_e32 vcc_lo, 0, v[50:51]
	s_and_b32 exec_lo, exec_lo, vcc_lo
	s_cbranch_execz .LBB19_19
; %bb.18:
	v_div_scale_f64 v[52:53], null, v[50:51], v[50:51], 1.0
	v_rcp_f64_e32 v[54:55], v[52:53]
	v_fma_f64 v[56:57], -v[52:53], v[54:55], 1.0
	v_fma_f64 v[54:55], v[54:55], v[56:57], v[54:55]
	v_fma_f64 v[56:57], -v[52:53], v[54:55], 1.0
	v_fma_f64 v[54:55], v[54:55], v[56:57], v[54:55]
	v_div_scale_f64 v[56:57], vcc_lo, 1.0, v[50:51], 1.0
	v_mul_f64 v[58:59], v[56:57], v[54:55]
	v_fma_f64 v[52:53], -v[52:53], v[58:59], v[56:57]
	v_div_fmas_f64 v[52:53], v[52:53], v[54:55], v[58:59]
	v_div_fixup_f64 v[50:51], v[52:53], v[50:51], 1.0
	ds_write_b64 v1, v[50:51]
.LBB19_19:
	s_or_b32 exec_lo, exec_lo, s1
	s_waitcnt lgkmcnt(0)
	s_barrier
	buffer_gl0_inv
	ds_read_b64 v[50:51], v1
	s_mov_b32 s1, exec_lo
	v_cmpx_lt_u32_e32 3, v0
	s_cbranch_execz .LBB19_21
; %bb.20:
	s_waitcnt lgkmcnt(0)
	v_mul_f64 v[40:41], v[40:41], v[50:51]
	ds_read2_b64 v[52:55], v62 offset0:4 offset1:5
	ds_read2_b64 v[56:59], v62 offset0:6 offset1:7
	;; [unrolled: 1-line block ×3, first 2 shown]
	s_waitcnt lgkmcnt(2)
	v_fma_f64 v[22:23], -v[40:41], v[52:53], v[22:23]
	v_fma_f64 v[24:25], -v[40:41], v[54:55], v[24:25]
	s_waitcnt lgkmcnt(1)
	v_fma_f64 v[26:27], -v[40:41], v[56:57], v[26:27]
	v_fma_f64 v[28:29], -v[40:41], v[58:59], v[28:29]
	;; [unrolled: 3-line block ×3, first 2 shown]
.LBB19_21:
	s_or_b32 exec_lo, exec_lo, s1
	s_mov_b32 s1, exec_lo
	s_waitcnt lgkmcnt(0)
	s_barrier
	buffer_gl0_inv
	v_cmpx_eq_u32_e32 4, v0
	s_cbranch_execz .LBB19_24
; %bb.22:
	ds_write_b64 v1, v[22:23]
	ds_write2_b64 v62, v[24:25], v[26:27] offset0:5 offset1:6
	ds_write2_b64 v62, v[28:29], v[32:33] offset0:7 offset1:8
	ds_write_b64 v62, v[42:43] offset:72
	ds_read_b64 v[52:53], v1
	s_waitcnt lgkmcnt(0)
	v_cmp_neq_f64_e32 vcc_lo, 0, v[52:53]
	s_and_b32 exec_lo, exec_lo, vcc_lo
	s_cbranch_execz .LBB19_24
; %bb.23:
	v_div_scale_f64 v[54:55], null, v[52:53], v[52:53], 1.0
	v_rcp_f64_e32 v[56:57], v[54:55]
	v_fma_f64 v[58:59], -v[54:55], v[56:57], 1.0
	v_fma_f64 v[56:57], v[56:57], v[58:59], v[56:57]
	v_fma_f64 v[58:59], -v[54:55], v[56:57], 1.0
	v_fma_f64 v[56:57], v[56:57], v[58:59], v[56:57]
	v_div_scale_f64 v[58:59], vcc_lo, 1.0, v[52:53], 1.0
	v_mul_f64 v[60:61], v[58:59], v[56:57]
	v_fma_f64 v[54:55], -v[54:55], v[60:61], v[58:59]
	v_div_fmas_f64 v[54:55], v[54:55], v[56:57], v[60:61]
	v_div_fixup_f64 v[52:53], v[54:55], v[52:53], 1.0
	ds_write_b64 v1, v[52:53]
.LBB19_24:
	s_or_b32 exec_lo, exec_lo, s1
	s_waitcnt lgkmcnt(0)
	s_barrier
	buffer_gl0_inv
	ds_read_b64 v[52:53], v1
	s_mov_b32 s1, exec_lo
	v_cmpx_lt_u32_e32 4, v0
	s_cbranch_execz .LBB19_26
; %bb.25:
	s_waitcnt lgkmcnt(0)
	v_mul_f64 v[22:23], v[22:23], v[52:53]
	ds_read2_b64 v[54:57], v62 offset0:5 offset1:6
	ds_read2_b64 v[58:61], v62 offset0:7 offset1:8
	ds_read_b64 v[63:64], v62 offset:72
	s_waitcnt lgkmcnt(2)
	v_fma_f64 v[24:25], -v[22:23], v[54:55], v[24:25]
	v_fma_f64 v[26:27], -v[22:23], v[56:57], v[26:27]
	s_waitcnt lgkmcnt(1)
	v_fma_f64 v[28:29], -v[22:23], v[58:59], v[28:29]
	v_fma_f64 v[32:33], -v[22:23], v[60:61], v[32:33]
	s_waitcnt lgkmcnt(0)
	v_fma_f64 v[42:43], -v[22:23], v[63:64], v[42:43]
.LBB19_26:
	s_or_b32 exec_lo, exec_lo, s1
	s_mov_b32 s1, exec_lo
	s_waitcnt lgkmcnt(0)
	s_barrier
	buffer_gl0_inv
	v_cmpx_eq_u32_e32 5, v0
	s_cbranch_execz .LBB19_29
; %bb.27:
	ds_write_b64 v1, v[24:25]
	ds_write2_b64 v62, v[26:27], v[28:29] offset0:6 offset1:7
	ds_write2_b64 v62, v[32:33], v[42:43] offset0:8 offset1:9
	ds_read_b64 v[54:55], v1
	s_waitcnt lgkmcnt(0)
	v_cmp_neq_f64_e32 vcc_lo, 0, v[54:55]
	s_and_b32 exec_lo, exec_lo, vcc_lo
	s_cbranch_execz .LBB19_29
; %bb.28:
	v_div_scale_f64 v[56:57], null, v[54:55], v[54:55], 1.0
	v_rcp_f64_e32 v[58:59], v[56:57]
	v_fma_f64 v[60:61], -v[56:57], v[58:59], 1.0
	v_fma_f64 v[58:59], v[58:59], v[60:61], v[58:59]
	v_fma_f64 v[60:61], -v[56:57], v[58:59], 1.0
	v_fma_f64 v[58:59], v[58:59], v[60:61], v[58:59]
	v_div_scale_f64 v[60:61], vcc_lo, 1.0, v[54:55], 1.0
	v_mul_f64 v[63:64], v[60:61], v[58:59]
	v_fma_f64 v[56:57], -v[56:57], v[63:64], v[60:61]
	v_div_fmas_f64 v[56:57], v[56:57], v[58:59], v[63:64]
	v_div_fixup_f64 v[54:55], v[56:57], v[54:55], 1.0
	ds_write_b64 v1, v[54:55]
.LBB19_29:
	s_or_b32 exec_lo, exec_lo, s1
	s_waitcnt lgkmcnt(0)
	s_barrier
	buffer_gl0_inv
	ds_read_b64 v[54:55], v1
	s_mov_b32 s1, exec_lo
	v_cmpx_lt_u32_e32 5, v0
	s_cbranch_execz .LBB19_31
; %bb.30:
	s_waitcnt lgkmcnt(0)
	v_mul_f64 v[24:25], v[24:25], v[54:55]
	ds_read2_b64 v[56:59], v62 offset0:6 offset1:7
	ds_read2_b64 v[63:66], v62 offset0:8 offset1:9
	s_waitcnt lgkmcnt(1)
	v_fma_f64 v[26:27], -v[24:25], v[56:57], v[26:27]
	v_fma_f64 v[28:29], -v[24:25], v[58:59], v[28:29]
	s_waitcnt lgkmcnt(0)
	v_fma_f64 v[32:33], -v[24:25], v[63:64], v[32:33]
	v_fma_f64 v[42:43], -v[24:25], v[65:66], v[42:43]
.LBB19_31:
	s_or_b32 exec_lo, exec_lo, s1
	s_mov_b32 s1, exec_lo
	s_waitcnt lgkmcnt(0)
	s_barrier
	buffer_gl0_inv
	v_cmpx_eq_u32_e32 6, v0
	s_cbranch_execz .LBB19_34
; %bb.32:
	ds_write_b64 v1, v[26:27]
	ds_write2_b64 v62, v[28:29], v[32:33] offset0:7 offset1:8
	ds_write_b64 v62, v[42:43] offset:72
	ds_read_b64 v[56:57], v1
	s_waitcnt lgkmcnt(0)
	v_cmp_neq_f64_e32 vcc_lo, 0, v[56:57]
	s_and_b32 exec_lo, exec_lo, vcc_lo
	s_cbranch_execz .LBB19_34
; %bb.33:
	v_div_scale_f64 v[58:59], null, v[56:57], v[56:57], 1.0
	v_rcp_f64_e32 v[60:61], v[58:59]
	v_fma_f64 v[63:64], -v[58:59], v[60:61], 1.0
	v_fma_f64 v[60:61], v[60:61], v[63:64], v[60:61]
	v_fma_f64 v[63:64], -v[58:59], v[60:61], 1.0
	v_fma_f64 v[60:61], v[60:61], v[63:64], v[60:61]
	v_div_scale_f64 v[63:64], vcc_lo, 1.0, v[56:57], 1.0
	v_mul_f64 v[65:66], v[63:64], v[60:61]
	v_fma_f64 v[58:59], -v[58:59], v[65:66], v[63:64]
	v_div_fmas_f64 v[58:59], v[58:59], v[60:61], v[65:66]
	v_div_fixup_f64 v[56:57], v[58:59], v[56:57], 1.0
	ds_write_b64 v1, v[56:57]
.LBB19_34:
	s_or_b32 exec_lo, exec_lo, s1
	s_waitcnt lgkmcnt(0)
	s_barrier
	buffer_gl0_inv
	ds_read_b64 v[56:57], v1
	s_mov_b32 s1, exec_lo
	v_cmpx_lt_u32_e32 6, v0
	s_cbranch_execz .LBB19_36
; %bb.35:
	s_waitcnt lgkmcnt(0)
	v_mul_f64 v[26:27], v[26:27], v[56:57]
	ds_read2_b64 v[58:61], v62 offset0:7 offset1:8
	ds_read_b64 v[63:64], v62 offset:72
	s_waitcnt lgkmcnt(1)
	v_fma_f64 v[28:29], -v[26:27], v[58:59], v[28:29]
	v_fma_f64 v[32:33], -v[26:27], v[60:61], v[32:33]
	s_waitcnt lgkmcnt(0)
	v_fma_f64 v[42:43], -v[26:27], v[63:64], v[42:43]
.LBB19_36:
	s_or_b32 exec_lo, exec_lo, s1
	s_mov_b32 s1, exec_lo
	s_waitcnt lgkmcnt(0)
	s_barrier
	buffer_gl0_inv
	v_cmpx_eq_u32_e32 7, v0
	s_cbranch_execz .LBB19_39
; %bb.37:
	ds_write_b64 v1, v[28:29]
	ds_write2_b64 v62, v[32:33], v[42:43] offset0:8 offset1:9
	ds_read_b64 v[58:59], v1
	s_waitcnt lgkmcnt(0)
	v_cmp_neq_f64_e32 vcc_lo, 0, v[58:59]
	s_and_b32 exec_lo, exec_lo, vcc_lo
	s_cbranch_execz .LBB19_39
; %bb.38:
	v_div_scale_f64 v[60:61], null, v[58:59], v[58:59], 1.0
	v_rcp_f64_e32 v[63:64], v[60:61]
	v_fma_f64 v[65:66], -v[60:61], v[63:64], 1.0
	v_fma_f64 v[63:64], v[63:64], v[65:66], v[63:64]
	v_fma_f64 v[65:66], -v[60:61], v[63:64], 1.0
	v_fma_f64 v[63:64], v[63:64], v[65:66], v[63:64]
	v_div_scale_f64 v[65:66], vcc_lo, 1.0, v[58:59], 1.0
	v_mul_f64 v[67:68], v[65:66], v[63:64]
	v_fma_f64 v[60:61], -v[60:61], v[67:68], v[65:66]
	v_div_fmas_f64 v[60:61], v[60:61], v[63:64], v[67:68]
	v_div_fixup_f64 v[58:59], v[60:61], v[58:59], 1.0
	ds_write_b64 v1, v[58:59]
.LBB19_39:
	s_or_b32 exec_lo, exec_lo, s1
	s_waitcnt lgkmcnt(0)
	s_barrier
	buffer_gl0_inv
	ds_read_b64 v[58:59], v1
	s_mov_b32 s1, exec_lo
	v_cmpx_lt_u32_e32 7, v0
	s_cbranch_execz .LBB19_41
; %bb.40:
	s_waitcnt lgkmcnt(0)
	v_mul_f64 v[28:29], v[28:29], v[58:59]
	ds_read2_b64 v[63:66], v62 offset0:8 offset1:9
	s_waitcnt lgkmcnt(0)
	v_fma_f64 v[32:33], -v[28:29], v[63:64], v[32:33]
	v_fma_f64 v[42:43], -v[28:29], v[65:66], v[42:43]
.LBB19_41:
	s_or_b32 exec_lo, exec_lo, s1
	s_mov_b32 s1, exec_lo
	s_waitcnt lgkmcnt(0)
	s_barrier
	buffer_gl0_inv
	v_cmpx_eq_u32_e32 8, v0
	s_cbranch_execz .LBB19_44
; %bb.42:
	ds_write_b64 v1, v[32:33]
	ds_write_b64 v62, v[42:43] offset:72
	ds_read_b64 v[60:61], v1
	s_waitcnt lgkmcnt(0)
	v_cmp_neq_f64_e32 vcc_lo, 0, v[60:61]
	s_and_b32 exec_lo, exec_lo, vcc_lo
	s_cbranch_execz .LBB19_44
; %bb.43:
	v_div_scale_f64 v[63:64], null, v[60:61], v[60:61], 1.0
	v_rcp_f64_e32 v[65:66], v[63:64]
	v_fma_f64 v[67:68], -v[63:64], v[65:66], 1.0
	v_fma_f64 v[65:66], v[65:66], v[67:68], v[65:66]
	v_fma_f64 v[67:68], -v[63:64], v[65:66], 1.0
	v_fma_f64 v[65:66], v[65:66], v[67:68], v[65:66]
	v_div_scale_f64 v[67:68], vcc_lo, 1.0, v[60:61], 1.0
	v_mul_f64 v[69:70], v[67:68], v[65:66]
	v_fma_f64 v[63:64], -v[63:64], v[69:70], v[67:68]
	v_div_fmas_f64 v[63:64], v[63:64], v[65:66], v[69:70]
	v_div_fixup_f64 v[60:61], v[63:64], v[60:61], 1.0
	ds_write_b64 v1, v[60:61]
.LBB19_44:
	s_or_b32 exec_lo, exec_lo, s1
	s_waitcnt lgkmcnt(0)
	s_barrier
	buffer_gl0_inv
	ds_read_b64 v[60:61], v1
	s_mov_b32 s1, exec_lo
	v_cmpx_lt_u32_e32 8, v0
	s_cbranch_execz .LBB19_46
; %bb.45:
	s_waitcnt lgkmcnt(0)
	v_mul_f64 v[32:33], v[32:33], v[60:61]
	ds_read_b64 v[62:63], v62 offset:72
	s_waitcnt lgkmcnt(0)
	v_fma_f64 v[42:43], -v[32:33], v[62:63], v[42:43]
.LBB19_46:
	s_or_b32 exec_lo, exec_lo, s1
	s_mov_b32 s1, exec_lo
	s_waitcnt lgkmcnt(0)
	s_barrier
	buffer_gl0_inv
	v_cmpx_ne_u32_e32 9, v0
	s_xor_b32 s1, exec_lo, s1
	s_andn2_saveexec_b32 s1, s1
	s_cbranch_execz .LBB19_50
; %bb.47:
	s_mov_b32 s2, exec_lo
	ds_write_b64 v1, v[42:43]
	v_cmpx_neq_f64_e32 0, v[42:43]
	s_cbranch_execz .LBB19_49
; %bb.48:
	v_div_scale_f64 v[62:63], null, v[42:43], v[42:43], 1.0
	v_rcp_f64_e32 v[64:65], v[62:63]
	v_fma_f64 v[66:67], -v[62:63], v[64:65], 1.0
	v_fma_f64 v[64:65], v[64:65], v[66:67], v[64:65]
	v_fma_f64 v[66:67], -v[62:63], v[64:65], 1.0
	v_fma_f64 v[64:65], v[64:65], v[66:67], v[64:65]
	v_div_scale_f64 v[66:67], vcc_lo, 1.0, v[42:43], 1.0
	v_mul_f64 v[68:69], v[66:67], v[64:65]
	v_fma_f64 v[62:63], -v[62:63], v[68:69], v[66:67]
	v_div_fmas_f64 v[62:63], v[62:63], v[64:65], v[68:69]
	v_div_fixup_f64 v[62:63], v[62:63], v[42:43], 1.0
	ds_write_b64 v1, v[62:63]
.LBB19_49:
	s_or_b32 exec_lo, exec_lo, s2
.LBB19_50:
	s_or_b32 exec_lo, exec_lo, s1
	s_waitcnt lgkmcnt(0)
	s_barrier
	buffer_gl0_inv
	ds_read_b64 v[62:63], v1
	s_waitcnt lgkmcnt(0)
	s_barrier
	buffer_gl0_inv
	s_and_saveexec_b32 s3, s0
	s_cbranch_execz .LBB19_53
; %bb.51:
	s_load_dwordx2 s[0:1], s[4:5], 0x28
	v_lshlrev_b64 v[1:2], 2, v[2:3]
	v_cmp_eq_f64_e64 s2, 0, v[50:51]
	s_waitcnt lgkmcnt(0)
	v_add_co_u32 v1, vcc_lo, s0, v1
	v_add_co_ci_u32_e64 v2, null, s1, v2, vcc_lo
	v_cmp_eq_f64_e32 vcc_lo, 0, v[44:45]
	v_cmp_neq_f64_e64 s0, 0, v[46:47]
	v_cmp_eq_f64_e64 s1, 0, v[48:49]
	global_load_dword v64, v[1:2], off
	v_cndmask_b32_e64 v3, 0, 1, vcc_lo
	s_or_b32 vcc_lo, s0, vcc_lo
	v_cmp_eq_f64_e64 s0, 0, v[52:53]
	v_cndmask_b32_e32 v3, 2, v3, vcc_lo
	v_cmp_eq_u32_e32 vcc_lo, 0, v3
	s_and_b32 s1, s1, vcc_lo
	v_cndmask_b32_e64 v3, v3, 3, s1
	v_cmp_eq_f64_e64 s1, 0, v[54:55]
	v_cmp_eq_u32_e32 vcc_lo, 0, v3
	s_and_b32 s2, s2, vcc_lo
	v_cndmask_b32_e64 v3, v3, 4, s2
	v_cmp_eq_f64_e64 s2, 0, v[56:57]
	;; [unrolled: 4-line block ×5, first 2 shown]
	v_cmp_eq_u32_e32 vcc_lo, 0, v3
	s_and_b32 s0, s0, vcc_lo
	v_cndmask_b32_e64 v3, v3, 8, s0
	v_cmp_eq_u32_e32 vcc_lo, 0, v3
	s_and_b32 s0, s1, vcc_lo
	v_cndmask_b32_e64 v3, v3, 9, s0
	;; [unrolled: 3-line block ×3, first 2 shown]
	v_cmp_ne_u32_e64 s0, 0, v3
	s_waitcnt vmcnt(0)
	v_cmp_eq_u32_e32 vcc_lo, 0, v64
	s_and_b32 s0, vcc_lo, s0
	s_and_b32 exec_lo, exec_lo, s0
	s_cbranch_execz .LBB19_53
; %bb.52:
	v_add_nc_u32_e32 v3, s9, v3
	global_store_dword v[1:2], v3, off
.LBB19_53:
	s_or_b32 exec_lo, exec_lo, s3
	v_mul_f64 v[1:2], v[42:43], v[62:63]
	v_cmp_lt_u32_e32 vcc_lo, 9, v0
	flat_store_dwordx2 v[4:5], v[34:35]
	flat_store_dwordx2 v[30:31], v[36:37]
	;; [unrolled: 1-line block ×4, first 2 shown]
	v_cndmask_b32_e32 v2, v43, v2, vcc_lo
	v_cndmask_b32_e32 v1, v42, v1, vcc_lo
	flat_store_dwordx2 v[8:9], v[22:23]
	flat_store_dwordx2 v[12:13], v[24:25]
	flat_store_dwordx2 v[14:15], v[26:27]
	flat_store_dwordx2 v[16:17], v[28:29]
	flat_store_dwordx2 v[18:19], v[32:33]
	flat_store_dwordx2 v[20:21], v[1:2]
.LBB19_54:
	s_endpgm
	.section	.rodata,"a",@progbits
	.p2align	6, 0x0
	.amdhsa_kernel _ZN9rocsolver6v33100L23getf2_npvt_small_kernelILi10EdiiPKPdEEvT1_T3_lS5_lPT2_S5_S5_
		.amdhsa_group_segment_fixed_size 0
		.amdhsa_private_segment_fixed_size 0
		.amdhsa_kernarg_size 312
		.amdhsa_user_sgpr_count 6
		.amdhsa_user_sgpr_private_segment_buffer 1
		.amdhsa_user_sgpr_dispatch_ptr 0
		.amdhsa_user_sgpr_queue_ptr 0
		.amdhsa_user_sgpr_kernarg_segment_ptr 1
		.amdhsa_user_sgpr_dispatch_id 0
		.amdhsa_user_sgpr_flat_scratch_init 0
		.amdhsa_user_sgpr_private_segment_size 0
		.amdhsa_wavefront_size32 1
		.amdhsa_uses_dynamic_stack 0
		.amdhsa_system_sgpr_private_segment_wavefront_offset 0
		.amdhsa_system_sgpr_workgroup_id_x 1
		.amdhsa_system_sgpr_workgroup_id_y 1
		.amdhsa_system_sgpr_workgroup_id_z 0
		.amdhsa_system_sgpr_workgroup_info 0
		.amdhsa_system_vgpr_workitem_id 1
		.amdhsa_next_free_vgpr 71
		.amdhsa_next_free_sgpr 11
		.amdhsa_reserve_vcc 1
		.amdhsa_reserve_flat_scratch 1
		.amdhsa_float_round_mode_32 0
		.amdhsa_float_round_mode_16_64 0
		.amdhsa_float_denorm_mode_32 3
		.amdhsa_float_denorm_mode_16_64 3
		.amdhsa_dx10_clamp 1
		.amdhsa_ieee_mode 1
		.amdhsa_fp16_overflow 0
		.amdhsa_workgroup_processor_mode 1
		.amdhsa_memory_ordered 1
		.amdhsa_forward_progress 1
		.amdhsa_shared_vgpr_count 0
		.amdhsa_exception_fp_ieee_invalid_op 0
		.amdhsa_exception_fp_denorm_src 0
		.amdhsa_exception_fp_ieee_div_zero 0
		.amdhsa_exception_fp_ieee_overflow 0
		.amdhsa_exception_fp_ieee_underflow 0
		.amdhsa_exception_fp_ieee_inexact 0
		.amdhsa_exception_int_div_zero 0
	.end_amdhsa_kernel
	.section	.text._ZN9rocsolver6v33100L23getf2_npvt_small_kernelILi10EdiiPKPdEEvT1_T3_lS5_lPT2_S5_S5_,"axG",@progbits,_ZN9rocsolver6v33100L23getf2_npvt_small_kernelILi10EdiiPKPdEEvT1_T3_lS5_lPT2_S5_S5_,comdat
.Lfunc_end19:
	.size	_ZN9rocsolver6v33100L23getf2_npvt_small_kernelILi10EdiiPKPdEEvT1_T3_lS5_lPT2_S5_S5_, .Lfunc_end19-_ZN9rocsolver6v33100L23getf2_npvt_small_kernelILi10EdiiPKPdEEvT1_T3_lS5_lPT2_S5_S5_
                                        ; -- End function
	.set _ZN9rocsolver6v33100L23getf2_npvt_small_kernelILi10EdiiPKPdEEvT1_T3_lS5_lPT2_S5_S5_.num_vgpr, 71
	.set _ZN9rocsolver6v33100L23getf2_npvt_small_kernelILi10EdiiPKPdEEvT1_T3_lS5_lPT2_S5_S5_.num_agpr, 0
	.set _ZN9rocsolver6v33100L23getf2_npvt_small_kernelILi10EdiiPKPdEEvT1_T3_lS5_lPT2_S5_S5_.numbered_sgpr, 11
	.set _ZN9rocsolver6v33100L23getf2_npvt_small_kernelILi10EdiiPKPdEEvT1_T3_lS5_lPT2_S5_S5_.num_named_barrier, 0
	.set _ZN9rocsolver6v33100L23getf2_npvt_small_kernelILi10EdiiPKPdEEvT1_T3_lS5_lPT2_S5_S5_.private_seg_size, 0
	.set _ZN9rocsolver6v33100L23getf2_npvt_small_kernelILi10EdiiPKPdEEvT1_T3_lS5_lPT2_S5_S5_.uses_vcc, 1
	.set _ZN9rocsolver6v33100L23getf2_npvt_small_kernelILi10EdiiPKPdEEvT1_T3_lS5_lPT2_S5_S5_.uses_flat_scratch, 1
	.set _ZN9rocsolver6v33100L23getf2_npvt_small_kernelILi10EdiiPKPdEEvT1_T3_lS5_lPT2_S5_S5_.has_dyn_sized_stack, 0
	.set _ZN9rocsolver6v33100L23getf2_npvt_small_kernelILi10EdiiPKPdEEvT1_T3_lS5_lPT2_S5_S5_.has_recursion, 0
	.set _ZN9rocsolver6v33100L23getf2_npvt_small_kernelILi10EdiiPKPdEEvT1_T3_lS5_lPT2_S5_S5_.has_indirect_call, 0
	.section	.AMDGPU.csdata,"",@progbits
; Kernel info:
; codeLenInByte = 3912
; TotalNumSgprs: 13
; NumVgprs: 71
; ScratchSize: 0
; MemoryBound: 0
; FloatMode: 240
; IeeeMode: 1
; LDSByteSize: 0 bytes/workgroup (compile time only)
; SGPRBlocks: 0
; VGPRBlocks: 8
; NumSGPRsForWavesPerEU: 13
; NumVGPRsForWavesPerEU: 71
; Occupancy: 12
; WaveLimiterHint : 1
; COMPUTE_PGM_RSRC2:SCRATCH_EN: 0
; COMPUTE_PGM_RSRC2:USER_SGPR: 6
; COMPUTE_PGM_RSRC2:TRAP_HANDLER: 0
; COMPUTE_PGM_RSRC2:TGID_X_EN: 1
; COMPUTE_PGM_RSRC2:TGID_Y_EN: 1
; COMPUTE_PGM_RSRC2:TGID_Z_EN: 0
; COMPUTE_PGM_RSRC2:TIDIG_COMP_CNT: 1
	.section	.text._ZN9rocsolver6v33100L18getf2_small_kernelILi11EdiiPKPdEEvT1_T3_lS5_lPS5_llPT2_S5_S5_S7_l,"axG",@progbits,_ZN9rocsolver6v33100L18getf2_small_kernelILi11EdiiPKPdEEvT1_T3_lS5_lPS5_llPT2_S5_S5_S7_l,comdat
	.globl	_ZN9rocsolver6v33100L18getf2_small_kernelILi11EdiiPKPdEEvT1_T3_lS5_lPS5_llPT2_S5_S5_S7_l ; -- Begin function _ZN9rocsolver6v33100L18getf2_small_kernelILi11EdiiPKPdEEvT1_T3_lS5_lPS5_llPT2_S5_S5_S7_l
	.p2align	8
	.type	_ZN9rocsolver6v33100L18getf2_small_kernelILi11EdiiPKPdEEvT1_T3_lS5_lPS5_llPT2_S5_S5_S7_l,@function
_ZN9rocsolver6v33100L18getf2_small_kernelILi11EdiiPKPdEEvT1_T3_lS5_lPS5_llPT2_S5_S5_S7_l: ; @_ZN9rocsolver6v33100L18getf2_small_kernelILi11EdiiPKPdEEvT1_T3_lS5_lPS5_llPT2_S5_S5_S7_l
; %bb.0:
	s_clause 0x1
	s_load_dword s0, s[4:5], 0x6c
	s_load_dwordx2 s[12:13], s[4:5], 0x48
	s_waitcnt lgkmcnt(0)
	s_lshr_b32 s0, s0, 16
	v_mad_u64_u32 v[2:3], null, s7, s0, v[1:2]
	s_mov_b32 s0, exec_lo
	v_cmpx_gt_i32_e64 s12, v2
	s_cbranch_execz .LBB20_184
; %bb.1:
	s_clause 0x1
	s_load_dwordx4 s[0:3], s[4:5], 0x8
	s_load_dwordx4 s[8:11], s[4:5], 0x50
	v_ashrrev_i32_e32 v3, 31, v2
	v_mov_b32_e32 v24, 0
	v_mov_b32_e32 v25, 0
	v_lshlrev_b64 v[4:5], 3, v[2:3]
	s_waitcnt lgkmcnt(0)
	v_add_co_u32 v4, vcc_lo, s0, v4
	v_add_co_ci_u32_e64 v5, null, s1, v5, vcc_lo
	s_cmp_eq_u64 s[8:9], 0
	s_cselect_b32 s6, -1, 0
	global_load_dwordx2 v[4:5], v[4:5], off
	s_and_b32 vcc_lo, exec_lo, s6
	s_cbranch_vccnz .LBB20_3
; %bb.2:
	v_mul_lo_u32 v8, s11, v2
	v_mul_lo_u32 v9, s10, v3
	v_mad_u64_u32 v[6:7], null, s10, v2, 0
	v_add3_u32 v7, v7, v9, v8
	v_lshlrev_b64 v[6:7], 2, v[6:7]
	v_add_co_u32 v24, vcc_lo, s8, v6
	v_add_co_ci_u32_e64 v25, null, s9, v7, vcc_lo
.LBB20_3:
	s_load_dword s8, s[4:5], 0x18
	s_lshl_b64 s[0:1], s[2:3], 3
	s_load_dword s2, s[4:5], 0x0
	s_waitcnt vmcnt(0)
	v_add_co_u32 v32, vcc_lo, v4, s0
	v_lshlrev_b32_e32 v35, 3, v0
	v_add_co_ci_u32_e64 v33, null, s1, v5, vcc_lo
	v_add_co_u32 v8, vcc_lo, v32, v35
	v_add_co_ci_u32_e64 v9, null, 0, v33, vcc_lo
	s_waitcnt lgkmcnt(0)
	v_add3_u32 v6, s8, s8, v0
	s_ashr_i32 s9, s8, 31
	s_max_i32 s0, s2, 11
	s_lshl_b64 s[10:11], s[8:9], 3
	v_mul_lo_u32 v1, s0, v1
	v_add_nc_u32_e32 v4, s8, v6
	v_ashrrev_i32_e32 v7, 31, v6
	v_add_co_u32 v12, vcc_lo, v8, s10
	v_add_co_ci_u32_e64 v13, null, s11, v9, vcc_lo
	v_add_nc_u32_e32 v10, s8, v4
	v_ashrrev_i32_e32 v5, 31, v4
	v_lshlrev_b64 v[6:7], 3, v[6:7]
	v_lshl_add_u32 v34, v1, 3, 0
	s_cmp_lt_i32 s2, 2
	v_add_nc_u32_e32 v14, s8, v10
	v_lshlrev_b64 v[4:5], 3, v[4:5]
	v_ashrrev_i32_e32 v11, 31, v10
	v_add_co_u32 v6, vcc_lo, v32, v6
	v_add_nc_u32_e32 v18, s8, v14
	v_ashrrev_i32_e32 v15, 31, v14
	v_add_co_ci_u32_e64 v7, null, v33, v7, vcc_lo
	v_add_co_u32 v4, vcc_lo, v32, v4
	v_add_nc_u32_e32 v26, s8, v18
	v_lshlrev_b64 v[10:11], 3, v[10:11]
	v_add_co_ci_u32_e64 v5, null, v33, v5, vcc_lo
	v_lshlrev_b64 v[20:21], 3, v[14:15]
	s_clause 0x3
	flat_load_dwordx2 v[22:23], v[8:9]
	flat_load_dwordx2 v[16:17], v[12:13]
	;; [unrolled: 1-line block ×4, first 2 shown]
	v_add_nc_u32_e32 v8, s8, v26
	v_ashrrev_i32_e32 v19, 31, v18
	v_add_co_u32 v4, vcc_lo, v32, v10
	v_add_co_ci_u32_e64 v5, null, v33, v11, vcc_lo
	v_ashrrev_i32_e32 v27, 31, v26
	v_add_co_u32 v10, vcc_lo, v32, v20
	v_add_nc_u32_e32 v20, s8, v8
	v_lshlrev_b64 v[6:7], 3, v[18:19]
	v_lshlrev_b64 v[18:19], 3, v[26:27]
	v_ashrrev_i32_e32 v9, 31, v8
	v_add_co_ci_u32_e64 v11, null, v33, v21, vcc_lo
	v_add_nc_u32_e32 v26, s8, v20
	v_ashrrev_i32_e32 v21, 31, v20
	v_add_co_u32 v6, vcc_lo, v32, v6
	v_add_co_ci_u32_e64 v7, null, v33, v7, vcc_lo
	v_ashrrev_i32_e32 v27, 31, v26
	v_lshlrev_b64 v[8:9], 3, v[8:9]
	v_add_co_u32 v28, vcc_lo, v32, v18
	v_add_co_ci_u32_e64 v29, null, v33, v19, vcc_lo
	v_lshlrev_b64 v[18:19], 3, v[20:21]
	v_lshlrev_b64 v[20:21], 3, v[26:27]
	v_add_co_u32 v8, vcc_lo, v32, v8
	v_add_co_ci_u32_e64 v9, null, v33, v9, vcc_lo
	v_add_co_u32 v26, vcc_lo, v32, v18
	v_add_co_ci_u32_e64 v27, null, v33, v19, vcc_lo
	;; [unrolled: 2-line block ×3, first 2 shown]
	s_clause 0x6
	flat_load_dwordx2 v[20:21], v[4:5]
	flat_load_dwordx2 v[18:19], v[10:11]
	;; [unrolled: 1-line block ×7, first 2 shown]
	v_add_nc_u32_e32 v28, v34, v35
	v_mov_b32_e32 v30, 0
	v_lshlrev_b32_e32 v35, 3, v1
	s_waitcnt vmcnt(10) lgkmcnt(10)
	ds_write_b64 v28, v[22:23]
	s_waitcnt vmcnt(0) lgkmcnt(0)
	s_barrier
	buffer_gl0_inv
	ds_read_b64 v[28:29], v34
	s_cbranch_scc1 .LBB20_6
; %bb.4:
	v_add3_u32 v1, v35, 0, 8
	v_mov_b32_e32 v30, 0
	s_mov_b32 s0, 1
.LBB20_5:                               ; =>This Inner Loop Header: Depth=1
	ds_read_b64 v[36:37], v1
	v_add_nc_u32_e32 v1, 8, v1
	s_waitcnt lgkmcnt(0)
	v_cmp_lt_f64_e64 vcc_lo, |v[28:29]|, |v[36:37]|
	v_cndmask_b32_e32 v29, v29, v37, vcc_lo
	v_cndmask_b32_e32 v28, v28, v36, vcc_lo
	v_cndmask_b32_e64 v30, v30, s0, vcc_lo
	s_add_i32 s0, s0, 1
	s_cmp_eq_u32 s2, s0
	s_cbranch_scc0 .LBB20_5
.LBB20_6:
	s_mov_b32 s0, exec_lo
                                        ; implicit-def: $vgpr31
	v_cmpx_ne_u32_e64 v0, v30
	s_xor_b32 s0, exec_lo, s0
	s_cbranch_execz .LBB20_12
; %bb.7:
	s_mov_b32 s1, exec_lo
	v_cmpx_eq_u32_e32 0, v0
	s_cbranch_execz .LBB20_11
; %bb.8:
	v_cmp_ne_u32_e32 vcc_lo, 0, v30
	s_xor_b32 s3, s6, -1
	s_and_b32 s7, s3, vcc_lo
	s_and_saveexec_b32 s3, s7
	s_cbranch_execz .LBB20_10
; %bb.9:
	v_ashrrev_i32_e32 v31, 31, v30
	v_lshlrev_b64 v[0:1], 2, v[30:31]
	v_add_co_u32 v0, vcc_lo, v24, v0
	v_add_co_ci_u32_e64 v1, null, v25, v1, vcc_lo
	s_clause 0x1
	global_load_dword v31, v[0:1], off
	global_load_dword v36, v[24:25], off
	s_waitcnt vmcnt(1)
	global_store_dword v[24:25], v31, off
	s_waitcnt vmcnt(0)
	global_store_dword v[0:1], v36, off
.LBB20_10:
	s_or_b32 exec_lo, exec_lo, s3
	v_mov_b32_e32 v0, v30
.LBB20_11:
	s_or_b32 exec_lo, exec_lo, s1
	v_mov_b32_e32 v31, v0
                                        ; implicit-def: $vgpr0
.LBB20_12:
	s_or_saveexec_b32 s0, s0
	v_mov_b32_e32 v30, v31
	s_xor_b32 exec_lo, exec_lo, s0
	s_cbranch_execz .LBB20_14
; %bb.13:
	v_mov_b32_e32 v31, 0
	v_mov_b32_e32 v30, v0
	ds_write2_b64 v34, v[16:17], v[12:13] offset0:1 offset1:2
	ds_write2_b64 v34, v[14:15], v[20:21] offset0:3 offset1:4
	;; [unrolled: 1-line block ×5, first 2 shown]
.LBB20_14:
	s_or_b32 exec_lo, exec_lo, s0
	s_waitcnt lgkmcnt(0)
	v_cmp_eq_f64_e64 s0, 0, v[28:29]
	s_mov_b32 s1, exec_lo
	s_waitcnt_vscnt null, 0x0
	s_barrier
	buffer_gl0_inv
	v_cmpx_lt_i32_e32 0, v31
	s_cbranch_execz .LBB20_16
; %bb.15:
	v_div_scale_f64 v[0:1], null, v[28:29], v[28:29], 1.0
	v_div_scale_f64 v[40:41], vcc_lo, 1.0, v[28:29], 1.0
	v_rcp_f64_e32 v[36:37], v[0:1]
	v_fma_f64 v[38:39], -v[0:1], v[36:37], 1.0
	v_fma_f64 v[36:37], v[36:37], v[38:39], v[36:37]
	v_fma_f64 v[38:39], -v[0:1], v[36:37], 1.0
	v_fma_f64 v[36:37], v[36:37], v[38:39], v[36:37]
	v_mul_f64 v[38:39], v[40:41], v[36:37]
	v_fma_f64 v[0:1], -v[0:1], v[38:39], v[40:41]
	v_div_fmas_f64 v[0:1], v[0:1], v[36:37], v[38:39]
	ds_read2_b64 v[36:39], v34 offset0:1 offset1:2
	ds_read2_b64 v[40:43], v34 offset0:3 offset1:4
	;; [unrolled: 1-line block ×5, first 2 shown]
	v_div_fixup_f64 v[0:1], v[0:1], v[28:29], 1.0
	v_cndmask_b32_e64 v1, v1, v29, s0
	v_cndmask_b32_e64 v0, v0, v28, s0
	v_mul_f64 v[22:23], v[22:23], v[0:1]
	s_waitcnt lgkmcnt(4)
	v_fma_f64 v[16:17], -v[22:23], v[36:37], v[16:17]
	v_fma_f64 v[12:13], -v[22:23], v[38:39], v[12:13]
	s_waitcnt lgkmcnt(3)
	v_fma_f64 v[14:15], -v[22:23], v[40:41], v[14:15]
	v_fma_f64 v[20:21], -v[22:23], v[42:43], v[20:21]
	;; [unrolled: 3-line block ×5, first 2 shown]
.LBB20_16:
	s_or_b32 exec_lo, exec_lo, s1
	v_lshl_add_u32 v0, v31, 3, v34
	s_barrier
	buffer_gl0_inv
	v_mov_b32_e32 v28, 1
	ds_write_b64 v0, v[16:17]
	s_waitcnt lgkmcnt(0)
	s_barrier
	buffer_gl0_inv
	ds_read_b64 v[0:1], v34 offset:8
	s_cmp_lt_i32 s2, 3
	s_cbranch_scc1 .LBB20_19
; %bb.17:
	v_add3_u32 v29, v35, 0, 16
	v_mov_b32_e32 v28, 1
	s_mov_b32 s1, 2
.LBB20_18:                              ; =>This Inner Loop Header: Depth=1
	ds_read_b64 v[36:37], v29
	v_add_nc_u32_e32 v29, 8, v29
	s_waitcnt lgkmcnt(0)
	v_cmp_lt_f64_e64 vcc_lo, |v[0:1]|, |v[36:37]|
	v_cndmask_b32_e32 v1, v1, v37, vcc_lo
	v_cndmask_b32_e32 v0, v0, v36, vcc_lo
	v_cndmask_b32_e64 v28, v28, s1, vcc_lo
	s_add_i32 s1, s1, 1
	s_cmp_lg_u32 s2, s1
	s_cbranch_scc1 .LBB20_18
.LBB20_19:
	s_mov_b32 s1, exec_lo
	v_cmpx_ne_u32_e64 v31, v28
	s_xor_b32 s1, exec_lo, s1
	s_cbranch_execz .LBB20_25
; %bb.20:
	s_mov_b32 s3, exec_lo
	v_cmpx_eq_u32_e32 1, v31
	s_cbranch_execz .LBB20_24
; %bb.21:
	v_cmp_ne_u32_e32 vcc_lo, 1, v28
	s_xor_b32 s7, s6, -1
	s_and_b32 s9, s7, vcc_lo
	s_and_saveexec_b32 s7, s9
	s_cbranch_execz .LBB20_23
; %bb.22:
	v_ashrrev_i32_e32 v29, 31, v28
	v_lshlrev_b64 v[29:30], 2, v[28:29]
	v_add_co_u32 v29, vcc_lo, v24, v29
	v_add_co_ci_u32_e64 v30, null, v25, v30, vcc_lo
	s_clause 0x1
	global_load_dword v31, v[29:30], off
	global_load_dword v36, v[24:25], off offset:4
	s_waitcnt vmcnt(1)
	global_store_dword v[24:25], v31, off offset:4
	s_waitcnt vmcnt(0)
	global_store_dword v[29:30], v36, off
.LBB20_23:
	s_or_b32 exec_lo, exec_lo, s7
	v_mov_b32_e32 v30, v28
	v_mov_b32_e32 v31, v28
.LBB20_24:
	s_or_b32 exec_lo, exec_lo, s3
.LBB20_25:
	s_andn2_saveexec_b32 s1, s1
	s_cbranch_execz .LBB20_27
; %bb.26:
	v_mov_b32_e32 v31, 1
	ds_write2_b64 v34, v[12:13], v[14:15] offset0:2 offset1:3
	ds_write2_b64 v34, v[20:21], v[18:19] offset0:4 offset1:5
	;; [unrolled: 1-line block ×4, first 2 shown]
	ds_write_b64 v34, v[26:27] offset:80
.LBB20_27:
	s_or_b32 exec_lo, exec_lo, s1
	s_waitcnt lgkmcnt(0)
	v_cmp_neq_f64_e64 s1, 0, v[0:1]
	s_mov_b32 s3, exec_lo
	s_waitcnt_vscnt null, 0x0
	s_barrier
	buffer_gl0_inv
	v_cmpx_lt_i32_e32 1, v31
	s_cbranch_execz .LBB20_29
; %bb.28:
	v_div_scale_f64 v[28:29], null, v[0:1], v[0:1], 1.0
	v_div_scale_f64 v[40:41], vcc_lo, 1.0, v[0:1], 1.0
	v_rcp_f64_e32 v[36:37], v[28:29]
	v_fma_f64 v[38:39], -v[28:29], v[36:37], 1.0
	v_fma_f64 v[36:37], v[36:37], v[38:39], v[36:37]
	v_fma_f64 v[38:39], -v[28:29], v[36:37], 1.0
	v_fma_f64 v[36:37], v[36:37], v[38:39], v[36:37]
	v_mul_f64 v[38:39], v[40:41], v[36:37]
	v_fma_f64 v[28:29], -v[28:29], v[38:39], v[40:41]
	v_div_fmas_f64 v[28:29], v[28:29], v[36:37], v[38:39]
	v_div_fixup_f64 v[28:29], v[28:29], v[0:1], 1.0
	v_cndmask_b32_e64 v1, v1, v29, s1
	v_cndmask_b32_e64 v0, v0, v28, s1
	v_mul_f64 v[16:17], v[16:17], v[0:1]
	ds_read2_b64 v[36:39], v34 offset0:2 offset1:3
	ds_read2_b64 v[40:43], v34 offset0:4 offset1:5
	;; [unrolled: 1-line block ×4, first 2 shown]
	ds_read_b64 v[0:1], v34 offset:80
	s_waitcnt lgkmcnt(4)
	v_fma_f64 v[12:13], -v[16:17], v[36:37], v[12:13]
	v_fma_f64 v[14:15], -v[16:17], v[38:39], v[14:15]
	s_waitcnt lgkmcnt(3)
	v_fma_f64 v[20:21], -v[16:17], v[40:41], v[20:21]
	v_fma_f64 v[18:19], -v[16:17], v[42:43], v[18:19]
	;; [unrolled: 3-line block ×4, first 2 shown]
	s_waitcnt lgkmcnt(0)
	v_fma_f64 v[26:27], -v[16:17], v[0:1], v[26:27]
.LBB20_29:
	s_or_b32 exec_lo, exec_lo, s3
	v_lshl_add_u32 v0, v31, 3, v34
	s_barrier
	buffer_gl0_inv
	v_mov_b32_e32 v28, 2
	ds_write_b64 v0, v[12:13]
	s_waitcnt lgkmcnt(0)
	s_barrier
	buffer_gl0_inv
	ds_read_b64 v[0:1], v34 offset:16
	s_cmp_lt_i32 s2, 4
	s_mov_b32 s3, 3
	s_cbranch_scc1 .LBB20_32
; %bb.30:
	v_add3_u32 v29, v35, 0, 24
	v_mov_b32_e32 v28, 2
.LBB20_31:                              ; =>This Inner Loop Header: Depth=1
	ds_read_b64 v[36:37], v29
	v_add_nc_u32_e32 v29, 8, v29
	s_waitcnt lgkmcnt(0)
	v_cmp_lt_f64_e64 vcc_lo, |v[0:1]|, |v[36:37]|
	v_cndmask_b32_e32 v1, v1, v37, vcc_lo
	v_cndmask_b32_e32 v0, v0, v36, vcc_lo
	v_cndmask_b32_e64 v28, v28, s3, vcc_lo
	s_add_i32 s3, s3, 1
	s_cmp_lg_u32 s2, s3
	s_cbranch_scc1 .LBB20_31
.LBB20_32:
	v_cndmask_b32_e64 v29, 2, 1, s0
	v_cndmask_b32_e64 v36, 0, 1, s0
	s_mov_b32 s0, exec_lo
	v_cndmask_b32_e64 v36, v29, v36, s1
	s_waitcnt lgkmcnt(0)
	v_cmpx_eq_f64_e32 0, v[0:1]
	s_xor_b32 s0, exec_lo, s0
; %bb.33:
	v_cmp_ne_u32_e32 vcc_lo, 0, v36
	v_cndmask_b32_e32 v36, 3, v36, vcc_lo
; %bb.34:
	s_andn2_saveexec_b32 s0, s0
	s_cbranch_execz .LBB20_36
; %bb.35:
	v_div_scale_f64 v[37:38], null, v[0:1], v[0:1], 1.0
	v_rcp_f64_e32 v[39:40], v[37:38]
	v_fma_f64 v[41:42], -v[37:38], v[39:40], 1.0
	v_fma_f64 v[39:40], v[39:40], v[41:42], v[39:40]
	v_fma_f64 v[41:42], -v[37:38], v[39:40], 1.0
	v_fma_f64 v[39:40], v[39:40], v[41:42], v[39:40]
	v_div_scale_f64 v[41:42], vcc_lo, 1.0, v[0:1], 1.0
	v_mul_f64 v[43:44], v[41:42], v[39:40]
	v_fma_f64 v[37:38], -v[37:38], v[43:44], v[41:42]
	v_div_fmas_f64 v[37:38], v[37:38], v[39:40], v[43:44]
	v_div_fixup_f64 v[0:1], v[37:38], v[0:1], 1.0
.LBB20_36:
	s_or_b32 exec_lo, exec_lo, s0
	s_mov_b32 s0, exec_lo
	v_cmpx_ne_u32_e64 v31, v28
	s_xor_b32 s0, exec_lo, s0
	s_cbranch_execz .LBB20_42
; %bb.37:
	s_mov_b32 s1, exec_lo
	v_cmpx_eq_u32_e32 2, v31
	s_cbranch_execz .LBB20_41
; %bb.38:
	v_cmp_ne_u32_e32 vcc_lo, 2, v28
	s_xor_b32 s3, s6, -1
	s_and_b32 s7, s3, vcc_lo
	s_and_saveexec_b32 s3, s7
	s_cbranch_execz .LBB20_40
; %bb.39:
	v_ashrrev_i32_e32 v29, 31, v28
	v_lshlrev_b64 v[29:30], 2, v[28:29]
	v_add_co_u32 v29, vcc_lo, v24, v29
	v_add_co_ci_u32_e64 v30, null, v25, v30, vcc_lo
	s_clause 0x1
	global_load_dword v31, v[29:30], off
	global_load_dword v37, v[24:25], off offset:8
	s_waitcnt vmcnt(1)
	global_store_dword v[24:25], v31, off offset:8
	s_waitcnt vmcnt(0)
	global_store_dword v[29:30], v37, off
.LBB20_40:
	s_or_b32 exec_lo, exec_lo, s3
	v_mov_b32_e32 v30, v28
	v_mov_b32_e32 v31, v28
.LBB20_41:
	s_or_b32 exec_lo, exec_lo, s1
.LBB20_42:
	s_andn2_saveexec_b32 s0, s0
	s_cbranch_execz .LBB20_44
; %bb.43:
	v_mov_b32_e32 v31, 2
	ds_write2_b64 v34, v[14:15], v[20:21] offset0:3 offset1:4
	ds_write2_b64 v34, v[18:19], v[4:5] offset0:5 offset1:6
	;; [unrolled: 1-line block ×4, first 2 shown]
.LBB20_44:
	s_or_b32 exec_lo, exec_lo, s0
	s_mov_b32 s0, exec_lo
	s_waitcnt lgkmcnt(0)
	s_waitcnt_vscnt null, 0x0
	s_barrier
	buffer_gl0_inv
	v_cmpx_lt_i32_e32 2, v31
	s_cbranch_execz .LBB20_46
; %bb.45:
	v_mul_f64 v[12:13], v[12:13], v[0:1]
	ds_read2_b64 v[37:40], v34 offset0:3 offset1:4
	ds_read2_b64 v[41:44], v34 offset0:5 offset1:6
	;; [unrolled: 1-line block ×4, first 2 shown]
	s_waitcnt lgkmcnt(3)
	v_fma_f64 v[14:15], -v[12:13], v[37:38], v[14:15]
	v_fma_f64 v[20:21], -v[12:13], v[39:40], v[20:21]
	s_waitcnt lgkmcnt(2)
	v_fma_f64 v[18:19], -v[12:13], v[41:42], v[18:19]
	v_fma_f64 v[4:5], -v[12:13], v[43:44], v[4:5]
	s_waitcnt lgkmcnt(1)
	v_fma_f64 v[6:7], -v[12:13], v[45:46], v[6:7]
	v_fma_f64 v[8:9], -v[12:13], v[47:48], v[8:9]
	s_waitcnt lgkmcnt(0)
	v_fma_f64 v[10:11], -v[12:13], v[49:50], v[10:11]
	v_fma_f64 v[26:27], -v[12:13], v[51:52], v[26:27]
.LBB20_46:
	s_or_b32 exec_lo, exec_lo, s0
	v_lshl_add_u32 v0, v31, 3, v34
	s_barrier
	buffer_gl0_inv
	v_mov_b32_e32 v28, 3
	ds_write_b64 v0, v[14:15]
	s_waitcnt lgkmcnt(0)
	s_barrier
	buffer_gl0_inv
	ds_read_b64 v[0:1], v34 offset:24
	s_cmp_lt_i32 s2, 5
	s_cbranch_scc1 .LBB20_49
; %bb.47:
	v_mov_b32_e32 v28, 3
	v_add3_u32 v29, v35, 0, 32
	s_mov_b32 s0, 4
.LBB20_48:                              ; =>This Inner Loop Header: Depth=1
	ds_read_b64 v[37:38], v29
	v_add_nc_u32_e32 v29, 8, v29
	s_waitcnt lgkmcnt(0)
	v_cmp_lt_f64_e64 vcc_lo, |v[0:1]|, |v[37:38]|
	v_cndmask_b32_e32 v1, v1, v38, vcc_lo
	v_cndmask_b32_e32 v0, v0, v37, vcc_lo
	v_cndmask_b32_e64 v28, v28, s0, vcc_lo
	s_add_i32 s0, s0, 1
	s_cmp_lg_u32 s2, s0
	s_cbranch_scc1 .LBB20_48
.LBB20_49:
	s_mov_b32 s0, exec_lo
	s_waitcnt lgkmcnt(0)
	v_cmpx_eq_f64_e32 0, v[0:1]
	s_xor_b32 s0, exec_lo, s0
; %bb.50:
	v_cmp_ne_u32_e32 vcc_lo, 0, v36
	v_cndmask_b32_e32 v36, 4, v36, vcc_lo
; %bb.51:
	s_andn2_saveexec_b32 s0, s0
	s_cbranch_execz .LBB20_53
; %bb.52:
	v_div_scale_f64 v[37:38], null, v[0:1], v[0:1], 1.0
	v_rcp_f64_e32 v[39:40], v[37:38]
	v_fma_f64 v[41:42], -v[37:38], v[39:40], 1.0
	v_fma_f64 v[39:40], v[39:40], v[41:42], v[39:40]
	v_fma_f64 v[41:42], -v[37:38], v[39:40], 1.0
	v_fma_f64 v[39:40], v[39:40], v[41:42], v[39:40]
	v_div_scale_f64 v[41:42], vcc_lo, 1.0, v[0:1], 1.0
	v_mul_f64 v[43:44], v[41:42], v[39:40]
	v_fma_f64 v[37:38], -v[37:38], v[43:44], v[41:42]
	v_div_fmas_f64 v[37:38], v[37:38], v[39:40], v[43:44]
	v_div_fixup_f64 v[0:1], v[37:38], v[0:1], 1.0
.LBB20_53:
	s_or_b32 exec_lo, exec_lo, s0
	s_mov_b32 s0, exec_lo
	v_cmpx_ne_u32_e64 v31, v28
	s_xor_b32 s0, exec_lo, s0
	s_cbranch_execz .LBB20_59
; %bb.54:
	s_mov_b32 s1, exec_lo
	v_cmpx_eq_u32_e32 3, v31
	s_cbranch_execz .LBB20_58
; %bb.55:
	v_cmp_ne_u32_e32 vcc_lo, 3, v28
	s_xor_b32 s3, s6, -1
	s_and_b32 s7, s3, vcc_lo
	s_and_saveexec_b32 s3, s7
	s_cbranch_execz .LBB20_57
; %bb.56:
	v_ashrrev_i32_e32 v29, 31, v28
	v_lshlrev_b64 v[29:30], 2, v[28:29]
	v_add_co_u32 v29, vcc_lo, v24, v29
	v_add_co_ci_u32_e64 v30, null, v25, v30, vcc_lo
	s_clause 0x1
	global_load_dword v31, v[29:30], off
	global_load_dword v37, v[24:25], off offset:12
	s_waitcnt vmcnt(1)
	global_store_dword v[24:25], v31, off offset:12
	s_waitcnt vmcnt(0)
	global_store_dword v[29:30], v37, off
.LBB20_57:
	s_or_b32 exec_lo, exec_lo, s3
	v_mov_b32_e32 v30, v28
	v_mov_b32_e32 v31, v28
.LBB20_58:
	s_or_b32 exec_lo, exec_lo, s1
.LBB20_59:
	s_andn2_saveexec_b32 s0, s0
	s_cbranch_execz .LBB20_61
; %bb.60:
	v_mov_b32_e32 v31, 3
	ds_write2_b64 v34, v[20:21], v[18:19] offset0:4 offset1:5
	ds_write2_b64 v34, v[4:5], v[6:7] offset0:6 offset1:7
	ds_write2_b64 v34, v[8:9], v[10:11] offset0:8 offset1:9
	ds_write_b64 v34, v[26:27] offset:80
.LBB20_61:
	s_or_b32 exec_lo, exec_lo, s0
	s_mov_b32 s0, exec_lo
	s_waitcnt lgkmcnt(0)
	s_waitcnt_vscnt null, 0x0
	s_barrier
	buffer_gl0_inv
	v_cmpx_lt_i32_e32 3, v31
	s_cbranch_execz .LBB20_63
; %bb.62:
	v_mul_f64 v[14:15], v[14:15], v[0:1]
	ds_read2_b64 v[37:40], v34 offset0:4 offset1:5
	ds_read2_b64 v[41:44], v34 offset0:6 offset1:7
	;; [unrolled: 1-line block ×3, first 2 shown]
	ds_read_b64 v[0:1], v34 offset:80
	s_waitcnt lgkmcnt(3)
	v_fma_f64 v[20:21], -v[14:15], v[37:38], v[20:21]
	v_fma_f64 v[18:19], -v[14:15], v[39:40], v[18:19]
	s_waitcnt lgkmcnt(2)
	v_fma_f64 v[4:5], -v[14:15], v[41:42], v[4:5]
	v_fma_f64 v[6:7], -v[14:15], v[43:44], v[6:7]
	;; [unrolled: 3-line block ×3, first 2 shown]
	s_waitcnt lgkmcnt(0)
	v_fma_f64 v[26:27], -v[14:15], v[0:1], v[26:27]
.LBB20_63:
	s_or_b32 exec_lo, exec_lo, s0
	v_lshl_add_u32 v0, v31, 3, v34
	s_barrier
	buffer_gl0_inv
	v_mov_b32_e32 v28, 4
	ds_write_b64 v0, v[20:21]
	s_waitcnt lgkmcnt(0)
	s_barrier
	buffer_gl0_inv
	ds_read_b64 v[0:1], v34 offset:32
	s_cmp_lt_i32 s2, 6
	s_cbranch_scc1 .LBB20_66
; %bb.64:
	v_add3_u32 v29, v35, 0, 40
	v_mov_b32_e32 v28, 4
	s_mov_b32 s0, 5
.LBB20_65:                              ; =>This Inner Loop Header: Depth=1
	ds_read_b64 v[37:38], v29
	v_add_nc_u32_e32 v29, 8, v29
	s_waitcnt lgkmcnt(0)
	v_cmp_lt_f64_e64 vcc_lo, |v[0:1]|, |v[37:38]|
	v_cndmask_b32_e32 v1, v1, v38, vcc_lo
	v_cndmask_b32_e32 v0, v0, v37, vcc_lo
	v_cndmask_b32_e64 v28, v28, s0, vcc_lo
	s_add_i32 s0, s0, 1
	s_cmp_lg_u32 s2, s0
	s_cbranch_scc1 .LBB20_65
.LBB20_66:
	s_mov_b32 s0, exec_lo
	s_waitcnt lgkmcnt(0)
	v_cmpx_eq_f64_e32 0, v[0:1]
	s_xor_b32 s0, exec_lo, s0
; %bb.67:
	v_cmp_ne_u32_e32 vcc_lo, 0, v36
	v_cndmask_b32_e32 v36, 5, v36, vcc_lo
; %bb.68:
	s_andn2_saveexec_b32 s0, s0
	s_cbranch_execz .LBB20_70
; %bb.69:
	v_div_scale_f64 v[37:38], null, v[0:1], v[0:1], 1.0
	v_rcp_f64_e32 v[39:40], v[37:38]
	v_fma_f64 v[41:42], -v[37:38], v[39:40], 1.0
	v_fma_f64 v[39:40], v[39:40], v[41:42], v[39:40]
	v_fma_f64 v[41:42], -v[37:38], v[39:40], 1.0
	v_fma_f64 v[39:40], v[39:40], v[41:42], v[39:40]
	v_div_scale_f64 v[41:42], vcc_lo, 1.0, v[0:1], 1.0
	v_mul_f64 v[43:44], v[41:42], v[39:40]
	v_fma_f64 v[37:38], -v[37:38], v[43:44], v[41:42]
	v_div_fmas_f64 v[37:38], v[37:38], v[39:40], v[43:44]
	v_div_fixup_f64 v[0:1], v[37:38], v[0:1], 1.0
.LBB20_70:
	s_or_b32 exec_lo, exec_lo, s0
	s_mov_b32 s0, exec_lo
	v_cmpx_ne_u32_e64 v31, v28
	s_xor_b32 s0, exec_lo, s0
	s_cbranch_execz .LBB20_76
; %bb.71:
	s_mov_b32 s1, exec_lo
	v_cmpx_eq_u32_e32 4, v31
	s_cbranch_execz .LBB20_75
; %bb.72:
	v_cmp_ne_u32_e32 vcc_lo, 4, v28
	s_xor_b32 s3, s6, -1
	s_and_b32 s7, s3, vcc_lo
	s_and_saveexec_b32 s3, s7
	s_cbranch_execz .LBB20_74
; %bb.73:
	v_ashrrev_i32_e32 v29, 31, v28
	v_lshlrev_b64 v[29:30], 2, v[28:29]
	v_add_co_u32 v29, vcc_lo, v24, v29
	v_add_co_ci_u32_e64 v30, null, v25, v30, vcc_lo
	s_clause 0x1
	global_load_dword v31, v[29:30], off
	global_load_dword v37, v[24:25], off offset:16
	s_waitcnt vmcnt(1)
	global_store_dword v[24:25], v31, off offset:16
	s_waitcnt vmcnt(0)
	global_store_dword v[29:30], v37, off
.LBB20_74:
	s_or_b32 exec_lo, exec_lo, s3
	v_mov_b32_e32 v30, v28
	v_mov_b32_e32 v31, v28
.LBB20_75:
	s_or_b32 exec_lo, exec_lo, s1
.LBB20_76:
	s_andn2_saveexec_b32 s0, s0
	s_cbranch_execz .LBB20_78
; %bb.77:
	v_mov_b32_e32 v31, 4
	ds_write2_b64 v34, v[18:19], v[4:5] offset0:5 offset1:6
	ds_write2_b64 v34, v[6:7], v[8:9] offset0:7 offset1:8
	ds_write2_b64 v34, v[10:11], v[26:27] offset0:9 offset1:10
.LBB20_78:
	s_or_b32 exec_lo, exec_lo, s0
	s_mov_b32 s0, exec_lo
	s_waitcnt lgkmcnt(0)
	s_waitcnt_vscnt null, 0x0
	s_barrier
	buffer_gl0_inv
	v_cmpx_lt_i32_e32 4, v31
	s_cbranch_execz .LBB20_80
; %bb.79:
	v_mul_f64 v[20:21], v[20:21], v[0:1]
	ds_read2_b64 v[37:40], v34 offset0:5 offset1:6
	ds_read2_b64 v[41:44], v34 offset0:7 offset1:8
	;; [unrolled: 1-line block ×3, first 2 shown]
	s_waitcnt lgkmcnt(2)
	v_fma_f64 v[18:19], -v[20:21], v[37:38], v[18:19]
	v_fma_f64 v[4:5], -v[20:21], v[39:40], v[4:5]
	s_waitcnt lgkmcnt(1)
	v_fma_f64 v[6:7], -v[20:21], v[41:42], v[6:7]
	v_fma_f64 v[8:9], -v[20:21], v[43:44], v[8:9]
	;; [unrolled: 3-line block ×3, first 2 shown]
.LBB20_80:
	s_or_b32 exec_lo, exec_lo, s0
	v_lshl_add_u32 v0, v31, 3, v34
	s_barrier
	buffer_gl0_inv
	v_mov_b32_e32 v28, 5
	ds_write_b64 v0, v[18:19]
	s_waitcnt lgkmcnt(0)
	s_barrier
	buffer_gl0_inv
	ds_read_b64 v[0:1], v34 offset:40
	s_cmp_lt_i32 s2, 7
	s_cbranch_scc1 .LBB20_83
; %bb.81:
	v_add3_u32 v29, v35, 0, 48
	v_mov_b32_e32 v28, 5
	s_mov_b32 s0, 6
.LBB20_82:                              ; =>This Inner Loop Header: Depth=1
	ds_read_b64 v[37:38], v29
	v_add_nc_u32_e32 v29, 8, v29
	s_waitcnt lgkmcnt(0)
	v_cmp_lt_f64_e64 vcc_lo, |v[0:1]|, |v[37:38]|
	v_cndmask_b32_e32 v1, v1, v38, vcc_lo
	v_cndmask_b32_e32 v0, v0, v37, vcc_lo
	v_cndmask_b32_e64 v28, v28, s0, vcc_lo
	s_add_i32 s0, s0, 1
	s_cmp_lg_u32 s2, s0
	s_cbranch_scc1 .LBB20_82
.LBB20_83:
	s_mov_b32 s0, exec_lo
	s_waitcnt lgkmcnt(0)
	v_cmpx_eq_f64_e32 0, v[0:1]
	s_xor_b32 s0, exec_lo, s0
; %bb.84:
	v_cmp_ne_u32_e32 vcc_lo, 0, v36
	v_cndmask_b32_e32 v36, 6, v36, vcc_lo
; %bb.85:
	s_andn2_saveexec_b32 s0, s0
	s_cbranch_execz .LBB20_87
; %bb.86:
	v_div_scale_f64 v[37:38], null, v[0:1], v[0:1], 1.0
	v_rcp_f64_e32 v[39:40], v[37:38]
	v_fma_f64 v[41:42], -v[37:38], v[39:40], 1.0
	v_fma_f64 v[39:40], v[39:40], v[41:42], v[39:40]
	v_fma_f64 v[41:42], -v[37:38], v[39:40], 1.0
	v_fma_f64 v[39:40], v[39:40], v[41:42], v[39:40]
	v_div_scale_f64 v[41:42], vcc_lo, 1.0, v[0:1], 1.0
	v_mul_f64 v[43:44], v[41:42], v[39:40]
	v_fma_f64 v[37:38], -v[37:38], v[43:44], v[41:42]
	v_div_fmas_f64 v[37:38], v[37:38], v[39:40], v[43:44]
	v_div_fixup_f64 v[0:1], v[37:38], v[0:1], 1.0
.LBB20_87:
	s_or_b32 exec_lo, exec_lo, s0
	s_mov_b32 s0, exec_lo
	v_cmpx_ne_u32_e64 v31, v28
	s_xor_b32 s0, exec_lo, s0
	s_cbranch_execz .LBB20_93
; %bb.88:
	s_mov_b32 s1, exec_lo
	v_cmpx_eq_u32_e32 5, v31
	s_cbranch_execz .LBB20_92
; %bb.89:
	v_cmp_ne_u32_e32 vcc_lo, 5, v28
	s_xor_b32 s3, s6, -1
	s_and_b32 s7, s3, vcc_lo
	s_and_saveexec_b32 s3, s7
	s_cbranch_execz .LBB20_91
; %bb.90:
	v_ashrrev_i32_e32 v29, 31, v28
	v_lshlrev_b64 v[29:30], 2, v[28:29]
	v_add_co_u32 v29, vcc_lo, v24, v29
	v_add_co_ci_u32_e64 v30, null, v25, v30, vcc_lo
	s_clause 0x1
	global_load_dword v31, v[29:30], off
	global_load_dword v37, v[24:25], off offset:20
	s_waitcnt vmcnt(1)
	global_store_dword v[24:25], v31, off offset:20
	s_waitcnt vmcnt(0)
	global_store_dword v[29:30], v37, off
.LBB20_91:
	s_or_b32 exec_lo, exec_lo, s3
	v_mov_b32_e32 v30, v28
	v_mov_b32_e32 v31, v28
.LBB20_92:
	s_or_b32 exec_lo, exec_lo, s1
.LBB20_93:
	s_andn2_saveexec_b32 s0, s0
	s_cbranch_execz .LBB20_95
; %bb.94:
	v_mov_b32_e32 v31, 5
	ds_write2_b64 v34, v[4:5], v[6:7] offset0:6 offset1:7
	ds_write2_b64 v34, v[8:9], v[10:11] offset0:8 offset1:9
	ds_write_b64 v34, v[26:27] offset:80
.LBB20_95:
	s_or_b32 exec_lo, exec_lo, s0
	s_mov_b32 s0, exec_lo
	s_waitcnt lgkmcnt(0)
	s_waitcnt_vscnt null, 0x0
	s_barrier
	buffer_gl0_inv
	v_cmpx_lt_i32_e32 5, v31
	s_cbranch_execz .LBB20_97
; %bb.96:
	v_mul_f64 v[18:19], v[18:19], v[0:1]
	ds_read2_b64 v[37:40], v34 offset0:6 offset1:7
	ds_read2_b64 v[41:44], v34 offset0:8 offset1:9
	ds_read_b64 v[0:1], v34 offset:80
	s_waitcnt lgkmcnt(2)
	v_fma_f64 v[4:5], -v[18:19], v[37:38], v[4:5]
	v_fma_f64 v[6:7], -v[18:19], v[39:40], v[6:7]
	s_waitcnt lgkmcnt(1)
	v_fma_f64 v[8:9], -v[18:19], v[41:42], v[8:9]
	v_fma_f64 v[10:11], -v[18:19], v[43:44], v[10:11]
	s_waitcnt lgkmcnt(0)
	v_fma_f64 v[26:27], -v[18:19], v[0:1], v[26:27]
.LBB20_97:
	s_or_b32 exec_lo, exec_lo, s0
	v_lshl_add_u32 v0, v31, 3, v34
	s_barrier
	buffer_gl0_inv
	v_mov_b32_e32 v28, 6
	ds_write_b64 v0, v[4:5]
	s_waitcnt lgkmcnt(0)
	s_barrier
	buffer_gl0_inv
	ds_read_b64 v[0:1], v34 offset:48
	s_cmp_lt_i32 s2, 8
	s_cbranch_scc1 .LBB20_100
; %bb.98:
	v_add3_u32 v29, v35, 0, 56
	v_mov_b32_e32 v28, 6
	s_mov_b32 s0, 7
.LBB20_99:                              ; =>This Inner Loop Header: Depth=1
	ds_read_b64 v[37:38], v29
	v_add_nc_u32_e32 v29, 8, v29
	s_waitcnt lgkmcnt(0)
	v_cmp_lt_f64_e64 vcc_lo, |v[0:1]|, |v[37:38]|
	v_cndmask_b32_e32 v1, v1, v38, vcc_lo
	v_cndmask_b32_e32 v0, v0, v37, vcc_lo
	v_cndmask_b32_e64 v28, v28, s0, vcc_lo
	s_add_i32 s0, s0, 1
	s_cmp_lg_u32 s2, s0
	s_cbranch_scc1 .LBB20_99
.LBB20_100:
	s_mov_b32 s0, exec_lo
	s_waitcnt lgkmcnt(0)
	v_cmpx_eq_f64_e32 0, v[0:1]
	s_xor_b32 s0, exec_lo, s0
; %bb.101:
	v_cmp_ne_u32_e32 vcc_lo, 0, v36
	v_cndmask_b32_e32 v36, 7, v36, vcc_lo
; %bb.102:
	s_andn2_saveexec_b32 s0, s0
	s_cbranch_execz .LBB20_104
; %bb.103:
	v_div_scale_f64 v[37:38], null, v[0:1], v[0:1], 1.0
	v_rcp_f64_e32 v[39:40], v[37:38]
	v_fma_f64 v[41:42], -v[37:38], v[39:40], 1.0
	v_fma_f64 v[39:40], v[39:40], v[41:42], v[39:40]
	v_fma_f64 v[41:42], -v[37:38], v[39:40], 1.0
	v_fma_f64 v[39:40], v[39:40], v[41:42], v[39:40]
	v_div_scale_f64 v[41:42], vcc_lo, 1.0, v[0:1], 1.0
	v_mul_f64 v[43:44], v[41:42], v[39:40]
	v_fma_f64 v[37:38], -v[37:38], v[43:44], v[41:42]
	v_div_fmas_f64 v[37:38], v[37:38], v[39:40], v[43:44]
	v_div_fixup_f64 v[0:1], v[37:38], v[0:1], 1.0
.LBB20_104:
	s_or_b32 exec_lo, exec_lo, s0
	s_mov_b32 s0, exec_lo
	v_cmpx_ne_u32_e64 v31, v28
	s_xor_b32 s0, exec_lo, s0
	s_cbranch_execz .LBB20_110
; %bb.105:
	s_mov_b32 s1, exec_lo
	v_cmpx_eq_u32_e32 6, v31
	s_cbranch_execz .LBB20_109
; %bb.106:
	v_cmp_ne_u32_e32 vcc_lo, 6, v28
	s_xor_b32 s3, s6, -1
	s_and_b32 s7, s3, vcc_lo
	s_and_saveexec_b32 s3, s7
	s_cbranch_execz .LBB20_108
; %bb.107:
	v_ashrrev_i32_e32 v29, 31, v28
	v_lshlrev_b64 v[29:30], 2, v[28:29]
	v_add_co_u32 v29, vcc_lo, v24, v29
	v_add_co_ci_u32_e64 v30, null, v25, v30, vcc_lo
	s_clause 0x1
	global_load_dword v31, v[29:30], off
	global_load_dword v37, v[24:25], off offset:24
	s_waitcnt vmcnt(1)
	global_store_dword v[24:25], v31, off offset:24
	s_waitcnt vmcnt(0)
	global_store_dword v[29:30], v37, off
.LBB20_108:
	s_or_b32 exec_lo, exec_lo, s3
	v_mov_b32_e32 v30, v28
	v_mov_b32_e32 v31, v28
.LBB20_109:
	s_or_b32 exec_lo, exec_lo, s1
.LBB20_110:
	s_andn2_saveexec_b32 s0, s0
	s_cbranch_execz .LBB20_112
; %bb.111:
	v_mov_b32_e32 v31, 6
	ds_write2_b64 v34, v[6:7], v[8:9] offset0:7 offset1:8
	ds_write2_b64 v34, v[10:11], v[26:27] offset0:9 offset1:10
.LBB20_112:
	s_or_b32 exec_lo, exec_lo, s0
	s_mov_b32 s0, exec_lo
	s_waitcnt lgkmcnt(0)
	s_waitcnt_vscnt null, 0x0
	s_barrier
	buffer_gl0_inv
	v_cmpx_lt_i32_e32 6, v31
	s_cbranch_execz .LBB20_114
; %bb.113:
	v_mul_f64 v[4:5], v[4:5], v[0:1]
	ds_read2_b64 v[37:40], v34 offset0:7 offset1:8
	ds_read2_b64 v[41:44], v34 offset0:9 offset1:10
	s_waitcnt lgkmcnt(1)
	v_fma_f64 v[6:7], -v[4:5], v[37:38], v[6:7]
	v_fma_f64 v[8:9], -v[4:5], v[39:40], v[8:9]
	s_waitcnt lgkmcnt(0)
	v_fma_f64 v[10:11], -v[4:5], v[41:42], v[10:11]
	v_fma_f64 v[26:27], -v[4:5], v[43:44], v[26:27]
.LBB20_114:
	s_or_b32 exec_lo, exec_lo, s0
	v_lshl_add_u32 v0, v31, 3, v34
	s_barrier
	buffer_gl0_inv
	v_mov_b32_e32 v28, 7
	ds_write_b64 v0, v[6:7]
	s_waitcnt lgkmcnt(0)
	s_barrier
	buffer_gl0_inv
	ds_read_b64 v[0:1], v34 offset:56
	s_cmp_lt_i32 s2, 9
	s_cbranch_scc1 .LBB20_117
; %bb.115:
	v_add3_u32 v29, v35, 0, 64
	v_mov_b32_e32 v28, 7
	s_mov_b32 s0, 8
.LBB20_116:                             ; =>This Inner Loop Header: Depth=1
	ds_read_b64 v[37:38], v29
	v_add_nc_u32_e32 v29, 8, v29
	s_waitcnt lgkmcnt(0)
	v_cmp_lt_f64_e64 vcc_lo, |v[0:1]|, |v[37:38]|
	v_cndmask_b32_e32 v1, v1, v38, vcc_lo
	v_cndmask_b32_e32 v0, v0, v37, vcc_lo
	v_cndmask_b32_e64 v28, v28, s0, vcc_lo
	s_add_i32 s0, s0, 1
	s_cmp_lg_u32 s2, s0
	s_cbranch_scc1 .LBB20_116
.LBB20_117:
	s_mov_b32 s0, exec_lo
	s_waitcnt lgkmcnt(0)
	v_cmpx_eq_f64_e32 0, v[0:1]
	s_xor_b32 s0, exec_lo, s0
; %bb.118:
	v_cmp_ne_u32_e32 vcc_lo, 0, v36
	v_cndmask_b32_e32 v36, 8, v36, vcc_lo
; %bb.119:
	s_andn2_saveexec_b32 s0, s0
	s_cbranch_execz .LBB20_121
; %bb.120:
	v_div_scale_f64 v[37:38], null, v[0:1], v[0:1], 1.0
	v_rcp_f64_e32 v[39:40], v[37:38]
	v_fma_f64 v[41:42], -v[37:38], v[39:40], 1.0
	v_fma_f64 v[39:40], v[39:40], v[41:42], v[39:40]
	v_fma_f64 v[41:42], -v[37:38], v[39:40], 1.0
	v_fma_f64 v[39:40], v[39:40], v[41:42], v[39:40]
	v_div_scale_f64 v[41:42], vcc_lo, 1.0, v[0:1], 1.0
	v_mul_f64 v[43:44], v[41:42], v[39:40]
	v_fma_f64 v[37:38], -v[37:38], v[43:44], v[41:42]
	v_div_fmas_f64 v[37:38], v[37:38], v[39:40], v[43:44]
	v_div_fixup_f64 v[0:1], v[37:38], v[0:1], 1.0
.LBB20_121:
	s_or_b32 exec_lo, exec_lo, s0
	s_mov_b32 s0, exec_lo
	v_cmpx_ne_u32_e64 v31, v28
	s_xor_b32 s0, exec_lo, s0
	s_cbranch_execz .LBB20_127
; %bb.122:
	s_mov_b32 s1, exec_lo
	v_cmpx_eq_u32_e32 7, v31
	s_cbranch_execz .LBB20_126
; %bb.123:
	v_cmp_ne_u32_e32 vcc_lo, 7, v28
	s_xor_b32 s3, s6, -1
	s_and_b32 s7, s3, vcc_lo
	s_and_saveexec_b32 s3, s7
	s_cbranch_execz .LBB20_125
; %bb.124:
	v_ashrrev_i32_e32 v29, 31, v28
	v_lshlrev_b64 v[29:30], 2, v[28:29]
	v_add_co_u32 v29, vcc_lo, v24, v29
	v_add_co_ci_u32_e64 v30, null, v25, v30, vcc_lo
	s_clause 0x1
	global_load_dword v31, v[29:30], off
	global_load_dword v37, v[24:25], off offset:28
	s_waitcnt vmcnt(1)
	global_store_dword v[24:25], v31, off offset:28
	s_waitcnt vmcnt(0)
	global_store_dword v[29:30], v37, off
.LBB20_125:
	s_or_b32 exec_lo, exec_lo, s3
	v_mov_b32_e32 v30, v28
	v_mov_b32_e32 v31, v28
.LBB20_126:
	s_or_b32 exec_lo, exec_lo, s1
.LBB20_127:
	s_andn2_saveexec_b32 s0, s0
	s_cbranch_execz .LBB20_129
; %bb.128:
	v_mov_b32_e32 v31, 7
	ds_write2_b64 v34, v[8:9], v[10:11] offset0:8 offset1:9
	ds_write_b64 v34, v[26:27] offset:80
.LBB20_129:
	s_or_b32 exec_lo, exec_lo, s0
	s_mov_b32 s0, exec_lo
	s_waitcnt lgkmcnt(0)
	s_waitcnt_vscnt null, 0x0
	s_barrier
	buffer_gl0_inv
	v_cmpx_lt_i32_e32 7, v31
	s_cbranch_execz .LBB20_131
; %bb.130:
	v_mul_f64 v[6:7], v[6:7], v[0:1]
	ds_read2_b64 v[37:40], v34 offset0:8 offset1:9
	ds_read_b64 v[0:1], v34 offset:80
	s_waitcnt lgkmcnt(1)
	v_fma_f64 v[8:9], -v[6:7], v[37:38], v[8:9]
	v_fma_f64 v[10:11], -v[6:7], v[39:40], v[10:11]
	s_waitcnt lgkmcnt(0)
	v_fma_f64 v[26:27], -v[6:7], v[0:1], v[26:27]
.LBB20_131:
	s_or_b32 exec_lo, exec_lo, s0
	v_lshl_add_u32 v0, v31, 3, v34
	s_barrier
	buffer_gl0_inv
	v_mov_b32_e32 v28, 8
	ds_write_b64 v0, v[8:9]
	s_waitcnt lgkmcnt(0)
	s_barrier
	buffer_gl0_inv
	ds_read_b64 v[0:1], v34 offset:64
	s_cmp_lt_i32 s2, 10
	s_cbranch_scc1 .LBB20_134
; %bb.132:
	v_add3_u32 v29, v35, 0, 0x48
	v_mov_b32_e32 v28, 8
	s_mov_b32 s0, 9
.LBB20_133:                             ; =>This Inner Loop Header: Depth=1
	ds_read_b64 v[37:38], v29
	v_add_nc_u32_e32 v29, 8, v29
	s_waitcnt lgkmcnt(0)
	v_cmp_lt_f64_e64 vcc_lo, |v[0:1]|, |v[37:38]|
	v_cndmask_b32_e32 v1, v1, v38, vcc_lo
	v_cndmask_b32_e32 v0, v0, v37, vcc_lo
	v_cndmask_b32_e64 v28, v28, s0, vcc_lo
	s_add_i32 s0, s0, 1
	s_cmp_lg_u32 s2, s0
	s_cbranch_scc1 .LBB20_133
.LBB20_134:
	s_mov_b32 s0, exec_lo
	s_waitcnt lgkmcnt(0)
	v_cmpx_eq_f64_e32 0, v[0:1]
	s_xor_b32 s0, exec_lo, s0
; %bb.135:
	v_cmp_ne_u32_e32 vcc_lo, 0, v36
	v_cndmask_b32_e32 v36, 9, v36, vcc_lo
; %bb.136:
	s_andn2_saveexec_b32 s0, s0
	s_cbranch_execz .LBB20_138
; %bb.137:
	v_div_scale_f64 v[37:38], null, v[0:1], v[0:1], 1.0
	v_rcp_f64_e32 v[39:40], v[37:38]
	v_fma_f64 v[41:42], -v[37:38], v[39:40], 1.0
	v_fma_f64 v[39:40], v[39:40], v[41:42], v[39:40]
	v_fma_f64 v[41:42], -v[37:38], v[39:40], 1.0
	v_fma_f64 v[39:40], v[39:40], v[41:42], v[39:40]
	v_div_scale_f64 v[41:42], vcc_lo, 1.0, v[0:1], 1.0
	v_mul_f64 v[43:44], v[41:42], v[39:40]
	v_fma_f64 v[37:38], -v[37:38], v[43:44], v[41:42]
	v_div_fmas_f64 v[37:38], v[37:38], v[39:40], v[43:44]
	v_div_fixup_f64 v[0:1], v[37:38], v[0:1], 1.0
.LBB20_138:
	s_or_b32 exec_lo, exec_lo, s0
	s_mov_b32 s0, exec_lo
	v_cmpx_ne_u32_e64 v31, v28
	s_xor_b32 s0, exec_lo, s0
	s_cbranch_execz .LBB20_144
; %bb.139:
	s_mov_b32 s1, exec_lo
	v_cmpx_eq_u32_e32 8, v31
	s_cbranch_execz .LBB20_143
; %bb.140:
	v_cmp_ne_u32_e32 vcc_lo, 8, v28
	s_xor_b32 s3, s6, -1
	s_and_b32 s7, s3, vcc_lo
	s_and_saveexec_b32 s3, s7
	s_cbranch_execz .LBB20_142
; %bb.141:
	v_ashrrev_i32_e32 v29, 31, v28
	v_lshlrev_b64 v[29:30], 2, v[28:29]
	v_add_co_u32 v29, vcc_lo, v24, v29
	v_add_co_ci_u32_e64 v30, null, v25, v30, vcc_lo
	s_clause 0x1
	global_load_dword v31, v[29:30], off
	global_load_dword v37, v[24:25], off offset:32
	s_waitcnt vmcnt(1)
	global_store_dword v[24:25], v31, off offset:32
	s_waitcnt vmcnt(0)
	global_store_dword v[29:30], v37, off
.LBB20_142:
	s_or_b32 exec_lo, exec_lo, s3
	v_mov_b32_e32 v30, v28
	v_mov_b32_e32 v31, v28
.LBB20_143:
	s_or_b32 exec_lo, exec_lo, s1
.LBB20_144:
	s_andn2_saveexec_b32 s0, s0
; %bb.145:
	v_mov_b32_e32 v31, 8
	ds_write2_b64 v34, v[10:11], v[26:27] offset0:9 offset1:10
; %bb.146:
	s_or_b32 exec_lo, exec_lo, s0
	s_mov_b32 s0, exec_lo
	s_waitcnt lgkmcnt(0)
	s_waitcnt_vscnt null, 0x0
	s_barrier
	buffer_gl0_inv
	v_cmpx_lt_i32_e32 8, v31
	s_cbranch_execz .LBB20_148
; %bb.147:
	v_mul_f64 v[8:9], v[8:9], v[0:1]
	ds_read2_b64 v[37:40], v34 offset0:9 offset1:10
	s_waitcnt lgkmcnt(0)
	v_fma_f64 v[10:11], -v[8:9], v[37:38], v[10:11]
	v_fma_f64 v[26:27], -v[8:9], v[39:40], v[26:27]
.LBB20_148:
	s_or_b32 exec_lo, exec_lo, s0
	v_lshl_add_u32 v0, v31, 3, v34
	s_barrier
	buffer_gl0_inv
	v_mov_b32_e32 v28, 9
	ds_write_b64 v0, v[10:11]
	s_waitcnt lgkmcnt(0)
	s_barrier
	buffer_gl0_inv
	ds_read_b64 v[0:1], v34 offset:72
	s_cmp_lt_i32 s2, 11
	s_cbranch_scc1 .LBB20_151
; %bb.149:
	v_add3_u32 v29, v35, 0, 0x50
	v_mov_b32_e32 v28, 9
	s_mov_b32 s0, 10
.LBB20_150:                             ; =>This Inner Loop Header: Depth=1
	ds_read_b64 v[37:38], v29
	v_add_nc_u32_e32 v29, 8, v29
	s_waitcnt lgkmcnt(0)
	v_cmp_lt_f64_e64 vcc_lo, |v[0:1]|, |v[37:38]|
	v_cndmask_b32_e32 v1, v1, v38, vcc_lo
	v_cndmask_b32_e32 v0, v0, v37, vcc_lo
	v_cndmask_b32_e64 v28, v28, s0, vcc_lo
	s_add_i32 s0, s0, 1
	s_cmp_lg_u32 s2, s0
	s_cbranch_scc1 .LBB20_150
.LBB20_151:
	s_mov_b32 s0, exec_lo
	s_waitcnt lgkmcnt(0)
	v_cmpx_eq_f64_e32 0, v[0:1]
	s_xor_b32 s0, exec_lo, s0
; %bb.152:
	v_cmp_ne_u32_e32 vcc_lo, 0, v36
	v_cndmask_b32_e32 v36, 10, v36, vcc_lo
; %bb.153:
	s_andn2_saveexec_b32 s0, s0
	s_cbranch_execz .LBB20_155
; %bb.154:
	v_div_scale_f64 v[37:38], null, v[0:1], v[0:1], 1.0
	v_rcp_f64_e32 v[39:40], v[37:38]
	v_fma_f64 v[41:42], -v[37:38], v[39:40], 1.0
	v_fma_f64 v[39:40], v[39:40], v[41:42], v[39:40]
	v_fma_f64 v[41:42], -v[37:38], v[39:40], 1.0
	v_fma_f64 v[39:40], v[39:40], v[41:42], v[39:40]
	v_div_scale_f64 v[41:42], vcc_lo, 1.0, v[0:1], 1.0
	v_mul_f64 v[43:44], v[41:42], v[39:40]
	v_fma_f64 v[37:38], -v[37:38], v[43:44], v[41:42]
	v_div_fmas_f64 v[37:38], v[37:38], v[39:40], v[43:44]
	v_div_fixup_f64 v[0:1], v[37:38], v[0:1], 1.0
.LBB20_155:
	s_or_b32 exec_lo, exec_lo, s0
	s_mov_b32 s0, exec_lo
	v_cmpx_ne_u32_e64 v31, v28
	s_xor_b32 s0, exec_lo, s0
	s_cbranch_execz .LBB20_161
; %bb.156:
	s_mov_b32 s1, exec_lo
	v_cmpx_eq_u32_e32 9, v31
	s_cbranch_execz .LBB20_160
; %bb.157:
	v_cmp_ne_u32_e32 vcc_lo, 9, v28
	s_xor_b32 s3, s6, -1
	s_and_b32 s7, s3, vcc_lo
	s_and_saveexec_b32 s3, s7
	s_cbranch_execz .LBB20_159
; %bb.158:
	v_ashrrev_i32_e32 v29, 31, v28
	v_lshlrev_b64 v[29:30], 2, v[28:29]
	v_add_co_u32 v29, vcc_lo, v24, v29
	v_add_co_ci_u32_e64 v30, null, v25, v30, vcc_lo
	s_clause 0x1
	global_load_dword v31, v[29:30], off
	global_load_dword v37, v[24:25], off offset:36
	s_waitcnt vmcnt(1)
	global_store_dword v[24:25], v31, off offset:36
	s_waitcnt vmcnt(0)
	global_store_dword v[29:30], v37, off
.LBB20_159:
	s_or_b32 exec_lo, exec_lo, s3
	v_mov_b32_e32 v30, v28
	v_mov_b32_e32 v31, v28
.LBB20_160:
	s_or_b32 exec_lo, exec_lo, s1
.LBB20_161:
	s_andn2_saveexec_b32 s0, s0
; %bb.162:
	v_mov_b32_e32 v31, 9
	ds_write_b64 v34, v[26:27] offset:80
; %bb.163:
	s_or_b32 exec_lo, exec_lo, s0
	s_mov_b32 s0, exec_lo
	s_waitcnt lgkmcnt(0)
	s_waitcnt_vscnt null, 0x0
	s_barrier
	buffer_gl0_inv
	v_cmpx_lt_i32_e32 9, v31
	s_cbranch_execz .LBB20_165
; %bb.164:
	v_mul_f64 v[10:11], v[10:11], v[0:1]
	ds_read_b64 v[0:1], v34 offset:80
	s_waitcnt lgkmcnt(0)
	v_fma_f64 v[26:27], -v[10:11], v[0:1], v[26:27]
.LBB20_165:
	s_or_b32 exec_lo, exec_lo, s0
	v_lshl_add_u32 v0, v31, 3, v34
	s_barrier
	buffer_gl0_inv
	v_mov_b32_e32 v29, 10
	ds_write_b64 v0, v[26:27]
	s_waitcnt lgkmcnt(0)
	s_barrier
	buffer_gl0_inv
	ds_read_b64 v[0:1], v34 offset:80
	s_cmp_lt_i32 s2, 12
	s_cbranch_scc1 .LBB20_168
; %bb.166:
	v_add3_u32 v28, v35, 0, 0x58
	v_mov_b32_e32 v29, 10
	s_mov_b32 s0, 11
.LBB20_167:                             ; =>This Inner Loop Header: Depth=1
	ds_read_b64 v[34:35], v28
	v_add_nc_u32_e32 v28, 8, v28
	s_waitcnt lgkmcnt(0)
	v_cmp_lt_f64_e64 vcc_lo, |v[0:1]|, |v[34:35]|
	v_cndmask_b32_e32 v1, v1, v35, vcc_lo
	v_cndmask_b32_e32 v0, v0, v34, vcc_lo
	v_cndmask_b32_e64 v29, v29, s0, vcc_lo
	s_add_i32 s0, s0, 1
	s_cmp_lg_u32 s2, s0
	s_cbranch_scc1 .LBB20_167
.LBB20_168:
	s_mov_b32 s0, exec_lo
	s_waitcnt lgkmcnt(0)
	v_cmpx_eq_f64_e32 0, v[0:1]
	s_xor_b32 s0, exec_lo, s0
; %bb.169:
	v_cmp_ne_u32_e32 vcc_lo, 0, v36
	v_cndmask_b32_e32 v36, 11, v36, vcc_lo
; %bb.170:
	s_andn2_saveexec_b32 s0, s0
	s_cbranch_execz .LBB20_172
; %bb.171:
	v_div_scale_f64 v[34:35], null, v[0:1], v[0:1], 1.0
	v_rcp_f64_e32 v[37:38], v[34:35]
	v_fma_f64 v[39:40], -v[34:35], v[37:38], 1.0
	v_fma_f64 v[37:38], v[37:38], v[39:40], v[37:38]
	v_fma_f64 v[39:40], -v[34:35], v[37:38], 1.0
	v_fma_f64 v[37:38], v[37:38], v[39:40], v[37:38]
	v_div_scale_f64 v[39:40], vcc_lo, 1.0, v[0:1], 1.0
	v_mul_f64 v[41:42], v[39:40], v[37:38]
	v_fma_f64 v[34:35], -v[34:35], v[41:42], v[39:40]
	v_div_fmas_f64 v[34:35], v[34:35], v[37:38], v[41:42]
	v_div_fixup_f64 v[0:1], v[34:35], v[0:1], 1.0
.LBB20_172:
	s_or_b32 exec_lo, exec_lo, s0
	v_mov_b32_e32 v28, 10
	s_mov_b32 s0, exec_lo
	v_cmpx_ne_u32_e64 v31, v29
	s_cbranch_execz .LBB20_178
; %bb.173:
	s_mov_b32 s1, exec_lo
	v_cmpx_eq_u32_e32 10, v31
	s_cbranch_execz .LBB20_177
; %bb.174:
	v_cmp_ne_u32_e32 vcc_lo, 10, v29
	s_xor_b32 s2, s6, -1
	s_and_b32 s3, s2, vcc_lo
	s_and_saveexec_b32 s2, s3
	s_cbranch_execz .LBB20_176
; %bb.175:
	v_ashrrev_i32_e32 v30, 31, v29
	v_lshlrev_b64 v[30:31], 2, v[29:30]
	v_add_co_u32 v30, vcc_lo, v24, v30
	v_add_co_ci_u32_e64 v31, null, v25, v31, vcc_lo
	s_clause 0x1
	global_load_dword v28, v[30:31], off
	global_load_dword v34, v[24:25], off offset:40
	s_waitcnt vmcnt(1)
	global_store_dword v[24:25], v28, off offset:40
	s_waitcnt vmcnt(0)
	global_store_dword v[30:31], v34, off
.LBB20_176:
	s_or_b32 exec_lo, exec_lo, s2
	v_mov_b32_e32 v30, v29
	v_mov_b32_e32 v31, v29
.LBB20_177:
	s_or_b32 exec_lo, exec_lo, s1
	v_mov_b32_e32 v28, v31
.LBB20_178:
	s_or_b32 exec_lo, exec_lo, s0
	s_load_dwordx8 s[0:7], s[4:5], 0x28
	v_ashrrev_i32_e32 v29, 31, v28
	s_mov_b32 s9, exec_lo
	s_waitcnt lgkmcnt(0)
	s_waitcnt_vscnt null, 0x0
	s_barrier
	buffer_gl0_inv
	s_barrier
	buffer_gl0_inv
	v_cmpx_gt_i32_e32 11, v28
	s_cbranch_execz .LBB20_180
; %bb.179:
	v_mul_lo_u32 v31, s5, v2
	v_mul_lo_u32 v34, s4, v3
	v_mad_u64_u32 v[24:25], null, s4, v2, 0
	s_lshl_b64 s[2:3], s[2:3], 2
	v_add3_u32 v30, v30, s13, 1
	v_add3_u32 v25, v25, v34, v31
	v_lshlrev_b64 v[24:25], 2, v[24:25]
	v_add_co_u32 v31, vcc_lo, s0, v24
	v_add_co_ci_u32_e64 v34, null, s1, v25, vcc_lo
	v_lshlrev_b64 v[24:25], 2, v[28:29]
	v_add_co_u32 v31, vcc_lo, v31, s2
	v_add_co_ci_u32_e64 v34, null, s3, v34, vcc_lo
	v_add_co_u32 v24, vcc_lo, v31, v24
	v_add_co_ci_u32_e64 v25, null, v34, v25, vcc_lo
	global_store_dword v[24:25], v30, off
.LBB20_180:
	s_or_b32 exec_lo, exec_lo, s9
	s_mov_b32 s1, exec_lo
	v_cmpx_eq_u32_e32 0, v28
	s_cbranch_execz .LBB20_183
; %bb.181:
	v_lshlrev_b64 v[2:3], 2, v[2:3]
	v_cmp_ne_u32_e64 s0, 0, v36
	v_add_co_u32 v2, vcc_lo, s6, v2
	v_add_co_ci_u32_e64 v3, null, s7, v3, vcc_lo
	global_load_dword v24, v[2:3], off
	s_waitcnt vmcnt(0)
	v_cmp_eq_u32_e32 vcc_lo, 0, v24
	s_and_b32 s0, vcc_lo, s0
	s_and_b32 exec_lo, exec_lo, s0
	s_cbranch_execz .LBB20_183
; %bb.182:
	v_add_nc_u32_e32 v24, s13, v36
	global_store_dword v[2:3], v24, off
.LBB20_183:
	s_or_b32 exec_lo, exec_lo, s1
	v_mul_f64 v[0:1], v[26:27], v[0:1]
	v_add3_u32 v2, s8, s8, v28
	v_lshlrev_b64 v[24:25], 3, v[28:29]
	v_add_nc_u32_e32 v29, s8, v2
	v_ashrrev_i32_e32 v3, 31, v2
	v_add_co_u32 v24, vcc_lo, v32, v24
	v_add_co_ci_u32_e64 v25, null, v33, v25, vcc_lo
	v_ashrrev_i32_e32 v30, 31, v29
	v_lshlrev_b64 v[2:3], 3, v[2:3]
	v_cmp_lt_i32_e32 vcc_lo, 10, v28
	flat_store_dwordx2 v[24:25], v[22:23]
	v_add_co_u32 v22, s0, v24, s10
	v_add_co_ci_u32_e64 v23, null, s11, v25, s0
	v_lshlrev_b64 v[24:25], 3, v[29:30]
	v_add_nc_u32_e32 v28, s8, v29
	v_cndmask_b32_e32 v1, v27, v1, vcc_lo
	v_cndmask_b32_e32 v0, v26, v0, vcc_lo
	v_add_co_u32 v2, vcc_lo, v32, v2
	v_add_co_ci_u32_e64 v3, null, v33, v3, vcc_lo
	v_ashrrev_i32_e32 v29, 31, v28
	v_add_co_u32 v24, vcc_lo, v32, v24
	v_add_nc_u32_e32 v26, s8, v28
	v_add_co_ci_u32_e64 v25, null, v33, v25, vcc_lo
	flat_store_dwordx2 v[22:23], v[16:17]
	v_lshlrev_b64 v[16:17], 3, v[28:29]
	flat_store_dwordx2 v[2:3], v[12:13]
	flat_store_dwordx2 v[24:25], v[14:15]
	v_add_nc_u32_e32 v12, s8, v26
	v_ashrrev_i32_e32 v27, 31, v26
	v_add_co_u32 v14, vcc_lo, v32, v16
	v_add_nc_u32_e32 v16, s8, v12
	v_lshlrev_b64 v[2:3], 3, v[26:27]
	v_add_co_ci_u32_e64 v15, null, v33, v17, vcc_lo
	v_ashrrev_i32_e32 v13, 31, v12
	v_add_nc_u32_e32 v22, s8, v16
	v_ashrrev_i32_e32 v17, 31, v16
	v_add_co_u32 v2, vcc_lo, v32, v2
	v_add_co_ci_u32_e64 v3, null, v33, v3, vcc_lo
	flat_store_dwordx2 v[14:15], v[20:21]
	v_add_nc_u32_e32 v14, s8, v22
	v_ashrrev_i32_e32 v23, 31, v22
	flat_store_dwordx2 v[2:3], v[18:19]
	v_lshlrev_b64 v[12:13], 3, v[12:13]
	v_lshlrev_b64 v[2:3], 3, v[16:17]
	v_add_nc_u32_e32 v18, s8, v14
	v_ashrrev_i32_e32 v15, 31, v14
	v_lshlrev_b64 v[16:17], 3, v[22:23]
	v_add_co_u32 v12, vcc_lo, v32, v12
	v_ashrrev_i32_e32 v19, 31, v18
	v_lshlrev_b64 v[14:15], 3, v[14:15]
	v_add_co_ci_u32_e64 v13, null, v33, v13, vcc_lo
	v_add_co_u32 v2, vcc_lo, v32, v2
	v_lshlrev_b64 v[18:19], 3, v[18:19]
	v_add_co_ci_u32_e64 v3, null, v33, v3, vcc_lo
	v_add_co_u32 v16, vcc_lo, v32, v16
	v_add_co_ci_u32_e64 v17, null, v33, v17, vcc_lo
	v_add_co_u32 v14, vcc_lo, v32, v14
	;; [unrolled: 2-line block ×3, first 2 shown]
	v_add_co_ci_u32_e64 v19, null, v33, v19, vcc_lo
	flat_store_dwordx2 v[12:13], v[4:5]
	flat_store_dwordx2 v[2:3], v[6:7]
	;; [unrolled: 1-line block ×5, first 2 shown]
.LBB20_184:
	s_endpgm
	.section	.rodata,"a",@progbits
	.p2align	6, 0x0
	.amdhsa_kernel _ZN9rocsolver6v33100L18getf2_small_kernelILi11EdiiPKPdEEvT1_T3_lS5_lPS5_llPT2_S5_S5_S7_l
		.amdhsa_group_segment_fixed_size 0
		.amdhsa_private_segment_fixed_size 0
		.amdhsa_kernarg_size 352
		.amdhsa_user_sgpr_count 6
		.amdhsa_user_sgpr_private_segment_buffer 1
		.amdhsa_user_sgpr_dispatch_ptr 0
		.amdhsa_user_sgpr_queue_ptr 0
		.amdhsa_user_sgpr_kernarg_segment_ptr 1
		.amdhsa_user_sgpr_dispatch_id 0
		.amdhsa_user_sgpr_flat_scratch_init 0
		.amdhsa_user_sgpr_private_segment_size 0
		.amdhsa_wavefront_size32 1
		.amdhsa_uses_dynamic_stack 0
		.amdhsa_system_sgpr_private_segment_wavefront_offset 0
		.amdhsa_system_sgpr_workgroup_id_x 1
		.amdhsa_system_sgpr_workgroup_id_y 1
		.amdhsa_system_sgpr_workgroup_id_z 0
		.amdhsa_system_sgpr_workgroup_info 0
		.amdhsa_system_vgpr_workitem_id 1
		.amdhsa_next_free_vgpr 56
		.amdhsa_next_free_sgpr 14
		.amdhsa_reserve_vcc 1
		.amdhsa_reserve_flat_scratch 1
		.amdhsa_float_round_mode_32 0
		.amdhsa_float_round_mode_16_64 0
		.amdhsa_float_denorm_mode_32 3
		.amdhsa_float_denorm_mode_16_64 3
		.amdhsa_dx10_clamp 1
		.amdhsa_ieee_mode 1
		.amdhsa_fp16_overflow 0
		.amdhsa_workgroup_processor_mode 1
		.amdhsa_memory_ordered 1
		.amdhsa_forward_progress 1
		.amdhsa_shared_vgpr_count 0
		.amdhsa_exception_fp_ieee_invalid_op 0
		.amdhsa_exception_fp_denorm_src 0
		.amdhsa_exception_fp_ieee_div_zero 0
		.amdhsa_exception_fp_ieee_overflow 0
		.amdhsa_exception_fp_ieee_underflow 0
		.amdhsa_exception_fp_ieee_inexact 0
		.amdhsa_exception_int_div_zero 0
	.end_amdhsa_kernel
	.section	.text._ZN9rocsolver6v33100L18getf2_small_kernelILi11EdiiPKPdEEvT1_T3_lS5_lPS5_llPT2_S5_S5_S7_l,"axG",@progbits,_ZN9rocsolver6v33100L18getf2_small_kernelILi11EdiiPKPdEEvT1_T3_lS5_lPS5_llPT2_S5_S5_S7_l,comdat
.Lfunc_end20:
	.size	_ZN9rocsolver6v33100L18getf2_small_kernelILi11EdiiPKPdEEvT1_T3_lS5_lPS5_llPT2_S5_S5_S7_l, .Lfunc_end20-_ZN9rocsolver6v33100L18getf2_small_kernelILi11EdiiPKPdEEvT1_T3_lS5_lPS5_llPT2_S5_S5_S7_l
                                        ; -- End function
	.set _ZN9rocsolver6v33100L18getf2_small_kernelILi11EdiiPKPdEEvT1_T3_lS5_lPS5_llPT2_S5_S5_S7_l.num_vgpr, 56
	.set _ZN9rocsolver6v33100L18getf2_small_kernelILi11EdiiPKPdEEvT1_T3_lS5_lPS5_llPT2_S5_S5_S7_l.num_agpr, 0
	.set _ZN9rocsolver6v33100L18getf2_small_kernelILi11EdiiPKPdEEvT1_T3_lS5_lPS5_llPT2_S5_S5_S7_l.numbered_sgpr, 14
	.set _ZN9rocsolver6v33100L18getf2_small_kernelILi11EdiiPKPdEEvT1_T3_lS5_lPS5_llPT2_S5_S5_S7_l.num_named_barrier, 0
	.set _ZN9rocsolver6v33100L18getf2_small_kernelILi11EdiiPKPdEEvT1_T3_lS5_lPS5_llPT2_S5_S5_S7_l.private_seg_size, 0
	.set _ZN9rocsolver6v33100L18getf2_small_kernelILi11EdiiPKPdEEvT1_T3_lS5_lPS5_llPT2_S5_S5_S7_l.uses_vcc, 1
	.set _ZN9rocsolver6v33100L18getf2_small_kernelILi11EdiiPKPdEEvT1_T3_lS5_lPS5_llPT2_S5_S5_S7_l.uses_flat_scratch, 1
	.set _ZN9rocsolver6v33100L18getf2_small_kernelILi11EdiiPKPdEEvT1_T3_lS5_lPS5_llPT2_S5_S5_S7_l.has_dyn_sized_stack, 0
	.set _ZN9rocsolver6v33100L18getf2_small_kernelILi11EdiiPKPdEEvT1_T3_lS5_lPS5_llPT2_S5_S5_S7_l.has_recursion, 0
	.set _ZN9rocsolver6v33100L18getf2_small_kernelILi11EdiiPKPdEEvT1_T3_lS5_lPS5_llPT2_S5_S5_S7_l.has_indirect_call, 0
	.section	.AMDGPU.csdata,"",@progbits
; Kernel info:
; codeLenInByte = 7364
; TotalNumSgprs: 16
; NumVgprs: 56
; ScratchSize: 0
; MemoryBound: 0
; FloatMode: 240
; IeeeMode: 1
; LDSByteSize: 0 bytes/workgroup (compile time only)
; SGPRBlocks: 0
; VGPRBlocks: 6
; NumSGPRsForWavesPerEU: 16
; NumVGPRsForWavesPerEU: 56
; Occupancy: 16
; WaveLimiterHint : 1
; COMPUTE_PGM_RSRC2:SCRATCH_EN: 0
; COMPUTE_PGM_RSRC2:USER_SGPR: 6
; COMPUTE_PGM_RSRC2:TRAP_HANDLER: 0
; COMPUTE_PGM_RSRC2:TGID_X_EN: 1
; COMPUTE_PGM_RSRC2:TGID_Y_EN: 1
; COMPUTE_PGM_RSRC2:TGID_Z_EN: 0
; COMPUTE_PGM_RSRC2:TIDIG_COMP_CNT: 1
	.section	.text._ZN9rocsolver6v33100L23getf2_npvt_small_kernelILi11EdiiPKPdEEvT1_T3_lS5_lPT2_S5_S5_,"axG",@progbits,_ZN9rocsolver6v33100L23getf2_npvt_small_kernelILi11EdiiPKPdEEvT1_T3_lS5_lPT2_S5_S5_,comdat
	.globl	_ZN9rocsolver6v33100L23getf2_npvt_small_kernelILi11EdiiPKPdEEvT1_T3_lS5_lPT2_S5_S5_ ; -- Begin function _ZN9rocsolver6v33100L23getf2_npvt_small_kernelILi11EdiiPKPdEEvT1_T3_lS5_lPT2_S5_S5_
	.p2align	8
	.type	_ZN9rocsolver6v33100L23getf2_npvt_small_kernelILi11EdiiPKPdEEvT1_T3_lS5_lPT2_S5_S5_,@function
_ZN9rocsolver6v33100L23getf2_npvt_small_kernelILi11EdiiPKPdEEvT1_T3_lS5_lPT2_S5_S5_: ; @_ZN9rocsolver6v33100L23getf2_npvt_small_kernelILi11EdiiPKPdEEvT1_T3_lS5_lPT2_S5_S5_
; %bb.0:
	s_clause 0x1
	s_load_dword s0, s[4:5], 0x44
	s_load_dwordx2 s[8:9], s[4:5], 0x30
	s_waitcnt lgkmcnt(0)
	s_lshr_b32 s10, s0, 16
	s_mov_b32 s0, exec_lo
	v_mad_u64_u32 v[2:3], null, s7, s10, v[1:2]
	v_cmpx_gt_i32_e64 s8, v2
	s_cbranch_execz .LBB21_59
; %bb.1:
	s_clause 0x1
	s_load_dwordx4 s[0:3], s[4:5], 0x8
	s_load_dword s6, s[4:5], 0x18
	v_ashrrev_i32_e32 v3, 31, v2
	v_lshlrev_b32_e32 v26, 3, v0
	v_lshlrev_b32_e32 v48, 3, v1
	s_mulk_i32 s10, 0x58
	v_mad_u32_u24 v68, 0x58, v1, 0
	v_lshlrev_b64 v[4:5], 3, v[2:3]
	v_add3_u32 v1, 0, s10, v48
	s_waitcnt lgkmcnt(0)
	v_add_co_u32 v4, vcc_lo, s0, v4
	v_add_co_ci_u32_e64 v5, null, s1, v5, vcc_lo
	v_add3_u32 v6, s6, s6, v0
	s_lshl_b64 s[0:1], s[2:3], 3
	s_ashr_i32 s7, s6, 31
	global_load_dwordx2 v[4:5], v[4:5], off
	s_lshl_b64 s[2:3], s[6:7], 3
	v_add_nc_u32_e32 v8, s6, v6
	v_ashrrev_i32_e32 v7, 31, v6
	v_add_nc_u32_e32 v10, s6, v8
	v_ashrrev_i32_e32 v9, 31, v8
	v_lshlrev_b64 v[6:7], 3, v[6:7]
	v_add_nc_u32_e32 v12, s6, v10
	v_ashrrev_i32_e32 v11, 31, v10
	v_lshlrev_b64 v[8:9], 3, v[8:9]
	;; [unrolled: 3-line block ×3, first 2 shown]
	v_add_nc_u32_e32 v16, s6, v14
	v_lshlrev_b64 v[22:23], 3, v[12:13]
	v_ashrrev_i32_e32 v15, 31, v14
	v_add_nc_u32_e32 v18, s6, v16
	v_ashrrev_i32_e32 v17, 31, v16
	v_lshlrev_b64 v[14:15], 3, v[14:15]
	v_add_nc_u32_e32 v20, s6, v18
	v_ashrrev_i32_e32 v19, 31, v18
	v_lshlrev_b64 v[16:17], 3, v[16:17]
	;; [unrolled: 3-line block ×3, first 2 shown]
	v_ashrrev_i32_e32 v13, 31, v12
	v_lshlrev_b64 v[20:21], 3, v[20:21]
	v_lshlrev_b64 v[24:25], 3, v[12:13]
	s_waitcnt vmcnt(0)
	v_add_co_u32 v27, vcc_lo, v4, s0
	v_add_co_ci_u32_e64 v28, null, s1, v5, vcc_lo
	v_cmp_ne_u32_e64 s1, 0, v0
	v_add_co_u32 v4, vcc_lo, v27, v26
	v_add_co_ci_u32_e64 v5, null, 0, v28, vcc_lo
	v_add_co_u32 v6, vcc_lo, v27, v6
	v_add_co_ci_u32_e64 v7, null, v28, v7, vcc_lo
	;; [unrolled: 2-line block ×11, first 2 shown]
	s_clause 0xa
	flat_load_dwordx2 v[30:31], v[12:13]
	flat_load_dwordx2 v[24:25], v[10:11]
	;; [unrolled: 1-line block ×11, first 2 shown]
	v_cmp_eq_u32_e64 s0, 0, v0
	s_and_saveexec_b32 s2, s0
	s_cbranch_execz .LBB21_4
; %bb.2:
	s_waitcnt vmcnt(6) lgkmcnt(6)
	ds_write_b64 v1, v[38:39]
	s_waitcnt vmcnt(4) lgkmcnt(5)
	ds_write2_b64 v68, v[40:41], v[42:43] offset0:1 offset1:2
	s_waitcnt vmcnt(3) lgkmcnt(5)
	ds_write2_b64 v68, v[44:45], v[30:31] offset0:3 offset1:4
	ds_write2_b64 v68, v[24:25], v[26:27] offset0:5 offset1:6
	s_waitcnt vmcnt(2) lgkmcnt(6)
	ds_write2_b64 v68, v[28:29], v[34:35] offset0:7 offset1:8
	s_waitcnt vmcnt(0) lgkmcnt(5)
	ds_write2_b64 v68, v[36:37], v[46:47] offset0:9 offset1:10
	ds_read_b64 v[48:49], v1
	s_waitcnt lgkmcnt(0)
	v_cmp_neq_f64_e32 vcc_lo, 0, v[48:49]
	s_and_b32 exec_lo, exec_lo, vcc_lo
	s_cbranch_execz .LBB21_4
; %bb.3:
	v_div_scale_f64 v[50:51], null, v[48:49], v[48:49], 1.0
	v_rcp_f64_e32 v[52:53], v[50:51]
	v_fma_f64 v[54:55], -v[50:51], v[52:53], 1.0
	v_fma_f64 v[52:53], v[52:53], v[54:55], v[52:53]
	v_fma_f64 v[54:55], -v[50:51], v[52:53], 1.0
	v_fma_f64 v[52:53], v[52:53], v[54:55], v[52:53]
	v_div_scale_f64 v[54:55], vcc_lo, 1.0, v[48:49], 1.0
	v_mul_f64 v[56:57], v[54:55], v[52:53]
	v_fma_f64 v[50:51], -v[50:51], v[56:57], v[54:55]
	v_div_fmas_f64 v[50:51], v[50:51], v[52:53], v[56:57]
	v_div_fixup_f64 v[48:49], v[50:51], v[48:49], 1.0
	ds_write_b64 v1, v[48:49]
.LBB21_4:
	s_or_b32 exec_lo, exec_lo, s2
	s_waitcnt vmcnt(0) lgkmcnt(0)
	s_barrier
	buffer_gl0_inv
	ds_read_b64 v[48:49], v1
	s_and_saveexec_b32 s2, s1
	s_cbranch_execz .LBB21_6
; %bb.5:
	s_waitcnt lgkmcnt(0)
	v_mul_f64 v[38:39], v[38:39], v[48:49]
	ds_read2_b64 v[50:53], v68 offset0:1 offset1:2
	ds_read2_b64 v[54:57], v68 offset0:3 offset1:4
	;; [unrolled: 1-line block ×5, first 2 shown]
	s_waitcnt lgkmcnt(4)
	v_fma_f64 v[40:41], -v[38:39], v[50:51], v[40:41]
	v_fma_f64 v[42:43], -v[38:39], v[52:53], v[42:43]
	s_waitcnt lgkmcnt(3)
	v_fma_f64 v[44:45], -v[38:39], v[54:55], v[44:45]
	v_fma_f64 v[30:31], -v[38:39], v[56:57], v[30:31]
	;; [unrolled: 3-line block ×5, first 2 shown]
.LBB21_6:
	s_or_b32 exec_lo, exec_lo, s2
	s_mov_b32 s1, exec_lo
	s_waitcnt lgkmcnt(0)
	s_barrier
	buffer_gl0_inv
	v_cmpx_eq_u32_e32 1, v0
	s_cbranch_execz .LBB21_9
; %bb.7:
	ds_write_b64 v1, v[40:41]
	ds_write2_b64 v68, v[42:43], v[44:45] offset0:2 offset1:3
	ds_write2_b64 v68, v[30:31], v[24:25] offset0:4 offset1:5
	;; [unrolled: 1-line block ×4, first 2 shown]
	ds_write_b64 v68, v[46:47] offset:80
	ds_read_b64 v[50:51], v1
	s_waitcnt lgkmcnt(0)
	v_cmp_neq_f64_e32 vcc_lo, 0, v[50:51]
	s_and_b32 exec_lo, exec_lo, vcc_lo
	s_cbranch_execz .LBB21_9
; %bb.8:
	v_div_scale_f64 v[52:53], null, v[50:51], v[50:51], 1.0
	v_rcp_f64_e32 v[54:55], v[52:53]
	v_fma_f64 v[56:57], -v[52:53], v[54:55], 1.0
	v_fma_f64 v[54:55], v[54:55], v[56:57], v[54:55]
	v_fma_f64 v[56:57], -v[52:53], v[54:55], 1.0
	v_fma_f64 v[54:55], v[54:55], v[56:57], v[54:55]
	v_div_scale_f64 v[56:57], vcc_lo, 1.0, v[50:51], 1.0
	v_mul_f64 v[58:59], v[56:57], v[54:55]
	v_fma_f64 v[52:53], -v[52:53], v[58:59], v[56:57]
	v_div_fmas_f64 v[52:53], v[52:53], v[54:55], v[58:59]
	v_div_fixup_f64 v[50:51], v[52:53], v[50:51], 1.0
	ds_write_b64 v1, v[50:51]
.LBB21_9:
	s_or_b32 exec_lo, exec_lo, s1
	s_waitcnt lgkmcnt(0)
	s_barrier
	buffer_gl0_inv
	ds_read_b64 v[50:51], v1
	s_mov_b32 s1, exec_lo
	v_cmpx_lt_u32_e32 1, v0
	s_cbranch_execz .LBB21_11
; %bb.10:
	s_waitcnt lgkmcnt(0)
	v_mul_f64 v[40:41], v[40:41], v[50:51]
	ds_read2_b64 v[52:55], v68 offset0:2 offset1:3
	ds_read2_b64 v[56:59], v68 offset0:4 offset1:5
	;; [unrolled: 1-line block ×4, first 2 shown]
	ds_read_b64 v[69:70], v68 offset:80
	s_waitcnt lgkmcnt(4)
	v_fma_f64 v[42:43], -v[40:41], v[52:53], v[42:43]
	v_fma_f64 v[44:45], -v[40:41], v[54:55], v[44:45]
	s_waitcnt lgkmcnt(3)
	v_fma_f64 v[30:31], -v[40:41], v[56:57], v[30:31]
	v_fma_f64 v[24:25], -v[40:41], v[58:59], v[24:25]
	;; [unrolled: 3-line block ×4, first 2 shown]
	s_waitcnt lgkmcnt(0)
	v_fma_f64 v[46:47], -v[40:41], v[69:70], v[46:47]
.LBB21_11:
	s_or_b32 exec_lo, exec_lo, s1
	s_mov_b32 s1, exec_lo
	s_waitcnt lgkmcnt(0)
	s_barrier
	buffer_gl0_inv
	v_cmpx_eq_u32_e32 2, v0
	s_cbranch_execz .LBB21_14
; %bb.12:
	ds_write_b64 v1, v[42:43]
	ds_write2_b64 v68, v[44:45], v[30:31] offset0:3 offset1:4
	ds_write2_b64 v68, v[24:25], v[26:27] offset0:5 offset1:6
	;; [unrolled: 1-line block ×4, first 2 shown]
	ds_read_b64 v[52:53], v1
	s_waitcnt lgkmcnt(0)
	v_cmp_neq_f64_e32 vcc_lo, 0, v[52:53]
	s_and_b32 exec_lo, exec_lo, vcc_lo
	s_cbranch_execz .LBB21_14
; %bb.13:
	v_div_scale_f64 v[54:55], null, v[52:53], v[52:53], 1.0
	v_rcp_f64_e32 v[56:57], v[54:55]
	v_fma_f64 v[58:59], -v[54:55], v[56:57], 1.0
	v_fma_f64 v[56:57], v[56:57], v[58:59], v[56:57]
	v_fma_f64 v[58:59], -v[54:55], v[56:57], 1.0
	v_fma_f64 v[56:57], v[56:57], v[58:59], v[56:57]
	v_div_scale_f64 v[58:59], vcc_lo, 1.0, v[52:53], 1.0
	v_mul_f64 v[60:61], v[58:59], v[56:57]
	v_fma_f64 v[54:55], -v[54:55], v[60:61], v[58:59]
	v_div_fmas_f64 v[54:55], v[54:55], v[56:57], v[60:61]
	v_div_fixup_f64 v[52:53], v[54:55], v[52:53], 1.0
	ds_write_b64 v1, v[52:53]
.LBB21_14:
	s_or_b32 exec_lo, exec_lo, s1
	s_waitcnt lgkmcnt(0)
	s_barrier
	buffer_gl0_inv
	ds_read_b64 v[52:53], v1
	s_mov_b32 s1, exec_lo
	v_cmpx_lt_u32_e32 2, v0
	s_cbranch_execz .LBB21_16
; %bb.15:
	s_waitcnt lgkmcnt(0)
	v_mul_f64 v[42:43], v[42:43], v[52:53]
	ds_read2_b64 v[54:57], v68 offset0:3 offset1:4
	ds_read2_b64 v[58:61], v68 offset0:5 offset1:6
	;; [unrolled: 1-line block ×4, first 2 shown]
	s_waitcnt lgkmcnt(3)
	v_fma_f64 v[44:45], -v[42:43], v[54:55], v[44:45]
	v_fma_f64 v[30:31], -v[42:43], v[56:57], v[30:31]
	s_waitcnt lgkmcnt(2)
	v_fma_f64 v[24:25], -v[42:43], v[58:59], v[24:25]
	v_fma_f64 v[26:27], -v[42:43], v[60:61], v[26:27]
	;; [unrolled: 3-line block ×4, first 2 shown]
.LBB21_16:
	s_or_b32 exec_lo, exec_lo, s1
	s_mov_b32 s1, exec_lo
	s_waitcnt lgkmcnt(0)
	s_barrier
	buffer_gl0_inv
	v_cmpx_eq_u32_e32 3, v0
	s_cbranch_execz .LBB21_19
; %bb.17:
	ds_write_b64 v1, v[44:45]
	ds_write2_b64 v68, v[30:31], v[24:25] offset0:4 offset1:5
	ds_write2_b64 v68, v[26:27], v[28:29] offset0:6 offset1:7
	;; [unrolled: 1-line block ×3, first 2 shown]
	ds_write_b64 v68, v[46:47] offset:80
	ds_read_b64 v[54:55], v1
	s_waitcnt lgkmcnt(0)
	v_cmp_neq_f64_e32 vcc_lo, 0, v[54:55]
	s_and_b32 exec_lo, exec_lo, vcc_lo
	s_cbranch_execz .LBB21_19
; %bb.18:
	v_div_scale_f64 v[56:57], null, v[54:55], v[54:55], 1.0
	v_rcp_f64_e32 v[58:59], v[56:57]
	v_fma_f64 v[60:61], -v[56:57], v[58:59], 1.0
	v_fma_f64 v[58:59], v[58:59], v[60:61], v[58:59]
	v_fma_f64 v[60:61], -v[56:57], v[58:59], 1.0
	v_fma_f64 v[58:59], v[58:59], v[60:61], v[58:59]
	v_div_scale_f64 v[60:61], vcc_lo, 1.0, v[54:55], 1.0
	v_mul_f64 v[62:63], v[60:61], v[58:59]
	v_fma_f64 v[56:57], -v[56:57], v[62:63], v[60:61]
	v_div_fmas_f64 v[56:57], v[56:57], v[58:59], v[62:63]
	v_div_fixup_f64 v[54:55], v[56:57], v[54:55], 1.0
	ds_write_b64 v1, v[54:55]
.LBB21_19:
	s_or_b32 exec_lo, exec_lo, s1
	s_waitcnt lgkmcnt(0)
	s_barrier
	buffer_gl0_inv
	ds_read_b64 v[54:55], v1
	s_mov_b32 s1, exec_lo
	v_cmpx_lt_u32_e32 3, v0
	s_cbranch_execz .LBB21_21
; %bb.20:
	s_waitcnt lgkmcnt(0)
	v_mul_f64 v[44:45], v[44:45], v[54:55]
	ds_read2_b64 v[56:59], v68 offset0:4 offset1:5
	ds_read2_b64 v[60:63], v68 offset0:6 offset1:7
	;; [unrolled: 1-line block ×3, first 2 shown]
	ds_read_b64 v[69:70], v68 offset:80
	s_waitcnt lgkmcnt(3)
	v_fma_f64 v[30:31], -v[44:45], v[56:57], v[30:31]
	v_fma_f64 v[24:25], -v[44:45], v[58:59], v[24:25]
	s_waitcnt lgkmcnt(2)
	v_fma_f64 v[26:27], -v[44:45], v[60:61], v[26:27]
	v_fma_f64 v[28:29], -v[44:45], v[62:63], v[28:29]
	;; [unrolled: 3-line block ×3, first 2 shown]
	s_waitcnt lgkmcnt(0)
	v_fma_f64 v[46:47], -v[44:45], v[69:70], v[46:47]
.LBB21_21:
	s_or_b32 exec_lo, exec_lo, s1
	s_mov_b32 s1, exec_lo
	s_waitcnt lgkmcnt(0)
	s_barrier
	buffer_gl0_inv
	v_cmpx_eq_u32_e32 4, v0
	s_cbranch_execz .LBB21_24
; %bb.22:
	ds_write_b64 v1, v[30:31]
	ds_write2_b64 v68, v[24:25], v[26:27] offset0:5 offset1:6
	ds_write2_b64 v68, v[28:29], v[34:35] offset0:7 offset1:8
	;; [unrolled: 1-line block ×3, first 2 shown]
	ds_read_b64 v[56:57], v1
	s_waitcnt lgkmcnt(0)
	v_cmp_neq_f64_e32 vcc_lo, 0, v[56:57]
	s_and_b32 exec_lo, exec_lo, vcc_lo
	s_cbranch_execz .LBB21_24
; %bb.23:
	v_div_scale_f64 v[58:59], null, v[56:57], v[56:57], 1.0
	v_rcp_f64_e32 v[60:61], v[58:59]
	v_fma_f64 v[62:63], -v[58:59], v[60:61], 1.0
	v_fma_f64 v[60:61], v[60:61], v[62:63], v[60:61]
	v_fma_f64 v[62:63], -v[58:59], v[60:61], 1.0
	v_fma_f64 v[60:61], v[60:61], v[62:63], v[60:61]
	v_div_scale_f64 v[62:63], vcc_lo, 1.0, v[56:57], 1.0
	v_mul_f64 v[64:65], v[62:63], v[60:61]
	v_fma_f64 v[58:59], -v[58:59], v[64:65], v[62:63]
	v_div_fmas_f64 v[58:59], v[58:59], v[60:61], v[64:65]
	v_div_fixup_f64 v[56:57], v[58:59], v[56:57], 1.0
	ds_write_b64 v1, v[56:57]
.LBB21_24:
	s_or_b32 exec_lo, exec_lo, s1
	s_waitcnt lgkmcnt(0)
	s_barrier
	buffer_gl0_inv
	ds_read_b64 v[56:57], v1
	s_mov_b32 s1, exec_lo
	v_cmpx_lt_u32_e32 4, v0
	s_cbranch_execz .LBB21_26
; %bb.25:
	s_waitcnt lgkmcnt(0)
	v_mul_f64 v[30:31], v[30:31], v[56:57]
	ds_read2_b64 v[58:61], v68 offset0:5 offset1:6
	ds_read2_b64 v[62:65], v68 offset0:7 offset1:8
	;; [unrolled: 1-line block ×3, first 2 shown]
	s_waitcnt lgkmcnt(2)
	v_fma_f64 v[24:25], -v[30:31], v[58:59], v[24:25]
	v_fma_f64 v[26:27], -v[30:31], v[60:61], v[26:27]
	s_waitcnt lgkmcnt(1)
	v_fma_f64 v[28:29], -v[30:31], v[62:63], v[28:29]
	v_fma_f64 v[34:35], -v[30:31], v[64:65], v[34:35]
	;; [unrolled: 3-line block ×3, first 2 shown]
.LBB21_26:
	s_or_b32 exec_lo, exec_lo, s1
	s_mov_b32 s1, exec_lo
	s_waitcnt lgkmcnt(0)
	s_barrier
	buffer_gl0_inv
	v_cmpx_eq_u32_e32 5, v0
	s_cbranch_execz .LBB21_29
; %bb.27:
	ds_write_b64 v1, v[24:25]
	ds_write2_b64 v68, v[26:27], v[28:29] offset0:6 offset1:7
	ds_write2_b64 v68, v[34:35], v[36:37] offset0:8 offset1:9
	ds_write_b64 v68, v[46:47] offset:80
	ds_read_b64 v[58:59], v1
	s_waitcnt lgkmcnt(0)
	v_cmp_neq_f64_e32 vcc_lo, 0, v[58:59]
	s_and_b32 exec_lo, exec_lo, vcc_lo
	s_cbranch_execz .LBB21_29
; %bb.28:
	v_div_scale_f64 v[60:61], null, v[58:59], v[58:59], 1.0
	v_rcp_f64_e32 v[62:63], v[60:61]
	v_fma_f64 v[64:65], -v[60:61], v[62:63], 1.0
	v_fma_f64 v[62:63], v[62:63], v[64:65], v[62:63]
	v_fma_f64 v[64:65], -v[60:61], v[62:63], 1.0
	v_fma_f64 v[62:63], v[62:63], v[64:65], v[62:63]
	v_div_scale_f64 v[64:65], vcc_lo, 1.0, v[58:59], 1.0
	v_mul_f64 v[66:67], v[64:65], v[62:63]
	v_fma_f64 v[60:61], -v[60:61], v[66:67], v[64:65]
	v_div_fmas_f64 v[60:61], v[60:61], v[62:63], v[66:67]
	v_div_fixup_f64 v[58:59], v[60:61], v[58:59], 1.0
	ds_write_b64 v1, v[58:59]
.LBB21_29:
	s_or_b32 exec_lo, exec_lo, s1
	s_waitcnt lgkmcnt(0)
	s_barrier
	buffer_gl0_inv
	ds_read_b64 v[58:59], v1
	s_mov_b32 s1, exec_lo
	v_cmpx_lt_u32_e32 5, v0
	s_cbranch_execz .LBB21_31
; %bb.30:
	s_waitcnt lgkmcnt(0)
	v_mul_f64 v[24:25], v[24:25], v[58:59]
	ds_read2_b64 v[60:63], v68 offset0:6 offset1:7
	ds_read2_b64 v[64:67], v68 offset0:8 offset1:9
	ds_read_b64 v[69:70], v68 offset:80
	s_waitcnt lgkmcnt(2)
	v_fma_f64 v[26:27], -v[24:25], v[60:61], v[26:27]
	v_fma_f64 v[28:29], -v[24:25], v[62:63], v[28:29]
	s_waitcnt lgkmcnt(1)
	v_fma_f64 v[34:35], -v[24:25], v[64:65], v[34:35]
	v_fma_f64 v[36:37], -v[24:25], v[66:67], v[36:37]
	s_waitcnt lgkmcnt(0)
	v_fma_f64 v[46:47], -v[24:25], v[69:70], v[46:47]
.LBB21_31:
	s_or_b32 exec_lo, exec_lo, s1
	s_mov_b32 s1, exec_lo
	s_waitcnt lgkmcnt(0)
	s_barrier
	buffer_gl0_inv
	v_cmpx_eq_u32_e32 6, v0
	s_cbranch_execz .LBB21_34
; %bb.32:
	ds_write_b64 v1, v[26:27]
	ds_write2_b64 v68, v[28:29], v[34:35] offset0:7 offset1:8
	ds_write2_b64 v68, v[36:37], v[46:47] offset0:9 offset1:10
	ds_read_b64 v[60:61], v1
	s_waitcnt lgkmcnt(0)
	v_cmp_neq_f64_e32 vcc_lo, 0, v[60:61]
	s_and_b32 exec_lo, exec_lo, vcc_lo
	s_cbranch_execz .LBB21_34
; %bb.33:
	v_div_scale_f64 v[62:63], null, v[60:61], v[60:61], 1.0
	v_rcp_f64_e32 v[64:65], v[62:63]
	v_fma_f64 v[66:67], -v[62:63], v[64:65], 1.0
	v_fma_f64 v[64:65], v[64:65], v[66:67], v[64:65]
	v_fma_f64 v[66:67], -v[62:63], v[64:65], 1.0
	v_fma_f64 v[64:65], v[64:65], v[66:67], v[64:65]
	v_div_scale_f64 v[66:67], vcc_lo, 1.0, v[60:61], 1.0
	v_mul_f64 v[69:70], v[66:67], v[64:65]
	v_fma_f64 v[62:63], -v[62:63], v[69:70], v[66:67]
	v_div_fmas_f64 v[62:63], v[62:63], v[64:65], v[69:70]
	v_div_fixup_f64 v[60:61], v[62:63], v[60:61], 1.0
	ds_write_b64 v1, v[60:61]
.LBB21_34:
	s_or_b32 exec_lo, exec_lo, s1
	s_waitcnt lgkmcnt(0)
	s_barrier
	buffer_gl0_inv
	ds_read_b64 v[60:61], v1
	s_mov_b32 s1, exec_lo
	v_cmpx_lt_u32_e32 6, v0
	s_cbranch_execz .LBB21_36
; %bb.35:
	s_waitcnt lgkmcnt(0)
	v_mul_f64 v[26:27], v[26:27], v[60:61]
	ds_read2_b64 v[62:65], v68 offset0:7 offset1:8
	ds_read2_b64 v[69:72], v68 offset0:9 offset1:10
	s_waitcnt lgkmcnt(1)
	v_fma_f64 v[28:29], -v[26:27], v[62:63], v[28:29]
	v_fma_f64 v[34:35], -v[26:27], v[64:65], v[34:35]
	s_waitcnt lgkmcnt(0)
	v_fma_f64 v[36:37], -v[26:27], v[69:70], v[36:37]
	v_fma_f64 v[46:47], -v[26:27], v[71:72], v[46:47]
.LBB21_36:
	s_or_b32 exec_lo, exec_lo, s1
	s_mov_b32 s1, exec_lo
	s_waitcnt lgkmcnt(0)
	s_barrier
	buffer_gl0_inv
	v_cmpx_eq_u32_e32 7, v0
	s_cbranch_execz .LBB21_39
; %bb.37:
	ds_write_b64 v1, v[28:29]
	ds_write2_b64 v68, v[34:35], v[36:37] offset0:8 offset1:9
	ds_write_b64 v68, v[46:47] offset:80
	ds_read_b64 v[62:63], v1
	s_waitcnt lgkmcnt(0)
	v_cmp_neq_f64_e32 vcc_lo, 0, v[62:63]
	s_and_b32 exec_lo, exec_lo, vcc_lo
	s_cbranch_execz .LBB21_39
; %bb.38:
	v_div_scale_f64 v[64:65], null, v[62:63], v[62:63], 1.0
	v_rcp_f64_e32 v[66:67], v[64:65]
	v_fma_f64 v[69:70], -v[64:65], v[66:67], 1.0
	v_fma_f64 v[66:67], v[66:67], v[69:70], v[66:67]
	v_fma_f64 v[69:70], -v[64:65], v[66:67], 1.0
	v_fma_f64 v[66:67], v[66:67], v[69:70], v[66:67]
	v_div_scale_f64 v[69:70], vcc_lo, 1.0, v[62:63], 1.0
	v_mul_f64 v[71:72], v[69:70], v[66:67]
	v_fma_f64 v[64:65], -v[64:65], v[71:72], v[69:70]
	v_div_fmas_f64 v[64:65], v[64:65], v[66:67], v[71:72]
	v_div_fixup_f64 v[62:63], v[64:65], v[62:63], 1.0
	ds_write_b64 v1, v[62:63]
.LBB21_39:
	s_or_b32 exec_lo, exec_lo, s1
	s_waitcnt lgkmcnt(0)
	s_barrier
	buffer_gl0_inv
	ds_read_b64 v[62:63], v1
	s_mov_b32 s1, exec_lo
	v_cmpx_lt_u32_e32 7, v0
	s_cbranch_execz .LBB21_41
; %bb.40:
	s_waitcnt lgkmcnt(0)
	v_mul_f64 v[28:29], v[28:29], v[62:63]
	ds_read2_b64 v[64:67], v68 offset0:8 offset1:9
	ds_read_b64 v[69:70], v68 offset:80
	s_waitcnt lgkmcnt(1)
	v_fma_f64 v[34:35], -v[28:29], v[64:65], v[34:35]
	v_fma_f64 v[36:37], -v[28:29], v[66:67], v[36:37]
	s_waitcnt lgkmcnt(0)
	v_fma_f64 v[46:47], -v[28:29], v[69:70], v[46:47]
.LBB21_41:
	s_or_b32 exec_lo, exec_lo, s1
	s_mov_b32 s1, exec_lo
	s_waitcnt lgkmcnt(0)
	s_barrier
	buffer_gl0_inv
	v_cmpx_eq_u32_e32 8, v0
	s_cbranch_execz .LBB21_44
; %bb.42:
	ds_write_b64 v1, v[34:35]
	ds_write2_b64 v68, v[36:37], v[46:47] offset0:9 offset1:10
	ds_read_b64 v[64:65], v1
	s_waitcnt lgkmcnt(0)
	v_cmp_neq_f64_e32 vcc_lo, 0, v[64:65]
	s_and_b32 exec_lo, exec_lo, vcc_lo
	s_cbranch_execz .LBB21_44
; %bb.43:
	v_div_scale_f64 v[66:67], null, v[64:65], v[64:65], 1.0
	v_rcp_f64_e32 v[69:70], v[66:67]
	v_fma_f64 v[71:72], -v[66:67], v[69:70], 1.0
	v_fma_f64 v[69:70], v[69:70], v[71:72], v[69:70]
	v_fma_f64 v[71:72], -v[66:67], v[69:70], 1.0
	v_fma_f64 v[69:70], v[69:70], v[71:72], v[69:70]
	v_div_scale_f64 v[71:72], vcc_lo, 1.0, v[64:65], 1.0
	v_mul_f64 v[73:74], v[71:72], v[69:70]
	v_fma_f64 v[66:67], -v[66:67], v[73:74], v[71:72]
	v_div_fmas_f64 v[66:67], v[66:67], v[69:70], v[73:74]
	v_div_fixup_f64 v[64:65], v[66:67], v[64:65], 1.0
	ds_write_b64 v1, v[64:65]
.LBB21_44:
	s_or_b32 exec_lo, exec_lo, s1
	s_waitcnt lgkmcnt(0)
	s_barrier
	buffer_gl0_inv
	ds_read_b64 v[64:65], v1
	s_mov_b32 s1, exec_lo
	v_cmpx_lt_u32_e32 8, v0
	s_cbranch_execz .LBB21_46
; %bb.45:
	s_waitcnt lgkmcnt(0)
	v_mul_f64 v[34:35], v[34:35], v[64:65]
	ds_read2_b64 v[69:72], v68 offset0:9 offset1:10
	s_waitcnt lgkmcnt(0)
	v_fma_f64 v[36:37], -v[34:35], v[69:70], v[36:37]
	v_fma_f64 v[46:47], -v[34:35], v[71:72], v[46:47]
.LBB21_46:
	s_or_b32 exec_lo, exec_lo, s1
	s_mov_b32 s1, exec_lo
	s_waitcnt lgkmcnt(0)
	s_barrier
	buffer_gl0_inv
	v_cmpx_eq_u32_e32 9, v0
	s_cbranch_execz .LBB21_49
; %bb.47:
	ds_write_b64 v1, v[36:37]
	ds_write_b64 v68, v[46:47] offset:80
	ds_read_b64 v[66:67], v1
	s_waitcnt lgkmcnt(0)
	v_cmp_neq_f64_e32 vcc_lo, 0, v[66:67]
	s_and_b32 exec_lo, exec_lo, vcc_lo
	s_cbranch_execz .LBB21_49
; %bb.48:
	v_div_scale_f64 v[69:70], null, v[66:67], v[66:67], 1.0
	v_rcp_f64_e32 v[71:72], v[69:70]
	v_fma_f64 v[73:74], -v[69:70], v[71:72], 1.0
	v_fma_f64 v[71:72], v[71:72], v[73:74], v[71:72]
	v_fma_f64 v[73:74], -v[69:70], v[71:72], 1.0
	v_fma_f64 v[71:72], v[71:72], v[73:74], v[71:72]
	v_div_scale_f64 v[73:74], vcc_lo, 1.0, v[66:67], 1.0
	v_mul_f64 v[75:76], v[73:74], v[71:72]
	v_fma_f64 v[69:70], -v[69:70], v[75:76], v[73:74]
	v_div_fmas_f64 v[69:70], v[69:70], v[71:72], v[75:76]
	v_div_fixup_f64 v[66:67], v[69:70], v[66:67], 1.0
	ds_write_b64 v1, v[66:67]
.LBB21_49:
	s_or_b32 exec_lo, exec_lo, s1
	s_waitcnt lgkmcnt(0)
	s_barrier
	buffer_gl0_inv
	ds_read_b64 v[66:67], v1
	s_mov_b32 s1, exec_lo
	v_cmpx_lt_u32_e32 9, v0
	s_cbranch_execz .LBB21_51
; %bb.50:
	s_waitcnt lgkmcnt(0)
	v_mul_f64 v[36:37], v[36:37], v[66:67]
	ds_read_b64 v[68:69], v68 offset:80
	s_waitcnt lgkmcnt(0)
	v_fma_f64 v[46:47], -v[36:37], v[68:69], v[46:47]
.LBB21_51:
	s_or_b32 exec_lo, exec_lo, s1
	s_mov_b32 s1, exec_lo
	s_waitcnt lgkmcnt(0)
	s_barrier
	buffer_gl0_inv
	v_cmpx_ne_u32_e32 10, v0
	s_xor_b32 s1, exec_lo, s1
	s_andn2_saveexec_b32 s1, s1
	s_cbranch_execz .LBB21_55
; %bb.52:
	s_mov_b32 s2, exec_lo
	ds_write_b64 v1, v[46:47]
	v_cmpx_neq_f64_e32 0, v[46:47]
	s_cbranch_execz .LBB21_54
; %bb.53:
	v_div_scale_f64 v[68:69], null, v[46:47], v[46:47], 1.0
	v_rcp_f64_e32 v[70:71], v[68:69]
	v_fma_f64 v[72:73], -v[68:69], v[70:71], 1.0
	v_fma_f64 v[70:71], v[70:71], v[72:73], v[70:71]
	v_fma_f64 v[72:73], -v[68:69], v[70:71], 1.0
	v_fma_f64 v[70:71], v[70:71], v[72:73], v[70:71]
	v_div_scale_f64 v[72:73], vcc_lo, 1.0, v[46:47], 1.0
	v_mul_f64 v[74:75], v[72:73], v[70:71]
	v_fma_f64 v[68:69], -v[68:69], v[74:75], v[72:73]
	v_div_fmas_f64 v[68:69], v[68:69], v[70:71], v[74:75]
	v_div_fixup_f64 v[68:69], v[68:69], v[46:47], 1.0
	ds_write_b64 v1, v[68:69]
.LBB21_54:
	s_or_b32 exec_lo, exec_lo, s2
.LBB21_55:
	s_or_b32 exec_lo, exec_lo, s1
	s_waitcnt lgkmcnt(0)
	s_barrier
	buffer_gl0_inv
	ds_read_b64 v[68:69], v1
	s_waitcnt lgkmcnt(0)
	s_barrier
	buffer_gl0_inv
	s_and_saveexec_b32 s3, s0
	s_cbranch_execz .LBB21_58
; %bb.56:
	s_load_dwordx2 s[0:1], s[4:5], 0x28
	v_lshlrev_b64 v[1:2], 2, v[2:3]
	v_cmp_eq_f64_e64 s2, 0, v[54:55]
	s_waitcnt lgkmcnt(0)
	v_add_co_u32 v1, vcc_lo, s0, v1
	v_add_co_ci_u32_e64 v2, null, s1, v2, vcc_lo
	v_cmp_eq_f64_e32 vcc_lo, 0, v[48:49]
	v_cmp_neq_f64_e64 s0, 0, v[50:51]
	v_cmp_eq_f64_e64 s1, 0, v[52:53]
	global_load_dword v70, v[1:2], off
	v_cndmask_b32_e64 v3, 0, 1, vcc_lo
	s_or_b32 vcc_lo, s0, vcc_lo
	v_cmp_eq_f64_e64 s0, 0, v[56:57]
	v_cndmask_b32_e32 v3, 2, v3, vcc_lo
	v_cmp_eq_u32_e32 vcc_lo, 0, v3
	s_and_b32 s1, s1, vcc_lo
	v_cndmask_b32_e64 v3, v3, 3, s1
	v_cmp_eq_f64_e64 s1, 0, v[58:59]
	v_cmp_eq_u32_e32 vcc_lo, 0, v3
	s_and_b32 s2, s2, vcc_lo
	v_cndmask_b32_e64 v3, v3, 4, s2
	v_cmp_eq_f64_e64 s2, 0, v[60:61]
	;; [unrolled: 4-line block ×6, first 2 shown]
	v_cmp_eq_u32_e32 vcc_lo, 0, v3
	s_and_b32 s1, s1, vcc_lo
	v_cndmask_b32_e64 v3, v3, 9, s1
	v_cmp_eq_u32_e32 vcc_lo, 0, v3
	s_and_b32 s1, s2, vcc_lo
	v_cndmask_b32_e64 v3, v3, 10, s1
	;; [unrolled: 3-line block ×3, first 2 shown]
	v_cmp_ne_u32_e64 s0, 0, v3
	s_waitcnt vmcnt(0)
	v_cmp_eq_u32_e32 vcc_lo, 0, v70
	s_and_b32 s0, vcc_lo, s0
	s_and_b32 exec_lo, exec_lo, s0
	s_cbranch_execz .LBB21_58
; %bb.57:
	v_add_nc_u32_e32 v3, s9, v3
	global_store_dword v[1:2], v3, off
.LBB21_58:
	s_or_b32 exec_lo, exec_lo, s3
	v_mul_f64 v[1:2], v[46:47], v[68:69]
	v_cmp_lt_u32_e32 vcc_lo, 10, v0
	flat_store_dwordx2 v[4:5], v[38:39]
	flat_store_dwordx2 v[32:33], v[40:41]
	;; [unrolled: 1-line block ×5, first 2 shown]
	v_cndmask_b32_e32 v2, v47, v2, vcc_lo
	v_cndmask_b32_e32 v1, v46, v1, vcc_lo
	flat_store_dwordx2 v[10:11], v[24:25]
	flat_store_dwordx2 v[14:15], v[26:27]
	flat_store_dwordx2 v[16:17], v[28:29]
	flat_store_dwordx2 v[18:19], v[34:35]
	flat_store_dwordx2 v[20:21], v[36:37]
	flat_store_dwordx2 v[22:23], v[1:2]
.LBB21_59:
	s_endpgm
	.section	.rodata,"a",@progbits
	.p2align	6, 0x0
	.amdhsa_kernel _ZN9rocsolver6v33100L23getf2_npvt_small_kernelILi11EdiiPKPdEEvT1_T3_lS5_lPT2_S5_S5_
		.amdhsa_group_segment_fixed_size 0
		.amdhsa_private_segment_fixed_size 0
		.amdhsa_kernarg_size 312
		.amdhsa_user_sgpr_count 6
		.amdhsa_user_sgpr_private_segment_buffer 1
		.amdhsa_user_sgpr_dispatch_ptr 0
		.amdhsa_user_sgpr_queue_ptr 0
		.amdhsa_user_sgpr_kernarg_segment_ptr 1
		.amdhsa_user_sgpr_dispatch_id 0
		.amdhsa_user_sgpr_flat_scratch_init 0
		.amdhsa_user_sgpr_private_segment_size 0
		.amdhsa_wavefront_size32 1
		.amdhsa_uses_dynamic_stack 0
		.amdhsa_system_sgpr_private_segment_wavefront_offset 0
		.amdhsa_system_sgpr_workgroup_id_x 1
		.amdhsa_system_sgpr_workgroup_id_y 1
		.amdhsa_system_sgpr_workgroup_id_z 0
		.amdhsa_system_sgpr_workgroup_info 0
		.amdhsa_system_vgpr_workitem_id 1
		.amdhsa_next_free_vgpr 77
		.amdhsa_next_free_sgpr 11
		.amdhsa_reserve_vcc 1
		.amdhsa_reserve_flat_scratch 1
		.amdhsa_float_round_mode_32 0
		.amdhsa_float_round_mode_16_64 0
		.amdhsa_float_denorm_mode_32 3
		.amdhsa_float_denorm_mode_16_64 3
		.amdhsa_dx10_clamp 1
		.amdhsa_ieee_mode 1
		.amdhsa_fp16_overflow 0
		.amdhsa_workgroup_processor_mode 1
		.amdhsa_memory_ordered 1
		.amdhsa_forward_progress 1
		.amdhsa_shared_vgpr_count 0
		.amdhsa_exception_fp_ieee_invalid_op 0
		.amdhsa_exception_fp_denorm_src 0
		.amdhsa_exception_fp_ieee_div_zero 0
		.amdhsa_exception_fp_ieee_overflow 0
		.amdhsa_exception_fp_ieee_underflow 0
		.amdhsa_exception_fp_ieee_inexact 0
		.amdhsa_exception_int_div_zero 0
	.end_amdhsa_kernel
	.section	.text._ZN9rocsolver6v33100L23getf2_npvt_small_kernelILi11EdiiPKPdEEvT1_T3_lS5_lPT2_S5_S5_,"axG",@progbits,_ZN9rocsolver6v33100L23getf2_npvt_small_kernelILi11EdiiPKPdEEvT1_T3_lS5_lPT2_S5_S5_,comdat
.Lfunc_end21:
	.size	_ZN9rocsolver6v33100L23getf2_npvt_small_kernelILi11EdiiPKPdEEvT1_T3_lS5_lPT2_S5_S5_, .Lfunc_end21-_ZN9rocsolver6v33100L23getf2_npvt_small_kernelILi11EdiiPKPdEEvT1_T3_lS5_lPT2_S5_S5_
                                        ; -- End function
	.set _ZN9rocsolver6v33100L23getf2_npvt_small_kernelILi11EdiiPKPdEEvT1_T3_lS5_lPT2_S5_S5_.num_vgpr, 77
	.set _ZN9rocsolver6v33100L23getf2_npvt_small_kernelILi11EdiiPKPdEEvT1_T3_lS5_lPT2_S5_S5_.num_agpr, 0
	.set _ZN9rocsolver6v33100L23getf2_npvt_small_kernelILi11EdiiPKPdEEvT1_T3_lS5_lPT2_S5_S5_.numbered_sgpr, 11
	.set _ZN9rocsolver6v33100L23getf2_npvt_small_kernelILi11EdiiPKPdEEvT1_T3_lS5_lPT2_S5_S5_.num_named_barrier, 0
	.set _ZN9rocsolver6v33100L23getf2_npvt_small_kernelILi11EdiiPKPdEEvT1_T3_lS5_lPT2_S5_S5_.private_seg_size, 0
	.set _ZN9rocsolver6v33100L23getf2_npvt_small_kernelILi11EdiiPKPdEEvT1_T3_lS5_lPT2_S5_S5_.uses_vcc, 1
	.set _ZN9rocsolver6v33100L23getf2_npvt_small_kernelILi11EdiiPKPdEEvT1_T3_lS5_lPT2_S5_S5_.uses_flat_scratch, 1
	.set _ZN9rocsolver6v33100L23getf2_npvt_small_kernelILi11EdiiPKPdEEvT1_T3_lS5_lPT2_S5_S5_.has_dyn_sized_stack, 0
	.set _ZN9rocsolver6v33100L23getf2_npvt_small_kernelILi11EdiiPKPdEEvT1_T3_lS5_lPT2_S5_S5_.has_recursion, 0
	.set _ZN9rocsolver6v33100L23getf2_npvt_small_kernelILi11EdiiPKPdEEvT1_T3_lS5_lPT2_S5_S5_.has_indirect_call, 0
	.section	.AMDGPU.csdata,"",@progbits
; Kernel info:
; codeLenInByte = 4372
; TotalNumSgprs: 13
; NumVgprs: 77
; ScratchSize: 0
; MemoryBound: 0
; FloatMode: 240
; IeeeMode: 1
; LDSByteSize: 0 bytes/workgroup (compile time only)
; SGPRBlocks: 0
; VGPRBlocks: 9
; NumSGPRsForWavesPerEU: 13
; NumVGPRsForWavesPerEU: 77
; Occupancy: 12
; WaveLimiterHint : 1
; COMPUTE_PGM_RSRC2:SCRATCH_EN: 0
; COMPUTE_PGM_RSRC2:USER_SGPR: 6
; COMPUTE_PGM_RSRC2:TRAP_HANDLER: 0
; COMPUTE_PGM_RSRC2:TGID_X_EN: 1
; COMPUTE_PGM_RSRC2:TGID_Y_EN: 1
; COMPUTE_PGM_RSRC2:TGID_Z_EN: 0
; COMPUTE_PGM_RSRC2:TIDIG_COMP_CNT: 1
	.section	.text._ZN9rocsolver6v33100L18getf2_small_kernelILi12EdiiPKPdEEvT1_T3_lS5_lPS5_llPT2_S5_S5_S7_l,"axG",@progbits,_ZN9rocsolver6v33100L18getf2_small_kernelILi12EdiiPKPdEEvT1_T3_lS5_lPS5_llPT2_S5_S5_S7_l,comdat
	.globl	_ZN9rocsolver6v33100L18getf2_small_kernelILi12EdiiPKPdEEvT1_T3_lS5_lPS5_llPT2_S5_S5_S7_l ; -- Begin function _ZN9rocsolver6v33100L18getf2_small_kernelILi12EdiiPKPdEEvT1_T3_lS5_lPS5_llPT2_S5_S5_S7_l
	.p2align	8
	.type	_ZN9rocsolver6v33100L18getf2_small_kernelILi12EdiiPKPdEEvT1_T3_lS5_lPS5_llPT2_S5_S5_S7_l,@function
_ZN9rocsolver6v33100L18getf2_small_kernelILi12EdiiPKPdEEvT1_T3_lS5_lPS5_llPT2_S5_S5_S7_l: ; @_ZN9rocsolver6v33100L18getf2_small_kernelILi12EdiiPKPdEEvT1_T3_lS5_lPS5_llPT2_S5_S5_S7_l
; %bb.0:
	s_clause 0x1
	s_load_dword s0, s[4:5], 0x6c
	s_load_dwordx2 s[12:13], s[4:5], 0x48
	s_waitcnt lgkmcnt(0)
	s_lshr_b32 s0, s0, 16
	v_mad_u64_u32 v[2:3], null, s7, s0, v[1:2]
	s_mov_b32 s0, exec_lo
	v_cmpx_gt_i32_e64 s12, v2
	s_cbranch_execz .LBB22_201
; %bb.1:
	s_clause 0x1
	s_load_dwordx4 s[0:3], s[4:5], 0x8
	s_load_dwordx4 s[8:11], s[4:5], 0x50
	v_ashrrev_i32_e32 v3, 31, v2
	v_mov_b32_e32 v26, 0
	v_mov_b32_e32 v27, 0
	v_lshlrev_b64 v[4:5], 3, v[2:3]
	s_waitcnt lgkmcnt(0)
	v_add_co_u32 v4, vcc_lo, s0, v4
	v_add_co_ci_u32_e64 v5, null, s1, v5, vcc_lo
	s_cmp_eq_u64 s[8:9], 0
	s_cselect_b32 s6, -1, 0
	global_load_dwordx2 v[4:5], v[4:5], off
	s_and_b32 vcc_lo, exec_lo, s6
	s_cbranch_vccnz .LBB22_3
; %bb.2:
	v_mul_lo_u32 v8, s11, v2
	v_mul_lo_u32 v9, s10, v3
	v_mad_u64_u32 v[6:7], null, s10, v2, 0
	v_add3_u32 v7, v7, v9, v8
	v_lshlrev_b64 v[6:7], 2, v[6:7]
	v_add_co_u32 v26, vcc_lo, s8, v6
	v_add_co_ci_u32_e64 v27, null, s9, v7, vcc_lo
.LBB22_3:
	s_load_dword s8, s[4:5], 0x18
	s_lshl_b64 s[0:1], s[2:3], 3
	s_load_dword s2, s[4:5], 0x0
	s_waitcnt vmcnt(0)
	v_add_co_u32 v34, vcc_lo, v4, s0
	v_lshlrev_b32_e32 v38, 3, v0
	v_add_co_ci_u32_e64 v35, null, s1, v5, vcc_lo
	v_add_co_u32 v8, vcc_lo, v34, v38
	v_add_co_ci_u32_e64 v9, null, 0, v35, vcc_lo
	s_waitcnt lgkmcnt(0)
	v_add3_u32 v6, s8, s8, v0
	s_ashr_i32 s9, s8, 31
	s_max_i32 s0, s2, 12
	s_lshl_b64 s[10:11], s[8:9], 3
	v_mul_lo_u32 v1, s0, v1
	v_add_nc_u32_e32 v4, s8, v6
	v_ashrrev_i32_e32 v7, 31, v6
	v_add_co_u32 v12, vcc_lo, v8, s10
	v_add_co_ci_u32_e64 v13, null, s11, v9, vcc_lo
	v_add_nc_u32_e32 v10, s8, v4
	v_ashrrev_i32_e32 v5, 31, v4
	v_lshlrev_b64 v[6:7], 3, v[6:7]
	s_cmp_lt_i32 s2, 2
	v_add_nc_u32_e32 v14, s8, v10
	v_lshlrev_b64 v[4:5], 3, v[4:5]
	v_ashrrev_i32_e32 v11, 31, v10
	v_add_co_u32 v6, vcc_lo, v34, v6
	v_add_nc_u32_e32 v20, s8, v14
	v_ashrrev_i32_e32 v15, 31, v14
	v_add_co_ci_u32_e64 v7, null, v35, v7, vcc_lo
	v_add_co_u32 v4, vcc_lo, v34, v4
	v_add_nc_u32_e32 v24, s8, v20
	v_lshlrev_b64 v[10:11], 3, v[10:11]
	v_add_co_ci_u32_e64 v5, null, v35, v5, vcc_lo
	v_lshlrev_b64 v[22:23], 3, v[14:15]
	v_ashrrev_i32_e32 v21, 31, v20
	s_clause 0x3
	flat_load_dwordx2 v[18:19], v[8:9]
	flat_load_dwordx2 v[16:17], v[12:13]
	;; [unrolled: 1-line block ×4, first 2 shown]
	v_add_nc_u32_e32 v8, s8, v24
	v_ashrrev_i32_e32 v25, 31, v24
	v_add_co_u32 v4, vcc_lo, v34, v10
	v_add_co_ci_u32_e64 v5, null, v35, v11, vcc_lo
	v_lshlrev_b64 v[6:7], 3, v[20:21]
	v_add_co_u32 v10, vcc_lo, v34, v22
	v_add_nc_u32_e32 v22, s8, v8
	v_lshlrev_b64 v[20:21], 3, v[24:25]
	v_add_co_ci_u32_e64 v11, null, v35, v23, vcc_lo
	v_ashrrev_i32_e32 v9, 31, v8
	v_ashrrev_i32_e32 v23, 31, v22
	v_add_nc_u32_e32 v24, s8, v22
	v_add_co_u32 v6, vcc_lo, v34, v6
	v_add_co_ci_u32_e64 v7, null, v35, v7, vcc_lo
	v_add_co_u32 v28, vcc_lo, v34, v20
	v_lshlrev_b64 v[8:9], 3, v[8:9]
	v_add_co_ci_u32_e64 v29, null, v35, v21, vcc_lo
	v_lshlrev_b64 v[20:21], 3, v[22:23]
	v_add_nc_u32_e32 v22, s8, v24
	v_ashrrev_i32_e32 v25, 31, v24
	v_add_co_u32 v8, vcc_lo, v34, v8
	v_add_co_ci_u32_e64 v9, null, v35, v9, vcc_lo
	v_ashrrev_i32_e32 v23, 31, v22
	v_lshlrev_b64 v[24:25], 3, v[24:25]
	v_add_co_u32 v30, vcc_lo, v34, v20
	v_add_co_ci_u32_e64 v31, null, v35, v21, vcc_lo
	v_lshlrev_b64 v[20:21], 3, v[22:23]
	v_add_co_u32 v32, vcc_lo, v34, v24
	v_add_co_ci_u32_e64 v33, null, v35, v25, vcc_lo
	v_add_co_u32 v36, vcc_lo, v34, v20
	v_add_co_ci_u32_e64 v37, null, v35, v21, vcc_lo
	s_clause 0x7
	flat_load_dwordx2 v[24:25], v[4:5]
	flat_load_dwordx2 v[22:23], v[10:11]
	;; [unrolled: 1-line block ×8, first 2 shown]
	v_lshl_add_u32 v36, v1, 3, 0
	v_mov_b32_e32 v32, 0
	v_lshlrev_b32_e32 v37, 3, v1
	v_add_nc_u32_e32 v30, v36, v38
	s_waitcnt vmcnt(11) lgkmcnt(11)
	ds_write_b64 v30, v[18:19]
	s_waitcnt vmcnt(0) lgkmcnt(0)
	s_barrier
	buffer_gl0_inv
	ds_read_b64 v[30:31], v36
	s_cbranch_scc1 .LBB22_6
; %bb.4:
	v_add3_u32 v1, v37, 0, 8
	v_mov_b32_e32 v32, 0
	s_mov_b32 s0, 1
.LBB22_5:                               ; =>This Inner Loop Header: Depth=1
	ds_read_b64 v[38:39], v1
	v_add_nc_u32_e32 v1, 8, v1
	s_waitcnt lgkmcnt(0)
	v_cmp_lt_f64_e64 vcc_lo, |v[30:31]|, |v[38:39]|
	v_cndmask_b32_e32 v31, v31, v39, vcc_lo
	v_cndmask_b32_e32 v30, v30, v38, vcc_lo
	v_cndmask_b32_e64 v32, v32, s0, vcc_lo
	s_add_i32 s0, s0, 1
	s_cmp_eq_u32 s2, s0
	s_cbranch_scc0 .LBB22_5
.LBB22_6:
	s_mov_b32 s0, exec_lo
                                        ; implicit-def: $vgpr38
	v_cmpx_ne_u32_e64 v0, v32
	s_xor_b32 s0, exec_lo, s0
	s_cbranch_execz .LBB22_12
; %bb.7:
	s_mov_b32 s1, exec_lo
	v_cmpx_eq_u32_e32 0, v0
	s_cbranch_execz .LBB22_11
; %bb.8:
	v_cmp_ne_u32_e32 vcc_lo, 0, v32
	s_xor_b32 s3, s6, -1
	s_and_b32 s7, s3, vcc_lo
	s_and_saveexec_b32 s3, s7
	s_cbranch_execz .LBB22_10
; %bb.9:
	v_ashrrev_i32_e32 v33, 31, v32
	v_lshlrev_b64 v[0:1], 2, v[32:33]
	v_add_co_u32 v0, vcc_lo, v26, v0
	v_add_co_ci_u32_e64 v1, null, v27, v1, vcc_lo
	s_clause 0x1
	global_load_dword v33, v[0:1], off
	global_load_dword v38, v[26:27], off
	s_waitcnt vmcnt(1)
	global_store_dword v[26:27], v33, off
	s_waitcnt vmcnt(0)
	global_store_dword v[0:1], v38, off
.LBB22_10:
	s_or_b32 exec_lo, exec_lo, s3
	v_mov_b32_e32 v0, v32
.LBB22_11:
	s_or_b32 exec_lo, exec_lo, s1
	v_mov_b32_e32 v38, v0
                                        ; implicit-def: $vgpr0
.LBB22_12:
	s_or_saveexec_b32 s0, s0
	v_mov_b32_e32 v33, v38
	s_xor_b32 exec_lo, exec_lo, s0
	s_cbranch_execz .LBB22_14
; %bb.13:
	v_mov_b32_e32 v38, 0
	v_mov_b32_e32 v33, v0
	ds_write2_b64 v36, v[16:17], v[14:15] offset0:1 offset1:2
	ds_write2_b64 v36, v[12:13], v[24:25] offset0:3 offset1:4
	;; [unrolled: 1-line block ×5, first 2 shown]
	ds_write_b64 v36, v[28:29] offset:88
.LBB22_14:
	s_or_b32 exec_lo, exec_lo, s0
	s_waitcnt lgkmcnt(0)
	v_cmp_eq_f64_e64 s0, 0, v[30:31]
	s_mov_b32 s1, exec_lo
	s_waitcnt_vscnt null, 0x0
	s_barrier
	buffer_gl0_inv
	v_cmpx_lt_i32_e32 0, v38
	s_cbranch_execz .LBB22_16
; %bb.15:
	v_div_scale_f64 v[0:1], null, v[30:31], v[30:31], 1.0
	v_div_scale_f64 v[43:44], vcc_lo, 1.0, v[30:31], 1.0
	v_rcp_f64_e32 v[39:40], v[0:1]
	v_fma_f64 v[41:42], -v[0:1], v[39:40], 1.0
	v_fma_f64 v[39:40], v[39:40], v[41:42], v[39:40]
	v_fma_f64 v[41:42], -v[0:1], v[39:40], 1.0
	v_fma_f64 v[39:40], v[39:40], v[41:42], v[39:40]
	v_mul_f64 v[41:42], v[43:44], v[39:40]
	v_fma_f64 v[0:1], -v[0:1], v[41:42], v[43:44]
	v_div_fmas_f64 v[0:1], v[0:1], v[39:40], v[41:42]
	v_div_fixup_f64 v[0:1], v[0:1], v[30:31], 1.0
	v_cndmask_b32_e64 v1, v1, v31, s0
	v_cndmask_b32_e64 v0, v0, v30, s0
	v_mul_f64 v[18:19], v[18:19], v[0:1]
	ds_read2_b64 v[39:42], v36 offset0:1 offset1:2
	ds_read2_b64 v[43:46], v36 offset0:3 offset1:4
	;; [unrolled: 1-line block ×5, first 2 shown]
	ds_read_b64 v[0:1], v36 offset:88
	s_waitcnt lgkmcnt(5)
	v_fma_f64 v[16:17], -v[18:19], v[39:40], v[16:17]
	v_fma_f64 v[14:15], -v[18:19], v[41:42], v[14:15]
	s_waitcnt lgkmcnt(4)
	v_fma_f64 v[12:13], -v[18:19], v[43:44], v[12:13]
	v_fma_f64 v[24:25], -v[18:19], v[45:46], v[24:25]
	;; [unrolled: 3-line block ×5, first 2 shown]
	s_waitcnt lgkmcnt(0)
	v_fma_f64 v[28:29], -v[18:19], v[0:1], v[28:29]
.LBB22_16:
	s_or_b32 exec_lo, exec_lo, s1
	v_lshl_add_u32 v0, v38, 3, v36
	s_barrier
	buffer_gl0_inv
	v_mov_b32_e32 v30, 1
	ds_write_b64 v0, v[16:17]
	s_waitcnt lgkmcnt(0)
	s_barrier
	buffer_gl0_inv
	ds_read_b64 v[0:1], v36 offset:8
	s_cmp_lt_i32 s2, 3
	s_cbranch_scc1 .LBB22_19
; %bb.17:
	v_add3_u32 v31, v37, 0, 16
	v_mov_b32_e32 v30, 1
	s_mov_b32 s1, 2
.LBB22_18:                              ; =>This Inner Loop Header: Depth=1
	ds_read_b64 v[39:40], v31
	v_add_nc_u32_e32 v31, 8, v31
	s_waitcnt lgkmcnt(0)
	v_cmp_lt_f64_e64 vcc_lo, |v[0:1]|, |v[39:40]|
	v_cndmask_b32_e32 v1, v1, v40, vcc_lo
	v_cndmask_b32_e32 v0, v0, v39, vcc_lo
	v_cndmask_b32_e64 v30, v30, s1, vcc_lo
	s_add_i32 s1, s1, 1
	s_cmp_lg_u32 s2, s1
	s_cbranch_scc1 .LBB22_18
.LBB22_19:
	s_mov_b32 s1, exec_lo
	v_cmpx_ne_u32_e64 v38, v30
	s_xor_b32 s1, exec_lo, s1
	s_cbranch_execz .LBB22_25
; %bb.20:
	s_mov_b32 s3, exec_lo
	v_cmpx_eq_u32_e32 1, v38
	s_cbranch_execz .LBB22_24
; %bb.21:
	v_cmp_ne_u32_e32 vcc_lo, 1, v30
	s_xor_b32 s7, s6, -1
	s_and_b32 s9, s7, vcc_lo
	s_and_saveexec_b32 s7, s9
	s_cbranch_execz .LBB22_23
; %bb.22:
	v_ashrrev_i32_e32 v31, 31, v30
	v_lshlrev_b64 v[31:32], 2, v[30:31]
	v_add_co_u32 v31, vcc_lo, v26, v31
	v_add_co_ci_u32_e64 v32, null, v27, v32, vcc_lo
	s_clause 0x1
	global_load_dword v33, v[31:32], off
	global_load_dword v38, v[26:27], off offset:4
	s_waitcnt vmcnt(1)
	global_store_dword v[26:27], v33, off offset:4
	s_waitcnt vmcnt(0)
	global_store_dword v[31:32], v38, off
.LBB22_23:
	s_or_b32 exec_lo, exec_lo, s7
	v_mov_b32_e32 v33, v30
	v_mov_b32_e32 v38, v30
.LBB22_24:
	s_or_b32 exec_lo, exec_lo, s3
.LBB22_25:
	s_andn2_saveexec_b32 s1, s1
	s_cbranch_execz .LBB22_27
; %bb.26:
	v_mov_b32_e32 v38, 1
	ds_write2_b64 v36, v[14:15], v[12:13] offset0:2 offset1:3
	ds_write2_b64 v36, v[24:25], v[22:23] offset0:4 offset1:5
	;; [unrolled: 1-line block ×5, first 2 shown]
.LBB22_27:
	s_or_b32 exec_lo, exec_lo, s1
	s_waitcnt lgkmcnt(0)
	v_cmp_neq_f64_e64 s1, 0, v[0:1]
	s_mov_b32 s3, exec_lo
	s_waitcnt_vscnt null, 0x0
	s_barrier
	buffer_gl0_inv
	v_cmpx_lt_i32_e32 1, v38
	s_cbranch_execz .LBB22_29
; %bb.28:
	v_div_scale_f64 v[30:31], null, v[0:1], v[0:1], 1.0
	v_div_scale_f64 v[43:44], vcc_lo, 1.0, v[0:1], 1.0
	v_rcp_f64_e32 v[39:40], v[30:31]
	v_fma_f64 v[41:42], -v[30:31], v[39:40], 1.0
	v_fma_f64 v[39:40], v[39:40], v[41:42], v[39:40]
	v_fma_f64 v[41:42], -v[30:31], v[39:40], 1.0
	v_fma_f64 v[39:40], v[39:40], v[41:42], v[39:40]
	v_mul_f64 v[41:42], v[43:44], v[39:40]
	v_fma_f64 v[30:31], -v[30:31], v[41:42], v[43:44]
	v_div_fmas_f64 v[30:31], v[30:31], v[39:40], v[41:42]
	ds_read2_b64 v[39:42], v36 offset0:2 offset1:3
	ds_read2_b64 v[43:46], v36 offset0:4 offset1:5
	;; [unrolled: 1-line block ×5, first 2 shown]
	v_div_fixup_f64 v[30:31], v[30:31], v[0:1], 1.0
	v_cndmask_b32_e64 v1, v1, v31, s1
	v_cndmask_b32_e64 v0, v0, v30, s1
	v_mul_f64 v[16:17], v[16:17], v[0:1]
	s_waitcnt lgkmcnt(4)
	v_fma_f64 v[14:15], -v[16:17], v[39:40], v[14:15]
	v_fma_f64 v[12:13], -v[16:17], v[41:42], v[12:13]
	s_waitcnt lgkmcnt(3)
	v_fma_f64 v[24:25], -v[16:17], v[43:44], v[24:25]
	v_fma_f64 v[22:23], -v[16:17], v[45:46], v[22:23]
	;; [unrolled: 3-line block ×5, first 2 shown]
.LBB22_29:
	s_or_b32 exec_lo, exec_lo, s3
	v_lshl_add_u32 v0, v38, 3, v36
	s_barrier
	buffer_gl0_inv
	v_mov_b32_e32 v30, 2
	ds_write_b64 v0, v[14:15]
	s_waitcnt lgkmcnt(0)
	s_barrier
	buffer_gl0_inv
	ds_read_b64 v[0:1], v36 offset:16
	s_cmp_lt_i32 s2, 4
	s_mov_b32 s3, 3
	s_cbranch_scc1 .LBB22_32
; %bb.30:
	v_add3_u32 v31, v37, 0, 24
	v_mov_b32_e32 v30, 2
.LBB22_31:                              ; =>This Inner Loop Header: Depth=1
	ds_read_b64 v[39:40], v31
	v_add_nc_u32_e32 v31, 8, v31
	s_waitcnt lgkmcnt(0)
	v_cmp_lt_f64_e64 vcc_lo, |v[0:1]|, |v[39:40]|
	v_cndmask_b32_e32 v1, v1, v40, vcc_lo
	v_cndmask_b32_e32 v0, v0, v39, vcc_lo
	v_cndmask_b32_e64 v30, v30, s3, vcc_lo
	s_add_i32 s3, s3, 1
	s_cmp_lg_u32 s2, s3
	s_cbranch_scc1 .LBB22_31
.LBB22_32:
	v_cndmask_b32_e64 v31, 2, 1, s0
	v_cndmask_b32_e64 v32, 0, 1, s0
	s_mov_b32 s0, exec_lo
	v_cndmask_b32_e64 v39, v31, v32, s1
	s_waitcnt lgkmcnt(0)
	v_cmpx_eq_f64_e32 0, v[0:1]
	s_xor_b32 s0, exec_lo, s0
; %bb.33:
	v_cmp_ne_u32_e32 vcc_lo, 0, v39
	v_cndmask_b32_e32 v39, 3, v39, vcc_lo
; %bb.34:
	s_andn2_saveexec_b32 s0, s0
	s_cbranch_execz .LBB22_36
; %bb.35:
	v_div_scale_f64 v[31:32], null, v[0:1], v[0:1], 1.0
	v_rcp_f64_e32 v[40:41], v[31:32]
	v_fma_f64 v[42:43], -v[31:32], v[40:41], 1.0
	v_fma_f64 v[40:41], v[40:41], v[42:43], v[40:41]
	v_fma_f64 v[42:43], -v[31:32], v[40:41], 1.0
	v_fma_f64 v[40:41], v[40:41], v[42:43], v[40:41]
	v_div_scale_f64 v[42:43], vcc_lo, 1.0, v[0:1], 1.0
	v_mul_f64 v[44:45], v[42:43], v[40:41]
	v_fma_f64 v[31:32], -v[31:32], v[44:45], v[42:43]
	v_div_fmas_f64 v[31:32], v[31:32], v[40:41], v[44:45]
	v_div_fixup_f64 v[0:1], v[31:32], v[0:1], 1.0
.LBB22_36:
	s_or_b32 exec_lo, exec_lo, s0
	s_mov_b32 s0, exec_lo
	v_cmpx_ne_u32_e64 v38, v30
	s_xor_b32 s0, exec_lo, s0
	s_cbranch_execz .LBB22_42
; %bb.37:
	s_mov_b32 s1, exec_lo
	v_cmpx_eq_u32_e32 2, v38
	s_cbranch_execz .LBB22_41
; %bb.38:
	v_cmp_ne_u32_e32 vcc_lo, 2, v30
	s_xor_b32 s3, s6, -1
	s_and_b32 s7, s3, vcc_lo
	s_and_saveexec_b32 s3, s7
	s_cbranch_execz .LBB22_40
; %bb.39:
	v_ashrrev_i32_e32 v31, 31, v30
	v_lshlrev_b64 v[31:32], 2, v[30:31]
	v_add_co_u32 v31, vcc_lo, v26, v31
	v_add_co_ci_u32_e64 v32, null, v27, v32, vcc_lo
	s_clause 0x1
	global_load_dword v33, v[31:32], off
	global_load_dword v38, v[26:27], off offset:8
	s_waitcnt vmcnt(1)
	global_store_dword v[26:27], v33, off offset:8
	s_waitcnt vmcnt(0)
	global_store_dword v[31:32], v38, off
.LBB22_40:
	s_or_b32 exec_lo, exec_lo, s3
	v_mov_b32_e32 v33, v30
	v_mov_b32_e32 v38, v30
.LBB22_41:
	s_or_b32 exec_lo, exec_lo, s1
.LBB22_42:
	s_andn2_saveexec_b32 s0, s0
	s_cbranch_execz .LBB22_44
; %bb.43:
	v_mov_b32_e32 v38, 2
	ds_write2_b64 v36, v[12:13], v[24:25] offset0:3 offset1:4
	ds_write2_b64 v36, v[22:23], v[20:21] offset0:5 offset1:6
	ds_write2_b64 v36, v[4:5], v[6:7] offset0:7 offset1:8
	ds_write2_b64 v36, v[8:9], v[10:11] offset0:9 offset1:10
	ds_write_b64 v36, v[28:29] offset:88
.LBB22_44:
	s_or_b32 exec_lo, exec_lo, s0
	s_mov_b32 s0, exec_lo
	s_waitcnt lgkmcnt(0)
	s_waitcnt_vscnt null, 0x0
	s_barrier
	buffer_gl0_inv
	v_cmpx_lt_i32_e32 2, v38
	s_cbranch_execz .LBB22_46
; %bb.45:
	v_mul_f64 v[14:15], v[14:15], v[0:1]
	ds_read2_b64 v[40:43], v36 offset0:3 offset1:4
	ds_read2_b64 v[44:47], v36 offset0:5 offset1:6
	;; [unrolled: 1-line block ×4, first 2 shown]
	ds_read_b64 v[0:1], v36 offset:88
	s_waitcnt lgkmcnt(4)
	v_fma_f64 v[12:13], -v[14:15], v[40:41], v[12:13]
	v_fma_f64 v[24:25], -v[14:15], v[42:43], v[24:25]
	s_waitcnt lgkmcnt(3)
	v_fma_f64 v[22:23], -v[14:15], v[44:45], v[22:23]
	v_fma_f64 v[20:21], -v[14:15], v[46:47], v[20:21]
	s_waitcnt lgkmcnt(2)
	v_fma_f64 v[4:5], -v[14:15], v[48:49], v[4:5]
	v_fma_f64 v[6:7], -v[14:15], v[50:51], v[6:7]
	s_waitcnt lgkmcnt(1)
	v_fma_f64 v[8:9], -v[14:15], v[52:53], v[8:9]
	v_fma_f64 v[10:11], -v[14:15], v[54:55], v[10:11]
	s_waitcnt lgkmcnt(0)
	v_fma_f64 v[28:29], -v[14:15], v[0:1], v[28:29]
.LBB22_46:
	s_or_b32 exec_lo, exec_lo, s0
	v_lshl_add_u32 v0, v38, 3, v36
	s_barrier
	buffer_gl0_inv
	v_mov_b32_e32 v30, 3
	ds_write_b64 v0, v[12:13]
	s_waitcnt lgkmcnt(0)
	s_barrier
	buffer_gl0_inv
	ds_read_b64 v[0:1], v36 offset:24
	s_cmp_lt_i32 s2, 5
	s_cbranch_scc1 .LBB22_49
; %bb.47:
	v_mov_b32_e32 v30, 3
	v_add3_u32 v31, v37, 0, 32
	s_mov_b32 s0, 4
.LBB22_48:                              ; =>This Inner Loop Header: Depth=1
	ds_read_b64 v[40:41], v31
	v_add_nc_u32_e32 v31, 8, v31
	s_waitcnt lgkmcnt(0)
	v_cmp_lt_f64_e64 vcc_lo, |v[0:1]|, |v[40:41]|
	v_cndmask_b32_e32 v1, v1, v41, vcc_lo
	v_cndmask_b32_e32 v0, v0, v40, vcc_lo
	v_cndmask_b32_e64 v30, v30, s0, vcc_lo
	s_add_i32 s0, s0, 1
	s_cmp_lg_u32 s2, s0
	s_cbranch_scc1 .LBB22_48
.LBB22_49:
	s_mov_b32 s0, exec_lo
	s_waitcnt lgkmcnt(0)
	v_cmpx_eq_f64_e32 0, v[0:1]
	s_xor_b32 s0, exec_lo, s0
; %bb.50:
	v_cmp_ne_u32_e32 vcc_lo, 0, v39
	v_cndmask_b32_e32 v39, 4, v39, vcc_lo
; %bb.51:
	s_andn2_saveexec_b32 s0, s0
	s_cbranch_execz .LBB22_53
; %bb.52:
	v_div_scale_f64 v[31:32], null, v[0:1], v[0:1], 1.0
	v_rcp_f64_e32 v[40:41], v[31:32]
	v_fma_f64 v[42:43], -v[31:32], v[40:41], 1.0
	v_fma_f64 v[40:41], v[40:41], v[42:43], v[40:41]
	v_fma_f64 v[42:43], -v[31:32], v[40:41], 1.0
	v_fma_f64 v[40:41], v[40:41], v[42:43], v[40:41]
	v_div_scale_f64 v[42:43], vcc_lo, 1.0, v[0:1], 1.0
	v_mul_f64 v[44:45], v[42:43], v[40:41]
	v_fma_f64 v[31:32], -v[31:32], v[44:45], v[42:43]
	v_div_fmas_f64 v[31:32], v[31:32], v[40:41], v[44:45]
	v_div_fixup_f64 v[0:1], v[31:32], v[0:1], 1.0
.LBB22_53:
	s_or_b32 exec_lo, exec_lo, s0
	s_mov_b32 s0, exec_lo
	v_cmpx_ne_u32_e64 v38, v30
	s_xor_b32 s0, exec_lo, s0
	s_cbranch_execz .LBB22_59
; %bb.54:
	s_mov_b32 s1, exec_lo
	v_cmpx_eq_u32_e32 3, v38
	s_cbranch_execz .LBB22_58
; %bb.55:
	v_cmp_ne_u32_e32 vcc_lo, 3, v30
	s_xor_b32 s3, s6, -1
	s_and_b32 s7, s3, vcc_lo
	s_and_saveexec_b32 s3, s7
	s_cbranch_execz .LBB22_57
; %bb.56:
	v_ashrrev_i32_e32 v31, 31, v30
	v_lshlrev_b64 v[31:32], 2, v[30:31]
	v_add_co_u32 v31, vcc_lo, v26, v31
	v_add_co_ci_u32_e64 v32, null, v27, v32, vcc_lo
	s_clause 0x1
	global_load_dword v33, v[31:32], off
	global_load_dword v38, v[26:27], off offset:12
	s_waitcnt vmcnt(1)
	global_store_dword v[26:27], v33, off offset:12
	s_waitcnt vmcnt(0)
	global_store_dword v[31:32], v38, off
.LBB22_57:
	s_or_b32 exec_lo, exec_lo, s3
	v_mov_b32_e32 v33, v30
	v_mov_b32_e32 v38, v30
.LBB22_58:
	s_or_b32 exec_lo, exec_lo, s1
.LBB22_59:
	s_andn2_saveexec_b32 s0, s0
	s_cbranch_execz .LBB22_61
; %bb.60:
	v_mov_b32_e32 v38, 3
	ds_write2_b64 v36, v[24:25], v[22:23] offset0:4 offset1:5
	ds_write2_b64 v36, v[20:21], v[4:5] offset0:6 offset1:7
	;; [unrolled: 1-line block ×4, first 2 shown]
.LBB22_61:
	s_or_b32 exec_lo, exec_lo, s0
	s_mov_b32 s0, exec_lo
	s_waitcnt lgkmcnt(0)
	s_waitcnt_vscnt null, 0x0
	s_barrier
	buffer_gl0_inv
	v_cmpx_lt_i32_e32 3, v38
	s_cbranch_execz .LBB22_63
; %bb.62:
	v_mul_f64 v[12:13], v[12:13], v[0:1]
	ds_read2_b64 v[40:43], v36 offset0:4 offset1:5
	ds_read2_b64 v[44:47], v36 offset0:6 offset1:7
	;; [unrolled: 1-line block ×4, first 2 shown]
	s_waitcnt lgkmcnt(3)
	v_fma_f64 v[24:25], -v[12:13], v[40:41], v[24:25]
	v_fma_f64 v[22:23], -v[12:13], v[42:43], v[22:23]
	s_waitcnt lgkmcnt(2)
	v_fma_f64 v[20:21], -v[12:13], v[44:45], v[20:21]
	v_fma_f64 v[4:5], -v[12:13], v[46:47], v[4:5]
	;; [unrolled: 3-line block ×4, first 2 shown]
.LBB22_63:
	s_or_b32 exec_lo, exec_lo, s0
	v_lshl_add_u32 v0, v38, 3, v36
	s_barrier
	buffer_gl0_inv
	v_mov_b32_e32 v30, 4
	ds_write_b64 v0, v[24:25]
	s_waitcnt lgkmcnt(0)
	s_barrier
	buffer_gl0_inv
	ds_read_b64 v[0:1], v36 offset:32
	s_cmp_lt_i32 s2, 6
	s_cbranch_scc1 .LBB22_66
; %bb.64:
	v_add3_u32 v31, v37, 0, 40
	v_mov_b32_e32 v30, 4
	s_mov_b32 s0, 5
.LBB22_65:                              ; =>This Inner Loop Header: Depth=1
	ds_read_b64 v[40:41], v31
	v_add_nc_u32_e32 v31, 8, v31
	s_waitcnt lgkmcnt(0)
	v_cmp_lt_f64_e64 vcc_lo, |v[0:1]|, |v[40:41]|
	v_cndmask_b32_e32 v1, v1, v41, vcc_lo
	v_cndmask_b32_e32 v0, v0, v40, vcc_lo
	v_cndmask_b32_e64 v30, v30, s0, vcc_lo
	s_add_i32 s0, s0, 1
	s_cmp_lg_u32 s2, s0
	s_cbranch_scc1 .LBB22_65
.LBB22_66:
	s_mov_b32 s0, exec_lo
	s_waitcnt lgkmcnt(0)
	v_cmpx_eq_f64_e32 0, v[0:1]
	s_xor_b32 s0, exec_lo, s0
; %bb.67:
	v_cmp_ne_u32_e32 vcc_lo, 0, v39
	v_cndmask_b32_e32 v39, 5, v39, vcc_lo
; %bb.68:
	s_andn2_saveexec_b32 s0, s0
	s_cbranch_execz .LBB22_70
; %bb.69:
	v_div_scale_f64 v[31:32], null, v[0:1], v[0:1], 1.0
	v_rcp_f64_e32 v[40:41], v[31:32]
	v_fma_f64 v[42:43], -v[31:32], v[40:41], 1.0
	v_fma_f64 v[40:41], v[40:41], v[42:43], v[40:41]
	v_fma_f64 v[42:43], -v[31:32], v[40:41], 1.0
	v_fma_f64 v[40:41], v[40:41], v[42:43], v[40:41]
	v_div_scale_f64 v[42:43], vcc_lo, 1.0, v[0:1], 1.0
	v_mul_f64 v[44:45], v[42:43], v[40:41]
	v_fma_f64 v[31:32], -v[31:32], v[44:45], v[42:43]
	v_div_fmas_f64 v[31:32], v[31:32], v[40:41], v[44:45]
	v_div_fixup_f64 v[0:1], v[31:32], v[0:1], 1.0
.LBB22_70:
	s_or_b32 exec_lo, exec_lo, s0
	s_mov_b32 s0, exec_lo
	v_cmpx_ne_u32_e64 v38, v30
	s_xor_b32 s0, exec_lo, s0
	s_cbranch_execz .LBB22_76
; %bb.71:
	s_mov_b32 s1, exec_lo
	v_cmpx_eq_u32_e32 4, v38
	s_cbranch_execz .LBB22_75
; %bb.72:
	v_cmp_ne_u32_e32 vcc_lo, 4, v30
	s_xor_b32 s3, s6, -1
	s_and_b32 s7, s3, vcc_lo
	s_and_saveexec_b32 s3, s7
	s_cbranch_execz .LBB22_74
; %bb.73:
	v_ashrrev_i32_e32 v31, 31, v30
	v_lshlrev_b64 v[31:32], 2, v[30:31]
	v_add_co_u32 v31, vcc_lo, v26, v31
	v_add_co_ci_u32_e64 v32, null, v27, v32, vcc_lo
	s_clause 0x1
	global_load_dword v33, v[31:32], off
	global_load_dword v38, v[26:27], off offset:16
	s_waitcnt vmcnt(1)
	global_store_dword v[26:27], v33, off offset:16
	s_waitcnt vmcnt(0)
	global_store_dword v[31:32], v38, off
.LBB22_74:
	s_or_b32 exec_lo, exec_lo, s3
	v_mov_b32_e32 v33, v30
	v_mov_b32_e32 v38, v30
.LBB22_75:
	s_or_b32 exec_lo, exec_lo, s1
.LBB22_76:
	s_andn2_saveexec_b32 s0, s0
	s_cbranch_execz .LBB22_78
; %bb.77:
	v_mov_b32_e32 v38, 4
	ds_write2_b64 v36, v[22:23], v[20:21] offset0:5 offset1:6
	ds_write2_b64 v36, v[4:5], v[6:7] offset0:7 offset1:8
	;; [unrolled: 1-line block ×3, first 2 shown]
	ds_write_b64 v36, v[28:29] offset:88
.LBB22_78:
	s_or_b32 exec_lo, exec_lo, s0
	s_mov_b32 s0, exec_lo
	s_waitcnt lgkmcnt(0)
	s_waitcnt_vscnt null, 0x0
	s_barrier
	buffer_gl0_inv
	v_cmpx_lt_i32_e32 4, v38
	s_cbranch_execz .LBB22_80
; %bb.79:
	v_mul_f64 v[24:25], v[24:25], v[0:1]
	ds_read2_b64 v[40:43], v36 offset0:5 offset1:6
	ds_read2_b64 v[44:47], v36 offset0:7 offset1:8
	;; [unrolled: 1-line block ×3, first 2 shown]
	ds_read_b64 v[0:1], v36 offset:88
	s_waitcnt lgkmcnt(3)
	v_fma_f64 v[22:23], -v[24:25], v[40:41], v[22:23]
	v_fma_f64 v[20:21], -v[24:25], v[42:43], v[20:21]
	s_waitcnt lgkmcnt(2)
	v_fma_f64 v[4:5], -v[24:25], v[44:45], v[4:5]
	v_fma_f64 v[6:7], -v[24:25], v[46:47], v[6:7]
	;; [unrolled: 3-line block ×3, first 2 shown]
	s_waitcnt lgkmcnt(0)
	v_fma_f64 v[28:29], -v[24:25], v[0:1], v[28:29]
.LBB22_80:
	s_or_b32 exec_lo, exec_lo, s0
	v_lshl_add_u32 v0, v38, 3, v36
	s_barrier
	buffer_gl0_inv
	v_mov_b32_e32 v30, 5
	ds_write_b64 v0, v[22:23]
	s_waitcnt lgkmcnt(0)
	s_barrier
	buffer_gl0_inv
	ds_read_b64 v[0:1], v36 offset:40
	s_cmp_lt_i32 s2, 7
	s_cbranch_scc1 .LBB22_83
; %bb.81:
	v_add3_u32 v31, v37, 0, 48
	v_mov_b32_e32 v30, 5
	s_mov_b32 s0, 6
.LBB22_82:                              ; =>This Inner Loop Header: Depth=1
	ds_read_b64 v[40:41], v31
	v_add_nc_u32_e32 v31, 8, v31
	s_waitcnt lgkmcnt(0)
	v_cmp_lt_f64_e64 vcc_lo, |v[0:1]|, |v[40:41]|
	v_cndmask_b32_e32 v1, v1, v41, vcc_lo
	v_cndmask_b32_e32 v0, v0, v40, vcc_lo
	v_cndmask_b32_e64 v30, v30, s0, vcc_lo
	s_add_i32 s0, s0, 1
	s_cmp_lg_u32 s2, s0
	s_cbranch_scc1 .LBB22_82
.LBB22_83:
	s_mov_b32 s0, exec_lo
	s_waitcnt lgkmcnt(0)
	v_cmpx_eq_f64_e32 0, v[0:1]
	s_xor_b32 s0, exec_lo, s0
; %bb.84:
	v_cmp_ne_u32_e32 vcc_lo, 0, v39
	v_cndmask_b32_e32 v39, 6, v39, vcc_lo
; %bb.85:
	s_andn2_saveexec_b32 s0, s0
	s_cbranch_execz .LBB22_87
; %bb.86:
	v_div_scale_f64 v[31:32], null, v[0:1], v[0:1], 1.0
	v_rcp_f64_e32 v[40:41], v[31:32]
	v_fma_f64 v[42:43], -v[31:32], v[40:41], 1.0
	v_fma_f64 v[40:41], v[40:41], v[42:43], v[40:41]
	v_fma_f64 v[42:43], -v[31:32], v[40:41], 1.0
	v_fma_f64 v[40:41], v[40:41], v[42:43], v[40:41]
	v_div_scale_f64 v[42:43], vcc_lo, 1.0, v[0:1], 1.0
	v_mul_f64 v[44:45], v[42:43], v[40:41]
	v_fma_f64 v[31:32], -v[31:32], v[44:45], v[42:43]
	v_div_fmas_f64 v[31:32], v[31:32], v[40:41], v[44:45]
	v_div_fixup_f64 v[0:1], v[31:32], v[0:1], 1.0
.LBB22_87:
	s_or_b32 exec_lo, exec_lo, s0
	s_mov_b32 s0, exec_lo
	v_cmpx_ne_u32_e64 v38, v30
	s_xor_b32 s0, exec_lo, s0
	s_cbranch_execz .LBB22_93
; %bb.88:
	s_mov_b32 s1, exec_lo
	v_cmpx_eq_u32_e32 5, v38
	s_cbranch_execz .LBB22_92
; %bb.89:
	v_cmp_ne_u32_e32 vcc_lo, 5, v30
	s_xor_b32 s3, s6, -1
	s_and_b32 s7, s3, vcc_lo
	s_and_saveexec_b32 s3, s7
	s_cbranch_execz .LBB22_91
; %bb.90:
	v_ashrrev_i32_e32 v31, 31, v30
	v_lshlrev_b64 v[31:32], 2, v[30:31]
	v_add_co_u32 v31, vcc_lo, v26, v31
	v_add_co_ci_u32_e64 v32, null, v27, v32, vcc_lo
	s_clause 0x1
	global_load_dword v33, v[31:32], off
	global_load_dword v38, v[26:27], off offset:20
	s_waitcnt vmcnt(1)
	global_store_dword v[26:27], v33, off offset:20
	s_waitcnt vmcnt(0)
	global_store_dword v[31:32], v38, off
.LBB22_91:
	s_or_b32 exec_lo, exec_lo, s3
	v_mov_b32_e32 v33, v30
	v_mov_b32_e32 v38, v30
.LBB22_92:
	s_or_b32 exec_lo, exec_lo, s1
.LBB22_93:
	s_andn2_saveexec_b32 s0, s0
	s_cbranch_execz .LBB22_95
; %bb.94:
	v_mov_b32_e32 v38, 5
	ds_write2_b64 v36, v[20:21], v[4:5] offset0:6 offset1:7
	ds_write2_b64 v36, v[6:7], v[8:9] offset0:8 offset1:9
	;; [unrolled: 1-line block ×3, first 2 shown]
.LBB22_95:
	s_or_b32 exec_lo, exec_lo, s0
	s_mov_b32 s0, exec_lo
	s_waitcnt lgkmcnt(0)
	s_waitcnt_vscnt null, 0x0
	s_barrier
	buffer_gl0_inv
	v_cmpx_lt_i32_e32 5, v38
	s_cbranch_execz .LBB22_97
; %bb.96:
	v_mul_f64 v[22:23], v[22:23], v[0:1]
	ds_read2_b64 v[40:43], v36 offset0:6 offset1:7
	ds_read2_b64 v[44:47], v36 offset0:8 offset1:9
	;; [unrolled: 1-line block ×3, first 2 shown]
	s_waitcnt lgkmcnt(2)
	v_fma_f64 v[20:21], -v[22:23], v[40:41], v[20:21]
	v_fma_f64 v[4:5], -v[22:23], v[42:43], v[4:5]
	s_waitcnt lgkmcnt(1)
	v_fma_f64 v[6:7], -v[22:23], v[44:45], v[6:7]
	v_fma_f64 v[8:9], -v[22:23], v[46:47], v[8:9]
	;; [unrolled: 3-line block ×3, first 2 shown]
.LBB22_97:
	s_or_b32 exec_lo, exec_lo, s0
	v_lshl_add_u32 v0, v38, 3, v36
	s_barrier
	buffer_gl0_inv
	v_mov_b32_e32 v30, 6
	ds_write_b64 v0, v[20:21]
	s_waitcnt lgkmcnt(0)
	s_barrier
	buffer_gl0_inv
	ds_read_b64 v[0:1], v36 offset:48
	s_cmp_lt_i32 s2, 8
	s_cbranch_scc1 .LBB22_100
; %bb.98:
	v_add3_u32 v31, v37, 0, 56
	v_mov_b32_e32 v30, 6
	s_mov_b32 s0, 7
.LBB22_99:                              ; =>This Inner Loop Header: Depth=1
	ds_read_b64 v[40:41], v31
	v_add_nc_u32_e32 v31, 8, v31
	s_waitcnt lgkmcnt(0)
	v_cmp_lt_f64_e64 vcc_lo, |v[0:1]|, |v[40:41]|
	v_cndmask_b32_e32 v1, v1, v41, vcc_lo
	v_cndmask_b32_e32 v0, v0, v40, vcc_lo
	v_cndmask_b32_e64 v30, v30, s0, vcc_lo
	s_add_i32 s0, s0, 1
	s_cmp_lg_u32 s2, s0
	s_cbranch_scc1 .LBB22_99
.LBB22_100:
	s_mov_b32 s0, exec_lo
	s_waitcnt lgkmcnt(0)
	v_cmpx_eq_f64_e32 0, v[0:1]
	s_xor_b32 s0, exec_lo, s0
; %bb.101:
	v_cmp_ne_u32_e32 vcc_lo, 0, v39
	v_cndmask_b32_e32 v39, 7, v39, vcc_lo
; %bb.102:
	s_andn2_saveexec_b32 s0, s0
	s_cbranch_execz .LBB22_104
; %bb.103:
	v_div_scale_f64 v[31:32], null, v[0:1], v[0:1], 1.0
	v_rcp_f64_e32 v[40:41], v[31:32]
	v_fma_f64 v[42:43], -v[31:32], v[40:41], 1.0
	v_fma_f64 v[40:41], v[40:41], v[42:43], v[40:41]
	v_fma_f64 v[42:43], -v[31:32], v[40:41], 1.0
	v_fma_f64 v[40:41], v[40:41], v[42:43], v[40:41]
	v_div_scale_f64 v[42:43], vcc_lo, 1.0, v[0:1], 1.0
	v_mul_f64 v[44:45], v[42:43], v[40:41]
	v_fma_f64 v[31:32], -v[31:32], v[44:45], v[42:43]
	v_div_fmas_f64 v[31:32], v[31:32], v[40:41], v[44:45]
	v_div_fixup_f64 v[0:1], v[31:32], v[0:1], 1.0
.LBB22_104:
	s_or_b32 exec_lo, exec_lo, s0
	s_mov_b32 s0, exec_lo
	v_cmpx_ne_u32_e64 v38, v30
	s_xor_b32 s0, exec_lo, s0
	s_cbranch_execz .LBB22_110
; %bb.105:
	s_mov_b32 s1, exec_lo
	v_cmpx_eq_u32_e32 6, v38
	s_cbranch_execz .LBB22_109
; %bb.106:
	v_cmp_ne_u32_e32 vcc_lo, 6, v30
	s_xor_b32 s3, s6, -1
	s_and_b32 s7, s3, vcc_lo
	s_and_saveexec_b32 s3, s7
	s_cbranch_execz .LBB22_108
; %bb.107:
	v_ashrrev_i32_e32 v31, 31, v30
	v_lshlrev_b64 v[31:32], 2, v[30:31]
	v_add_co_u32 v31, vcc_lo, v26, v31
	v_add_co_ci_u32_e64 v32, null, v27, v32, vcc_lo
	s_clause 0x1
	global_load_dword v33, v[31:32], off
	global_load_dword v38, v[26:27], off offset:24
	s_waitcnt vmcnt(1)
	global_store_dword v[26:27], v33, off offset:24
	s_waitcnt vmcnt(0)
	global_store_dword v[31:32], v38, off
.LBB22_108:
	s_or_b32 exec_lo, exec_lo, s3
	v_mov_b32_e32 v33, v30
	v_mov_b32_e32 v38, v30
.LBB22_109:
	s_or_b32 exec_lo, exec_lo, s1
.LBB22_110:
	s_andn2_saveexec_b32 s0, s0
	s_cbranch_execz .LBB22_112
; %bb.111:
	v_mov_b32_e32 v38, 6
	ds_write2_b64 v36, v[4:5], v[6:7] offset0:7 offset1:8
	ds_write2_b64 v36, v[8:9], v[10:11] offset0:9 offset1:10
	ds_write_b64 v36, v[28:29] offset:88
.LBB22_112:
	s_or_b32 exec_lo, exec_lo, s0
	s_mov_b32 s0, exec_lo
	s_waitcnt lgkmcnt(0)
	s_waitcnt_vscnt null, 0x0
	s_barrier
	buffer_gl0_inv
	v_cmpx_lt_i32_e32 6, v38
	s_cbranch_execz .LBB22_114
; %bb.113:
	v_mul_f64 v[20:21], v[20:21], v[0:1]
	ds_read2_b64 v[40:43], v36 offset0:7 offset1:8
	ds_read2_b64 v[44:47], v36 offset0:9 offset1:10
	ds_read_b64 v[0:1], v36 offset:88
	s_waitcnt lgkmcnt(2)
	v_fma_f64 v[4:5], -v[20:21], v[40:41], v[4:5]
	v_fma_f64 v[6:7], -v[20:21], v[42:43], v[6:7]
	s_waitcnt lgkmcnt(1)
	v_fma_f64 v[8:9], -v[20:21], v[44:45], v[8:9]
	v_fma_f64 v[10:11], -v[20:21], v[46:47], v[10:11]
	s_waitcnt lgkmcnt(0)
	v_fma_f64 v[28:29], -v[20:21], v[0:1], v[28:29]
.LBB22_114:
	s_or_b32 exec_lo, exec_lo, s0
	v_lshl_add_u32 v0, v38, 3, v36
	s_barrier
	buffer_gl0_inv
	v_mov_b32_e32 v30, 7
	ds_write_b64 v0, v[4:5]
	s_waitcnt lgkmcnt(0)
	s_barrier
	buffer_gl0_inv
	ds_read_b64 v[0:1], v36 offset:56
	s_cmp_lt_i32 s2, 9
	s_cbranch_scc1 .LBB22_117
; %bb.115:
	v_add3_u32 v31, v37, 0, 64
	v_mov_b32_e32 v30, 7
	s_mov_b32 s0, 8
.LBB22_116:                             ; =>This Inner Loop Header: Depth=1
	ds_read_b64 v[40:41], v31
	v_add_nc_u32_e32 v31, 8, v31
	s_waitcnt lgkmcnt(0)
	v_cmp_lt_f64_e64 vcc_lo, |v[0:1]|, |v[40:41]|
	v_cndmask_b32_e32 v1, v1, v41, vcc_lo
	v_cndmask_b32_e32 v0, v0, v40, vcc_lo
	v_cndmask_b32_e64 v30, v30, s0, vcc_lo
	s_add_i32 s0, s0, 1
	s_cmp_lg_u32 s2, s0
	s_cbranch_scc1 .LBB22_116
.LBB22_117:
	s_mov_b32 s0, exec_lo
	s_waitcnt lgkmcnt(0)
	v_cmpx_eq_f64_e32 0, v[0:1]
	s_xor_b32 s0, exec_lo, s0
; %bb.118:
	v_cmp_ne_u32_e32 vcc_lo, 0, v39
	v_cndmask_b32_e32 v39, 8, v39, vcc_lo
; %bb.119:
	s_andn2_saveexec_b32 s0, s0
	s_cbranch_execz .LBB22_121
; %bb.120:
	v_div_scale_f64 v[31:32], null, v[0:1], v[0:1], 1.0
	v_rcp_f64_e32 v[40:41], v[31:32]
	v_fma_f64 v[42:43], -v[31:32], v[40:41], 1.0
	v_fma_f64 v[40:41], v[40:41], v[42:43], v[40:41]
	v_fma_f64 v[42:43], -v[31:32], v[40:41], 1.0
	v_fma_f64 v[40:41], v[40:41], v[42:43], v[40:41]
	v_div_scale_f64 v[42:43], vcc_lo, 1.0, v[0:1], 1.0
	v_mul_f64 v[44:45], v[42:43], v[40:41]
	v_fma_f64 v[31:32], -v[31:32], v[44:45], v[42:43]
	v_div_fmas_f64 v[31:32], v[31:32], v[40:41], v[44:45]
	v_div_fixup_f64 v[0:1], v[31:32], v[0:1], 1.0
.LBB22_121:
	s_or_b32 exec_lo, exec_lo, s0
	s_mov_b32 s0, exec_lo
	v_cmpx_ne_u32_e64 v38, v30
	s_xor_b32 s0, exec_lo, s0
	s_cbranch_execz .LBB22_127
; %bb.122:
	s_mov_b32 s1, exec_lo
	v_cmpx_eq_u32_e32 7, v38
	s_cbranch_execz .LBB22_126
; %bb.123:
	v_cmp_ne_u32_e32 vcc_lo, 7, v30
	s_xor_b32 s3, s6, -1
	s_and_b32 s7, s3, vcc_lo
	s_and_saveexec_b32 s3, s7
	s_cbranch_execz .LBB22_125
; %bb.124:
	v_ashrrev_i32_e32 v31, 31, v30
	v_lshlrev_b64 v[31:32], 2, v[30:31]
	v_add_co_u32 v31, vcc_lo, v26, v31
	v_add_co_ci_u32_e64 v32, null, v27, v32, vcc_lo
	s_clause 0x1
	global_load_dword v33, v[31:32], off
	global_load_dword v38, v[26:27], off offset:28
	s_waitcnt vmcnt(1)
	global_store_dword v[26:27], v33, off offset:28
	s_waitcnt vmcnt(0)
	global_store_dword v[31:32], v38, off
.LBB22_125:
	s_or_b32 exec_lo, exec_lo, s3
	v_mov_b32_e32 v33, v30
	v_mov_b32_e32 v38, v30
.LBB22_126:
	s_or_b32 exec_lo, exec_lo, s1
.LBB22_127:
	s_andn2_saveexec_b32 s0, s0
	s_cbranch_execz .LBB22_129
; %bb.128:
	v_mov_b32_e32 v38, 7
	ds_write2_b64 v36, v[6:7], v[8:9] offset0:8 offset1:9
	ds_write2_b64 v36, v[10:11], v[28:29] offset0:10 offset1:11
.LBB22_129:
	s_or_b32 exec_lo, exec_lo, s0
	s_mov_b32 s0, exec_lo
	s_waitcnt lgkmcnt(0)
	s_waitcnt_vscnt null, 0x0
	s_barrier
	buffer_gl0_inv
	v_cmpx_lt_i32_e32 7, v38
	s_cbranch_execz .LBB22_131
; %bb.130:
	v_mul_f64 v[4:5], v[4:5], v[0:1]
	ds_read2_b64 v[40:43], v36 offset0:8 offset1:9
	ds_read2_b64 v[44:47], v36 offset0:10 offset1:11
	s_waitcnt lgkmcnt(1)
	v_fma_f64 v[6:7], -v[4:5], v[40:41], v[6:7]
	v_fma_f64 v[8:9], -v[4:5], v[42:43], v[8:9]
	s_waitcnt lgkmcnt(0)
	v_fma_f64 v[10:11], -v[4:5], v[44:45], v[10:11]
	v_fma_f64 v[28:29], -v[4:5], v[46:47], v[28:29]
.LBB22_131:
	s_or_b32 exec_lo, exec_lo, s0
	v_lshl_add_u32 v0, v38, 3, v36
	s_barrier
	buffer_gl0_inv
	v_mov_b32_e32 v30, 8
	ds_write_b64 v0, v[6:7]
	s_waitcnt lgkmcnt(0)
	s_barrier
	buffer_gl0_inv
	ds_read_b64 v[0:1], v36 offset:64
	s_cmp_lt_i32 s2, 10
	s_cbranch_scc1 .LBB22_134
; %bb.132:
	v_add3_u32 v31, v37, 0, 0x48
	v_mov_b32_e32 v30, 8
	s_mov_b32 s0, 9
.LBB22_133:                             ; =>This Inner Loop Header: Depth=1
	ds_read_b64 v[40:41], v31
	v_add_nc_u32_e32 v31, 8, v31
	s_waitcnt lgkmcnt(0)
	v_cmp_lt_f64_e64 vcc_lo, |v[0:1]|, |v[40:41]|
	v_cndmask_b32_e32 v1, v1, v41, vcc_lo
	v_cndmask_b32_e32 v0, v0, v40, vcc_lo
	v_cndmask_b32_e64 v30, v30, s0, vcc_lo
	s_add_i32 s0, s0, 1
	s_cmp_lg_u32 s2, s0
	s_cbranch_scc1 .LBB22_133
.LBB22_134:
	s_mov_b32 s0, exec_lo
	s_waitcnt lgkmcnt(0)
	v_cmpx_eq_f64_e32 0, v[0:1]
	s_xor_b32 s0, exec_lo, s0
; %bb.135:
	v_cmp_ne_u32_e32 vcc_lo, 0, v39
	v_cndmask_b32_e32 v39, 9, v39, vcc_lo
; %bb.136:
	s_andn2_saveexec_b32 s0, s0
	s_cbranch_execz .LBB22_138
; %bb.137:
	v_div_scale_f64 v[31:32], null, v[0:1], v[0:1], 1.0
	v_rcp_f64_e32 v[40:41], v[31:32]
	v_fma_f64 v[42:43], -v[31:32], v[40:41], 1.0
	v_fma_f64 v[40:41], v[40:41], v[42:43], v[40:41]
	v_fma_f64 v[42:43], -v[31:32], v[40:41], 1.0
	v_fma_f64 v[40:41], v[40:41], v[42:43], v[40:41]
	v_div_scale_f64 v[42:43], vcc_lo, 1.0, v[0:1], 1.0
	v_mul_f64 v[44:45], v[42:43], v[40:41]
	v_fma_f64 v[31:32], -v[31:32], v[44:45], v[42:43]
	v_div_fmas_f64 v[31:32], v[31:32], v[40:41], v[44:45]
	v_div_fixup_f64 v[0:1], v[31:32], v[0:1], 1.0
.LBB22_138:
	s_or_b32 exec_lo, exec_lo, s0
	s_mov_b32 s0, exec_lo
	v_cmpx_ne_u32_e64 v38, v30
	s_xor_b32 s0, exec_lo, s0
	s_cbranch_execz .LBB22_144
; %bb.139:
	s_mov_b32 s1, exec_lo
	v_cmpx_eq_u32_e32 8, v38
	s_cbranch_execz .LBB22_143
; %bb.140:
	v_cmp_ne_u32_e32 vcc_lo, 8, v30
	s_xor_b32 s3, s6, -1
	s_and_b32 s7, s3, vcc_lo
	s_and_saveexec_b32 s3, s7
	s_cbranch_execz .LBB22_142
; %bb.141:
	v_ashrrev_i32_e32 v31, 31, v30
	v_lshlrev_b64 v[31:32], 2, v[30:31]
	v_add_co_u32 v31, vcc_lo, v26, v31
	v_add_co_ci_u32_e64 v32, null, v27, v32, vcc_lo
	s_clause 0x1
	global_load_dword v33, v[31:32], off
	global_load_dword v38, v[26:27], off offset:32
	s_waitcnt vmcnt(1)
	global_store_dword v[26:27], v33, off offset:32
	s_waitcnt vmcnt(0)
	global_store_dword v[31:32], v38, off
.LBB22_142:
	s_or_b32 exec_lo, exec_lo, s3
	v_mov_b32_e32 v33, v30
	v_mov_b32_e32 v38, v30
.LBB22_143:
	s_or_b32 exec_lo, exec_lo, s1
.LBB22_144:
	s_andn2_saveexec_b32 s0, s0
	s_cbranch_execz .LBB22_146
; %bb.145:
	v_mov_b32_e32 v38, 8
	ds_write2_b64 v36, v[8:9], v[10:11] offset0:9 offset1:10
	ds_write_b64 v36, v[28:29] offset:88
.LBB22_146:
	s_or_b32 exec_lo, exec_lo, s0
	s_mov_b32 s0, exec_lo
	s_waitcnt lgkmcnt(0)
	s_waitcnt_vscnt null, 0x0
	s_barrier
	buffer_gl0_inv
	v_cmpx_lt_i32_e32 8, v38
	s_cbranch_execz .LBB22_148
; %bb.147:
	v_mul_f64 v[6:7], v[6:7], v[0:1]
	ds_read2_b64 v[40:43], v36 offset0:9 offset1:10
	ds_read_b64 v[0:1], v36 offset:88
	s_waitcnt lgkmcnt(1)
	v_fma_f64 v[8:9], -v[6:7], v[40:41], v[8:9]
	v_fma_f64 v[10:11], -v[6:7], v[42:43], v[10:11]
	s_waitcnt lgkmcnt(0)
	v_fma_f64 v[28:29], -v[6:7], v[0:1], v[28:29]
.LBB22_148:
	s_or_b32 exec_lo, exec_lo, s0
	v_lshl_add_u32 v0, v38, 3, v36
	s_barrier
	buffer_gl0_inv
	v_mov_b32_e32 v30, 9
	ds_write_b64 v0, v[8:9]
	s_waitcnt lgkmcnt(0)
	s_barrier
	buffer_gl0_inv
	ds_read_b64 v[0:1], v36 offset:72
	s_cmp_lt_i32 s2, 11
	s_cbranch_scc1 .LBB22_151
; %bb.149:
	v_add3_u32 v31, v37, 0, 0x50
	v_mov_b32_e32 v30, 9
	s_mov_b32 s0, 10
.LBB22_150:                             ; =>This Inner Loop Header: Depth=1
	ds_read_b64 v[40:41], v31
	v_add_nc_u32_e32 v31, 8, v31
	s_waitcnt lgkmcnt(0)
	v_cmp_lt_f64_e64 vcc_lo, |v[0:1]|, |v[40:41]|
	v_cndmask_b32_e32 v1, v1, v41, vcc_lo
	v_cndmask_b32_e32 v0, v0, v40, vcc_lo
	v_cndmask_b32_e64 v30, v30, s0, vcc_lo
	s_add_i32 s0, s0, 1
	s_cmp_lg_u32 s2, s0
	s_cbranch_scc1 .LBB22_150
.LBB22_151:
	s_mov_b32 s0, exec_lo
	s_waitcnt lgkmcnt(0)
	v_cmpx_eq_f64_e32 0, v[0:1]
	s_xor_b32 s0, exec_lo, s0
; %bb.152:
	v_cmp_ne_u32_e32 vcc_lo, 0, v39
	v_cndmask_b32_e32 v39, 10, v39, vcc_lo
; %bb.153:
	s_andn2_saveexec_b32 s0, s0
	s_cbranch_execz .LBB22_155
; %bb.154:
	v_div_scale_f64 v[31:32], null, v[0:1], v[0:1], 1.0
	v_rcp_f64_e32 v[40:41], v[31:32]
	v_fma_f64 v[42:43], -v[31:32], v[40:41], 1.0
	v_fma_f64 v[40:41], v[40:41], v[42:43], v[40:41]
	v_fma_f64 v[42:43], -v[31:32], v[40:41], 1.0
	v_fma_f64 v[40:41], v[40:41], v[42:43], v[40:41]
	v_div_scale_f64 v[42:43], vcc_lo, 1.0, v[0:1], 1.0
	v_mul_f64 v[44:45], v[42:43], v[40:41]
	v_fma_f64 v[31:32], -v[31:32], v[44:45], v[42:43]
	v_div_fmas_f64 v[31:32], v[31:32], v[40:41], v[44:45]
	v_div_fixup_f64 v[0:1], v[31:32], v[0:1], 1.0
.LBB22_155:
	s_or_b32 exec_lo, exec_lo, s0
	s_mov_b32 s0, exec_lo
	v_cmpx_ne_u32_e64 v38, v30
	s_xor_b32 s0, exec_lo, s0
	s_cbranch_execz .LBB22_161
; %bb.156:
	s_mov_b32 s1, exec_lo
	v_cmpx_eq_u32_e32 9, v38
	s_cbranch_execz .LBB22_160
; %bb.157:
	v_cmp_ne_u32_e32 vcc_lo, 9, v30
	s_xor_b32 s3, s6, -1
	s_and_b32 s7, s3, vcc_lo
	s_and_saveexec_b32 s3, s7
	s_cbranch_execz .LBB22_159
; %bb.158:
	v_ashrrev_i32_e32 v31, 31, v30
	v_lshlrev_b64 v[31:32], 2, v[30:31]
	v_add_co_u32 v31, vcc_lo, v26, v31
	v_add_co_ci_u32_e64 v32, null, v27, v32, vcc_lo
	s_clause 0x1
	global_load_dword v33, v[31:32], off
	global_load_dword v38, v[26:27], off offset:36
	s_waitcnt vmcnt(1)
	global_store_dword v[26:27], v33, off offset:36
	s_waitcnt vmcnt(0)
	global_store_dword v[31:32], v38, off
.LBB22_159:
	s_or_b32 exec_lo, exec_lo, s3
	v_mov_b32_e32 v33, v30
	v_mov_b32_e32 v38, v30
.LBB22_160:
	s_or_b32 exec_lo, exec_lo, s1
.LBB22_161:
	s_andn2_saveexec_b32 s0, s0
; %bb.162:
	v_mov_b32_e32 v38, 9
	ds_write2_b64 v36, v[10:11], v[28:29] offset0:10 offset1:11
; %bb.163:
	s_or_b32 exec_lo, exec_lo, s0
	s_mov_b32 s0, exec_lo
	s_waitcnt lgkmcnt(0)
	s_waitcnt_vscnt null, 0x0
	s_barrier
	buffer_gl0_inv
	v_cmpx_lt_i32_e32 9, v38
	s_cbranch_execz .LBB22_165
; %bb.164:
	v_mul_f64 v[8:9], v[8:9], v[0:1]
	ds_read2_b64 v[40:43], v36 offset0:10 offset1:11
	s_waitcnt lgkmcnt(0)
	v_fma_f64 v[10:11], -v[8:9], v[40:41], v[10:11]
	v_fma_f64 v[28:29], -v[8:9], v[42:43], v[28:29]
.LBB22_165:
	s_or_b32 exec_lo, exec_lo, s0
	v_lshl_add_u32 v0, v38, 3, v36
	s_barrier
	buffer_gl0_inv
	v_mov_b32_e32 v30, 10
	ds_write_b64 v0, v[10:11]
	s_waitcnt lgkmcnt(0)
	s_barrier
	buffer_gl0_inv
	ds_read_b64 v[0:1], v36 offset:80
	s_cmp_lt_i32 s2, 12
	s_cbranch_scc1 .LBB22_168
; %bb.166:
	v_add3_u32 v31, v37, 0, 0x58
	v_mov_b32_e32 v30, 10
	s_mov_b32 s0, 11
.LBB22_167:                             ; =>This Inner Loop Header: Depth=1
	ds_read_b64 v[40:41], v31
	v_add_nc_u32_e32 v31, 8, v31
	s_waitcnt lgkmcnt(0)
	v_cmp_lt_f64_e64 vcc_lo, |v[0:1]|, |v[40:41]|
	v_cndmask_b32_e32 v1, v1, v41, vcc_lo
	v_cndmask_b32_e32 v0, v0, v40, vcc_lo
	v_cndmask_b32_e64 v30, v30, s0, vcc_lo
	s_add_i32 s0, s0, 1
	s_cmp_lg_u32 s2, s0
	s_cbranch_scc1 .LBB22_167
.LBB22_168:
	s_mov_b32 s0, exec_lo
	s_waitcnt lgkmcnt(0)
	v_cmpx_eq_f64_e32 0, v[0:1]
	s_xor_b32 s0, exec_lo, s0
; %bb.169:
	v_cmp_ne_u32_e32 vcc_lo, 0, v39
	v_cndmask_b32_e32 v39, 11, v39, vcc_lo
; %bb.170:
	s_andn2_saveexec_b32 s0, s0
	s_cbranch_execz .LBB22_172
; %bb.171:
	v_div_scale_f64 v[31:32], null, v[0:1], v[0:1], 1.0
	v_rcp_f64_e32 v[40:41], v[31:32]
	v_fma_f64 v[42:43], -v[31:32], v[40:41], 1.0
	v_fma_f64 v[40:41], v[40:41], v[42:43], v[40:41]
	v_fma_f64 v[42:43], -v[31:32], v[40:41], 1.0
	v_fma_f64 v[40:41], v[40:41], v[42:43], v[40:41]
	v_div_scale_f64 v[42:43], vcc_lo, 1.0, v[0:1], 1.0
	v_mul_f64 v[44:45], v[42:43], v[40:41]
	v_fma_f64 v[31:32], -v[31:32], v[44:45], v[42:43]
	v_div_fmas_f64 v[31:32], v[31:32], v[40:41], v[44:45]
	v_div_fixup_f64 v[0:1], v[31:32], v[0:1], 1.0
.LBB22_172:
	s_or_b32 exec_lo, exec_lo, s0
	s_mov_b32 s0, exec_lo
	v_cmpx_ne_u32_e64 v38, v30
	s_xor_b32 s0, exec_lo, s0
	s_cbranch_execz .LBB22_178
; %bb.173:
	s_mov_b32 s1, exec_lo
	v_cmpx_eq_u32_e32 10, v38
	s_cbranch_execz .LBB22_177
; %bb.174:
	v_cmp_ne_u32_e32 vcc_lo, 10, v30
	s_xor_b32 s3, s6, -1
	s_and_b32 s7, s3, vcc_lo
	s_and_saveexec_b32 s3, s7
	s_cbranch_execz .LBB22_176
; %bb.175:
	v_ashrrev_i32_e32 v31, 31, v30
	v_lshlrev_b64 v[31:32], 2, v[30:31]
	v_add_co_u32 v31, vcc_lo, v26, v31
	v_add_co_ci_u32_e64 v32, null, v27, v32, vcc_lo
	s_clause 0x1
	global_load_dword v33, v[31:32], off
	global_load_dword v38, v[26:27], off offset:40
	s_waitcnt vmcnt(1)
	global_store_dword v[26:27], v33, off offset:40
	s_waitcnt vmcnt(0)
	global_store_dword v[31:32], v38, off
.LBB22_176:
	s_or_b32 exec_lo, exec_lo, s3
	v_mov_b32_e32 v33, v30
	v_mov_b32_e32 v38, v30
.LBB22_177:
	s_or_b32 exec_lo, exec_lo, s1
.LBB22_178:
	s_andn2_saveexec_b32 s0, s0
; %bb.179:
	v_mov_b32_e32 v38, 10
	ds_write_b64 v36, v[28:29] offset:88
; %bb.180:
	s_or_b32 exec_lo, exec_lo, s0
	s_mov_b32 s0, exec_lo
	s_waitcnt lgkmcnt(0)
	s_waitcnt_vscnt null, 0x0
	s_barrier
	buffer_gl0_inv
	v_cmpx_lt_i32_e32 10, v38
	s_cbranch_execz .LBB22_182
; %bb.181:
	v_mul_f64 v[10:11], v[10:11], v[0:1]
	ds_read_b64 v[0:1], v36 offset:88
	s_waitcnt lgkmcnt(0)
	v_fma_f64 v[28:29], -v[10:11], v[0:1], v[28:29]
.LBB22_182:
	s_or_b32 exec_lo, exec_lo, s0
	v_lshl_add_u32 v0, v38, 3, v36
	s_barrier
	buffer_gl0_inv
	v_mov_b32_e32 v30, 11
	ds_write_b64 v0, v[28:29]
	s_waitcnt lgkmcnt(0)
	s_barrier
	buffer_gl0_inv
	ds_read_b64 v[0:1], v36 offset:88
	s_cmp_lt_i32 s2, 13
	s_cbranch_scc1 .LBB22_185
; %bb.183:
	v_add3_u32 v31, v37, 0, 0x60
	v_mov_b32_e32 v30, 11
	s_mov_b32 s0, 12
.LBB22_184:                             ; =>This Inner Loop Header: Depth=1
	ds_read_b64 v[36:37], v31
	v_add_nc_u32_e32 v31, 8, v31
	s_waitcnt lgkmcnt(0)
	v_cmp_lt_f64_e64 vcc_lo, |v[0:1]|, |v[36:37]|
	v_cndmask_b32_e32 v1, v1, v37, vcc_lo
	v_cndmask_b32_e32 v0, v0, v36, vcc_lo
	v_cndmask_b32_e64 v30, v30, s0, vcc_lo
	s_add_i32 s0, s0, 1
	s_cmp_lg_u32 s2, s0
	s_cbranch_scc1 .LBB22_184
.LBB22_185:
	s_mov_b32 s0, exec_lo
	s_waitcnt lgkmcnt(0)
	v_cmpx_eq_f64_e32 0, v[0:1]
	s_xor_b32 s0, exec_lo, s0
; %bb.186:
	v_cmp_ne_u32_e32 vcc_lo, 0, v39
	v_cndmask_b32_e32 v39, 12, v39, vcc_lo
; %bb.187:
	s_andn2_saveexec_b32 s0, s0
	s_cbranch_execz .LBB22_189
; %bb.188:
	v_div_scale_f64 v[31:32], null, v[0:1], v[0:1], 1.0
	v_rcp_f64_e32 v[36:37], v[31:32]
	v_fma_f64 v[40:41], -v[31:32], v[36:37], 1.0
	v_fma_f64 v[36:37], v[36:37], v[40:41], v[36:37]
	v_fma_f64 v[40:41], -v[31:32], v[36:37], 1.0
	v_fma_f64 v[36:37], v[36:37], v[40:41], v[36:37]
	v_div_scale_f64 v[40:41], vcc_lo, 1.0, v[0:1], 1.0
	v_mul_f64 v[42:43], v[40:41], v[36:37]
	v_fma_f64 v[31:32], -v[31:32], v[42:43], v[40:41]
	v_div_fmas_f64 v[31:32], v[31:32], v[36:37], v[42:43]
	v_div_fixup_f64 v[0:1], v[31:32], v[0:1], 1.0
.LBB22_189:
	s_or_b32 exec_lo, exec_lo, s0
	v_mov_b32_e32 v31, 11
	s_mov_b32 s0, exec_lo
	v_cmpx_ne_u32_e64 v38, v30
	s_cbranch_execz .LBB22_195
; %bb.190:
	s_mov_b32 s1, exec_lo
	v_cmpx_eq_u32_e32 11, v38
	s_cbranch_execz .LBB22_194
; %bb.191:
	v_cmp_ne_u32_e32 vcc_lo, 11, v30
	s_xor_b32 s2, s6, -1
	s_and_b32 s3, s2, vcc_lo
	s_and_saveexec_b32 s2, s3
	s_cbranch_execz .LBB22_193
; %bb.192:
	v_ashrrev_i32_e32 v31, 31, v30
	v_lshlrev_b64 v[31:32], 2, v[30:31]
	v_add_co_u32 v31, vcc_lo, v26, v31
	v_add_co_ci_u32_e64 v32, null, v27, v32, vcc_lo
	s_clause 0x1
	global_load_dword v33, v[31:32], off
	global_load_dword v36, v[26:27], off offset:44
	s_waitcnt vmcnt(1)
	global_store_dword v[26:27], v33, off offset:44
	s_waitcnt vmcnt(0)
	global_store_dword v[31:32], v36, off
.LBB22_193:
	s_or_b32 exec_lo, exec_lo, s2
	v_mov_b32_e32 v33, v30
	v_mov_b32_e32 v38, v30
.LBB22_194:
	s_or_b32 exec_lo, exec_lo, s1
	v_mov_b32_e32 v31, v38
.LBB22_195:
	s_or_b32 exec_lo, exec_lo, s0
	s_load_dwordx8 s[0:7], s[4:5], 0x28
	v_ashrrev_i32_e32 v32, 31, v31
	s_mov_b32 s9, exec_lo
	s_waitcnt lgkmcnt(0)
	s_waitcnt_vscnt null, 0x0
	s_barrier
	buffer_gl0_inv
	s_barrier
	buffer_gl0_inv
	v_cmpx_gt_i32_e32 12, v31
	s_cbranch_execz .LBB22_197
; %bb.196:
	v_mul_lo_u32 v30, s5, v2
	v_mul_lo_u32 v36, s4, v3
	v_mad_u64_u32 v[26:27], null, s4, v2, 0
	s_lshl_b64 s[2:3], s[2:3], 2
	v_add3_u32 v27, v27, v36, v30
	v_lshlrev_b64 v[26:27], 2, v[26:27]
	v_add_co_u32 v30, vcc_lo, s0, v26
	v_add_co_ci_u32_e64 v36, null, s1, v27, vcc_lo
	v_lshlrev_b64 v[26:27], 2, v[31:32]
	v_add_co_u32 v30, vcc_lo, v30, s2
	v_add_co_ci_u32_e64 v36, null, s3, v36, vcc_lo
	v_add_co_u32 v26, vcc_lo, v30, v26
	v_add_co_ci_u32_e64 v27, null, v36, v27, vcc_lo
	v_add3_u32 v30, v33, s13, 1
	global_store_dword v[26:27], v30, off
.LBB22_197:
	s_or_b32 exec_lo, exec_lo, s9
	s_mov_b32 s1, exec_lo
	v_cmpx_eq_u32_e32 0, v31
	s_cbranch_execz .LBB22_200
; %bb.198:
	v_lshlrev_b64 v[2:3], 2, v[2:3]
	v_cmp_ne_u32_e64 s0, 0, v39
	v_add_co_u32 v2, vcc_lo, s6, v2
	v_add_co_ci_u32_e64 v3, null, s7, v3, vcc_lo
	global_load_dword v26, v[2:3], off
	s_waitcnt vmcnt(0)
	v_cmp_eq_u32_e32 vcc_lo, 0, v26
	s_and_b32 s0, vcc_lo, s0
	s_and_b32 exec_lo, exec_lo, s0
	s_cbranch_execz .LBB22_200
; %bb.199:
	v_add_nc_u32_e32 v26, s13, v39
	global_store_dword v[2:3], v26, off
.LBB22_200:
	s_or_b32 exec_lo, exec_lo, s1
	v_mul_f64 v[0:1], v[28:29], v[0:1]
	v_add3_u32 v2, s8, s8, v31
	v_lshlrev_b64 v[26:27], 3, v[31:32]
	v_cmp_lt_i32_e32 vcc_lo, 11, v31
	v_add_nc_u32_e32 v30, s8, v2
	v_ashrrev_i32_e32 v3, 31, v2
	v_add_co_u32 v26, s0, v34, v26
	v_add_co_ci_u32_e64 v27, null, v35, v27, s0
	v_add_nc_u32_e32 v32, s8, v30
	v_ashrrev_i32_e32 v31, 31, v30
	v_add_co_u32 v36, s0, v26, s10
	v_lshlrev_b64 v[2:3], 3, v[2:3]
	v_add_co_ci_u32_e64 v37, null, s11, v27, s0
	v_ashrrev_i32_e32 v33, 31, v32
	flat_store_dwordx2 v[26:27], v[18:19]
	v_add_nc_u32_e32 v26, s8, v32
	v_lshlrev_b64 v[18:19], 3, v[30:31]
	flat_store_dwordx2 v[36:37], v[16:17]
	v_cndmask_b32_e32 v1, v29, v1, vcc_lo
	v_cndmask_b32_e32 v0, v28, v0, vcc_lo
	v_add_co_u32 v2, vcc_lo, v34, v2
	v_lshlrev_b64 v[16:17], 3, v[32:33]
	v_add_co_ci_u32_e64 v3, null, v35, v3, vcc_lo
	v_add_nc_u32_e32 v28, s8, v26
	v_add_co_u32 v18, vcc_lo, v34, v18
	v_ashrrev_i32_e32 v27, 31, v26
	v_add_co_ci_u32_e64 v19, null, v35, v19, vcc_lo
	v_add_co_u32 v16, vcc_lo, v34, v16
	flat_store_dwordx2 v[2:3], v[14:15]
	v_add_nc_u32_e32 v14, s8, v28
	v_add_co_ci_u32_e64 v17, null, v35, v17, vcc_lo
	v_ashrrev_i32_e32 v29, 31, v28
	v_lshlrev_b64 v[2:3], 3, v[26:27]
	flat_store_dwordx2 v[18:19], v[12:13]
	flat_store_dwordx2 v[16:17], v[24:25]
	v_add_nc_u32_e32 v16, s8, v14
	v_ashrrev_i32_e32 v15, 31, v14
	v_lshlrev_b64 v[12:13], 3, v[28:29]
	v_add_co_u32 v2, vcc_lo, v34, v2
	v_add_co_ci_u32_e64 v3, null, v35, v3, vcc_lo
	v_add_nc_u32_e32 v18, s8, v16
	v_add_co_u32 v12, vcc_lo, v34, v12
	v_add_co_ci_u32_e64 v13, null, v35, v13, vcc_lo
	v_ashrrev_i32_e32 v17, 31, v16
	flat_store_dwordx2 v[2:3], v[22:23]
	v_lshlrev_b64 v[2:3], 3, v[14:15]
	v_ashrrev_i32_e32 v19, 31, v18
	v_add_nc_u32_e32 v14, s8, v18
	flat_store_dwordx2 v[12:13], v[20:21]
	v_lshlrev_b64 v[12:13], 3, v[16:17]
	v_lshlrev_b64 v[16:17], 3, v[18:19]
	v_add_nc_u32_e32 v18, s8, v14
	v_ashrrev_i32_e32 v15, 31, v14
	v_add_co_u32 v2, vcc_lo, v34, v2
	v_add_co_ci_u32_e64 v3, null, v35, v3, vcc_lo
	v_ashrrev_i32_e32 v19, 31, v18
	v_lshlrev_b64 v[14:15], 3, v[14:15]
	v_add_co_u32 v12, vcc_lo, v34, v12
	v_add_co_ci_u32_e64 v13, null, v35, v13, vcc_lo
	v_lshlrev_b64 v[18:19], 3, v[18:19]
	v_add_co_u32 v16, vcc_lo, v34, v16
	v_add_co_ci_u32_e64 v17, null, v35, v17, vcc_lo
	v_add_co_u32 v14, vcc_lo, v34, v14
	v_add_co_ci_u32_e64 v15, null, v35, v15, vcc_lo
	;; [unrolled: 2-line block ×3, first 2 shown]
	flat_store_dwordx2 v[2:3], v[4:5]
	flat_store_dwordx2 v[12:13], v[6:7]
	;; [unrolled: 1-line block ×5, first 2 shown]
.LBB22_201:
	s_endpgm
	.section	.rodata,"a",@progbits
	.p2align	6, 0x0
	.amdhsa_kernel _ZN9rocsolver6v33100L18getf2_small_kernelILi12EdiiPKPdEEvT1_T3_lS5_lPS5_llPT2_S5_S5_S7_l
		.amdhsa_group_segment_fixed_size 0
		.amdhsa_private_segment_fixed_size 0
		.amdhsa_kernarg_size 352
		.amdhsa_user_sgpr_count 6
		.amdhsa_user_sgpr_private_segment_buffer 1
		.amdhsa_user_sgpr_dispatch_ptr 0
		.amdhsa_user_sgpr_queue_ptr 0
		.amdhsa_user_sgpr_kernarg_segment_ptr 1
		.amdhsa_user_sgpr_dispatch_id 0
		.amdhsa_user_sgpr_flat_scratch_init 0
		.amdhsa_user_sgpr_private_segment_size 0
		.amdhsa_wavefront_size32 1
		.amdhsa_uses_dynamic_stack 0
		.amdhsa_system_sgpr_private_segment_wavefront_offset 0
		.amdhsa_system_sgpr_workgroup_id_x 1
		.amdhsa_system_sgpr_workgroup_id_y 1
		.amdhsa_system_sgpr_workgroup_id_z 0
		.amdhsa_system_sgpr_workgroup_info 0
		.amdhsa_system_vgpr_workitem_id 1
		.amdhsa_next_free_vgpr 59
		.amdhsa_next_free_sgpr 14
		.amdhsa_reserve_vcc 1
		.amdhsa_reserve_flat_scratch 1
		.amdhsa_float_round_mode_32 0
		.amdhsa_float_round_mode_16_64 0
		.amdhsa_float_denorm_mode_32 3
		.amdhsa_float_denorm_mode_16_64 3
		.amdhsa_dx10_clamp 1
		.amdhsa_ieee_mode 1
		.amdhsa_fp16_overflow 0
		.amdhsa_workgroup_processor_mode 1
		.amdhsa_memory_ordered 1
		.amdhsa_forward_progress 1
		.amdhsa_shared_vgpr_count 0
		.amdhsa_exception_fp_ieee_invalid_op 0
		.amdhsa_exception_fp_denorm_src 0
		.amdhsa_exception_fp_ieee_div_zero 0
		.amdhsa_exception_fp_ieee_overflow 0
		.amdhsa_exception_fp_ieee_underflow 0
		.amdhsa_exception_fp_ieee_inexact 0
		.amdhsa_exception_int_div_zero 0
	.end_amdhsa_kernel
	.section	.text._ZN9rocsolver6v33100L18getf2_small_kernelILi12EdiiPKPdEEvT1_T3_lS5_lPS5_llPT2_S5_S5_S7_l,"axG",@progbits,_ZN9rocsolver6v33100L18getf2_small_kernelILi12EdiiPKPdEEvT1_T3_lS5_lPS5_llPT2_S5_S5_S7_l,comdat
.Lfunc_end22:
	.size	_ZN9rocsolver6v33100L18getf2_small_kernelILi12EdiiPKPdEEvT1_T3_lS5_lPS5_llPT2_S5_S5_S7_l, .Lfunc_end22-_ZN9rocsolver6v33100L18getf2_small_kernelILi12EdiiPKPdEEvT1_T3_lS5_lPS5_llPT2_S5_S5_S7_l
                                        ; -- End function
	.set _ZN9rocsolver6v33100L18getf2_small_kernelILi12EdiiPKPdEEvT1_T3_lS5_lPS5_llPT2_S5_S5_S7_l.num_vgpr, 59
	.set _ZN9rocsolver6v33100L18getf2_small_kernelILi12EdiiPKPdEEvT1_T3_lS5_lPS5_llPT2_S5_S5_S7_l.num_agpr, 0
	.set _ZN9rocsolver6v33100L18getf2_small_kernelILi12EdiiPKPdEEvT1_T3_lS5_lPS5_llPT2_S5_S5_S7_l.numbered_sgpr, 14
	.set _ZN9rocsolver6v33100L18getf2_small_kernelILi12EdiiPKPdEEvT1_T3_lS5_lPS5_llPT2_S5_S5_S7_l.num_named_barrier, 0
	.set _ZN9rocsolver6v33100L18getf2_small_kernelILi12EdiiPKPdEEvT1_T3_lS5_lPS5_llPT2_S5_S5_S7_l.private_seg_size, 0
	.set _ZN9rocsolver6v33100L18getf2_small_kernelILi12EdiiPKPdEEvT1_T3_lS5_lPS5_llPT2_S5_S5_S7_l.uses_vcc, 1
	.set _ZN9rocsolver6v33100L18getf2_small_kernelILi12EdiiPKPdEEvT1_T3_lS5_lPS5_llPT2_S5_S5_S7_l.uses_flat_scratch, 1
	.set _ZN9rocsolver6v33100L18getf2_small_kernelILi12EdiiPKPdEEvT1_T3_lS5_lPS5_llPT2_S5_S5_S7_l.has_dyn_sized_stack, 0
	.set _ZN9rocsolver6v33100L18getf2_small_kernelILi12EdiiPKPdEEvT1_T3_lS5_lPS5_llPT2_S5_S5_S7_l.has_recursion, 0
	.set _ZN9rocsolver6v33100L18getf2_small_kernelILi12EdiiPKPdEEvT1_T3_lS5_lPS5_llPT2_S5_S5_S7_l.has_indirect_call, 0
	.section	.AMDGPU.csdata,"",@progbits
; Kernel info:
; codeLenInByte = 8108
; TotalNumSgprs: 16
; NumVgprs: 59
; ScratchSize: 0
; MemoryBound: 0
; FloatMode: 240
; IeeeMode: 1
; LDSByteSize: 0 bytes/workgroup (compile time only)
; SGPRBlocks: 0
; VGPRBlocks: 7
; NumSGPRsForWavesPerEU: 16
; NumVGPRsForWavesPerEU: 59
; Occupancy: 16
; WaveLimiterHint : 1
; COMPUTE_PGM_RSRC2:SCRATCH_EN: 0
; COMPUTE_PGM_RSRC2:USER_SGPR: 6
; COMPUTE_PGM_RSRC2:TRAP_HANDLER: 0
; COMPUTE_PGM_RSRC2:TGID_X_EN: 1
; COMPUTE_PGM_RSRC2:TGID_Y_EN: 1
; COMPUTE_PGM_RSRC2:TGID_Z_EN: 0
; COMPUTE_PGM_RSRC2:TIDIG_COMP_CNT: 1
	.section	.text._ZN9rocsolver6v33100L23getf2_npvt_small_kernelILi12EdiiPKPdEEvT1_T3_lS5_lPT2_S5_S5_,"axG",@progbits,_ZN9rocsolver6v33100L23getf2_npvt_small_kernelILi12EdiiPKPdEEvT1_T3_lS5_lPT2_S5_S5_,comdat
	.globl	_ZN9rocsolver6v33100L23getf2_npvt_small_kernelILi12EdiiPKPdEEvT1_T3_lS5_lPT2_S5_S5_ ; -- Begin function _ZN9rocsolver6v33100L23getf2_npvt_small_kernelILi12EdiiPKPdEEvT1_T3_lS5_lPT2_S5_S5_
	.p2align	8
	.type	_ZN9rocsolver6v33100L23getf2_npvt_small_kernelILi12EdiiPKPdEEvT1_T3_lS5_lPT2_S5_S5_,@function
_ZN9rocsolver6v33100L23getf2_npvt_small_kernelILi12EdiiPKPdEEvT1_T3_lS5_lPT2_S5_S5_: ; @_ZN9rocsolver6v33100L23getf2_npvt_small_kernelILi12EdiiPKPdEEvT1_T3_lS5_lPT2_S5_S5_
; %bb.0:
	s_clause 0x1
	s_load_dword s0, s[4:5], 0x44
	s_load_dwordx2 s[8:9], s[4:5], 0x30
	s_waitcnt lgkmcnt(0)
	s_lshr_b32 s10, s0, 16
	s_mov_b32 s0, exec_lo
	v_mad_u64_u32 v[2:3], null, s7, s10, v[1:2]
	v_cmpx_gt_i32_e64 s8, v2
	s_cbranch_execz .LBB23_64
; %bb.1:
	s_clause 0x1
	s_load_dwordx4 s[0:3], s[4:5], 0x8
	s_load_dword s6, s[4:5], 0x18
	v_ashrrev_i32_e32 v3, 31, v2
	v_lshlrev_b32_e32 v28, 3, v0
	v_lshlrev_b32_e32 v52, 3, v1
	s_mulk_i32 s10, 0x60
	v_mad_u32_u24 v74, 0x60, v1, 0
	v_lshlrev_b64 v[4:5], 3, v[2:3]
	v_add3_u32 v1, 0, s10, v52
	s_waitcnt lgkmcnt(0)
	v_add_co_u32 v4, vcc_lo, s0, v4
	v_add_co_ci_u32_e64 v5, null, s1, v5, vcc_lo
	v_add3_u32 v6, s6, s6, v0
	s_lshl_b64 s[0:1], s[2:3], 3
	s_ashr_i32 s7, s6, 31
	global_load_dwordx2 v[4:5], v[4:5], off
	s_lshl_b64 s[2:3], s[6:7], 3
	v_add_nc_u32_e32 v8, s6, v6
	v_ashrrev_i32_e32 v7, 31, v6
	v_add_nc_u32_e32 v10, s6, v8
	v_ashrrev_i32_e32 v9, 31, v8
	v_lshlrev_b64 v[6:7], 3, v[6:7]
	v_add_nc_u32_e32 v12, s6, v10
	v_ashrrev_i32_e32 v11, 31, v10
	v_lshlrev_b64 v[8:9], 3, v[8:9]
	;; [unrolled: 3-line block ×4, first 2 shown]
	v_add_nc_u32_e32 v18, s6, v16
	v_lshlrev_b64 v[24:25], 3, v[14:15]
	v_ashrrev_i32_e32 v17, 31, v16
	v_add_nc_u32_e32 v20, s6, v18
	v_ashrrev_i32_e32 v19, 31, v18
	v_lshlrev_b64 v[16:17], 3, v[16:17]
	v_add_nc_u32_e32 v22, s6, v20
	v_ashrrev_i32_e32 v21, 31, v20
	v_lshlrev_b64 v[18:19], 3, v[18:19]
	v_add_nc_u32_e32 v14, s6, v22
	v_ashrrev_i32_e32 v23, 31, v22
	v_lshlrev_b64 v[20:21], 3, v[20:21]
	v_ashrrev_i32_e32 v15, 31, v14
	v_lshlrev_b64 v[22:23], 3, v[22:23]
	v_lshlrev_b64 v[26:27], 3, v[14:15]
	s_waitcnt vmcnt(0)
	v_add_co_u32 v29, vcc_lo, v4, s0
	v_add_co_ci_u32_e64 v30, null, s1, v5, vcc_lo
	v_cmp_ne_u32_e64 s1, 0, v0
	v_add_co_u32 v4, vcc_lo, v29, v28
	v_add_co_ci_u32_e64 v5, null, 0, v30, vcc_lo
	v_add_co_u32 v6, vcc_lo, v29, v6
	v_add_co_ci_u32_e64 v7, null, v30, v7, vcc_lo
	v_add_co_u32 v8, vcc_lo, v29, v8
	v_add_co_ci_u32_e64 v9, null, v30, v9, vcc_lo
	v_add_co_u32 v10, vcc_lo, v29, v10
	v_add_co_ci_u32_e64 v11, null, v30, v11, vcc_lo
	v_add_co_u32 v14, vcc_lo, v29, v12
	v_add_co_ci_u32_e64 v15, null, v30, v13, vcc_lo
	v_add_co_u32 v12, vcc_lo, v29, v24
	v_add_co_ci_u32_e64 v13, null, v30, v25, vcc_lo
	v_add_co_u32 v16, vcc_lo, v29, v16
	v_add_co_ci_u32_e64 v17, null, v30, v17, vcc_lo
	v_add_co_u32 v18, vcc_lo, v29, v18
	v_add_co_ci_u32_e64 v19, null, v30, v19, vcc_lo
	v_add_co_u32 v20, vcc_lo, v29, v20
	v_add_co_ci_u32_e64 v21, null, v30, v21, vcc_lo
	v_add_co_u32 v22, vcc_lo, v29, v22
	v_add_co_ci_u32_e64 v23, null, v30, v23, vcc_lo
	v_add_co_u32 v24, vcc_lo, v29, v26
	v_add_co_ci_u32_e64 v25, null, v30, v27, vcc_lo
	v_add_co_u32 v34, vcc_lo, v4, s2
	v_add_co_ci_u32_e64 v35, null, s3, v5, vcc_lo
	s_clause 0xb
	flat_load_dwordx2 v[30:31], v[10:11]
	flat_load_dwordx2 v[32:33], v[14:15]
	;; [unrolled: 1-line block ×12, first 2 shown]
	v_cmp_eq_u32_e64 s0, 0, v0
	s_and_saveexec_b32 s2, s0
	s_cbranch_execz .LBB23_4
; %bb.2:
	s_waitcnt vmcnt(7) lgkmcnt(7)
	ds_write_b64 v1, v[42:43]
	s_waitcnt vmcnt(5) lgkmcnt(6)
	ds_write2_b64 v74, v[44:45], v[46:47] offset0:1 offset1:2
	s_waitcnt vmcnt(4) lgkmcnt(6)
	ds_write2_b64 v74, v[48:49], v[30:31] offset0:3 offset1:4
	ds_write2_b64 v74, v[32:33], v[26:27] offset0:5 offset1:6
	s_waitcnt vmcnt(3) lgkmcnt(7)
	ds_write2_b64 v74, v[28:29], v[36:37] offset0:7 offset1:8
	s_waitcnt vmcnt(1) lgkmcnt(6)
	;; [unrolled: 2-line block ×3, first 2 shown]
	ds_write_b64 v74, v[50:51] offset:88
	ds_read_b64 v[52:53], v1
	s_waitcnt lgkmcnt(0)
	v_cmp_neq_f64_e32 vcc_lo, 0, v[52:53]
	s_and_b32 exec_lo, exec_lo, vcc_lo
	s_cbranch_execz .LBB23_4
; %bb.3:
	v_div_scale_f64 v[54:55], null, v[52:53], v[52:53], 1.0
	v_rcp_f64_e32 v[56:57], v[54:55]
	v_fma_f64 v[58:59], -v[54:55], v[56:57], 1.0
	v_fma_f64 v[56:57], v[56:57], v[58:59], v[56:57]
	v_fma_f64 v[58:59], -v[54:55], v[56:57], 1.0
	v_fma_f64 v[56:57], v[56:57], v[58:59], v[56:57]
	v_div_scale_f64 v[58:59], vcc_lo, 1.0, v[52:53], 1.0
	v_mul_f64 v[60:61], v[58:59], v[56:57]
	v_fma_f64 v[54:55], -v[54:55], v[60:61], v[58:59]
	v_div_fmas_f64 v[54:55], v[54:55], v[56:57], v[60:61]
	v_div_fixup_f64 v[52:53], v[54:55], v[52:53], 1.0
	ds_write_b64 v1, v[52:53]
.LBB23_4:
	s_or_b32 exec_lo, exec_lo, s2
	s_waitcnt vmcnt(0) lgkmcnt(0)
	s_barrier
	buffer_gl0_inv
	ds_read_b64 v[52:53], v1
	s_and_saveexec_b32 s2, s1
	s_cbranch_execz .LBB23_6
; %bb.5:
	s_waitcnt lgkmcnt(0)
	v_mul_f64 v[42:43], v[42:43], v[52:53]
	ds_read2_b64 v[54:57], v74 offset0:1 offset1:2
	ds_read2_b64 v[58:61], v74 offset0:3 offset1:4
	ds_read2_b64 v[62:65], v74 offset0:5 offset1:6
	ds_read2_b64 v[66:69], v74 offset0:7 offset1:8
	ds_read2_b64 v[70:73], v74 offset0:9 offset1:10
	ds_read_b64 v[75:76], v74 offset:88
	s_waitcnt lgkmcnt(5)
	v_fma_f64 v[44:45], -v[42:43], v[54:55], v[44:45]
	v_fma_f64 v[46:47], -v[42:43], v[56:57], v[46:47]
	s_waitcnt lgkmcnt(4)
	v_fma_f64 v[48:49], -v[42:43], v[58:59], v[48:49]
	v_fma_f64 v[30:31], -v[42:43], v[60:61], v[30:31]
	;; [unrolled: 3-line block ×5, first 2 shown]
	s_waitcnt lgkmcnt(0)
	v_fma_f64 v[50:51], -v[42:43], v[75:76], v[50:51]
.LBB23_6:
	s_or_b32 exec_lo, exec_lo, s2
	s_mov_b32 s1, exec_lo
	s_waitcnt lgkmcnt(0)
	s_barrier
	buffer_gl0_inv
	v_cmpx_eq_u32_e32 1, v0
	s_cbranch_execz .LBB23_9
; %bb.7:
	ds_write_b64 v1, v[44:45]
	ds_write2_b64 v74, v[46:47], v[48:49] offset0:2 offset1:3
	ds_write2_b64 v74, v[30:31], v[32:33] offset0:4 offset1:5
	;; [unrolled: 1-line block ×5, first 2 shown]
	ds_read_b64 v[54:55], v1
	s_waitcnt lgkmcnt(0)
	v_cmp_neq_f64_e32 vcc_lo, 0, v[54:55]
	s_and_b32 exec_lo, exec_lo, vcc_lo
	s_cbranch_execz .LBB23_9
; %bb.8:
	v_div_scale_f64 v[56:57], null, v[54:55], v[54:55], 1.0
	v_rcp_f64_e32 v[58:59], v[56:57]
	v_fma_f64 v[60:61], -v[56:57], v[58:59], 1.0
	v_fma_f64 v[58:59], v[58:59], v[60:61], v[58:59]
	v_fma_f64 v[60:61], -v[56:57], v[58:59], 1.0
	v_fma_f64 v[58:59], v[58:59], v[60:61], v[58:59]
	v_div_scale_f64 v[60:61], vcc_lo, 1.0, v[54:55], 1.0
	v_mul_f64 v[62:63], v[60:61], v[58:59]
	v_fma_f64 v[56:57], -v[56:57], v[62:63], v[60:61]
	v_div_fmas_f64 v[56:57], v[56:57], v[58:59], v[62:63]
	v_div_fixup_f64 v[54:55], v[56:57], v[54:55], 1.0
	ds_write_b64 v1, v[54:55]
.LBB23_9:
	s_or_b32 exec_lo, exec_lo, s1
	s_waitcnt lgkmcnt(0)
	s_barrier
	buffer_gl0_inv
	ds_read_b64 v[54:55], v1
	s_mov_b32 s1, exec_lo
	v_cmpx_lt_u32_e32 1, v0
	s_cbranch_execz .LBB23_11
; %bb.10:
	s_waitcnt lgkmcnt(0)
	v_mul_f64 v[44:45], v[44:45], v[54:55]
	ds_read2_b64 v[56:59], v74 offset0:2 offset1:3
	ds_read2_b64 v[60:63], v74 offset0:4 offset1:5
	;; [unrolled: 1-line block ×5, first 2 shown]
	s_waitcnt lgkmcnt(4)
	v_fma_f64 v[46:47], -v[44:45], v[56:57], v[46:47]
	v_fma_f64 v[48:49], -v[44:45], v[58:59], v[48:49]
	s_waitcnt lgkmcnt(3)
	v_fma_f64 v[30:31], -v[44:45], v[60:61], v[30:31]
	v_fma_f64 v[32:33], -v[44:45], v[62:63], v[32:33]
	;; [unrolled: 3-line block ×5, first 2 shown]
.LBB23_11:
	s_or_b32 exec_lo, exec_lo, s1
	s_mov_b32 s1, exec_lo
	s_waitcnt lgkmcnt(0)
	s_barrier
	buffer_gl0_inv
	v_cmpx_eq_u32_e32 2, v0
	s_cbranch_execz .LBB23_14
; %bb.12:
	ds_write_b64 v1, v[46:47]
	ds_write2_b64 v74, v[48:49], v[30:31] offset0:3 offset1:4
	ds_write2_b64 v74, v[32:33], v[26:27] offset0:5 offset1:6
	;; [unrolled: 1-line block ×4, first 2 shown]
	ds_write_b64 v74, v[50:51] offset:88
	ds_read_b64 v[56:57], v1
	s_waitcnt lgkmcnt(0)
	v_cmp_neq_f64_e32 vcc_lo, 0, v[56:57]
	s_and_b32 exec_lo, exec_lo, vcc_lo
	s_cbranch_execz .LBB23_14
; %bb.13:
	v_div_scale_f64 v[58:59], null, v[56:57], v[56:57], 1.0
	v_rcp_f64_e32 v[60:61], v[58:59]
	v_fma_f64 v[62:63], -v[58:59], v[60:61], 1.0
	v_fma_f64 v[60:61], v[60:61], v[62:63], v[60:61]
	v_fma_f64 v[62:63], -v[58:59], v[60:61], 1.0
	v_fma_f64 v[60:61], v[60:61], v[62:63], v[60:61]
	v_div_scale_f64 v[62:63], vcc_lo, 1.0, v[56:57], 1.0
	v_mul_f64 v[64:65], v[62:63], v[60:61]
	v_fma_f64 v[58:59], -v[58:59], v[64:65], v[62:63]
	v_div_fmas_f64 v[58:59], v[58:59], v[60:61], v[64:65]
	v_div_fixup_f64 v[56:57], v[58:59], v[56:57], 1.0
	ds_write_b64 v1, v[56:57]
.LBB23_14:
	s_or_b32 exec_lo, exec_lo, s1
	s_waitcnt lgkmcnt(0)
	s_barrier
	buffer_gl0_inv
	ds_read_b64 v[56:57], v1
	s_mov_b32 s1, exec_lo
	v_cmpx_lt_u32_e32 2, v0
	s_cbranch_execz .LBB23_16
; %bb.15:
	s_waitcnt lgkmcnt(0)
	v_mul_f64 v[46:47], v[46:47], v[56:57]
	ds_read2_b64 v[58:61], v74 offset0:3 offset1:4
	ds_read2_b64 v[62:65], v74 offset0:5 offset1:6
	;; [unrolled: 1-line block ×4, first 2 shown]
	ds_read_b64 v[75:76], v74 offset:88
	s_waitcnt lgkmcnt(4)
	v_fma_f64 v[48:49], -v[46:47], v[58:59], v[48:49]
	v_fma_f64 v[30:31], -v[46:47], v[60:61], v[30:31]
	s_waitcnt lgkmcnt(3)
	v_fma_f64 v[32:33], -v[46:47], v[62:63], v[32:33]
	v_fma_f64 v[26:27], -v[46:47], v[64:65], v[26:27]
	;; [unrolled: 3-line block ×4, first 2 shown]
	s_waitcnt lgkmcnt(0)
	v_fma_f64 v[50:51], -v[46:47], v[75:76], v[50:51]
.LBB23_16:
	s_or_b32 exec_lo, exec_lo, s1
	s_mov_b32 s1, exec_lo
	s_waitcnt lgkmcnt(0)
	s_barrier
	buffer_gl0_inv
	v_cmpx_eq_u32_e32 3, v0
	s_cbranch_execz .LBB23_19
; %bb.17:
	ds_write_b64 v1, v[48:49]
	ds_write2_b64 v74, v[30:31], v[32:33] offset0:4 offset1:5
	ds_write2_b64 v74, v[26:27], v[28:29] offset0:6 offset1:7
	;; [unrolled: 1-line block ×4, first 2 shown]
	ds_read_b64 v[58:59], v1
	s_waitcnt lgkmcnt(0)
	v_cmp_neq_f64_e32 vcc_lo, 0, v[58:59]
	s_and_b32 exec_lo, exec_lo, vcc_lo
	s_cbranch_execz .LBB23_19
; %bb.18:
	v_div_scale_f64 v[60:61], null, v[58:59], v[58:59], 1.0
	v_rcp_f64_e32 v[62:63], v[60:61]
	v_fma_f64 v[64:65], -v[60:61], v[62:63], 1.0
	v_fma_f64 v[62:63], v[62:63], v[64:65], v[62:63]
	v_fma_f64 v[64:65], -v[60:61], v[62:63], 1.0
	v_fma_f64 v[62:63], v[62:63], v[64:65], v[62:63]
	v_div_scale_f64 v[64:65], vcc_lo, 1.0, v[58:59], 1.0
	v_mul_f64 v[66:67], v[64:65], v[62:63]
	v_fma_f64 v[60:61], -v[60:61], v[66:67], v[64:65]
	v_div_fmas_f64 v[60:61], v[60:61], v[62:63], v[66:67]
	v_div_fixup_f64 v[58:59], v[60:61], v[58:59], 1.0
	ds_write_b64 v1, v[58:59]
.LBB23_19:
	s_or_b32 exec_lo, exec_lo, s1
	s_waitcnt lgkmcnt(0)
	s_barrier
	buffer_gl0_inv
	ds_read_b64 v[58:59], v1
	s_mov_b32 s1, exec_lo
	v_cmpx_lt_u32_e32 3, v0
	s_cbranch_execz .LBB23_21
; %bb.20:
	s_waitcnt lgkmcnt(0)
	v_mul_f64 v[48:49], v[48:49], v[58:59]
	ds_read2_b64 v[60:63], v74 offset0:4 offset1:5
	ds_read2_b64 v[64:67], v74 offset0:6 offset1:7
	;; [unrolled: 1-line block ×4, first 2 shown]
	s_waitcnt lgkmcnt(3)
	v_fma_f64 v[30:31], -v[48:49], v[60:61], v[30:31]
	v_fma_f64 v[32:33], -v[48:49], v[62:63], v[32:33]
	s_waitcnt lgkmcnt(2)
	v_fma_f64 v[26:27], -v[48:49], v[64:65], v[26:27]
	v_fma_f64 v[28:29], -v[48:49], v[66:67], v[28:29]
	;; [unrolled: 3-line block ×4, first 2 shown]
.LBB23_21:
	s_or_b32 exec_lo, exec_lo, s1
	s_mov_b32 s1, exec_lo
	s_waitcnt lgkmcnt(0)
	s_barrier
	buffer_gl0_inv
	v_cmpx_eq_u32_e32 4, v0
	s_cbranch_execz .LBB23_24
; %bb.22:
	ds_write_b64 v1, v[30:31]
	ds_write2_b64 v74, v[32:33], v[26:27] offset0:5 offset1:6
	ds_write2_b64 v74, v[28:29], v[36:37] offset0:7 offset1:8
	;; [unrolled: 1-line block ×3, first 2 shown]
	ds_write_b64 v74, v[50:51] offset:88
	ds_read_b64 v[60:61], v1
	s_waitcnt lgkmcnt(0)
	v_cmp_neq_f64_e32 vcc_lo, 0, v[60:61]
	s_and_b32 exec_lo, exec_lo, vcc_lo
	s_cbranch_execz .LBB23_24
; %bb.23:
	v_div_scale_f64 v[62:63], null, v[60:61], v[60:61], 1.0
	v_rcp_f64_e32 v[64:65], v[62:63]
	v_fma_f64 v[66:67], -v[62:63], v[64:65], 1.0
	v_fma_f64 v[64:65], v[64:65], v[66:67], v[64:65]
	v_fma_f64 v[66:67], -v[62:63], v[64:65], 1.0
	v_fma_f64 v[64:65], v[64:65], v[66:67], v[64:65]
	v_div_scale_f64 v[66:67], vcc_lo, 1.0, v[60:61], 1.0
	v_mul_f64 v[68:69], v[66:67], v[64:65]
	v_fma_f64 v[62:63], -v[62:63], v[68:69], v[66:67]
	v_div_fmas_f64 v[62:63], v[62:63], v[64:65], v[68:69]
	v_div_fixup_f64 v[60:61], v[62:63], v[60:61], 1.0
	ds_write_b64 v1, v[60:61]
.LBB23_24:
	s_or_b32 exec_lo, exec_lo, s1
	s_waitcnt lgkmcnt(0)
	s_barrier
	buffer_gl0_inv
	ds_read_b64 v[60:61], v1
	s_mov_b32 s1, exec_lo
	v_cmpx_lt_u32_e32 4, v0
	s_cbranch_execz .LBB23_26
; %bb.25:
	s_waitcnt lgkmcnt(0)
	v_mul_f64 v[30:31], v[30:31], v[60:61]
	ds_read2_b64 v[62:65], v74 offset0:5 offset1:6
	ds_read2_b64 v[66:69], v74 offset0:7 offset1:8
	;; [unrolled: 1-line block ×3, first 2 shown]
	ds_read_b64 v[75:76], v74 offset:88
	s_waitcnt lgkmcnt(3)
	v_fma_f64 v[32:33], -v[30:31], v[62:63], v[32:33]
	v_fma_f64 v[26:27], -v[30:31], v[64:65], v[26:27]
	s_waitcnt lgkmcnt(2)
	v_fma_f64 v[28:29], -v[30:31], v[66:67], v[28:29]
	v_fma_f64 v[36:37], -v[30:31], v[68:69], v[36:37]
	;; [unrolled: 3-line block ×3, first 2 shown]
	s_waitcnt lgkmcnt(0)
	v_fma_f64 v[50:51], -v[30:31], v[75:76], v[50:51]
.LBB23_26:
	s_or_b32 exec_lo, exec_lo, s1
	s_mov_b32 s1, exec_lo
	s_waitcnt lgkmcnt(0)
	s_barrier
	buffer_gl0_inv
	v_cmpx_eq_u32_e32 5, v0
	s_cbranch_execz .LBB23_29
; %bb.27:
	ds_write_b64 v1, v[32:33]
	ds_write2_b64 v74, v[26:27], v[28:29] offset0:6 offset1:7
	ds_write2_b64 v74, v[36:37], v[38:39] offset0:8 offset1:9
	;; [unrolled: 1-line block ×3, first 2 shown]
	ds_read_b64 v[62:63], v1
	s_waitcnt lgkmcnt(0)
	v_cmp_neq_f64_e32 vcc_lo, 0, v[62:63]
	s_and_b32 exec_lo, exec_lo, vcc_lo
	s_cbranch_execz .LBB23_29
; %bb.28:
	v_div_scale_f64 v[64:65], null, v[62:63], v[62:63], 1.0
	v_rcp_f64_e32 v[66:67], v[64:65]
	v_fma_f64 v[68:69], -v[64:65], v[66:67], 1.0
	v_fma_f64 v[66:67], v[66:67], v[68:69], v[66:67]
	v_fma_f64 v[68:69], -v[64:65], v[66:67], 1.0
	v_fma_f64 v[66:67], v[66:67], v[68:69], v[66:67]
	v_div_scale_f64 v[68:69], vcc_lo, 1.0, v[62:63], 1.0
	v_mul_f64 v[70:71], v[68:69], v[66:67]
	v_fma_f64 v[64:65], -v[64:65], v[70:71], v[68:69]
	v_div_fmas_f64 v[64:65], v[64:65], v[66:67], v[70:71]
	v_div_fixup_f64 v[62:63], v[64:65], v[62:63], 1.0
	ds_write_b64 v1, v[62:63]
.LBB23_29:
	s_or_b32 exec_lo, exec_lo, s1
	s_waitcnt lgkmcnt(0)
	s_barrier
	buffer_gl0_inv
	ds_read_b64 v[62:63], v1
	s_mov_b32 s1, exec_lo
	v_cmpx_lt_u32_e32 5, v0
	s_cbranch_execz .LBB23_31
; %bb.30:
	s_waitcnt lgkmcnt(0)
	v_mul_f64 v[32:33], v[32:33], v[62:63]
	ds_read2_b64 v[64:67], v74 offset0:6 offset1:7
	ds_read2_b64 v[68:71], v74 offset0:8 offset1:9
	;; [unrolled: 1-line block ×3, first 2 shown]
	s_waitcnt lgkmcnt(2)
	v_fma_f64 v[26:27], -v[32:33], v[64:65], v[26:27]
	v_fma_f64 v[28:29], -v[32:33], v[66:67], v[28:29]
	s_waitcnt lgkmcnt(1)
	v_fma_f64 v[36:37], -v[32:33], v[68:69], v[36:37]
	v_fma_f64 v[38:39], -v[32:33], v[70:71], v[38:39]
	;; [unrolled: 3-line block ×3, first 2 shown]
.LBB23_31:
	s_or_b32 exec_lo, exec_lo, s1
	s_mov_b32 s1, exec_lo
	s_waitcnt lgkmcnt(0)
	s_barrier
	buffer_gl0_inv
	v_cmpx_eq_u32_e32 6, v0
	s_cbranch_execz .LBB23_34
; %bb.32:
	ds_write_b64 v1, v[26:27]
	ds_write2_b64 v74, v[28:29], v[36:37] offset0:7 offset1:8
	ds_write2_b64 v74, v[38:39], v[40:41] offset0:9 offset1:10
	ds_write_b64 v74, v[50:51] offset:88
	ds_read_b64 v[64:65], v1
	s_waitcnt lgkmcnt(0)
	v_cmp_neq_f64_e32 vcc_lo, 0, v[64:65]
	s_and_b32 exec_lo, exec_lo, vcc_lo
	s_cbranch_execz .LBB23_34
; %bb.33:
	v_div_scale_f64 v[66:67], null, v[64:65], v[64:65], 1.0
	v_rcp_f64_e32 v[68:69], v[66:67]
	v_fma_f64 v[70:71], -v[66:67], v[68:69], 1.0
	v_fma_f64 v[68:69], v[68:69], v[70:71], v[68:69]
	v_fma_f64 v[70:71], -v[66:67], v[68:69], 1.0
	v_fma_f64 v[68:69], v[68:69], v[70:71], v[68:69]
	v_div_scale_f64 v[70:71], vcc_lo, 1.0, v[64:65], 1.0
	v_mul_f64 v[72:73], v[70:71], v[68:69]
	v_fma_f64 v[66:67], -v[66:67], v[72:73], v[70:71]
	v_div_fmas_f64 v[66:67], v[66:67], v[68:69], v[72:73]
	v_div_fixup_f64 v[64:65], v[66:67], v[64:65], 1.0
	ds_write_b64 v1, v[64:65]
.LBB23_34:
	s_or_b32 exec_lo, exec_lo, s1
	s_waitcnt lgkmcnt(0)
	s_barrier
	buffer_gl0_inv
	ds_read_b64 v[64:65], v1
	s_mov_b32 s1, exec_lo
	v_cmpx_lt_u32_e32 6, v0
	s_cbranch_execz .LBB23_36
; %bb.35:
	s_waitcnt lgkmcnt(0)
	v_mul_f64 v[26:27], v[26:27], v[64:65]
	ds_read2_b64 v[66:69], v74 offset0:7 offset1:8
	ds_read2_b64 v[70:73], v74 offset0:9 offset1:10
	ds_read_b64 v[75:76], v74 offset:88
	s_waitcnt lgkmcnt(2)
	v_fma_f64 v[28:29], -v[26:27], v[66:67], v[28:29]
	v_fma_f64 v[36:37], -v[26:27], v[68:69], v[36:37]
	s_waitcnt lgkmcnt(1)
	v_fma_f64 v[38:39], -v[26:27], v[70:71], v[38:39]
	v_fma_f64 v[40:41], -v[26:27], v[72:73], v[40:41]
	s_waitcnt lgkmcnt(0)
	v_fma_f64 v[50:51], -v[26:27], v[75:76], v[50:51]
.LBB23_36:
	s_or_b32 exec_lo, exec_lo, s1
	s_mov_b32 s1, exec_lo
	s_waitcnt lgkmcnt(0)
	s_barrier
	buffer_gl0_inv
	v_cmpx_eq_u32_e32 7, v0
	s_cbranch_execz .LBB23_39
; %bb.37:
	ds_write_b64 v1, v[28:29]
	ds_write2_b64 v74, v[36:37], v[38:39] offset0:8 offset1:9
	ds_write2_b64 v74, v[40:41], v[50:51] offset0:10 offset1:11
	ds_read_b64 v[66:67], v1
	s_waitcnt lgkmcnt(0)
	v_cmp_neq_f64_e32 vcc_lo, 0, v[66:67]
	s_and_b32 exec_lo, exec_lo, vcc_lo
	s_cbranch_execz .LBB23_39
; %bb.38:
	v_div_scale_f64 v[68:69], null, v[66:67], v[66:67], 1.0
	v_rcp_f64_e32 v[70:71], v[68:69]
	v_fma_f64 v[72:73], -v[68:69], v[70:71], 1.0
	v_fma_f64 v[70:71], v[70:71], v[72:73], v[70:71]
	v_fma_f64 v[72:73], -v[68:69], v[70:71], 1.0
	v_fma_f64 v[70:71], v[70:71], v[72:73], v[70:71]
	v_div_scale_f64 v[72:73], vcc_lo, 1.0, v[66:67], 1.0
	v_mul_f64 v[75:76], v[72:73], v[70:71]
	v_fma_f64 v[68:69], -v[68:69], v[75:76], v[72:73]
	v_div_fmas_f64 v[68:69], v[68:69], v[70:71], v[75:76]
	v_div_fixup_f64 v[66:67], v[68:69], v[66:67], 1.0
	ds_write_b64 v1, v[66:67]
.LBB23_39:
	s_or_b32 exec_lo, exec_lo, s1
	s_waitcnt lgkmcnt(0)
	s_barrier
	buffer_gl0_inv
	ds_read_b64 v[66:67], v1
	s_mov_b32 s1, exec_lo
	v_cmpx_lt_u32_e32 7, v0
	s_cbranch_execz .LBB23_41
; %bb.40:
	s_waitcnt lgkmcnt(0)
	v_mul_f64 v[28:29], v[28:29], v[66:67]
	ds_read2_b64 v[68:71], v74 offset0:8 offset1:9
	ds_read2_b64 v[75:78], v74 offset0:10 offset1:11
	s_waitcnt lgkmcnt(1)
	v_fma_f64 v[36:37], -v[28:29], v[68:69], v[36:37]
	v_fma_f64 v[38:39], -v[28:29], v[70:71], v[38:39]
	s_waitcnt lgkmcnt(0)
	v_fma_f64 v[40:41], -v[28:29], v[75:76], v[40:41]
	v_fma_f64 v[50:51], -v[28:29], v[77:78], v[50:51]
.LBB23_41:
	s_or_b32 exec_lo, exec_lo, s1
	s_mov_b32 s1, exec_lo
	s_waitcnt lgkmcnt(0)
	s_barrier
	buffer_gl0_inv
	v_cmpx_eq_u32_e32 8, v0
	s_cbranch_execz .LBB23_44
; %bb.42:
	ds_write_b64 v1, v[36:37]
	ds_write2_b64 v74, v[38:39], v[40:41] offset0:9 offset1:10
	ds_write_b64 v74, v[50:51] offset:88
	ds_read_b64 v[68:69], v1
	s_waitcnt lgkmcnt(0)
	v_cmp_neq_f64_e32 vcc_lo, 0, v[68:69]
	s_and_b32 exec_lo, exec_lo, vcc_lo
	s_cbranch_execz .LBB23_44
; %bb.43:
	v_div_scale_f64 v[70:71], null, v[68:69], v[68:69], 1.0
	v_rcp_f64_e32 v[72:73], v[70:71]
	v_fma_f64 v[75:76], -v[70:71], v[72:73], 1.0
	v_fma_f64 v[72:73], v[72:73], v[75:76], v[72:73]
	v_fma_f64 v[75:76], -v[70:71], v[72:73], 1.0
	v_fma_f64 v[72:73], v[72:73], v[75:76], v[72:73]
	v_div_scale_f64 v[75:76], vcc_lo, 1.0, v[68:69], 1.0
	v_mul_f64 v[77:78], v[75:76], v[72:73]
	v_fma_f64 v[70:71], -v[70:71], v[77:78], v[75:76]
	v_div_fmas_f64 v[70:71], v[70:71], v[72:73], v[77:78]
	v_div_fixup_f64 v[68:69], v[70:71], v[68:69], 1.0
	ds_write_b64 v1, v[68:69]
.LBB23_44:
	s_or_b32 exec_lo, exec_lo, s1
	s_waitcnt lgkmcnt(0)
	s_barrier
	buffer_gl0_inv
	ds_read_b64 v[68:69], v1
	s_mov_b32 s1, exec_lo
	v_cmpx_lt_u32_e32 8, v0
	s_cbranch_execz .LBB23_46
; %bb.45:
	s_waitcnt lgkmcnt(0)
	v_mul_f64 v[36:37], v[36:37], v[68:69]
	ds_read2_b64 v[70:73], v74 offset0:9 offset1:10
	ds_read_b64 v[75:76], v74 offset:88
	s_waitcnt lgkmcnt(1)
	v_fma_f64 v[38:39], -v[36:37], v[70:71], v[38:39]
	v_fma_f64 v[40:41], -v[36:37], v[72:73], v[40:41]
	s_waitcnt lgkmcnt(0)
	v_fma_f64 v[50:51], -v[36:37], v[75:76], v[50:51]
.LBB23_46:
	s_or_b32 exec_lo, exec_lo, s1
	s_mov_b32 s1, exec_lo
	s_waitcnt lgkmcnt(0)
	s_barrier
	buffer_gl0_inv
	v_cmpx_eq_u32_e32 9, v0
	s_cbranch_execz .LBB23_49
; %bb.47:
	ds_write_b64 v1, v[38:39]
	ds_write2_b64 v74, v[40:41], v[50:51] offset0:10 offset1:11
	ds_read_b64 v[70:71], v1
	s_waitcnt lgkmcnt(0)
	v_cmp_neq_f64_e32 vcc_lo, 0, v[70:71]
	s_and_b32 exec_lo, exec_lo, vcc_lo
	s_cbranch_execz .LBB23_49
; %bb.48:
	v_div_scale_f64 v[72:73], null, v[70:71], v[70:71], 1.0
	v_rcp_f64_e32 v[75:76], v[72:73]
	v_fma_f64 v[77:78], -v[72:73], v[75:76], 1.0
	v_fma_f64 v[75:76], v[75:76], v[77:78], v[75:76]
	v_fma_f64 v[77:78], -v[72:73], v[75:76], 1.0
	v_fma_f64 v[75:76], v[75:76], v[77:78], v[75:76]
	v_div_scale_f64 v[77:78], vcc_lo, 1.0, v[70:71], 1.0
	v_mul_f64 v[79:80], v[77:78], v[75:76]
	v_fma_f64 v[72:73], -v[72:73], v[79:80], v[77:78]
	v_div_fmas_f64 v[72:73], v[72:73], v[75:76], v[79:80]
	v_div_fixup_f64 v[70:71], v[72:73], v[70:71], 1.0
	ds_write_b64 v1, v[70:71]
.LBB23_49:
	s_or_b32 exec_lo, exec_lo, s1
	s_waitcnt lgkmcnt(0)
	s_barrier
	buffer_gl0_inv
	ds_read_b64 v[70:71], v1
	s_mov_b32 s1, exec_lo
	v_cmpx_lt_u32_e32 9, v0
	s_cbranch_execz .LBB23_51
; %bb.50:
	s_waitcnt lgkmcnt(0)
	v_mul_f64 v[38:39], v[38:39], v[70:71]
	ds_read2_b64 v[75:78], v74 offset0:10 offset1:11
	s_waitcnt lgkmcnt(0)
	v_fma_f64 v[40:41], -v[38:39], v[75:76], v[40:41]
	v_fma_f64 v[50:51], -v[38:39], v[77:78], v[50:51]
.LBB23_51:
	s_or_b32 exec_lo, exec_lo, s1
	s_mov_b32 s1, exec_lo
	s_waitcnt lgkmcnt(0)
	s_barrier
	buffer_gl0_inv
	v_cmpx_eq_u32_e32 10, v0
	s_cbranch_execz .LBB23_54
; %bb.52:
	ds_write_b64 v1, v[40:41]
	ds_write_b64 v74, v[50:51] offset:88
	ds_read_b64 v[72:73], v1
	s_waitcnt lgkmcnt(0)
	v_cmp_neq_f64_e32 vcc_lo, 0, v[72:73]
	s_and_b32 exec_lo, exec_lo, vcc_lo
	s_cbranch_execz .LBB23_54
; %bb.53:
	v_div_scale_f64 v[75:76], null, v[72:73], v[72:73], 1.0
	v_rcp_f64_e32 v[77:78], v[75:76]
	v_fma_f64 v[79:80], -v[75:76], v[77:78], 1.0
	v_fma_f64 v[77:78], v[77:78], v[79:80], v[77:78]
	v_fma_f64 v[79:80], -v[75:76], v[77:78], 1.0
	v_fma_f64 v[77:78], v[77:78], v[79:80], v[77:78]
	v_div_scale_f64 v[79:80], vcc_lo, 1.0, v[72:73], 1.0
	v_mul_f64 v[81:82], v[79:80], v[77:78]
	v_fma_f64 v[75:76], -v[75:76], v[81:82], v[79:80]
	v_div_fmas_f64 v[75:76], v[75:76], v[77:78], v[81:82]
	v_div_fixup_f64 v[72:73], v[75:76], v[72:73], 1.0
	ds_write_b64 v1, v[72:73]
.LBB23_54:
	s_or_b32 exec_lo, exec_lo, s1
	s_waitcnt lgkmcnt(0)
	s_barrier
	buffer_gl0_inv
	ds_read_b64 v[72:73], v1
	s_mov_b32 s1, exec_lo
	v_cmpx_lt_u32_e32 10, v0
	s_cbranch_execz .LBB23_56
; %bb.55:
	s_waitcnt lgkmcnt(0)
	v_mul_f64 v[40:41], v[40:41], v[72:73]
	ds_read_b64 v[74:75], v74 offset:88
	s_waitcnt lgkmcnt(0)
	v_fma_f64 v[50:51], -v[40:41], v[74:75], v[50:51]
.LBB23_56:
	s_or_b32 exec_lo, exec_lo, s1
	s_mov_b32 s1, exec_lo
	s_waitcnt lgkmcnt(0)
	s_barrier
	buffer_gl0_inv
	v_cmpx_ne_u32_e32 11, v0
	s_xor_b32 s1, exec_lo, s1
	s_andn2_saveexec_b32 s1, s1
	s_cbranch_execz .LBB23_60
; %bb.57:
	s_mov_b32 s2, exec_lo
	ds_write_b64 v1, v[50:51]
	v_cmpx_neq_f64_e32 0, v[50:51]
	s_cbranch_execz .LBB23_59
; %bb.58:
	v_div_scale_f64 v[74:75], null, v[50:51], v[50:51], 1.0
	v_rcp_f64_e32 v[76:77], v[74:75]
	v_fma_f64 v[78:79], -v[74:75], v[76:77], 1.0
	v_fma_f64 v[76:77], v[76:77], v[78:79], v[76:77]
	v_fma_f64 v[78:79], -v[74:75], v[76:77], 1.0
	v_fma_f64 v[76:77], v[76:77], v[78:79], v[76:77]
	v_div_scale_f64 v[78:79], vcc_lo, 1.0, v[50:51], 1.0
	v_mul_f64 v[80:81], v[78:79], v[76:77]
	v_fma_f64 v[74:75], -v[74:75], v[80:81], v[78:79]
	v_div_fmas_f64 v[74:75], v[74:75], v[76:77], v[80:81]
	v_div_fixup_f64 v[74:75], v[74:75], v[50:51], 1.0
	ds_write_b64 v1, v[74:75]
.LBB23_59:
	s_or_b32 exec_lo, exec_lo, s2
.LBB23_60:
	s_or_b32 exec_lo, exec_lo, s1
	s_waitcnt lgkmcnt(0)
	s_barrier
	buffer_gl0_inv
	ds_read_b64 v[74:75], v1
	s_waitcnt lgkmcnt(0)
	s_barrier
	buffer_gl0_inv
	s_and_saveexec_b32 s3, s0
	s_cbranch_execz .LBB23_63
; %bb.61:
	s_load_dwordx2 s[0:1], s[4:5], 0x28
	v_lshlrev_b64 v[1:2], 2, v[2:3]
	v_cmp_eq_f64_e64 s2, 0, v[58:59]
	s_waitcnt lgkmcnt(0)
	v_add_co_u32 v1, vcc_lo, s0, v1
	v_add_co_ci_u32_e64 v2, null, s1, v2, vcc_lo
	v_cmp_eq_f64_e32 vcc_lo, 0, v[52:53]
	v_cmp_neq_f64_e64 s0, 0, v[54:55]
	v_cmp_eq_f64_e64 s1, 0, v[56:57]
	global_load_dword v76, v[1:2], off
	v_cndmask_b32_e64 v3, 0, 1, vcc_lo
	s_or_b32 vcc_lo, s0, vcc_lo
	v_cmp_eq_f64_e64 s0, 0, v[60:61]
	v_cndmask_b32_e32 v3, 2, v3, vcc_lo
	v_cmp_eq_u32_e32 vcc_lo, 0, v3
	s_and_b32 s1, s1, vcc_lo
	v_cndmask_b32_e64 v3, v3, 3, s1
	v_cmp_eq_f64_e64 s1, 0, v[62:63]
	v_cmp_eq_u32_e32 vcc_lo, 0, v3
	s_and_b32 s2, s2, vcc_lo
	v_cndmask_b32_e64 v3, v3, 4, s2
	v_cmp_eq_f64_e64 s2, 0, v[64:65]
	;; [unrolled: 4-line block ×7, first 2 shown]
	v_cmp_eq_u32_e32 vcc_lo, 0, v3
	s_and_b32 s2, s2, vcc_lo
	v_cndmask_b32_e64 v3, v3, 10, s2
	v_cmp_eq_u32_e32 vcc_lo, 0, v3
	s_and_b32 s0, s0, vcc_lo
	v_cndmask_b32_e64 v3, v3, 11, s0
	;; [unrolled: 3-line block ×3, first 2 shown]
	v_cmp_ne_u32_e64 s0, 0, v3
	s_waitcnt vmcnt(0)
	v_cmp_eq_u32_e32 vcc_lo, 0, v76
	s_and_b32 s0, vcc_lo, s0
	s_and_b32 exec_lo, exec_lo, s0
	s_cbranch_execz .LBB23_63
; %bb.62:
	v_add_nc_u32_e32 v3, s9, v3
	global_store_dword v[1:2], v3, off
.LBB23_63:
	s_or_b32 exec_lo, exec_lo, s3
	v_mul_f64 v[1:2], v[50:51], v[74:75]
	v_cmp_lt_u32_e32 vcc_lo, 11, v0
	flat_store_dwordx2 v[4:5], v[42:43]
	flat_store_dwordx2 v[34:35], v[44:45]
	flat_store_dwordx2 v[6:7], v[46:47]
	flat_store_dwordx2 v[8:9], v[48:49]
	flat_store_dwordx2 v[10:11], v[30:31]
	flat_store_dwordx2 v[14:15], v[32:33]
	v_cndmask_b32_e32 v2, v51, v2, vcc_lo
	v_cndmask_b32_e32 v1, v50, v1, vcc_lo
	flat_store_dwordx2 v[12:13], v[26:27]
	flat_store_dwordx2 v[16:17], v[28:29]
	;; [unrolled: 1-line block ×6, first 2 shown]
.LBB23_64:
	s_endpgm
	.section	.rodata,"a",@progbits
	.p2align	6, 0x0
	.amdhsa_kernel _ZN9rocsolver6v33100L23getf2_npvt_small_kernelILi12EdiiPKPdEEvT1_T3_lS5_lPT2_S5_S5_
		.amdhsa_group_segment_fixed_size 0
		.amdhsa_private_segment_fixed_size 0
		.amdhsa_kernarg_size 312
		.amdhsa_user_sgpr_count 6
		.amdhsa_user_sgpr_private_segment_buffer 1
		.amdhsa_user_sgpr_dispatch_ptr 0
		.amdhsa_user_sgpr_queue_ptr 0
		.amdhsa_user_sgpr_kernarg_segment_ptr 1
		.amdhsa_user_sgpr_dispatch_id 0
		.amdhsa_user_sgpr_flat_scratch_init 0
		.amdhsa_user_sgpr_private_segment_size 0
		.amdhsa_wavefront_size32 1
		.amdhsa_uses_dynamic_stack 0
		.amdhsa_system_sgpr_private_segment_wavefront_offset 0
		.amdhsa_system_sgpr_workgroup_id_x 1
		.amdhsa_system_sgpr_workgroup_id_y 1
		.amdhsa_system_sgpr_workgroup_id_z 0
		.amdhsa_system_sgpr_workgroup_info 0
		.amdhsa_system_vgpr_workitem_id 1
		.amdhsa_next_free_vgpr 83
		.amdhsa_next_free_sgpr 11
		.amdhsa_reserve_vcc 1
		.amdhsa_reserve_flat_scratch 1
		.amdhsa_float_round_mode_32 0
		.amdhsa_float_round_mode_16_64 0
		.amdhsa_float_denorm_mode_32 3
		.amdhsa_float_denorm_mode_16_64 3
		.amdhsa_dx10_clamp 1
		.amdhsa_ieee_mode 1
		.amdhsa_fp16_overflow 0
		.amdhsa_workgroup_processor_mode 1
		.amdhsa_memory_ordered 1
		.amdhsa_forward_progress 1
		.amdhsa_shared_vgpr_count 0
		.amdhsa_exception_fp_ieee_invalid_op 0
		.amdhsa_exception_fp_denorm_src 0
		.amdhsa_exception_fp_ieee_div_zero 0
		.amdhsa_exception_fp_ieee_overflow 0
		.amdhsa_exception_fp_ieee_underflow 0
		.amdhsa_exception_fp_ieee_inexact 0
		.amdhsa_exception_int_div_zero 0
	.end_amdhsa_kernel
	.section	.text._ZN9rocsolver6v33100L23getf2_npvt_small_kernelILi12EdiiPKPdEEvT1_T3_lS5_lPT2_S5_S5_,"axG",@progbits,_ZN9rocsolver6v33100L23getf2_npvt_small_kernelILi12EdiiPKPdEEvT1_T3_lS5_lPT2_S5_S5_,comdat
.Lfunc_end23:
	.size	_ZN9rocsolver6v33100L23getf2_npvt_small_kernelILi12EdiiPKPdEEvT1_T3_lS5_lPT2_S5_S5_, .Lfunc_end23-_ZN9rocsolver6v33100L23getf2_npvt_small_kernelILi12EdiiPKPdEEvT1_T3_lS5_lPT2_S5_S5_
                                        ; -- End function
	.set _ZN9rocsolver6v33100L23getf2_npvt_small_kernelILi12EdiiPKPdEEvT1_T3_lS5_lPT2_S5_S5_.num_vgpr, 83
	.set _ZN9rocsolver6v33100L23getf2_npvt_small_kernelILi12EdiiPKPdEEvT1_T3_lS5_lPT2_S5_S5_.num_agpr, 0
	.set _ZN9rocsolver6v33100L23getf2_npvt_small_kernelILi12EdiiPKPdEEvT1_T3_lS5_lPT2_S5_S5_.numbered_sgpr, 11
	.set _ZN9rocsolver6v33100L23getf2_npvt_small_kernelILi12EdiiPKPdEEvT1_T3_lS5_lPT2_S5_S5_.num_named_barrier, 0
	.set _ZN9rocsolver6v33100L23getf2_npvt_small_kernelILi12EdiiPKPdEEvT1_T3_lS5_lPT2_S5_S5_.private_seg_size, 0
	.set _ZN9rocsolver6v33100L23getf2_npvt_small_kernelILi12EdiiPKPdEEvT1_T3_lS5_lPT2_S5_S5_.uses_vcc, 1
	.set _ZN9rocsolver6v33100L23getf2_npvt_small_kernelILi12EdiiPKPdEEvT1_T3_lS5_lPT2_S5_S5_.uses_flat_scratch, 1
	.set _ZN9rocsolver6v33100L23getf2_npvt_small_kernelILi12EdiiPKPdEEvT1_T3_lS5_lPT2_S5_S5_.has_dyn_sized_stack, 0
	.set _ZN9rocsolver6v33100L23getf2_npvt_small_kernelILi12EdiiPKPdEEvT1_T3_lS5_lPT2_S5_S5_.has_recursion, 0
	.set _ZN9rocsolver6v33100L23getf2_npvt_small_kernelILi12EdiiPKPdEEvT1_T3_lS5_lPT2_S5_S5_.has_indirect_call, 0
	.section	.AMDGPU.csdata,"",@progbits
; Kernel info:
; codeLenInByte = 4864
; TotalNumSgprs: 13
; NumVgprs: 83
; ScratchSize: 0
; MemoryBound: 0
; FloatMode: 240
; IeeeMode: 1
; LDSByteSize: 0 bytes/workgroup (compile time only)
; SGPRBlocks: 0
; VGPRBlocks: 10
; NumSGPRsForWavesPerEU: 13
; NumVGPRsForWavesPerEU: 83
; Occupancy: 10
; WaveLimiterHint : 1
; COMPUTE_PGM_RSRC2:SCRATCH_EN: 0
; COMPUTE_PGM_RSRC2:USER_SGPR: 6
; COMPUTE_PGM_RSRC2:TRAP_HANDLER: 0
; COMPUTE_PGM_RSRC2:TGID_X_EN: 1
; COMPUTE_PGM_RSRC2:TGID_Y_EN: 1
; COMPUTE_PGM_RSRC2:TGID_Z_EN: 0
; COMPUTE_PGM_RSRC2:TIDIG_COMP_CNT: 1
	.section	.text._ZN9rocsolver6v33100L18getf2_small_kernelILi13EdiiPKPdEEvT1_T3_lS5_lPS5_llPT2_S5_S5_S7_l,"axG",@progbits,_ZN9rocsolver6v33100L18getf2_small_kernelILi13EdiiPKPdEEvT1_T3_lS5_lPS5_llPT2_S5_S5_S7_l,comdat
	.globl	_ZN9rocsolver6v33100L18getf2_small_kernelILi13EdiiPKPdEEvT1_T3_lS5_lPS5_llPT2_S5_S5_S7_l ; -- Begin function _ZN9rocsolver6v33100L18getf2_small_kernelILi13EdiiPKPdEEvT1_T3_lS5_lPS5_llPT2_S5_S5_S7_l
	.p2align	8
	.type	_ZN9rocsolver6v33100L18getf2_small_kernelILi13EdiiPKPdEEvT1_T3_lS5_lPS5_llPT2_S5_S5_S7_l,@function
_ZN9rocsolver6v33100L18getf2_small_kernelILi13EdiiPKPdEEvT1_T3_lS5_lPS5_llPT2_S5_S5_S7_l: ; @_ZN9rocsolver6v33100L18getf2_small_kernelILi13EdiiPKPdEEvT1_T3_lS5_lPS5_llPT2_S5_S5_S7_l
; %bb.0:
	s_clause 0x1
	s_load_dword s0, s[4:5], 0x6c
	s_load_dwordx2 s[12:13], s[4:5], 0x48
	s_waitcnt lgkmcnt(0)
	s_lshr_b32 s0, s0, 16
	v_mad_u64_u32 v[2:3], null, s7, s0, v[1:2]
	s_mov_b32 s0, exec_lo
	v_cmpx_gt_i32_e64 s12, v2
	s_cbranch_execz .LBB24_218
; %bb.1:
	s_clause 0x1
	s_load_dwordx4 s[0:3], s[4:5], 0x8
	s_load_dwordx4 s[8:11], s[4:5], 0x50
	v_ashrrev_i32_e32 v3, 31, v2
	v_mov_b32_e32 v28, 0
	v_mov_b32_e32 v29, 0
	v_lshlrev_b64 v[4:5], 3, v[2:3]
	s_waitcnt lgkmcnt(0)
	v_add_co_u32 v4, vcc_lo, s0, v4
	v_add_co_ci_u32_e64 v5, null, s1, v5, vcc_lo
	s_cmp_eq_u64 s[8:9], 0
	s_cselect_b32 s6, -1, 0
	global_load_dwordx2 v[4:5], v[4:5], off
	s_and_b32 vcc_lo, exec_lo, s6
	s_cbranch_vccnz .LBB24_3
; %bb.2:
	v_mul_lo_u32 v8, s11, v2
	v_mul_lo_u32 v9, s10, v3
	v_mad_u64_u32 v[6:7], null, s10, v2, 0
	v_add3_u32 v7, v7, v9, v8
	v_lshlrev_b64 v[6:7], 2, v[6:7]
	v_add_co_u32 v28, vcc_lo, s8, v6
	v_add_co_ci_u32_e64 v29, null, s9, v7, vcc_lo
.LBB24_3:
	s_load_dword s8, s[4:5], 0x18
	s_lshl_b64 s[0:1], s[2:3], 3
	s_load_dword s2, s[4:5], 0x0
	s_waitcnt vmcnt(0)
	v_add_co_u32 v36, vcc_lo, v4, s0
	v_lshlrev_b32_e32 v39, 3, v0
	v_add_co_ci_u32_e64 v37, null, s1, v5, vcc_lo
	v_add_co_u32 v8, vcc_lo, v36, v39
	v_add_co_ci_u32_e64 v9, null, 0, v37, vcc_lo
	s_waitcnt lgkmcnt(0)
	v_add3_u32 v6, s8, s8, v0
	s_ashr_i32 s9, s8, 31
	s_max_i32 s0, s2, 13
	s_lshl_b64 s[10:11], s[8:9], 3
	v_mul_lo_u32 v1, s0, v1
	v_add_nc_u32_e32 v4, s8, v6
	v_ashrrev_i32_e32 v7, 31, v6
	v_add_co_u32 v12, vcc_lo, v8, s10
	v_add_co_ci_u32_e64 v13, null, s11, v9, vcc_lo
	v_add_nc_u32_e32 v10, s8, v4
	v_ashrrev_i32_e32 v5, 31, v4
	v_lshlrev_b64 v[6:7], 3, v[6:7]
	v_lshl_add_u32 v38, v1, 3, 0
	s_cmp_lt_i32 s2, 2
	v_add_nc_u32_e32 v14, s8, v10
	v_ashrrev_i32_e32 v11, 31, v10
	v_lshlrev_b64 v[4:5], 3, v[4:5]
	v_add_co_u32 v6, vcc_lo, v36, v6
	v_add_nc_u32_e32 v16, s8, v14
	v_ashrrev_i32_e32 v15, 31, v14
	v_lshlrev_b64 v[10:11], 3, v[10:11]
	v_add_co_ci_u32_e64 v7, null, v37, v7, vcc_lo
	v_add_nc_u32_e32 v22, s8, v16
	v_add_co_u32 v4, vcc_lo, v36, v4
	v_lshlrev_b64 v[14:15], 3, v[14:15]
	v_add_co_ci_u32_e64 v5, null, v37, v5, vcc_lo
	v_ashrrev_i32_e32 v17, 31, v16
	s_clause 0x3
	flat_load_dwordx2 v[26:27], v[8:9]
	flat_load_dwordx2 v[18:19], v[12:13]
	flat_load_dwordx2 v[20:21], v[6:7]
	flat_load_dwordx2 v[4:5], v[4:5]
	v_add_co_u32 v6, vcc_lo, v36, v10
	v_ashrrev_i32_e32 v23, 31, v22
	v_add_nc_u32_e32 v10, s8, v22
	v_add_co_ci_u32_e64 v7, null, v37, v11, vcc_lo
	v_lshlrev_b64 v[8:9], 3, v[16:17]
	v_add_co_u32 v12, vcc_lo, v36, v14
	v_add_co_ci_u32_e64 v13, null, v37, v15, vcc_lo
	v_lshlrev_b64 v[14:15], 3, v[22:23]
	v_add_nc_u32_e32 v30, s8, v10
	v_add_co_u32 v8, vcc_lo, v36, v8
	v_add_co_ci_u32_e64 v9, null, v37, v9, vcc_lo
	v_add_nc_u32_e32 v32, s8, v30
	v_add_co_u32 v14, vcc_lo, v36, v14
	v_ashrrev_i32_e32 v11, 31, v10
	v_add_co_ci_u32_e64 v15, null, v37, v15, vcc_lo
	v_ashrrev_i32_e32 v31, 31, v30
	s_clause 0x3
	flat_load_dwordx2 v[22:23], v[6:7]
	flat_load_dwordx2 v[24:25], v[12:13]
	;; [unrolled: 1-line block ×4, first 2 shown]
	v_add_nc_u32_e32 v12, s8, v32
	v_ashrrev_i32_e32 v33, 31, v32
	v_lshlrev_b64 v[10:11], 3, v[10:11]
	v_lshlrev_b64 v[8:9], 3, v[30:31]
	v_add_nc_u32_e32 v30, s8, v12
	v_lshlrev_b64 v[14:15], 3, v[32:33]
	v_ashrrev_i32_e32 v13, 31, v12
	v_add_co_u32 v10, vcc_lo, v36, v10
	v_ashrrev_i32_e32 v31, 31, v30
	v_add_co_ci_u32_e64 v11, null, v37, v11, vcc_lo
	v_add_co_u32 v32, vcc_lo, v36, v8
	v_add_co_ci_u32_e64 v33, null, v37, v9, vcc_lo
	v_lshlrev_b64 v[8:9], 3, v[12:13]
	v_add_co_u32 v12, vcc_lo, v36, v14
	v_add_co_ci_u32_e64 v13, null, v37, v15, vcc_lo
	v_lshlrev_b64 v[14:15], 3, v[30:31]
	v_add_co_u32 v30, vcc_lo, v36, v8
	v_add_co_ci_u32_e64 v31, null, v37, v9, vcc_lo
	v_add_co_u32 v34, vcc_lo, v36, v14
	v_add_co_ci_u32_e64 v35, null, v37, v15, vcc_lo
	s_clause 0x4
	flat_load_dwordx2 v[8:9], v[10:11]
	flat_load_dwordx2 v[10:11], v[32:33]
	;; [unrolled: 1-line block ×5, first 2 shown]
	v_add_nc_u32_e32 v32, v38, v39
	v_mov_b32_e32 v34, 0
	v_lshlrev_b32_e32 v39, 3, v1
	s_waitcnt vmcnt(12) lgkmcnt(12)
	ds_write_b64 v32, v[26:27]
	s_waitcnt vmcnt(0) lgkmcnt(0)
	s_barrier
	buffer_gl0_inv
	ds_read_b64 v[32:33], v38
	s_cbranch_scc1 .LBB24_6
; %bb.4:
	v_add3_u32 v1, v39, 0, 8
	v_mov_b32_e32 v34, 0
	s_mov_b32 s0, 1
.LBB24_5:                               ; =>This Inner Loop Header: Depth=1
	ds_read_b64 v[40:41], v1
	v_add_nc_u32_e32 v1, 8, v1
	s_waitcnt lgkmcnt(0)
	v_cmp_lt_f64_e64 vcc_lo, |v[32:33]|, |v[40:41]|
	v_cndmask_b32_e32 v33, v33, v41, vcc_lo
	v_cndmask_b32_e32 v32, v32, v40, vcc_lo
	v_cndmask_b32_e64 v34, v34, s0, vcc_lo
	s_add_i32 s0, s0, 1
	s_cmp_eq_u32 s2, s0
	s_cbranch_scc0 .LBB24_5
.LBB24_6:
	s_mov_b32 s0, exec_lo
                                        ; implicit-def: $vgpr40
	v_cmpx_ne_u32_e64 v0, v34
	s_xor_b32 s0, exec_lo, s0
	s_cbranch_execz .LBB24_12
; %bb.7:
	s_mov_b32 s1, exec_lo
	v_cmpx_eq_u32_e32 0, v0
	s_cbranch_execz .LBB24_11
; %bb.8:
	v_cmp_ne_u32_e32 vcc_lo, 0, v34
	s_xor_b32 s3, s6, -1
	s_and_b32 s7, s3, vcc_lo
	s_and_saveexec_b32 s3, s7
	s_cbranch_execz .LBB24_10
; %bb.9:
	v_ashrrev_i32_e32 v35, 31, v34
	v_lshlrev_b64 v[0:1], 2, v[34:35]
	v_add_co_u32 v0, vcc_lo, v28, v0
	v_add_co_ci_u32_e64 v1, null, v29, v1, vcc_lo
	s_clause 0x1
	global_load_dword v35, v[0:1], off
	global_load_dword v40, v[28:29], off
	s_waitcnt vmcnt(1)
	global_store_dword v[28:29], v35, off
	s_waitcnt vmcnt(0)
	global_store_dword v[0:1], v40, off
.LBB24_10:
	s_or_b32 exec_lo, exec_lo, s3
	v_mov_b32_e32 v0, v34
.LBB24_11:
	s_or_b32 exec_lo, exec_lo, s1
	v_mov_b32_e32 v40, v0
                                        ; implicit-def: $vgpr0
.LBB24_12:
	s_or_saveexec_b32 s0, s0
	v_mov_b32_e32 v34, v40
	s_xor_b32 exec_lo, exec_lo, s0
	s_cbranch_execz .LBB24_14
; %bb.13:
	v_mov_b32_e32 v40, 0
	v_mov_b32_e32 v34, v0
	ds_write2_b64 v38, v[18:19], v[20:21] offset0:1 offset1:2
	ds_write2_b64 v38, v[4:5], v[22:23] offset0:3 offset1:4
	;; [unrolled: 1-line block ×6, first 2 shown]
.LBB24_14:
	s_or_b32 exec_lo, exec_lo, s0
	s_waitcnt lgkmcnt(0)
	v_cmp_eq_f64_e64 s0, 0, v[32:33]
	s_mov_b32 s1, exec_lo
	s_waitcnt_vscnt null, 0x0
	s_barrier
	buffer_gl0_inv
	v_cmpx_lt_i32_e32 0, v40
	s_cbranch_execz .LBB24_16
; %bb.15:
	v_div_scale_f64 v[0:1], null, v[32:33], v[32:33], 1.0
	v_div_scale_f64 v[45:46], vcc_lo, 1.0, v[32:33], 1.0
	v_rcp_f64_e32 v[41:42], v[0:1]
	v_fma_f64 v[43:44], -v[0:1], v[41:42], 1.0
	v_fma_f64 v[41:42], v[41:42], v[43:44], v[41:42]
	v_fma_f64 v[43:44], -v[0:1], v[41:42], 1.0
	v_fma_f64 v[41:42], v[41:42], v[43:44], v[41:42]
	v_mul_f64 v[43:44], v[45:46], v[41:42]
	v_fma_f64 v[0:1], -v[0:1], v[43:44], v[45:46]
	v_div_fmas_f64 v[0:1], v[0:1], v[41:42], v[43:44]
	ds_read2_b64 v[41:44], v38 offset0:1 offset1:2
	ds_read2_b64 v[45:48], v38 offset0:3 offset1:4
	;; [unrolled: 1-line block ×6, first 2 shown]
	v_div_fixup_f64 v[0:1], v[0:1], v[32:33], 1.0
	v_cndmask_b32_e64 v1, v1, v33, s0
	v_cndmask_b32_e64 v0, v0, v32, s0
	v_mul_f64 v[26:27], v[26:27], v[0:1]
	s_waitcnt lgkmcnt(5)
	v_fma_f64 v[18:19], -v[26:27], v[41:42], v[18:19]
	v_fma_f64 v[20:21], -v[26:27], v[43:44], v[20:21]
	s_waitcnt lgkmcnt(4)
	v_fma_f64 v[4:5], -v[26:27], v[45:46], v[4:5]
	v_fma_f64 v[22:23], -v[26:27], v[47:48], v[22:23]
	;; [unrolled: 3-line block ×6, first 2 shown]
.LBB24_16:
	s_or_b32 exec_lo, exec_lo, s1
	v_lshl_add_u32 v0, v40, 3, v38
	s_barrier
	buffer_gl0_inv
	v_mov_b32_e32 v32, 1
	ds_write_b64 v0, v[18:19]
	s_waitcnt lgkmcnt(0)
	s_barrier
	buffer_gl0_inv
	ds_read_b64 v[0:1], v38 offset:8
	s_cmp_lt_i32 s2, 3
	s_cbranch_scc1 .LBB24_19
; %bb.17:
	v_add3_u32 v33, v39, 0, 16
	v_mov_b32_e32 v32, 1
	s_mov_b32 s1, 2
.LBB24_18:                              ; =>This Inner Loop Header: Depth=1
	ds_read_b64 v[41:42], v33
	v_add_nc_u32_e32 v33, 8, v33
	s_waitcnt lgkmcnt(0)
	v_cmp_lt_f64_e64 vcc_lo, |v[0:1]|, |v[41:42]|
	v_cndmask_b32_e32 v1, v1, v42, vcc_lo
	v_cndmask_b32_e32 v0, v0, v41, vcc_lo
	v_cndmask_b32_e64 v32, v32, s1, vcc_lo
	s_add_i32 s1, s1, 1
	s_cmp_lg_u32 s2, s1
	s_cbranch_scc1 .LBB24_18
.LBB24_19:
	s_mov_b32 s1, exec_lo
	v_cmpx_ne_u32_e64 v40, v32
	s_xor_b32 s1, exec_lo, s1
	s_cbranch_execz .LBB24_25
; %bb.20:
	s_mov_b32 s3, exec_lo
	v_cmpx_eq_u32_e32 1, v40
	s_cbranch_execz .LBB24_24
; %bb.21:
	v_cmp_ne_u32_e32 vcc_lo, 1, v32
	s_xor_b32 s7, s6, -1
	s_and_b32 s9, s7, vcc_lo
	s_and_saveexec_b32 s7, s9
	s_cbranch_execz .LBB24_23
; %bb.22:
	v_ashrrev_i32_e32 v33, 31, v32
	v_lshlrev_b64 v[33:34], 2, v[32:33]
	v_add_co_u32 v33, vcc_lo, v28, v33
	v_add_co_ci_u32_e64 v34, null, v29, v34, vcc_lo
	s_clause 0x1
	global_load_dword v35, v[33:34], off
	global_load_dword v40, v[28:29], off offset:4
	s_waitcnt vmcnt(1)
	global_store_dword v[28:29], v35, off offset:4
	s_waitcnt vmcnt(0)
	global_store_dword v[33:34], v40, off
.LBB24_23:
	s_or_b32 exec_lo, exec_lo, s7
	v_mov_b32_e32 v34, v32
	v_mov_b32_e32 v40, v32
.LBB24_24:
	s_or_b32 exec_lo, exec_lo, s3
.LBB24_25:
	s_andn2_saveexec_b32 s1, s1
	s_cbranch_execz .LBB24_27
; %bb.26:
	v_mov_b32_e32 v40, 1
	ds_write2_b64 v38, v[20:21], v[4:5] offset0:2 offset1:3
	ds_write2_b64 v38, v[22:23], v[24:25] offset0:4 offset1:5
	;; [unrolled: 1-line block ×5, first 2 shown]
	ds_write_b64 v38, v[30:31] offset:96
.LBB24_27:
	s_or_b32 exec_lo, exec_lo, s1
	s_waitcnt lgkmcnt(0)
	v_cmp_neq_f64_e64 s1, 0, v[0:1]
	s_mov_b32 s3, exec_lo
	s_waitcnt_vscnt null, 0x0
	s_barrier
	buffer_gl0_inv
	v_cmpx_lt_i32_e32 1, v40
	s_cbranch_execz .LBB24_29
; %bb.28:
	v_div_scale_f64 v[32:33], null, v[0:1], v[0:1], 1.0
	v_div_scale_f64 v[45:46], vcc_lo, 1.0, v[0:1], 1.0
	v_rcp_f64_e32 v[41:42], v[32:33]
	v_fma_f64 v[43:44], -v[32:33], v[41:42], 1.0
	v_fma_f64 v[41:42], v[41:42], v[43:44], v[41:42]
	v_fma_f64 v[43:44], -v[32:33], v[41:42], 1.0
	v_fma_f64 v[41:42], v[41:42], v[43:44], v[41:42]
	v_mul_f64 v[43:44], v[45:46], v[41:42]
	v_fma_f64 v[32:33], -v[32:33], v[43:44], v[45:46]
	v_div_fmas_f64 v[32:33], v[32:33], v[41:42], v[43:44]
	v_div_fixup_f64 v[32:33], v[32:33], v[0:1], 1.0
	v_cndmask_b32_e64 v1, v1, v33, s1
	v_cndmask_b32_e64 v0, v0, v32, s1
	v_mul_f64 v[18:19], v[18:19], v[0:1]
	ds_read2_b64 v[41:44], v38 offset0:2 offset1:3
	ds_read2_b64 v[45:48], v38 offset0:4 offset1:5
	;; [unrolled: 1-line block ×5, first 2 shown]
	ds_read_b64 v[0:1], v38 offset:96
	s_waitcnt lgkmcnt(5)
	v_fma_f64 v[20:21], -v[18:19], v[41:42], v[20:21]
	v_fma_f64 v[4:5], -v[18:19], v[43:44], v[4:5]
	s_waitcnt lgkmcnt(4)
	v_fma_f64 v[22:23], -v[18:19], v[45:46], v[22:23]
	v_fma_f64 v[24:25], -v[18:19], v[47:48], v[24:25]
	;; [unrolled: 3-line block ×5, first 2 shown]
	s_waitcnt lgkmcnt(0)
	v_fma_f64 v[30:31], -v[18:19], v[0:1], v[30:31]
.LBB24_29:
	s_or_b32 exec_lo, exec_lo, s3
	v_lshl_add_u32 v0, v40, 3, v38
	s_barrier
	buffer_gl0_inv
	v_mov_b32_e32 v32, 2
	ds_write_b64 v0, v[20:21]
	s_waitcnt lgkmcnt(0)
	s_barrier
	buffer_gl0_inv
	ds_read_b64 v[0:1], v38 offset:16
	s_cmp_lt_i32 s2, 4
	s_mov_b32 s3, 3
	s_cbranch_scc1 .LBB24_32
; %bb.30:
	v_add3_u32 v33, v39, 0, 24
	v_mov_b32_e32 v32, 2
.LBB24_31:                              ; =>This Inner Loop Header: Depth=1
	ds_read_b64 v[41:42], v33
	v_add_nc_u32_e32 v33, 8, v33
	s_waitcnt lgkmcnt(0)
	v_cmp_lt_f64_e64 vcc_lo, |v[0:1]|, |v[41:42]|
	v_cndmask_b32_e32 v1, v1, v42, vcc_lo
	v_cndmask_b32_e32 v0, v0, v41, vcc_lo
	v_cndmask_b32_e64 v32, v32, s3, vcc_lo
	s_add_i32 s3, s3, 1
	s_cmp_lg_u32 s2, s3
	s_cbranch_scc1 .LBB24_31
.LBB24_32:
	v_cndmask_b32_e64 v33, 2, 1, s0
	v_cndmask_b32_e64 v35, 0, 1, s0
	s_mov_b32 s0, exec_lo
	v_cndmask_b32_e64 v35, v33, v35, s1
	s_waitcnt lgkmcnt(0)
	v_cmpx_eq_f64_e32 0, v[0:1]
	s_xor_b32 s0, exec_lo, s0
; %bb.33:
	v_cmp_ne_u32_e32 vcc_lo, 0, v35
	v_cndmask_b32_e32 v35, 3, v35, vcc_lo
; %bb.34:
	s_andn2_saveexec_b32 s0, s0
	s_cbranch_execz .LBB24_36
; %bb.35:
	v_div_scale_f64 v[41:42], null, v[0:1], v[0:1], 1.0
	v_rcp_f64_e32 v[43:44], v[41:42]
	v_fma_f64 v[45:46], -v[41:42], v[43:44], 1.0
	v_fma_f64 v[43:44], v[43:44], v[45:46], v[43:44]
	v_fma_f64 v[45:46], -v[41:42], v[43:44], 1.0
	v_fma_f64 v[43:44], v[43:44], v[45:46], v[43:44]
	v_div_scale_f64 v[45:46], vcc_lo, 1.0, v[0:1], 1.0
	v_mul_f64 v[47:48], v[45:46], v[43:44]
	v_fma_f64 v[41:42], -v[41:42], v[47:48], v[45:46]
	v_div_fmas_f64 v[41:42], v[41:42], v[43:44], v[47:48]
	v_div_fixup_f64 v[0:1], v[41:42], v[0:1], 1.0
.LBB24_36:
	s_or_b32 exec_lo, exec_lo, s0
	s_mov_b32 s0, exec_lo
	v_cmpx_ne_u32_e64 v40, v32
	s_xor_b32 s0, exec_lo, s0
	s_cbranch_execz .LBB24_42
; %bb.37:
	s_mov_b32 s1, exec_lo
	v_cmpx_eq_u32_e32 2, v40
	s_cbranch_execz .LBB24_41
; %bb.38:
	v_cmp_ne_u32_e32 vcc_lo, 2, v32
	s_xor_b32 s3, s6, -1
	s_and_b32 s7, s3, vcc_lo
	s_and_saveexec_b32 s3, s7
	s_cbranch_execz .LBB24_40
; %bb.39:
	v_ashrrev_i32_e32 v33, 31, v32
	v_lshlrev_b64 v[33:34], 2, v[32:33]
	v_add_co_u32 v33, vcc_lo, v28, v33
	v_add_co_ci_u32_e64 v34, null, v29, v34, vcc_lo
	s_clause 0x1
	global_load_dword v40, v[33:34], off
	global_load_dword v41, v[28:29], off offset:8
	s_waitcnt vmcnt(1)
	global_store_dword v[28:29], v40, off offset:8
	s_waitcnt vmcnt(0)
	global_store_dword v[33:34], v41, off
.LBB24_40:
	s_or_b32 exec_lo, exec_lo, s3
	v_mov_b32_e32 v34, v32
	v_mov_b32_e32 v40, v32
.LBB24_41:
	s_or_b32 exec_lo, exec_lo, s1
.LBB24_42:
	s_andn2_saveexec_b32 s0, s0
	s_cbranch_execz .LBB24_44
; %bb.43:
	v_mov_b32_e32 v40, 2
	ds_write2_b64 v38, v[4:5], v[22:23] offset0:3 offset1:4
	ds_write2_b64 v38, v[24:25], v[16:17] offset0:5 offset1:6
	;; [unrolled: 1-line block ×5, first 2 shown]
.LBB24_44:
	s_or_b32 exec_lo, exec_lo, s0
	s_mov_b32 s0, exec_lo
	s_waitcnt lgkmcnt(0)
	s_waitcnt_vscnt null, 0x0
	s_barrier
	buffer_gl0_inv
	v_cmpx_lt_i32_e32 2, v40
	s_cbranch_execz .LBB24_46
; %bb.45:
	v_mul_f64 v[20:21], v[20:21], v[0:1]
	ds_read2_b64 v[41:44], v38 offset0:3 offset1:4
	ds_read2_b64 v[45:48], v38 offset0:5 offset1:6
	;; [unrolled: 1-line block ×5, first 2 shown]
	s_waitcnt lgkmcnt(4)
	v_fma_f64 v[4:5], -v[20:21], v[41:42], v[4:5]
	v_fma_f64 v[22:23], -v[20:21], v[43:44], v[22:23]
	s_waitcnt lgkmcnt(3)
	v_fma_f64 v[24:25], -v[20:21], v[45:46], v[24:25]
	v_fma_f64 v[16:17], -v[20:21], v[47:48], v[16:17]
	;; [unrolled: 3-line block ×5, first 2 shown]
.LBB24_46:
	s_or_b32 exec_lo, exec_lo, s0
	v_lshl_add_u32 v0, v40, 3, v38
	s_barrier
	buffer_gl0_inv
	v_mov_b32_e32 v32, 3
	ds_write_b64 v0, v[4:5]
	s_waitcnt lgkmcnt(0)
	s_barrier
	buffer_gl0_inv
	ds_read_b64 v[0:1], v38 offset:24
	s_cmp_lt_i32 s2, 5
	s_cbranch_scc1 .LBB24_49
; %bb.47:
	v_mov_b32_e32 v32, 3
	v_add3_u32 v33, v39, 0, 32
	s_mov_b32 s0, 4
.LBB24_48:                              ; =>This Inner Loop Header: Depth=1
	ds_read_b64 v[41:42], v33
	v_add_nc_u32_e32 v33, 8, v33
	s_waitcnt lgkmcnt(0)
	v_cmp_lt_f64_e64 vcc_lo, |v[0:1]|, |v[41:42]|
	v_cndmask_b32_e32 v1, v1, v42, vcc_lo
	v_cndmask_b32_e32 v0, v0, v41, vcc_lo
	v_cndmask_b32_e64 v32, v32, s0, vcc_lo
	s_add_i32 s0, s0, 1
	s_cmp_lg_u32 s2, s0
	s_cbranch_scc1 .LBB24_48
.LBB24_49:
	s_mov_b32 s0, exec_lo
	s_waitcnt lgkmcnt(0)
	v_cmpx_eq_f64_e32 0, v[0:1]
	s_xor_b32 s0, exec_lo, s0
; %bb.50:
	v_cmp_ne_u32_e32 vcc_lo, 0, v35
	v_cndmask_b32_e32 v35, 4, v35, vcc_lo
; %bb.51:
	s_andn2_saveexec_b32 s0, s0
	s_cbranch_execz .LBB24_53
; %bb.52:
	v_div_scale_f64 v[41:42], null, v[0:1], v[0:1], 1.0
	v_rcp_f64_e32 v[43:44], v[41:42]
	v_fma_f64 v[45:46], -v[41:42], v[43:44], 1.0
	v_fma_f64 v[43:44], v[43:44], v[45:46], v[43:44]
	v_fma_f64 v[45:46], -v[41:42], v[43:44], 1.0
	v_fma_f64 v[43:44], v[43:44], v[45:46], v[43:44]
	v_div_scale_f64 v[45:46], vcc_lo, 1.0, v[0:1], 1.0
	v_mul_f64 v[47:48], v[45:46], v[43:44]
	v_fma_f64 v[41:42], -v[41:42], v[47:48], v[45:46]
	v_div_fmas_f64 v[41:42], v[41:42], v[43:44], v[47:48]
	v_div_fixup_f64 v[0:1], v[41:42], v[0:1], 1.0
.LBB24_53:
	s_or_b32 exec_lo, exec_lo, s0
	s_mov_b32 s0, exec_lo
	v_cmpx_ne_u32_e64 v40, v32
	s_xor_b32 s0, exec_lo, s0
	s_cbranch_execz .LBB24_59
; %bb.54:
	s_mov_b32 s1, exec_lo
	v_cmpx_eq_u32_e32 3, v40
	s_cbranch_execz .LBB24_58
; %bb.55:
	v_cmp_ne_u32_e32 vcc_lo, 3, v32
	s_xor_b32 s3, s6, -1
	s_and_b32 s7, s3, vcc_lo
	s_and_saveexec_b32 s3, s7
	s_cbranch_execz .LBB24_57
; %bb.56:
	v_ashrrev_i32_e32 v33, 31, v32
	v_lshlrev_b64 v[33:34], 2, v[32:33]
	v_add_co_u32 v33, vcc_lo, v28, v33
	v_add_co_ci_u32_e64 v34, null, v29, v34, vcc_lo
	s_clause 0x1
	global_load_dword v40, v[33:34], off
	global_load_dword v41, v[28:29], off offset:12
	s_waitcnt vmcnt(1)
	global_store_dword v[28:29], v40, off offset:12
	s_waitcnt vmcnt(0)
	global_store_dword v[33:34], v41, off
.LBB24_57:
	s_or_b32 exec_lo, exec_lo, s3
	v_mov_b32_e32 v34, v32
	v_mov_b32_e32 v40, v32
.LBB24_58:
	s_or_b32 exec_lo, exec_lo, s1
.LBB24_59:
	s_andn2_saveexec_b32 s0, s0
	s_cbranch_execz .LBB24_61
; %bb.60:
	v_mov_b32_e32 v40, 3
	ds_write2_b64 v38, v[22:23], v[24:25] offset0:4 offset1:5
	ds_write2_b64 v38, v[16:17], v[6:7] offset0:6 offset1:7
	;; [unrolled: 1-line block ×4, first 2 shown]
	ds_write_b64 v38, v[30:31] offset:96
.LBB24_61:
	s_or_b32 exec_lo, exec_lo, s0
	s_mov_b32 s0, exec_lo
	s_waitcnt lgkmcnt(0)
	s_waitcnt_vscnt null, 0x0
	s_barrier
	buffer_gl0_inv
	v_cmpx_lt_i32_e32 3, v40
	s_cbranch_execz .LBB24_63
; %bb.62:
	v_mul_f64 v[4:5], v[4:5], v[0:1]
	ds_read2_b64 v[41:44], v38 offset0:4 offset1:5
	ds_read2_b64 v[45:48], v38 offset0:6 offset1:7
	;; [unrolled: 1-line block ×4, first 2 shown]
	ds_read_b64 v[0:1], v38 offset:96
	s_waitcnt lgkmcnt(4)
	v_fma_f64 v[22:23], -v[4:5], v[41:42], v[22:23]
	v_fma_f64 v[24:25], -v[4:5], v[43:44], v[24:25]
	s_waitcnt lgkmcnt(3)
	v_fma_f64 v[16:17], -v[4:5], v[45:46], v[16:17]
	v_fma_f64 v[6:7], -v[4:5], v[47:48], v[6:7]
	;; [unrolled: 3-line block ×4, first 2 shown]
	s_waitcnt lgkmcnt(0)
	v_fma_f64 v[30:31], -v[4:5], v[0:1], v[30:31]
.LBB24_63:
	s_or_b32 exec_lo, exec_lo, s0
	v_lshl_add_u32 v0, v40, 3, v38
	s_barrier
	buffer_gl0_inv
	v_mov_b32_e32 v32, 4
	ds_write_b64 v0, v[22:23]
	s_waitcnt lgkmcnt(0)
	s_barrier
	buffer_gl0_inv
	ds_read_b64 v[0:1], v38 offset:32
	s_cmp_lt_i32 s2, 6
	s_cbranch_scc1 .LBB24_66
; %bb.64:
	v_add3_u32 v33, v39, 0, 40
	v_mov_b32_e32 v32, 4
	s_mov_b32 s0, 5
.LBB24_65:                              ; =>This Inner Loop Header: Depth=1
	ds_read_b64 v[41:42], v33
	v_add_nc_u32_e32 v33, 8, v33
	s_waitcnt lgkmcnt(0)
	v_cmp_lt_f64_e64 vcc_lo, |v[0:1]|, |v[41:42]|
	v_cndmask_b32_e32 v1, v1, v42, vcc_lo
	v_cndmask_b32_e32 v0, v0, v41, vcc_lo
	v_cndmask_b32_e64 v32, v32, s0, vcc_lo
	s_add_i32 s0, s0, 1
	s_cmp_lg_u32 s2, s0
	s_cbranch_scc1 .LBB24_65
.LBB24_66:
	s_mov_b32 s0, exec_lo
	s_waitcnt lgkmcnt(0)
	v_cmpx_eq_f64_e32 0, v[0:1]
	s_xor_b32 s0, exec_lo, s0
; %bb.67:
	v_cmp_ne_u32_e32 vcc_lo, 0, v35
	v_cndmask_b32_e32 v35, 5, v35, vcc_lo
; %bb.68:
	s_andn2_saveexec_b32 s0, s0
	s_cbranch_execz .LBB24_70
; %bb.69:
	v_div_scale_f64 v[41:42], null, v[0:1], v[0:1], 1.0
	v_rcp_f64_e32 v[43:44], v[41:42]
	v_fma_f64 v[45:46], -v[41:42], v[43:44], 1.0
	v_fma_f64 v[43:44], v[43:44], v[45:46], v[43:44]
	v_fma_f64 v[45:46], -v[41:42], v[43:44], 1.0
	v_fma_f64 v[43:44], v[43:44], v[45:46], v[43:44]
	v_div_scale_f64 v[45:46], vcc_lo, 1.0, v[0:1], 1.0
	v_mul_f64 v[47:48], v[45:46], v[43:44]
	v_fma_f64 v[41:42], -v[41:42], v[47:48], v[45:46]
	v_div_fmas_f64 v[41:42], v[41:42], v[43:44], v[47:48]
	v_div_fixup_f64 v[0:1], v[41:42], v[0:1], 1.0
.LBB24_70:
	s_or_b32 exec_lo, exec_lo, s0
	s_mov_b32 s0, exec_lo
	v_cmpx_ne_u32_e64 v40, v32
	s_xor_b32 s0, exec_lo, s0
	s_cbranch_execz .LBB24_76
; %bb.71:
	s_mov_b32 s1, exec_lo
	v_cmpx_eq_u32_e32 4, v40
	s_cbranch_execz .LBB24_75
; %bb.72:
	v_cmp_ne_u32_e32 vcc_lo, 4, v32
	s_xor_b32 s3, s6, -1
	s_and_b32 s7, s3, vcc_lo
	s_and_saveexec_b32 s3, s7
	s_cbranch_execz .LBB24_74
; %bb.73:
	v_ashrrev_i32_e32 v33, 31, v32
	v_lshlrev_b64 v[33:34], 2, v[32:33]
	v_add_co_u32 v33, vcc_lo, v28, v33
	v_add_co_ci_u32_e64 v34, null, v29, v34, vcc_lo
	s_clause 0x1
	global_load_dword v40, v[33:34], off
	global_load_dword v41, v[28:29], off offset:16
	s_waitcnt vmcnt(1)
	global_store_dword v[28:29], v40, off offset:16
	s_waitcnt vmcnt(0)
	global_store_dword v[33:34], v41, off
.LBB24_74:
	s_or_b32 exec_lo, exec_lo, s3
	v_mov_b32_e32 v34, v32
	v_mov_b32_e32 v40, v32
.LBB24_75:
	s_or_b32 exec_lo, exec_lo, s1
.LBB24_76:
	s_andn2_saveexec_b32 s0, s0
	s_cbranch_execz .LBB24_78
; %bb.77:
	v_mov_b32_e32 v40, 4
	ds_write2_b64 v38, v[24:25], v[16:17] offset0:5 offset1:6
	ds_write2_b64 v38, v[6:7], v[8:9] offset0:7 offset1:8
	;; [unrolled: 1-line block ×4, first 2 shown]
.LBB24_78:
	s_or_b32 exec_lo, exec_lo, s0
	s_mov_b32 s0, exec_lo
	s_waitcnt lgkmcnt(0)
	s_waitcnt_vscnt null, 0x0
	s_barrier
	buffer_gl0_inv
	v_cmpx_lt_i32_e32 4, v40
	s_cbranch_execz .LBB24_80
; %bb.79:
	v_mul_f64 v[22:23], v[22:23], v[0:1]
	ds_read2_b64 v[41:44], v38 offset0:5 offset1:6
	ds_read2_b64 v[45:48], v38 offset0:7 offset1:8
	;; [unrolled: 1-line block ×4, first 2 shown]
	s_waitcnt lgkmcnt(3)
	v_fma_f64 v[24:25], -v[22:23], v[41:42], v[24:25]
	v_fma_f64 v[16:17], -v[22:23], v[43:44], v[16:17]
	s_waitcnt lgkmcnt(2)
	v_fma_f64 v[6:7], -v[22:23], v[45:46], v[6:7]
	v_fma_f64 v[8:9], -v[22:23], v[47:48], v[8:9]
	;; [unrolled: 3-line block ×4, first 2 shown]
.LBB24_80:
	s_or_b32 exec_lo, exec_lo, s0
	v_lshl_add_u32 v0, v40, 3, v38
	s_barrier
	buffer_gl0_inv
	v_mov_b32_e32 v32, 5
	ds_write_b64 v0, v[24:25]
	s_waitcnt lgkmcnt(0)
	s_barrier
	buffer_gl0_inv
	ds_read_b64 v[0:1], v38 offset:40
	s_cmp_lt_i32 s2, 7
	s_cbranch_scc1 .LBB24_83
; %bb.81:
	v_add3_u32 v33, v39, 0, 48
	v_mov_b32_e32 v32, 5
	s_mov_b32 s0, 6
.LBB24_82:                              ; =>This Inner Loop Header: Depth=1
	ds_read_b64 v[41:42], v33
	v_add_nc_u32_e32 v33, 8, v33
	s_waitcnt lgkmcnt(0)
	v_cmp_lt_f64_e64 vcc_lo, |v[0:1]|, |v[41:42]|
	v_cndmask_b32_e32 v1, v1, v42, vcc_lo
	v_cndmask_b32_e32 v0, v0, v41, vcc_lo
	v_cndmask_b32_e64 v32, v32, s0, vcc_lo
	s_add_i32 s0, s0, 1
	s_cmp_lg_u32 s2, s0
	s_cbranch_scc1 .LBB24_82
.LBB24_83:
	s_mov_b32 s0, exec_lo
	s_waitcnt lgkmcnt(0)
	v_cmpx_eq_f64_e32 0, v[0:1]
	s_xor_b32 s0, exec_lo, s0
; %bb.84:
	v_cmp_ne_u32_e32 vcc_lo, 0, v35
	v_cndmask_b32_e32 v35, 6, v35, vcc_lo
; %bb.85:
	s_andn2_saveexec_b32 s0, s0
	s_cbranch_execz .LBB24_87
; %bb.86:
	v_div_scale_f64 v[41:42], null, v[0:1], v[0:1], 1.0
	v_rcp_f64_e32 v[43:44], v[41:42]
	v_fma_f64 v[45:46], -v[41:42], v[43:44], 1.0
	v_fma_f64 v[43:44], v[43:44], v[45:46], v[43:44]
	v_fma_f64 v[45:46], -v[41:42], v[43:44], 1.0
	v_fma_f64 v[43:44], v[43:44], v[45:46], v[43:44]
	v_div_scale_f64 v[45:46], vcc_lo, 1.0, v[0:1], 1.0
	v_mul_f64 v[47:48], v[45:46], v[43:44]
	v_fma_f64 v[41:42], -v[41:42], v[47:48], v[45:46]
	v_div_fmas_f64 v[41:42], v[41:42], v[43:44], v[47:48]
	v_div_fixup_f64 v[0:1], v[41:42], v[0:1], 1.0
.LBB24_87:
	s_or_b32 exec_lo, exec_lo, s0
	s_mov_b32 s0, exec_lo
	v_cmpx_ne_u32_e64 v40, v32
	s_xor_b32 s0, exec_lo, s0
	s_cbranch_execz .LBB24_93
; %bb.88:
	s_mov_b32 s1, exec_lo
	v_cmpx_eq_u32_e32 5, v40
	s_cbranch_execz .LBB24_92
; %bb.89:
	v_cmp_ne_u32_e32 vcc_lo, 5, v32
	s_xor_b32 s3, s6, -1
	s_and_b32 s7, s3, vcc_lo
	s_and_saveexec_b32 s3, s7
	s_cbranch_execz .LBB24_91
; %bb.90:
	v_ashrrev_i32_e32 v33, 31, v32
	v_lshlrev_b64 v[33:34], 2, v[32:33]
	v_add_co_u32 v33, vcc_lo, v28, v33
	v_add_co_ci_u32_e64 v34, null, v29, v34, vcc_lo
	s_clause 0x1
	global_load_dword v40, v[33:34], off
	global_load_dword v41, v[28:29], off offset:20
	s_waitcnt vmcnt(1)
	global_store_dword v[28:29], v40, off offset:20
	s_waitcnt vmcnt(0)
	global_store_dword v[33:34], v41, off
.LBB24_91:
	s_or_b32 exec_lo, exec_lo, s3
	v_mov_b32_e32 v34, v32
	v_mov_b32_e32 v40, v32
.LBB24_92:
	s_or_b32 exec_lo, exec_lo, s1
.LBB24_93:
	s_andn2_saveexec_b32 s0, s0
	s_cbranch_execz .LBB24_95
; %bb.94:
	v_mov_b32_e32 v40, 5
	ds_write2_b64 v38, v[16:17], v[6:7] offset0:6 offset1:7
	ds_write2_b64 v38, v[8:9], v[10:11] offset0:8 offset1:9
	;; [unrolled: 1-line block ×3, first 2 shown]
	ds_write_b64 v38, v[30:31] offset:96
.LBB24_95:
	s_or_b32 exec_lo, exec_lo, s0
	s_mov_b32 s0, exec_lo
	s_waitcnt lgkmcnt(0)
	s_waitcnt_vscnt null, 0x0
	s_barrier
	buffer_gl0_inv
	v_cmpx_lt_i32_e32 5, v40
	s_cbranch_execz .LBB24_97
; %bb.96:
	v_mul_f64 v[24:25], v[24:25], v[0:1]
	ds_read2_b64 v[41:44], v38 offset0:6 offset1:7
	ds_read2_b64 v[45:48], v38 offset0:8 offset1:9
	ds_read2_b64 v[49:52], v38 offset0:10 offset1:11
	ds_read_b64 v[0:1], v38 offset:96
	s_waitcnt lgkmcnt(3)
	v_fma_f64 v[16:17], -v[24:25], v[41:42], v[16:17]
	v_fma_f64 v[6:7], -v[24:25], v[43:44], v[6:7]
	s_waitcnt lgkmcnt(2)
	v_fma_f64 v[8:9], -v[24:25], v[45:46], v[8:9]
	v_fma_f64 v[10:11], -v[24:25], v[47:48], v[10:11]
	;; [unrolled: 3-line block ×3, first 2 shown]
	s_waitcnt lgkmcnt(0)
	v_fma_f64 v[30:31], -v[24:25], v[0:1], v[30:31]
.LBB24_97:
	s_or_b32 exec_lo, exec_lo, s0
	v_lshl_add_u32 v0, v40, 3, v38
	s_barrier
	buffer_gl0_inv
	v_mov_b32_e32 v32, 6
	ds_write_b64 v0, v[16:17]
	s_waitcnt lgkmcnt(0)
	s_barrier
	buffer_gl0_inv
	ds_read_b64 v[0:1], v38 offset:48
	s_cmp_lt_i32 s2, 8
	s_cbranch_scc1 .LBB24_100
; %bb.98:
	v_add3_u32 v33, v39, 0, 56
	v_mov_b32_e32 v32, 6
	s_mov_b32 s0, 7
.LBB24_99:                              ; =>This Inner Loop Header: Depth=1
	ds_read_b64 v[41:42], v33
	v_add_nc_u32_e32 v33, 8, v33
	s_waitcnt lgkmcnt(0)
	v_cmp_lt_f64_e64 vcc_lo, |v[0:1]|, |v[41:42]|
	v_cndmask_b32_e32 v1, v1, v42, vcc_lo
	v_cndmask_b32_e32 v0, v0, v41, vcc_lo
	v_cndmask_b32_e64 v32, v32, s0, vcc_lo
	s_add_i32 s0, s0, 1
	s_cmp_lg_u32 s2, s0
	s_cbranch_scc1 .LBB24_99
.LBB24_100:
	s_mov_b32 s0, exec_lo
	s_waitcnt lgkmcnt(0)
	v_cmpx_eq_f64_e32 0, v[0:1]
	s_xor_b32 s0, exec_lo, s0
; %bb.101:
	v_cmp_ne_u32_e32 vcc_lo, 0, v35
	v_cndmask_b32_e32 v35, 7, v35, vcc_lo
; %bb.102:
	s_andn2_saveexec_b32 s0, s0
	s_cbranch_execz .LBB24_104
; %bb.103:
	v_div_scale_f64 v[41:42], null, v[0:1], v[0:1], 1.0
	v_rcp_f64_e32 v[43:44], v[41:42]
	v_fma_f64 v[45:46], -v[41:42], v[43:44], 1.0
	v_fma_f64 v[43:44], v[43:44], v[45:46], v[43:44]
	v_fma_f64 v[45:46], -v[41:42], v[43:44], 1.0
	v_fma_f64 v[43:44], v[43:44], v[45:46], v[43:44]
	v_div_scale_f64 v[45:46], vcc_lo, 1.0, v[0:1], 1.0
	v_mul_f64 v[47:48], v[45:46], v[43:44]
	v_fma_f64 v[41:42], -v[41:42], v[47:48], v[45:46]
	v_div_fmas_f64 v[41:42], v[41:42], v[43:44], v[47:48]
	v_div_fixup_f64 v[0:1], v[41:42], v[0:1], 1.0
.LBB24_104:
	s_or_b32 exec_lo, exec_lo, s0
	s_mov_b32 s0, exec_lo
	v_cmpx_ne_u32_e64 v40, v32
	s_xor_b32 s0, exec_lo, s0
	s_cbranch_execz .LBB24_110
; %bb.105:
	s_mov_b32 s1, exec_lo
	v_cmpx_eq_u32_e32 6, v40
	s_cbranch_execz .LBB24_109
; %bb.106:
	v_cmp_ne_u32_e32 vcc_lo, 6, v32
	s_xor_b32 s3, s6, -1
	s_and_b32 s7, s3, vcc_lo
	s_and_saveexec_b32 s3, s7
	s_cbranch_execz .LBB24_108
; %bb.107:
	v_ashrrev_i32_e32 v33, 31, v32
	v_lshlrev_b64 v[33:34], 2, v[32:33]
	v_add_co_u32 v33, vcc_lo, v28, v33
	v_add_co_ci_u32_e64 v34, null, v29, v34, vcc_lo
	s_clause 0x1
	global_load_dword v40, v[33:34], off
	global_load_dword v41, v[28:29], off offset:24
	s_waitcnt vmcnt(1)
	global_store_dword v[28:29], v40, off offset:24
	s_waitcnt vmcnt(0)
	global_store_dword v[33:34], v41, off
.LBB24_108:
	s_or_b32 exec_lo, exec_lo, s3
	v_mov_b32_e32 v34, v32
	v_mov_b32_e32 v40, v32
.LBB24_109:
	s_or_b32 exec_lo, exec_lo, s1
.LBB24_110:
	s_andn2_saveexec_b32 s0, s0
	s_cbranch_execz .LBB24_112
; %bb.111:
	v_mov_b32_e32 v40, 6
	ds_write2_b64 v38, v[6:7], v[8:9] offset0:7 offset1:8
	ds_write2_b64 v38, v[10:11], v[12:13] offset0:9 offset1:10
	;; [unrolled: 1-line block ×3, first 2 shown]
.LBB24_112:
	s_or_b32 exec_lo, exec_lo, s0
	s_mov_b32 s0, exec_lo
	s_waitcnt lgkmcnt(0)
	s_waitcnt_vscnt null, 0x0
	s_barrier
	buffer_gl0_inv
	v_cmpx_lt_i32_e32 6, v40
	s_cbranch_execz .LBB24_114
; %bb.113:
	v_mul_f64 v[16:17], v[16:17], v[0:1]
	ds_read2_b64 v[41:44], v38 offset0:7 offset1:8
	ds_read2_b64 v[45:48], v38 offset0:9 offset1:10
	;; [unrolled: 1-line block ×3, first 2 shown]
	s_waitcnt lgkmcnt(2)
	v_fma_f64 v[6:7], -v[16:17], v[41:42], v[6:7]
	v_fma_f64 v[8:9], -v[16:17], v[43:44], v[8:9]
	s_waitcnt lgkmcnt(1)
	v_fma_f64 v[10:11], -v[16:17], v[45:46], v[10:11]
	v_fma_f64 v[12:13], -v[16:17], v[47:48], v[12:13]
	;; [unrolled: 3-line block ×3, first 2 shown]
.LBB24_114:
	s_or_b32 exec_lo, exec_lo, s0
	v_lshl_add_u32 v0, v40, 3, v38
	s_barrier
	buffer_gl0_inv
	v_mov_b32_e32 v32, 7
	ds_write_b64 v0, v[6:7]
	s_waitcnt lgkmcnt(0)
	s_barrier
	buffer_gl0_inv
	ds_read_b64 v[0:1], v38 offset:56
	s_cmp_lt_i32 s2, 9
	s_cbranch_scc1 .LBB24_117
; %bb.115:
	v_add3_u32 v33, v39, 0, 64
	v_mov_b32_e32 v32, 7
	s_mov_b32 s0, 8
.LBB24_116:                             ; =>This Inner Loop Header: Depth=1
	ds_read_b64 v[41:42], v33
	v_add_nc_u32_e32 v33, 8, v33
	s_waitcnt lgkmcnt(0)
	v_cmp_lt_f64_e64 vcc_lo, |v[0:1]|, |v[41:42]|
	v_cndmask_b32_e32 v1, v1, v42, vcc_lo
	v_cndmask_b32_e32 v0, v0, v41, vcc_lo
	v_cndmask_b32_e64 v32, v32, s0, vcc_lo
	s_add_i32 s0, s0, 1
	s_cmp_lg_u32 s2, s0
	s_cbranch_scc1 .LBB24_116
.LBB24_117:
	s_mov_b32 s0, exec_lo
	s_waitcnt lgkmcnt(0)
	v_cmpx_eq_f64_e32 0, v[0:1]
	s_xor_b32 s0, exec_lo, s0
; %bb.118:
	v_cmp_ne_u32_e32 vcc_lo, 0, v35
	v_cndmask_b32_e32 v35, 8, v35, vcc_lo
; %bb.119:
	s_andn2_saveexec_b32 s0, s0
	s_cbranch_execz .LBB24_121
; %bb.120:
	v_div_scale_f64 v[41:42], null, v[0:1], v[0:1], 1.0
	v_rcp_f64_e32 v[43:44], v[41:42]
	v_fma_f64 v[45:46], -v[41:42], v[43:44], 1.0
	v_fma_f64 v[43:44], v[43:44], v[45:46], v[43:44]
	v_fma_f64 v[45:46], -v[41:42], v[43:44], 1.0
	v_fma_f64 v[43:44], v[43:44], v[45:46], v[43:44]
	v_div_scale_f64 v[45:46], vcc_lo, 1.0, v[0:1], 1.0
	v_mul_f64 v[47:48], v[45:46], v[43:44]
	v_fma_f64 v[41:42], -v[41:42], v[47:48], v[45:46]
	v_div_fmas_f64 v[41:42], v[41:42], v[43:44], v[47:48]
	v_div_fixup_f64 v[0:1], v[41:42], v[0:1], 1.0
.LBB24_121:
	s_or_b32 exec_lo, exec_lo, s0
	s_mov_b32 s0, exec_lo
	v_cmpx_ne_u32_e64 v40, v32
	s_xor_b32 s0, exec_lo, s0
	s_cbranch_execz .LBB24_127
; %bb.122:
	s_mov_b32 s1, exec_lo
	v_cmpx_eq_u32_e32 7, v40
	s_cbranch_execz .LBB24_126
; %bb.123:
	v_cmp_ne_u32_e32 vcc_lo, 7, v32
	s_xor_b32 s3, s6, -1
	s_and_b32 s7, s3, vcc_lo
	s_and_saveexec_b32 s3, s7
	s_cbranch_execz .LBB24_125
; %bb.124:
	v_ashrrev_i32_e32 v33, 31, v32
	v_lshlrev_b64 v[33:34], 2, v[32:33]
	v_add_co_u32 v33, vcc_lo, v28, v33
	v_add_co_ci_u32_e64 v34, null, v29, v34, vcc_lo
	s_clause 0x1
	global_load_dword v40, v[33:34], off
	global_load_dword v41, v[28:29], off offset:28
	s_waitcnt vmcnt(1)
	global_store_dword v[28:29], v40, off offset:28
	s_waitcnt vmcnt(0)
	global_store_dword v[33:34], v41, off
.LBB24_125:
	s_or_b32 exec_lo, exec_lo, s3
	v_mov_b32_e32 v34, v32
	v_mov_b32_e32 v40, v32
.LBB24_126:
	s_or_b32 exec_lo, exec_lo, s1
.LBB24_127:
	s_andn2_saveexec_b32 s0, s0
	s_cbranch_execz .LBB24_129
; %bb.128:
	v_mov_b32_e32 v40, 7
	ds_write2_b64 v38, v[8:9], v[10:11] offset0:8 offset1:9
	ds_write2_b64 v38, v[12:13], v[14:15] offset0:10 offset1:11
	ds_write_b64 v38, v[30:31] offset:96
.LBB24_129:
	s_or_b32 exec_lo, exec_lo, s0
	s_mov_b32 s0, exec_lo
	s_waitcnt lgkmcnt(0)
	s_waitcnt_vscnt null, 0x0
	s_barrier
	buffer_gl0_inv
	v_cmpx_lt_i32_e32 7, v40
	s_cbranch_execz .LBB24_131
; %bb.130:
	v_mul_f64 v[6:7], v[6:7], v[0:1]
	ds_read2_b64 v[41:44], v38 offset0:8 offset1:9
	ds_read2_b64 v[45:48], v38 offset0:10 offset1:11
	ds_read_b64 v[0:1], v38 offset:96
	s_waitcnt lgkmcnt(2)
	v_fma_f64 v[8:9], -v[6:7], v[41:42], v[8:9]
	v_fma_f64 v[10:11], -v[6:7], v[43:44], v[10:11]
	s_waitcnt lgkmcnt(1)
	v_fma_f64 v[12:13], -v[6:7], v[45:46], v[12:13]
	v_fma_f64 v[14:15], -v[6:7], v[47:48], v[14:15]
	s_waitcnt lgkmcnt(0)
	v_fma_f64 v[30:31], -v[6:7], v[0:1], v[30:31]
.LBB24_131:
	s_or_b32 exec_lo, exec_lo, s0
	v_lshl_add_u32 v0, v40, 3, v38
	s_barrier
	buffer_gl0_inv
	v_mov_b32_e32 v32, 8
	ds_write_b64 v0, v[8:9]
	s_waitcnt lgkmcnt(0)
	s_barrier
	buffer_gl0_inv
	ds_read_b64 v[0:1], v38 offset:64
	s_cmp_lt_i32 s2, 10
	s_cbranch_scc1 .LBB24_134
; %bb.132:
	v_add3_u32 v33, v39, 0, 0x48
	v_mov_b32_e32 v32, 8
	s_mov_b32 s0, 9
.LBB24_133:                             ; =>This Inner Loop Header: Depth=1
	ds_read_b64 v[41:42], v33
	v_add_nc_u32_e32 v33, 8, v33
	s_waitcnt lgkmcnt(0)
	v_cmp_lt_f64_e64 vcc_lo, |v[0:1]|, |v[41:42]|
	v_cndmask_b32_e32 v1, v1, v42, vcc_lo
	v_cndmask_b32_e32 v0, v0, v41, vcc_lo
	v_cndmask_b32_e64 v32, v32, s0, vcc_lo
	s_add_i32 s0, s0, 1
	s_cmp_lg_u32 s2, s0
	s_cbranch_scc1 .LBB24_133
.LBB24_134:
	s_mov_b32 s0, exec_lo
	s_waitcnt lgkmcnt(0)
	v_cmpx_eq_f64_e32 0, v[0:1]
	s_xor_b32 s0, exec_lo, s0
; %bb.135:
	v_cmp_ne_u32_e32 vcc_lo, 0, v35
	v_cndmask_b32_e32 v35, 9, v35, vcc_lo
; %bb.136:
	s_andn2_saveexec_b32 s0, s0
	s_cbranch_execz .LBB24_138
; %bb.137:
	v_div_scale_f64 v[41:42], null, v[0:1], v[0:1], 1.0
	v_rcp_f64_e32 v[43:44], v[41:42]
	v_fma_f64 v[45:46], -v[41:42], v[43:44], 1.0
	v_fma_f64 v[43:44], v[43:44], v[45:46], v[43:44]
	v_fma_f64 v[45:46], -v[41:42], v[43:44], 1.0
	v_fma_f64 v[43:44], v[43:44], v[45:46], v[43:44]
	v_div_scale_f64 v[45:46], vcc_lo, 1.0, v[0:1], 1.0
	v_mul_f64 v[47:48], v[45:46], v[43:44]
	v_fma_f64 v[41:42], -v[41:42], v[47:48], v[45:46]
	v_div_fmas_f64 v[41:42], v[41:42], v[43:44], v[47:48]
	v_div_fixup_f64 v[0:1], v[41:42], v[0:1], 1.0
.LBB24_138:
	s_or_b32 exec_lo, exec_lo, s0
	s_mov_b32 s0, exec_lo
	v_cmpx_ne_u32_e64 v40, v32
	s_xor_b32 s0, exec_lo, s0
	s_cbranch_execz .LBB24_144
; %bb.139:
	s_mov_b32 s1, exec_lo
	v_cmpx_eq_u32_e32 8, v40
	s_cbranch_execz .LBB24_143
; %bb.140:
	v_cmp_ne_u32_e32 vcc_lo, 8, v32
	s_xor_b32 s3, s6, -1
	s_and_b32 s7, s3, vcc_lo
	s_and_saveexec_b32 s3, s7
	s_cbranch_execz .LBB24_142
; %bb.141:
	v_ashrrev_i32_e32 v33, 31, v32
	v_lshlrev_b64 v[33:34], 2, v[32:33]
	v_add_co_u32 v33, vcc_lo, v28, v33
	v_add_co_ci_u32_e64 v34, null, v29, v34, vcc_lo
	s_clause 0x1
	global_load_dword v40, v[33:34], off
	global_load_dword v41, v[28:29], off offset:32
	s_waitcnt vmcnt(1)
	global_store_dword v[28:29], v40, off offset:32
	s_waitcnt vmcnt(0)
	global_store_dword v[33:34], v41, off
.LBB24_142:
	s_or_b32 exec_lo, exec_lo, s3
	v_mov_b32_e32 v34, v32
	v_mov_b32_e32 v40, v32
.LBB24_143:
	s_or_b32 exec_lo, exec_lo, s1
.LBB24_144:
	s_andn2_saveexec_b32 s0, s0
	s_cbranch_execz .LBB24_146
; %bb.145:
	v_mov_b32_e32 v40, 8
	ds_write2_b64 v38, v[10:11], v[12:13] offset0:9 offset1:10
	ds_write2_b64 v38, v[14:15], v[30:31] offset0:11 offset1:12
.LBB24_146:
	s_or_b32 exec_lo, exec_lo, s0
	s_mov_b32 s0, exec_lo
	s_waitcnt lgkmcnt(0)
	s_waitcnt_vscnt null, 0x0
	s_barrier
	buffer_gl0_inv
	v_cmpx_lt_i32_e32 8, v40
	s_cbranch_execz .LBB24_148
; %bb.147:
	v_mul_f64 v[8:9], v[8:9], v[0:1]
	ds_read2_b64 v[41:44], v38 offset0:9 offset1:10
	ds_read2_b64 v[45:48], v38 offset0:11 offset1:12
	s_waitcnt lgkmcnt(1)
	v_fma_f64 v[10:11], -v[8:9], v[41:42], v[10:11]
	v_fma_f64 v[12:13], -v[8:9], v[43:44], v[12:13]
	s_waitcnt lgkmcnt(0)
	v_fma_f64 v[14:15], -v[8:9], v[45:46], v[14:15]
	v_fma_f64 v[30:31], -v[8:9], v[47:48], v[30:31]
.LBB24_148:
	s_or_b32 exec_lo, exec_lo, s0
	v_lshl_add_u32 v0, v40, 3, v38
	s_barrier
	buffer_gl0_inv
	v_mov_b32_e32 v32, 9
	ds_write_b64 v0, v[10:11]
	s_waitcnt lgkmcnt(0)
	s_barrier
	buffer_gl0_inv
	ds_read_b64 v[0:1], v38 offset:72
	s_cmp_lt_i32 s2, 11
	s_cbranch_scc1 .LBB24_151
; %bb.149:
	v_add3_u32 v33, v39, 0, 0x50
	v_mov_b32_e32 v32, 9
	s_mov_b32 s0, 10
.LBB24_150:                             ; =>This Inner Loop Header: Depth=1
	ds_read_b64 v[41:42], v33
	v_add_nc_u32_e32 v33, 8, v33
	s_waitcnt lgkmcnt(0)
	v_cmp_lt_f64_e64 vcc_lo, |v[0:1]|, |v[41:42]|
	v_cndmask_b32_e32 v1, v1, v42, vcc_lo
	v_cndmask_b32_e32 v0, v0, v41, vcc_lo
	v_cndmask_b32_e64 v32, v32, s0, vcc_lo
	s_add_i32 s0, s0, 1
	s_cmp_lg_u32 s2, s0
	s_cbranch_scc1 .LBB24_150
.LBB24_151:
	s_mov_b32 s0, exec_lo
	s_waitcnt lgkmcnt(0)
	v_cmpx_eq_f64_e32 0, v[0:1]
	s_xor_b32 s0, exec_lo, s0
; %bb.152:
	v_cmp_ne_u32_e32 vcc_lo, 0, v35
	v_cndmask_b32_e32 v35, 10, v35, vcc_lo
; %bb.153:
	s_andn2_saveexec_b32 s0, s0
	s_cbranch_execz .LBB24_155
; %bb.154:
	v_div_scale_f64 v[41:42], null, v[0:1], v[0:1], 1.0
	v_rcp_f64_e32 v[43:44], v[41:42]
	v_fma_f64 v[45:46], -v[41:42], v[43:44], 1.0
	v_fma_f64 v[43:44], v[43:44], v[45:46], v[43:44]
	v_fma_f64 v[45:46], -v[41:42], v[43:44], 1.0
	v_fma_f64 v[43:44], v[43:44], v[45:46], v[43:44]
	v_div_scale_f64 v[45:46], vcc_lo, 1.0, v[0:1], 1.0
	v_mul_f64 v[47:48], v[45:46], v[43:44]
	v_fma_f64 v[41:42], -v[41:42], v[47:48], v[45:46]
	v_div_fmas_f64 v[41:42], v[41:42], v[43:44], v[47:48]
	v_div_fixup_f64 v[0:1], v[41:42], v[0:1], 1.0
.LBB24_155:
	s_or_b32 exec_lo, exec_lo, s0
	s_mov_b32 s0, exec_lo
	v_cmpx_ne_u32_e64 v40, v32
	s_xor_b32 s0, exec_lo, s0
	s_cbranch_execz .LBB24_161
; %bb.156:
	s_mov_b32 s1, exec_lo
	v_cmpx_eq_u32_e32 9, v40
	s_cbranch_execz .LBB24_160
; %bb.157:
	v_cmp_ne_u32_e32 vcc_lo, 9, v32
	s_xor_b32 s3, s6, -1
	s_and_b32 s7, s3, vcc_lo
	s_and_saveexec_b32 s3, s7
	s_cbranch_execz .LBB24_159
; %bb.158:
	v_ashrrev_i32_e32 v33, 31, v32
	v_lshlrev_b64 v[33:34], 2, v[32:33]
	v_add_co_u32 v33, vcc_lo, v28, v33
	v_add_co_ci_u32_e64 v34, null, v29, v34, vcc_lo
	s_clause 0x1
	global_load_dword v40, v[33:34], off
	global_load_dword v41, v[28:29], off offset:36
	s_waitcnt vmcnt(1)
	global_store_dword v[28:29], v40, off offset:36
	s_waitcnt vmcnt(0)
	global_store_dword v[33:34], v41, off
.LBB24_159:
	s_or_b32 exec_lo, exec_lo, s3
	v_mov_b32_e32 v34, v32
	v_mov_b32_e32 v40, v32
.LBB24_160:
	s_or_b32 exec_lo, exec_lo, s1
.LBB24_161:
	s_andn2_saveexec_b32 s0, s0
	s_cbranch_execz .LBB24_163
; %bb.162:
	v_mov_b32_e32 v40, 9
	ds_write2_b64 v38, v[12:13], v[14:15] offset0:10 offset1:11
	ds_write_b64 v38, v[30:31] offset:96
.LBB24_163:
	s_or_b32 exec_lo, exec_lo, s0
	s_mov_b32 s0, exec_lo
	s_waitcnt lgkmcnt(0)
	s_waitcnt_vscnt null, 0x0
	s_barrier
	buffer_gl0_inv
	v_cmpx_lt_i32_e32 9, v40
	s_cbranch_execz .LBB24_165
; %bb.164:
	v_mul_f64 v[10:11], v[10:11], v[0:1]
	ds_read2_b64 v[41:44], v38 offset0:10 offset1:11
	ds_read_b64 v[0:1], v38 offset:96
	s_waitcnt lgkmcnt(1)
	v_fma_f64 v[12:13], -v[10:11], v[41:42], v[12:13]
	v_fma_f64 v[14:15], -v[10:11], v[43:44], v[14:15]
	s_waitcnt lgkmcnt(0)
	v_fma_f64 v[30:31], -v[10:11], v[0:1], v[30:31]
.LBB24_165:
	s_or_b32 exec_lo, exec_lo, s0
	v_lshl_add_u32 v0, v40, 3, v38
	s_barrier
	buffer_gl0_inv
	v_mov_b32_e32 v32, 10
	ds_write_b64 v0, v[12:13]
	s_waitcnt lgkmcnt(0)
	s_barrier
	buffer_gl0_inv
	ds_read_b64 v[0:1], v38 offset:80
	s_cmp_lt_i32 s2, 12
	s_cbranch_scc1 .LBB24_168
; %bb.166:
	v_add3_u32 v33, v39, 0, 0x58
	v_mov_b32_e32 v32, 10
	s_mov_b32 s0, 11
.LBB24_167:                             ; =>This Inner Loop Header: Depth=1
	ds_read_b64 v[41:42], v33
	v_add_nc_u32_e32 v33, 8, v33
	s_waitcnt lgkmcnt(0)
	v_cmp_lt_f64_e64 vcc_lo, |v[0:1]|, |v[41:42]|
	v_cndmask_b32_e32 v1, v1, v42, vcc_lo
	v_cndmask_b32_e32 v0, v0, v41, vcc_lo
	v_cndmask_b32_e64 v32, v32, s0, vcc_lo
	s_add_i32 s0, s0, 1
	s_cmp_lg_u32 s2, s0
	s_cbranch_scc1 .LBB24_167
.LBB24_168:
	s_mov_b32 s0, exec_lo
	s_waitcnt lgkmcnt(0)
	v_cmpx_eq_f64_e32 0, v[0:1]
	s_xor_b32 s0, exec_lo, s0
; %bb.169:
	v_cmp_ne_u32_e32 vcc_lo, 0, v35
	v_cndmask_b32_e32 v35, 11, v35, vcc_lo
; %bb.170:
	s_andn2_saveexec_b32 s0, s0
	s_cbranch_execz .LBB24_172
; %bb.171:
	v_div_scale_f64 v[41:42], null, v[0:1], v[0:1], 1.0
	v_rcp_f64_e32 v[43:44], v[41:42]
	v_fma_f64 v[45:46], -v[41:42], v[43:44], 1.0
	v_fma_f64 v[43:44], v[43:44], v[45:46], v[43:44]
	v_fma_f64 v[45:46], -v[41:42], v[43:44], 1.0
	v_fma_f64 v[43:44], v[43:44], v[45:46], v[43:44]
	v_div_scale_f64 v[45:46], vcc_lo, 1.0, v[0:1], 1.0
	v_mul_f64 v[47:48], v[45:46], v[43:44]
	v_fma_f64 v[41:42], -v[41:42], v[47:48], v[45:46]
	v_div_fmas_f64 v[41:42], v[41:42], v[43:44], v[47:48]
	v_div_fixup_f64 v[0:1], v[41:42], v[0:1], 1.0
.LBB24_172:
	s_or_b32 exec_lo, exec_lo, s0
	s_mov_b32 s0, exec_lo
	v_cmpx_ne_u32_e64 v40, v32
	s_xor_b32 s0, exec_lo, s0
	s_cbranch_execz .LBB24_178
; %bb.173:
	s_mov_b32 s1, exec_lo
	v_cmpx_eq_u32_e32 10, v40
	s_cbranch_execz .LBB24_177
; %bb.174:
	v_cmp_ne_u32_e32 vcc_lo, 10, v32
	s_xor_b32 s3, s6, -1
	s_and_b32 s7, s3, vcc_lo
	s_and_saveexec_b32 s3, s7
	s_cbranch_execz .LBB24_176
; %bb.175:
	v_ashrrev_i32_e32 v33, 31, v32
	v_lshlrev_b64 v[33:34], 2, v[32:33]
	v_add_co_u32 v33, vcc_lo, v28, v33
	v_add_co_ci_u32_e64 v34, null, v29, v34, vcc_lo
	s_clause 0x1
	global_load_dword v40, v[33:34], off
	global_load_dword v41, v[28:29], off offset:40
	s_waitcnt vmcnt(1)
	global_store_dword v[28:29], v40, off offset:40
	s_waitcnt vmcnt(0)
	global_store_dword v[33:34], v41, off
.LBB24_176:
	s_or_b32 exec_lo, exec_lo, s3
	v_mov_b32_e32 v34, v32
	v_mov_b32_e32 v40, v32
.LBB24_177:
	s_or_b32 exec_lo, exec_lo, s1
.LBB24_178:
	s_andn2_saveexec_b32 s0, s0
; %bb.179:
	v_mov_b32_e32 v40, 10
	ds_write2_b64 v38, v[14:15], v[30:31] offset0:11 offset1:12
; %bb.180:
	s_or_b32 exec_lo, exec_lo, s0
	s_mov_b32 s0, exec_lo
	s_waitcnt lgkmcnt(0)
	s_waitcnt_vscnt null, 0x0
	s_barrier
	buffer_gl0_inv
	v_cmpx_lt_i32_e32 10, v40
	s_cbranch_execz .LBB24_182
; %bb.181:
	v_mul_f64 v[12:13], v[12:13], v[0:1]
	ds_read2_b64 v[41:44], v38 offset0:11 offset1:12
	s_waitcnt lgkmcnt(0)
	v_fma_f64 v[14:15], -v[12:13], v[41:42], v[14:15]
	v_fma_f64 v[30:31], -v[12:13], v[43:44], v[30:31]
.LBB24_182:
	s_or_b32 exec_lo, exec_lo, s0
	v_lshl_add_u32 v0, v40, 3, v38
	s_barrier
	buffer_gl0_inv
	v_mov_b32_e32 v32, 11
	ds_write_b64 v0, v[14:15]
	s_waitcnt lgkmcnt(0)
	s_barrier
	buffer_gl0_inv
	ds_read_b64 v[0:1], v38 offset:88
	s_cmp_lt_i32 s2, 13
	s_cbranch_scc1 .LBB24_185
; %bb.183:
	v_add3_u32 v33, v39, 0, 0x60
	v_mov_b32_e32 v32, 11
	s_mov_b32 s0, 12
.LBB24_184:                             ; =>This Inner Loop Header: Depth=1
	ds_read_b64 v[41:42], v33
	v_add_nc_u32_e32 v33, 8, v33
	s_waitcnt lgkmcnt(0)
	v_cmp_lt_f64_e64 vcc_lo, |v[0:1]|, |v[41:42]|
	v_cndmask_b32_e32 v1, v1, v42, vcc_lo
	v_cndmask_b32_e32 v0, v0, v41, vcc_lo
	v_cndmask_b32_e64 v32, v32, s0, vcc_lo
	s_add_i32 s0, s0, 1
	s_cmp_lg_u32 s2, s0
	s_cbranch_scc1 .LBB24_184
.LBB24_185:
	s_mov_b32 s0, exec_lo
	s_waitcnt lgkmcnt(0)
	v_cmpx_eq_f64_e32 0, v[0:1]
	s_xor_b32 s0, exec_lo, s0
; %bb.186:
	v_cmp_ne_u32_e32 vcc_lo, 0, v35
	v_cndmask_b32_e32 v35, 12, v35, vcc_lo
; %bb.187:
	s_andn2_saveexec_b32 s0, s0
	s_cbranch_execz .LBB24_189
; %bb.188:
	v_div_scale_f64 v[41:42], null, v[0:1], v[0:1], 1.0
	v_rcp_f64_e32 v[43:44], v[41:42]
	v_fma_f64 v[45:46], -v[41:42], v[43:44], 1.0
	v_fma_f64 v[43:44], v[43:44], v[45:46], v[43:44]
	v_fma_f64 v[45:46], -v[41:42], v[43:44], 1.0
	v_fma_f64 v[43:44], v[43:44], v[45:46], v[43:44]
	v_div_scale_f64 v[45:46], vcc_lo, 1.0, v[0:1], 1.0
	v_mul_f64 v[47:48], v[45:46], v[43:44]
	v_fma_f64 v[41:42], -v[41:42], v[47:48], v[45:46]
	v_div_fmas_f64 v[41:42], v[41:42], v[43:44], v[47:48]
	v_div_fixup_f64 v[0:1], v[41:42], v[0:1], 1.0
.LBB24_189:
	s_or_b32 exec_lo, exec_lo, s0
	s_mov_b32 s0, exec_lo
	v_cmpx_ne_u32_e64 v40, v32
	s_xor_b32 s0, exec_lo, s0
	s_cbranch_execz .LBB24_195
; %bb.190:
	s_mov_b32 s1, exec_lo
	v_cmpx_eq_u32_e32 11, v40
	s_cbranch_execz .LBB24_194
; %bb.191:
	v_cmp_ne_u32_e32 vcc_lo, 11, v32
	s_xor_b32 s3, s6, -1
	s_and_b32 s7, s3, vcc_lo
	s_and_saveexec_b32 s3, s7
	s_cbranch_execz .LBB24_193
; %bb.192:
	v_ashrrev_i32_e32 v33, 31, v32
	v_lshlrev_b64 v[33:34], 2, v[32:33]
	v_add_co_u32 v33, vcc_lo, v28, v33
	v_add_co_ci_u32_e64 v34, null, v29, v34, vcc_lo
	s_clause 0x1
	global_load_dword v40, v[33:34], off
	global_load_dword v41, v[28:29], off offset:44
	s_waitcnt vmcnt(1)
	global_store_dword v[28:29], v40, off offset:44
	s_waitcnt vmcnt(0)
	global_store_dword v[33:34], v41, off
.LBB24_193:
	s_or_b32 exec_lo, exec_lo, s3
	v_mov_b32_e32 v34, v32
	v_mov_b32_e32 v40, v32
.LBB24_194:
	s_or_b32 exec_lo, exec_lo, s1
.LBB24_195:
	s_andn2_saveexec_b32 s0, s0
; %bb.196:
	v_mov_b32_e32 v40, 11
	ds_write_b64 v38, v[30:31] offset:96
; %bb.197:
	s_or_b32 exec_lo, exec_lo, s0
	s_mov_b32 s0, exec_lo
	s_waitcnt lgkmcnt(0)
	s_waitcnt_vscnt null, 0x0
	s_barrier
	buffer_gl0_inv
	v_cmpx_lt_i32_e32 11, v40
	s_cbranch_execz .LBB24_199
; %bb.198:
	v_mul_f64 v[14:15], v[14:15], v[0:1]
	ds_read_b64 v[0:1], v38 offset:96
	s_waitcnt lgkmcnt(0)
	v_fma_f64 v[30:31], -v[14:15], v[0:1], v[30:31]
.LBB24_199:
	s_or_b32 exec_lo, exec_lo, s0
	v_lshl_add_u32 v0, v40, 3, v38
	s_barrier
	buffer_gl0_inv
	v_mov_b32_e32 v33, 12
	ds_write_b64 v0, v[30:31]
	s_waitcnt lgkmcnt(0)
	s_barrier
	buffer_gl0_inv
	ds_read_b64 v[0:1], v38 offset:96
	s_cmp_lt_i32 s2, 14
	s_cbranch_scc1 .LBB24_202
; %bb.200:
	v_add3_u32 v32, v39, 0, 0x68
	v_mov_b32_e32 v33, 12
	s_mov_b32 s0, 13
.LBB24_201:                             ; =>This Inner Loop Header: Depth=1
	ds_read_b64 v[38:39], v32
	v_add_nc_u32_e32 v32, 8, v32
	s_waitcnt lgkmcnt(0)
	v_cmp_lt_f64_e64 vcc_lo, |v[0:1]|, |v[38:39]|
	v_cndmask_b32_e32 v1, v1, v39, vcc_lo
	v_cndmask_b32_e32 v0, v0, v38, vcc_lo
	v_cndmask_b32_e64 v33, v33, s0, vcc_lo
	s_add_i32 s0, s0, 1
	s_cmp_lg_u32 s2, s0
	s_cbranch_scc1 .LBB24_201
.LBB24_202:
	s_mov_b32 s0, exec_lo
	s_waitcnt lgkmcnt(0)
	v_cmpx_eq_f64_e32 0, v[0:1]
	s_xor_b32 s0, exec_lo, s0
; %bb.203:
	v_cmp_ne_u32_e32 vcc_lo, 0, v35
	v_cndmask_b32_e32 v35, 13, v35, vcc_lo
; %bb.204:
	s_andn2_saveexec_b32 s0, s0
	s_cbranch_execz .LBB24_206
; %bb.205:
	v_div_scale_f64 v[38:39], null, v[0:1], v[0:1], 1.0
	v_rcp_f64_e32 v[41:42], v[38:39]
	v_fma_f64 v[43:44], -v[38:39], v[41:42], 1.0
	v_fma_f64 v[41:42], v[41:42], v[43:44], v[41:42]
	v_fma_f64 v[43:44], -v[38:39], v[41:42], 1.0
	v_fma_f64 v[41:42], v[41:42], v[43:44], v[41:42]
	v_div_scale_f64 v[43:44], vcc_lo, 1.0, v[0:1], 1.0
	v_mul_f64 v[45:46], v[43:44], v[41:42]
	v_fma_f64 v[38:39], -v[38:39], v[45:46], v[43:44]
	v_div_fmas_f64 v[38:39], v[38:39], v[41:42], v[45:46]
	v_div_fixup_f64 v[0:1], v[38:39], v[0:1], 1.0
.LBB24_206:
	s_or_b32 exec_lo, exec_lo, s0
	v_mov_b32_e32 v32, 12
	s_mov_b32 s0, exec_lo
	v_cmpx_ne_u32_e64 v40, v33
	s_cbranch_execz .LBB24_212
; %bb.207:
	s_mov_b32 s1, exec_lo
	v_cmpx_eq_u32_e32 12, v40
	s_cbranch_execz .LBB24_211
; %bb.208:
	v_cmp_ne_u32_e32 vcc_lo, 12, v33
	s_xor_b32 s2, s6, -1
	s_and_b32 s3, s2, vcc_lo
	s_and_saveexec_b32 s2, s3
	s_cbranch_execz .LBB24_210
; %bb.209:
	v_ashrrev_i32_e32 v34, 31, v33
	v_lshlrev_b64 v[38:39], 2, v[33:34]
	v_add_co_u32 v38, vcc_lo, v28, v38
	v_add_co_ci_u32_e64 v39, null, v29, v39, vcc_lo
	s_clause 0x1
	global_load_dword v32, v[38:39], off
	global_load_dword v34, v[28:29], off offset:48
	s_waitcnt vmcnt(1)
	global_store_dword v[28:29], v32, off offset:48
	s_waitcnt vmcnt(0)
	global_store_dword v[38:39], v34, off
.LBB24_210:
	s_or_b32 exec_lo, exec_lo, s2
	v_mov_b32_e32 v34, v33
	v_mov_b32_e32 v40, v33
.LBB24_211:
	s_or_b32 exec_lo, exec_lo, s1
	v_mov_b32_e32 v32, v40
.LBB24_212:
	s_or_b32 exec_lo, exec_lo, s0
	s_load_dwordx8 s[0:7], s[4:5], 0x28
	v_ashrrev_i32_e32 v33, 31, v32
	s_mov_b32 s9, exec_lo
	s_waitcnt lgkmcnt(0)
	s_waitcnt_vscnt null, 0x0
	s_barrier
	buffer_gl0_inv
	s_barrier
	buffer_gl0_inv
	v_cmpx_gt_i32_e32 13, v32
	s_cbranch_execz .LBB24_214
; %bb.213:
	v_mul_lo_u32 v38, s5, v2
	v_mul_lo_u32 v39, s4, v3
	v_mad_u64_u32 v[28:29], null, s4, v2, 0
	s_lshl_b64 s[2:3], s[2:3], 2
	v_add3_u32 v34, v34, s13, 1
	v_add3_u32 v29, v29, v39, v38
	v_lshlrev_b64 v[28:29], 2, v[28:29]
	v_add_co_u32 v38, vcc_lo, s0, v28
	v_add_co_ci_u32_e64 v39, null, s1, v29, vcc_lo
	v_lshlrev_b64 v[28:29], 2, v[32:33]
	v_add_co_u32 v38, vcc_lo, v38, s2
	v_add_co_ci_u32_e64 v39, null, s3, v39, vcc_lo
	v_add_co_u32 v28, vcc_lo, v38, v28
	v_add_co_ci_u32_e64 v29, null, v39, v29, vcc_lo
	global_store_dword v[28:29], v34, off
.LBB24_214:
	s_or_b32 exec_lo, exec_lo, s9
	s_mov_b32 s1, exec_lo
	v_cmpx_eq_u32_e32 0, v32
	s_cbranch_execz .LBB24_217
; %bb.215:
	v_lshlrev_b64 v[2:3], 2, v[2:3]
	v_cmp_ne_u32_e64 s0, 0, v35
	v_add_co_u32 v2, vcc_lo, s6, v2
	v_add_co_ci_u32_e64 v3, null, s7, v3, vcc_lo
	global_load_dword v28, v[2:3], off
	s_waitcnt vmcnt(0)
	v_cmp_eq_u32_e32 vcc_lo, 0, v28
	s_and_b32 s0, vcc_lo, s0
	s_and_b32 exec_lo, exec_lo, s0
	s_cbranch_execz .LBB24_217
; %bb.216:
	v_add_nc_u32_e32 v28, s13, v35
	global_store_dword v[2:3], v28, off
.LBB24_217:
	s_or_b32 exec_lo, exec_lo, s1
	v_mul_f64 v[0:1], v[30:31], v[0:1]
	v_add3_u32 v2, s8, s8, v32
	v_lshlrev_b64 v[28:29], 3, v[32:33]
	v_ashrrev_i32_e32 v3, 31, v2
	v_add_nc_u32_e32 v33, s8, v2
	v_add_co_u32 v28, vcc_lo, v36, v28
	v_add_co_ci_u32_e64 v29, null, v37, v29, vcc_lo
	v_lshlrev_b64 v[2:3], 3, v[2:3]
	v_add_nc_u32_e32 v38, s8, v33
	v_cmp_lt_i32_e32 vcc_lo, 12, v32
	flat_store_dwordx2 v[28:29], v[26:27]
	v_add_co_u32 v26, s0, v28, s10
	v_add_nc_u32_e32 v28, s8, v38
	v_ashrrev_i32_e32 v34, 31, v33
	v_add_co_ci_u32_e64 v27, null, s11, v29, s0
	v_cndmask_b32_e32 v1, v31, v1, vcc_lo
	v_cndmask_b32_e32 v0, v30, v0, vcc_lo
	v_add_co_u32 v2, vcc_lo, v36, v2
	v_add_co_ci_u32_e64 v3, null, v37, v3, vcc_lo
	v_ashrrev_i32_e32 v39, 31, v38
	v_ashrrev_i32_e32 v29, 31, v28
	v_lshlrev_b64 v[30:31], 3, v[33:34]
	flat_store_dwordx2 v[26:27], v[18:19]
	flat_store_dwordx2 v[2:3], v[20:21]
	v_add_nc_u32_e32 v26, s8, v28
	v_lshlrev_b64 v[2:3], 3, v[38:39]
	v_lshlrev_b64 v[20:21], 3, v[28:29]
	v_add_co_u32 v18, vcc_lo, v36, v30
	v_add_nc_u32_e32 v28, s8, v26
	v_add_co_ci_u32_e64 v19, null, v37, v31, vcc_lo
	v_add_co_u32 v2, vcc_lo, v36, v2
	v_ashrrev_i32_e32 v27, 31, v26
	v_add_co_ci_u32_e64 v3, null, v37, v3, vcc_lo
	v_add_co_u32 v20, vcc_lo, v36, v20
	v_ashrrev_i32_e32 v29, 31, v28
	v_add_co_ci_u32_e64 v21, null, v37, v21, vcc_lo
	flat_store_dwordx2 v[18:19], v[4:5]
	v_lshlrev_b64 v[4:5], 3, v[26:27]
	v_add_nc_u32_e32 v18, s8, v28
	flat_store_dwordx2 v[2:3], v[22:23]
	flat_store_dwordx2 v[20:21], v[24:25]
	v_lshlrev_b64 v[2:3], 3, v[28:29]
	v_add_nc_u32_e32 v20, s8, v18
	v_add_co_u32 v4, vcc_lo, v36, v4
	v_add_co_ci_u32_e64 v5, null, v37, v5, vcc_lo
	v_add_co_u32 v2, vcc_lo, v36, v2
	v_add_co_ci_u32_e64 v3, null, v37, v3, vcc_lo
	v_add_nc_u32_e32 v22, s8, v20
	v_ashrrev_i32_e32 v19, 31, v18
	flat_store_dwordx2 v[4:5], v[16:17]
	flat_store_dwordx2 v[2:3], v[6:7]
	v_ashrrev_i32_e32 v21, 31, v20
	v_add_nc_u32_e32 v6, s8, v22
	v_lshlrev_b64 v[4:5], 3, v[18:19]
	v_ashrrev_i32_e32 v23, 31, v22
	v_lshlrev_b64 v[2:3], 3, v[20:21]
	v_add_nc_u32_e32 v18, s8, v6
	v_ashrrev_i32_e32 v7, 31, v6
	v_lshlrev_b64 v[16:17], 3, v[22:23]
	v_add_co_u32 v4, vcc_lo, v36, v4
	v_ashrrev_i32_e32 v19, 31, v18
	v_lshlrev_b64 v[6:7], 3, v[6:7]
	v_add_co_ci_u32_e64 v5, null, v37, v5, vcc_lo
	v_add_co_u32 v2, vcc_lo, v36, v2
	v_lshlrev_b64 v[18:19], 3, v[18:19]
	v_add_co_ci_u32_e64 v3, null, v37, v3, vcc_lo
	v_add_co_u32 v16, vcc_lo, v36, v16
	v_add_co_ci_u32_e64 v17, null, v37, v17, vcc_lo
	v_add_co_u32 v6, vcc_lo, v36, v6
	;; [unrolled: 2-line block ×3, first 2 shown]
	v_add_co_ci_u32_e64 v19, null, v37, v19, vcc_lo
	flat_store_dwordx2 v[4:5], v[8:9]
	flat_store_dwordx2 v[2:3], v[10:11]
	;; [unrolled: 1-line block ×5, first 2 shown]
.LBB24_218:
	s_endpgm
	.section	.rodata,"a",@progbits
	.p2align	6, 0x0
	.amdhsa_kernel _ZN9rocsolver6v33100L18getf2_small_kernelILi13EdiiPKPdEEvT1_T3_lS5_lPS5_llPT2_S5_S5_S7_l
		.amdhsa_group_segment_fixed_size 0
		.amdhsa_private_segment_fixed_size 0
		.amdhsa_kernarg_size 352
		.amdhsa_user_sgpr_count 6
		.amdhsa_user_sgpr_private_segment_buffer 1
		.amdhsa_user_sgpr_dispatch_ptr 0
		.amdhsa_user_sgpr_queue_ptr 0
		.amdhsa_user_sgpr_kernarg_segment_ptr 1
		.amdhsa_user_sgpr_dispatch_id 0
		.amdhsa_user_sgpr_flat_scratch_init 0
		.amdhsa_user_sgpr_private_segment_size 0
		.amdhsa_wavefront_size32 1
		.amdhsa_uses_dynamic_stack 0
		.amdhsa_system_sgpr_private_segment_wavefront_offset 0
		.amdhsa_system_sgpr_workgroup_id_x 1
		.amdhsa_system_sgpr_workgroup_id_y 1
		.amdhsa_system_sgpr_workgroup_id_z 0
		.amdhsa_system_sgpr_workgroup_info 0
		.amdhsa_system_vgpr_workitem_id 1
		.amdhsa_next_free_vgpr 65
		.amdhsa_next_free_sgpr 14
		.amdhsa_reserve_vcc 1
		.amdhsa_reserve_flat_scratch 1
		.amdhsa_float_round_mode_32 0
		.amdhsa_float_round_mode_16_64 0
		.amdhsa_float_denorm_mode_32 3
		.amdhsa_float_denorm_mode_16_64 3
		.amdhsa_dx10_clamp 1
		.amdhsa_ieee_mode 1
		.amdhsa_fp16_overflow 0
		.amdhsa_workgroup_processor_mode 1
		.amdhsa_memory_ordered 1
		.amdhsa_forward_progress 1
		.amdhsa_shared_vgpr_count 0
		.amdhsa_exception_fp_ieee_invalid_op 0
		.amdhsa_exception_fp_denorm_src 0
		.amdhsa_exception_fp_ieee_div_zero 0
		.amdhsa_exception_fp_ieee_overflow 0
		.amdhsa_exception_fp_ieee_underflow 0
		.amdhsa_exception_fp_ieee_inexact 0
		.amdhsa_exception_int_div_zero 0
	.end_amdhsa_kernel
	.section	.text._ZN9rocsolver6v33100L18getf2_small_kernelILi13EdiiPKPdEEvT1_T3_lS5_lPS5_llPT2_S5_S5_S7_l,"axG",@progbits,_ZN9rocsolver6v33100L18getf2_small_kernelILi13EdiiPKPdEEvT1_T3_lS5_lPS5_llPT2_S5_S5_S7_l,comdat
.Lfunc_end24:
	.size	_ZN9rocsolver6v33100L18getf2_small_kernelILi13EdiiPKPdEEvT1_T3_lS5_lPS5_llPT2_S5_S5_S7_l, .Lfunc_end24-_ZN9rocsolver6v33100L18getf2_small_kernelILi13EdiiPKPdEEvT1_T3_lS5_lPS5_llPT2_S5_S5_S7_l
                                        ; -- End function
	.set _ZN9rocsolver6v33100L18getf2_small_kernelILi13EdiiPKPdEEvT1_T3_lS5_lPS5_llPT2_S5_S5_S7_l.num_vgpr, 65
	.set _ZN9rocsolver6v33100L18getf2_small_kernelILi13EdiiPKPdEEvT1_T3_lS5_lPS5_llPT2_S5_S5_S7_l.num_agpr, 0
	.set _ZN9rocsolver6v33100L18getf2_small_kernelILi13EdiiPKPdEEvT1_T3_lS5_lPS5_llPT2_S5_S5_S7_l.numbered_sgpr, 14
	.set _ZN9rocsolver6v33100L18getf2_small_kernelILi13EdiiPKPdEEvT1_T3_lS5_lPS5_llPT2_S5_S5_S7_l.num_named_barrier, 0
	.set _ZN9rocsolver6v33100L18getf2_small_kernelILi13EdiiPKPdEEvT1_T3_lS5_lPS5_llPT2_S5_S5_S7_l.private_seg_size, 0
	.set _ZN9rocsolver6v33100L18getf2_small_kernelILi13EdiiPKPdEEvT1_T3_lS5_lPS5_llPT2_S5_S5_S7_l.uses_vcc, 1
	.set _ZN9rocsolver6v33100L18getf2_small_kernelILi13EdiiPKPdEEvT1_T3_lS5_lPS5_llPT2_S5_S5_S7_l.uses_flat_scratch, 1
	.set _ZN9rocsolver6v33100L18getf2_small_kernelILi13EdiiPKPdEEvT1_T3_lS5_lPS5_llPT2_S5_S5_S7_l.has_dyn_sized_stack, 0
	.set _ZN9rocsolver6v33100L18getf2_small_kernelILi13EdiiPKPdEEvT1_T3_lS5_lPS5_llPT2_S5_S5_S7_l.has_recursion, 0
	.set _ZN9rocsolver6v33100L18getf2_small_kernelILi13EdiiPKPdEEvT1_T3_lS5_lPS5_llPT2_S5_S5_S7_l.has_indirect_call, 0
	.section	.AMDGPU.csdata,"",@progbits
; Kernel info:
; codeLenInByte = 8864
; TotalNumSgprs: 16
; NumVgprs: 65
; ScratchSize: 0
; MemoryBound: 0
; FloatMode: 240
; IeeeMode: 1
; LDSByteSize: 0 bytes/workgroup (compile time only)
; SGPRBlocks: 0
; VGPRBlocks: 8
; NumSGPRsForWavesPerEU: 16
; NumVGPRsForWavesPerEU: 65
; Occupancy: 12
; WaveLimiterHint : 1
; COMPUTE_PGM_RSRC2:SCRATCH_EN: 0
; COMPUTE_PGM_RSRC2:USER_SGPR: 6
; COMPUTE_PGM_RSRC2:TRAP_HANDLER: 0
; COMPUTE_PGM_RSRC2:TGID_X_EN: 1
; COMPUTE_PGM_RSRC2:TGID_Y_EN: 1
; COMPUTE_PGM_RSRC2:TGID_Z_EN: 0
; COMPUTE_PGM_RSRC2:TIDIG_COMP_CNT: 1
	.section	.text._ZN9rocsolver6v33100L23getf2_npvt_small_kernelILi13EdiiPKPdEEvT1_T3_lS5_lPT2_S5_S5_,"axG",@progbits,_ZN9rocsolver6v33100L23getf2_npvt_small_kernelILi13EdiiPKPdEEvT1_T3_lS5_lPT2_S5_S5_,comdat
	.globl	_ZN9rocsolver6v33100L23getf2_npvt_small_kernelILi13EdiiPKPdEEvT1_T3_lS5_lPT2_S5_S5_ ; -- Begin function _ZN9rocsolver6v33100L23getf2_npvt_small_kernelILi13EdiiPKPdEEvT1_T3_lS5_lPT2_S5_S5_
	.p2align	8
	.type	_ZN9rocsolver6v33100L23getf2_npvt_small_kernelILi13EdiiPKPdEEvT1_T3_lS5_lPT2_S5_S5_,@function
_ZN9rocsolver6v33100L23getf2_npvt_small_kernelILi13EdiiPKPdEEvT1_T3_lS5_lPT2_S5_S5_: ; @_ZN9rocsolver6v33100L23getf2_npvt_small_kernelILi13EdiiPKPdEEvT1_T3_lS5_lPT2_S5_S5_
; %bb.0:
	s_clause 0x1
	s_load_dword s0, s[4:5], 0x44
	s_load_dwordx2 s[8:9], s[4:5], 0x30
	s_waitcnt lgkmcnt(0)
	s_lshr_b32 s10, s0, 16
	s_mov_b32 s0, exec_lo
	v_mad_u64_u32 v[2:3], null, s7, s10, v[1:2]
	v_cmpx_gt_i32_e64 s8, v2
	s_cbranch_execz .LBB25_69
; %bb.1:
	s_clause 0x1
	s_load_dwordx4 s[0:3], s[4:5], 0x8
	s_load_dword s6, s[4:5], 0x18
	v_ashrrev_i32_e32 v3, 31, v2
	v_lshlrev_b32_e32 v30, 3, v0
	v_lshlrev_b32_e32 v56, 3, v1
	s_mulk_i32 s10, 0x68
	v_mad_u32_u24 v80, 0x68, v1, 0
	v_lshlrev_b64 v[4:5], 3, v[2:3]
	v_add3_u32 v1, 0, s10, v56
	s_waitcnt lgkmcnt(0)
	v_add_co_u32 v4, vcc_lo, s0, v4
	v_add_co_ci_u32_e64 v5, null, s1, v5, vcc_lo
	v_add3_u32 v6, s6, s6, v0
	s_lshl_b64 s[0:1], s[2:3], 3
	s_ashr_i32 s7, s6, 31
	global_load_dwordx2 v[4:5], v[4:5], off
	s_lshl_b64 s[2:3], s[6:7], 3
	v_add_nc_u32_e32 v8, s6, v6
	v_ashrrev_i32_e32 v7, 31, v6
	v_add_nc_u32_e32 v10, s6, v8
	v_ashrrev_i32_e32 v9, 31, v8
	v_lshlrev_b64 v[6:7], 3, v[6:7]
	v_add_nc_u32_e32 v12, s6, v10
	v_ashrrev_i32_e32 v11, 31, v10
	v_lshlrev_b64 v[8:9], 3, v[8:9]
	;; [unrolled: 3-line block ×5, first 2 shown]
	v_add_nc_u32_e32 v20, s6, v18
	v_lshlrev_b64 v[26:27], 3, v[16:17]
	v_ashrrev_i32_e32 v19, 31, v18
	v_add_nc_u32_e32 v22, s6, v20
	v_ashrrev_i32_e32 v21, 31, v20
	v_lshlrev_b64 v[18:19], 3, v[18:19]
	v_add_nc_u32_e32 v24, s6, v22
	v_ashrrev_i32_e32 v23, 31, v22
	v_lshlrev_b64 v[20:21], 3, v[20:21]
	;; [unrolled: 3-line block ×3, first 2 shown]
	v_ashrrev_i32_e32 v17, 31, v16
	v_lshlrev_b64 v[24:25], 3, v[24:25]
	v_lshlrev_b64 v[28:29], 3, v[16:17]
	s_waitcnt vmcnt(0)
	v_add_co_u32 v31, vcc_lo, v4, s0
	v_add_co_ci_u32_e64 v32, null, s1, v5, vcc_lo
	v_cmp_ne_u32_e64 s1, 0, v0
	v_add_co_u32 v4, vcc_lo, v31, v30
	v_add_co_ci_u32_e64 v5, null, 0, v32, vcc_lo
	v_add_co_u32 v6, vcc_lo, v31, v6
	v_add_co_ci_u32_e64 v7, null, v32, v7, vcc_lo
	;; [unrolled: 2-line block ×13, first 2 shown]
	s_clause 0xc
	flat_load_dwordx2 v[38:39], v[10:11]
	flat_load_dwordx2 v[40:41], v[12:13]
	;; [unrolled: 1-line block ×13, first 2 shown]
	v_cmp_eq_u32_e64 s0, 0, v0
	s_and_saveexec_b32 s2, s0
	s_cbranch_execz .LBB25_4
; %bb.2:
	s_waitcnt vmcnt(4) lgkmcnt(4)
	ds_write_b64 v1, v[48:49]
	s_waitcnt vmcnt(2) lgkmcnt(3)
	ds_write2_b64 v80, v[50:51], v[52:53] offset0:1 offset1:2
	s_waitcnt vmcnt(1) lgkmcnt(3)
	ds_write2_b64 v80, v[54:55], v[38:39] offset0:3 offset1:4
	ds_write2_b64 v80, v[40:41], v[42:43] offset0:5 offset1:6
	;; [unrolled: 1-line block ×4, first 2 shown]
	s_waitcnt vmcnt(0) lgkmcnt(6)
	ds_write2_b64 v80, v[36:37], v[46:47] offset0:11 offset1:12
	ds_read_b64 v[56:57], v1
	s_waitcnt lgkmcnt(0)
	v_cmp_neq_f64_e32 vcc_lo, 0, v[56:57]
	s_and_b32 exec_lo, exec_lo, vcc_lo
	s_cbranch_execz .LBB25_4
; %bb.3:
	v_div_scale_f64 v[58:59], null, v[56:57], v[56:57], 1.0
	v_rcp_f64_e32 v[60:61], v[58:59]
	v_fma_f64 v[62:63], -v[58:59], v[60:61], 1.0
	v_fma_f64 v[60:61], v[60:61], v[62:63], v[60:61]
	v_fma_f64 v[62:63], -v[58:59], v[60:61], 1.0
	v_fma_f64 v[60:61], v[60:61], v[62:63], v[60:61]
	v_div_scale_f64 v[62:63], vcc_lo, 1.0, v[56:57], 1.0
	v_mul_f64 v[64:65], v[62:63], v[60:61]
	v_fma_f64 v[58:59], -v[58:59], v[64:65], v[62:63]
	v_div_fmas_f64 v[58:59], v[58:59], v[60:61], v[64:65]
	v_div_fixup_f64 v[56:57], v[58:59], v[56:57], 1.0
	ds_write_b64 v1, v[56:57]
.LBB25_4:
	s_or_b32 exec_lo, exec_lo, s2
	s_waitcnt vmcnt(0) lgkmcnt(0)
	s_barrier
	buffer_gl0_inv
	ds_read_b64 v[56:57], v1
	s_and_saveexec_b32 s2, s1
	s_cbranch_execz .LBB25_6
; %bb.5:
	s_waitcnt lgkmcnt(0)
	v_mul_f64 v[48:49], v[48:49], v[56:57]
	ds_read2_b64 v[58:61], v80 offset0:1 offset1:2
	ds_read2_b64 v[62:65], v80 offset0:3 offset1:4
	;; [unrolled: 1-line block ×6, first 2 shown]
	s_waitcnt lgkmcnt(5)
	v_fma_f64 v[50:51], -v[48:49], v[58:59], v[50:51]
	v_fma_f64 v[52:53], -v[48:49], v[60:61], v[52:53]
	s_waitcnt lgkmcnt(4)
	v_fma_f64 v[54:55], -v[48:49], v[62:63], v[54:55]
	v_fma_f64 v[38:39], -v[48:49], v[64:65], v[38:39]
	;; [unrolled: 3-line block ×6, first 2 shown]
.LBB25_6:
	s_or_b32 exec_lo, exec_lo, s2
	s_mov_b32 s1, exec_lo
	s_waitcnt lgkmcnt(0)
	s_barrier
	buffer_gl0_inv
	v_cmpx_eq_u32_e32 1, v0
	s_cbranch_execz .LBB25_9
; %bb.7:
	ds_write_b64 v1, v[50:51]
	ds_write2_b64 v80, v[52:53], v[54:55] offset0:2 offset1:3
	ds_write2_b64 v80, v[38:39], v[40:41] offset0:4 offset1:5
	;; [unrolled: 1-line block ×5, first 2 shown]
	ds_write_b64 v80, v[46:47] offset:96
	ds_read_b64 v[58:59], v1
	s_waitcnt lgkmcnt(0)
	v_cmp_neq_f64_e32 vcc_lo, 0, v[58:59]
	s_and_b32 exec_lo, exec_lo, vcc_lo
	s_cbranch_execz .LBB25_9
; %bb.8:
	v_div_scale_f64 v[60:61], null, v[58:59], v[58:59], 1.0
	v_rcp_f64_e32 v[62:63], v[60:61]
	v_fma_f64 v[64:65], -v[60:61], v[62:63], 1.0
	v_fma_f64 v[62:63], v[62:63], v[64:65], v[62:63]
	v_fma_f64 v[64:65], -v[60:61], v[62:63], 1.0
	v_fma_f64 v[62:63], v[62:63], v[64:65], v[62:63]
	v_div_scale_f64 v[64:65], vcc_lo, 1.0, v[58:59], 1.0
	v_mul_f64 v[66:67], v[64:65], v[62:63]
	v_fma_f64 v[60:61], -v[60:61], v[66:67], v[64:65]
	v_div_fmas_f64 v[60:61], v[60:61], v[62:63], v[66:67]
	v_div_fixup_f64 v[58:59], v[60:61], v[58:59], 1.0
	ds_write_b64 v1, v[58:59]
.LBB25_9:
	s_or_b32 exec_lo, exec_lo, s1
	s_waitcnt lgkmcnt(0)
	s_barrier
	buffer_gl0_inv
	ds_read_b64 v[58:59], v1
	s_mov_b32 s1, exec_lo
	v_cmpx_lt_u32_e32 1, v0
	s_cbranch_execz .LBB25_11
; %bb.10:
	s_waitcnt lgkmcnt(0)
	v_mul_f64 v[50:51], v[50:51], v[58:59]
	ds_read2_b64 v[60:63], v80 offset0:2 offset1:3
	ds_read2_b64 v[64:67], v80 offset0:4 offset1:5
	;; [unrolled: 1-line block ×5, first 2 shown]
	ds_read_b64 v[81:82], v80 offset:96
	s_waitcnt lgkmcnt(5)
	v_fma_f64 v[52:53], -v[50:51], v[60:61], v[52:53]
	v_fma_f64 v[54:55], -v[50:51], v[62:63], v[54:55]
	s_waitcnt lgkmcnt(4)
	v_fma_f64 v[38:39], -v[50:51], v[64:65], v[38:39]
	v_fma_f64 v[40:41], -v[50:51], v[66:67], v[40:41]
	s_waitcnt lgkmcnt(3)
	v_fma_f64 v[42:43], -v[50:51], v[68:69], v[42:43]
	v_fma_f64 v[28:29], -v[50:51], v[70:71], v[28:29]
	s_waitcnt lgkmcnt(2)
	v_fma_f64 v[30:31], -v[50:51], v[72:73], v[30:31]
	v_fma_f64 v[32:33], -v[50:51], v[74:75], v[32:33]
	s_waitcnt lgkmcnt(1)
	v_fma_f64 v[34:35], -v[50:51], v[76:77], v[34:35]
	v_fma_f64 v[36:37], -v[50:51], v[78:79], v[36:37]
	s_waitcnt lgkmcnt(0)
	v_fma_f64 v[46:47], -v[50:51], v[81:82], v[46:47]
.LBB25_11:
	s_or_b32 exec_lo, exec_lo, s1
	s_mov_b32 s1, exec_lo
	s_waitcnt lgkmcnt(0)
	s_barrier
	buffer_gl0_inv
	v_cmpx_eq_u32_e32 2, v0
	s_cbranch_execz .LBB25_14
; %bb.12:
	ds_write_b64 v1, v[52:53]
	ds_write2_b64 v80, v[54:55], v[38:39] offset0:3 offset1:4
	ds_write2_b64 v80, v[40:41], v[42:43] offset0:5 offset1:6
	;; [unrolled: 1-line block ×5, first 2 shown]
	ds_read_b64 v[60:61], v1
	s_waitcnt lgkmcnt(0)
	v_cmp_neq_f64_e32 vcc_lo, 0, v[60:61]
	s_and_b32 exec_lo, exec_lo, vcc_lo
	s_cbranch_execz .LBB25_14
; %bb.13:
	v_div_scale_f64 v[62:63], null, v[60:61], v[60:61], 1.0
	v_rcp_f64_e32 v[64:65], v[62:63]
	v_fma_f64 v[66:67], -v[62:63], v[64:65], 1.0
	v_fma_f64 v[64:65], v[64:65], v[66:67], v[64:65]
	v_fma_f64 v[66:67], -v[62:63], v[64:65], 1.0
	v_fma_f64 v[64:65], v[64:65], v[66:67], v[64:65]
	v_div_scale_f64 v[66:67], vcc_lo, 1.0, v[60:61], 1.0
	v_mul_f64 v[68:69], v[66:67], v[64:65]
	v_fma_f64 v[62:63], -v[62:63], v[68:69], v[66:67]
	v_div_fmas_f64 v[62:63], v[62:63], v[64:65], v[68:69]
	v_div_fixup_f64 v[60:61], v[62:63], v[60:61], 1.0
	ds_write_b64 v1, v[60:61]
.LBB25_14:
	s_or_b32 exec_lo, exec_lo, s1
	s_waitcnt lgkmcnt(0)
	s_barrier
	buffer_gl0_inv
	ds_read_b64 v[60:61], v1
	s_mov_b32 s1, exec_lo
	v_cmpx_lt_u32_e32 2, v0
	s_cbranch_execz .LBB25_16
; %bb.15:
	s_waitcnt lgkmcnt(0)
	v_mul_f64 v[52:53], v[52:53], v[60:61]
	ds_read2_b64 v[62:65], v80 offset0:3 offset1:4
	ds_read2_b64 v[66:69], v80 offset0:5 offset1:6
	;; [unrolled: 1-line block ×5, first 2 shown]
	s_waitcnt lgkmcnt(4)
	v_fma_f64 v[54:55], -v[52:53], v[62:63], v[54:55]
	v_fma_f64 v[38:39], -v[52:53], v[64:65], v[38:39]
	s_waitcnt lgkmcnt(3)
	v_fma_f64 v[40:41], -v[52:53], v[66:67], v[40:41]
	v_fma_f64 v[42:43], -v[52:53], v[68:69], v[42:43]
	s_waitcnt lgkmcnt(2)
	v_fma_f64 v[28:29], -v[52:53], v[70:71], v[28:29]
	v_fma_f64 v[30:31], -v[52:53], v[72:73], v[30:31]
	s_waitcnt lgkmcnt(1)
	v_fma_f64 v[32:33], -v[52:53], v[74:75], v[32:33]
	v_fma_f64 v[34:35], -v[52:53], v[76:77], v[34:35]
	s_waitcnt lgkmcnt(0)
	v_fma_f64 v[36:37], -v[52:53], v[81:82], v[36:37]
	v_fma_f64 v[46:47], -v[52:53], v[83:84], v[46:47]
.LBB25_16:
	s_or_b32 exec_lo, exec_lo, s1
	s_mov_b32 s1, exec_lo
	s_waitcnt lgkmcnt(0)
	s_barrier
	buffer_gl0_inv
	v_cmpx_eq_u32_e32 3, v0
	s_cbranch_execz .LBB25_19
; %bb.17:
	ds_write_b64 v1, v[54:55]
	ds_write2_b64 v80, v[38:39], v[40:41] offset0:4 offset1:5
	ds_write2_b64 v80, v[42:43], v[28:29] offset0:6 offset1:7
	;; [unrolled: 1-line block ×4, first 2 shown]
	ds_write_b64 v80, v[46:47] offset:96
	ds_read_b64 v[62:63], v1
	s_waitcnt lgkmcnt(0)
	v_cmp_neq_f64_e32 vcc_lo, 0, v[62:63]
	s_and_b32 exec_lo, exec_lo, vcc_lo
	s_cbranch_execz .LBB25_19
; %bb.18:
	v_div_scale_f64 v[64:65], null, v[62:63], v[62:63], 1.0
	v_rcp_f64_e32 v[66:67], v[64:65]
	v_fma_f64 v[68:69], -v[64:65], v[66:67], 1.0
	v_fma_f64 v[66:67], v[66:67], v[68:69], v[66:67]
	v_fma_f64 v[68:69], -v[64:65], v[66:67], 1.0
	v_fma_f64 v[66:67], v[66:67], v[68:69], v[66:67]
	v_div_scale_f64 v[68:69], vcc_lo, 1.0, v[62:63], 1.0
	v_mul_f64 v[70:71], v[68:69], v[66:67]
	v_fma_f64 v[64:65], -v[64:65], v[70:71], v[68:69]
	v_div_fmas_f64 v[64:65], v[64:65], v[66:67], v[70:71]
	v_div_fixup_f64 v[62:63], v[64:65], v[62:63], 1.0
	ds_write_b64 v1, v[62:63]
.LBB25_19:
	s_or_b32 exec_lo, exec_lo, s1
	s_waitcnt lgkmcnt(0)
	s_barrier
	buffer_gl0_inv
	ds_read_b64 v[62:63], v1
	s_mov_b32 s1, exec_lo
	v_cmpx_lt_u32_e32 3, v0
	s_cbranch_execz .LBB25_21
; %bb.20:
	s_waitcnt lgkmcnt(0)
	v_mul_f64 v[54:55], v[54:55], v[62:63]
	ds_read2_b64 v[64:67], v80 offset0:4 offset1:5
	ds_read2_b64 v[68:71], v80 offset0:6 offset1:7
	;; [unrolled: 1-line block ×4, first 2 shown]
	ds_read_b64 v[81:82], v80 offset:96
	s_waitcnt lgkmcnt(4)
	v_fma_f64 v[38:39], -v[54:55], v[64:65], v[38:39]
	v_fma_f64 v[40:41], -v[54:55], v[66:67], v[40:41]
	s_waitcnt lgkmcnt(3)
	v_fma_f64 v[42:43], -v[54:55], v[68:69], v[42:43]
	v_fma_f64 v[28:29], -v[54:55], v[70:71], v[28:29]
	;; [unrolled: 3-line block ×4, first 2 shown]
	s_waitcnt lgkmcnt(0)
	v_fma_f64 v[46:47], -v[54:55], v[81:82], v[46:47]
.LBB25_21:
	s_or_b32 exec_lo, exec_lo, s1
	s_mov_b32 s1, exec_lo
	s_waitcnt lgkmcnt(0)
	s_barrier
	buffer_gl0_inv
	v_cmpx_eq_u32_e32 4, v0
	s_cbranch_execz .LBB25_24
; %bb.22:
	ds_write_b64 v1, v[38:39]
	ds_write2_b64 v80, v[40:41], v[42:43] offset0:5 offset1:6
	ds_write2_b64 v80, v[28:29], v[30:31] offset0:7 offset1:8
	;; [unrolled: 1-line block ×4, first 2 shown]
	ds_read_b64 v[64:65], v1
	s_waitcnt lgkmcnt(0)
	v_cmp_neq_f64_e32 vcc_lo, 0, v[64:65]
	s_and_b32 exec_lo, exec_lo, vcc_lo
	s_cbranch_execz .LBB25_24
; %bb.23:
	v_div_scale_f64 v[66:67], null, v[64:65], v[64:65], 1.0
	v_rcp_f64_e32 v[68:69], v[66:67]
	v_fma_f64 v[70:71], -v[66:67], v[68:69], 1.0
	v_fma_f64 v[68:69], v[68:69], v[70:71], v[68:69]
	v_fma_f64 v[70:71], -v[66:67], v[68:69], 1.0
	v_fma_f64 v[68:69], v[68:69], v[70:71], v[68:69]
	v_div_scale_f64 v[70:71], vcc_lo, 1.0, v[64:65], 1.0
	v_mul_f64 v[72:73], v[70:71], v[68:69]
	v_fma_f64 v[66:67], -v[66:67], v[72:73], v[70:71]
	v_div_fmas_f64 v[66:67], v[66:67], v[68:69], v[72:73]
	v_div_fixup_f64 v[64:65], v[66:67], v[64:65], 1.0
	ds_write_b64 v1, v[64:65]
.LBB25_24:
	s_or_b32 exec_lo, exec_lo, s1
	s_waitcnt lgkmcnt(0)
	s_barrier
	buffer_gl0_inv
	ds_read_b64 v[64:65], v1
	s_mov_b32 s1, exec_lo
	v_cmpx_lt_u32_e32 4, v0
	s_cbranch_execz .LBB25_26
; %bb.25:
	s_waitcnt lgkmcnt(0)
	v_mul_f64 v[38:39], v[38:39], v[64:65]
	ds_read2_b64 v[66:69], v80 offset0:5 offset1:6
	ds_read2_b64 v[70:73], v80 offset0:7 offset1:8
	;; [unrolled: 1-line block ×4, first 2 shown]
	s_waitcnt lgkmcnt(3)
	v_fma_f64 v[40:41], -v[38:39], v[66:67], v[40:41]
	v_fma_f64 v[42:43], -v[38:39], v[68:69], v[42:43]
	s_waitcnt lgkmcnt(2)
	v_fma_f64 v[28:29], -v[38:39], v[70:71], v[28:29]
	v_fma_f64 v[30:31], -v[38:39], v[72:73], v[30:31]
	;; [unrolled: 3-line block ×4, first 2 shown]
.LBB25_26:
	s_or_b32 exec_lo, exec_lo, s1
	s_mov_b32 s1, exec_lo
	s_waitcnt lgkmcnt(0)
	s_barrier
	buffer_gl0_inv
	v_cmpx_eq_u32_e32 5, v0
	s_cbranch_execz .LBB25_29
; %bb.27:
	ds_write_b64 v1, v[40:41]
	ds_write2_b64 v80, v[42:43], v[28:29] offset0:6 offset1:7
	ds_write2_b64 v80, v[30:31], v[32:33] offset0:8 offset1:9
	;; [unrolled: 1-line block ×3, first 2 shown]
	ds_write_b64 v80, v[46:47] offset:96
	ds_read_b64 v[66:67], v1
	s_waitcnt lgkmcnt(0)
	v_cmp_neq_f64_e32 vcc_lo, 0, v[66:67]
	s_and_b32 exec_lo, exec_lo, vcc_lo
	s_cbranch_execz .LBB25_29
; %bb.28:
	v_div_scale_f64 v[68:69], null, v[66:67], v[66:67], 1.0
	v_rcp_f64_e32 v[70:71], v[68:69]
	v_fma_f64 v[72:73], -v[68:69], v[70:71], 1.0
	v_fma_f64 v[70:71], v[70:71], v[72:73], v[70:71]
	v_fma_f64 v[72:73], -v[68:69], v[70:71], 1.0
	v_fma_f64 v[70:71], v[70:71], v[72:73], v[70:71]
	v_div_scale_f64 v[72:73], vcc_lo, 1.0, v[66:67], 1.0
	v_mul_f64 v[74:75], v[72:73], v[70:71]
	v_fma_f64 v[68:69], -v[68:69], v[74:75], v[72:73]
	v_div_fmas_f64 v[68:69], v[68:69], v[70:71], v[74:75]
	v_div_fixup_f64 v[66:67], v[68:69], v[66:67], 1.0
	ds_write_b64 v1, v[66:67]
.LBB25_29:
	s_or_b32 exec_lo, exec_lo, s1
	s_waitcnt lgkmcnt(0)
	s_barrier
	buffer_gl0_inv
	ds_read_b64 v[66:67], v1
	s_mov_b32 s1, exec_lo
	v_cmpx_lt_u32_e32 5, v0
	s_cbranch_execz .LBB25_31
; %bb.30:
	s_waitcnt lgkmcnt(0)
	v_mul_f64 v[40:41], v[40:41], v[66:67]
	ds_read2_b64 v[68:71], v80 offset0:6 offset1:7
	ds_read2_b64 v[72:75], v80 offset0:8 offset1:9
	;; [unrolled: 1-line block ×3, first 2 shown]
	ds_read_b64 v[81:82], v80 offset:96
	s_waitcnt lgkmcnt(3)
	v_fma_f64 v[42:43], -v[40:41], v[68:69], v[42:43]
	v_fma_f64 v[28:29], -v[40:41], v[70:71], v[28:29]
	s_waitcnt lgkmcnt(2)
	v_fma_f64 v[30:31], -v[40:41], v[72:73], v[30:31]
	v_fma_f64 v[32:33], -v[40:41], v[74:75], v[32:33]
	;; [unrolled: 3-line block ×3, first 2 shown]
	s_waitcnt lgkmcnt(0)
	v_fma_f64 v[46:47], -v[40:41], v[81:82], v[46:47]
.LBB25_31:
	s_or_b32 exec_lo, exec_lo, s1
	s_mov_b32 s1, exec_lo
	s_waitcnt lgkmcnt(0)
	s_barrier
	buffer_gl0_inv
	v_cmpx_eq_u32_e32 6, v0
	s_cbranch_execz .LBB25_34
; %bb.32:
	ds_write_b64 v1, v[42:43]
	ds_write2_b64 v80, v[28:29], v[30:31] offset0:7 offset1:8
	ds_write2_b64 v80, v[32:33], v[34:35] offset0:9 offset1:10
	;; [unrolled: 1-line block ×3, first 2 shown]
	ds_read_b64 v[68:69], v1
	s_waitcnt lgkmcnt(0)
	v_cmp_neq_f64_e32 vcc_lo, 0, v[68:69]
	s_and_b32 exec_lo, exec_lo, vcc_lo
	s_cbranch_execz .LBB25_34
; %bb.33:
	v_div_scale_f64 v[70:71], null, v[68:69], v[68:69], 1.0
	v_rcp_f64_e32 v[72:73], v[70:71]
	v_fma_f64 v[74:75], -v[70:71], v[72:73], 1.0
	v_fma_f64 v[72:73], v[72:73], v[74:75], v[72:73]
	v_fma_f64 v[74:75], -v[70:71], v[72:73], 1.0
	v_fma_f64 v[72:73], v[72:73], v[74:75], v[72:73]
	v_div_scale_f64 v[74:75], vcc_lo, 1.0, v[68:69], 1.0
	v_mul_f64 v[76:77], v[74:75], v[72:73]
	v_fma_f64 v[70:71], -v[70:71], v[76:77], v[74:75]
	v_div_fmas_f64 v[70:71], v[70:71], v[72:73], v[76:77]
	v_div_fixup_f64 v[68:69], v[70:71], v[68:69], 1.0
	ds_write_b64 v1, v[68:69]
.LBB25_34:
	s_or_b32 exec_lo, exec_lo, s1
	s_waitcnt lgkmcnt(0)
	s_barrier
	buffer_gl0_inv
	ds_read_b64 v[68:69], v1
	s_mov_b32 s1, exec_lo
	v_cmpx_lt_u32_e32 6, v0
	s_cbranch_execz .LBB25_36
; %bb.35:
	s_waitcnt lgkmcnt(0)
	v_mul_f64 v[42:43], v[42:43], v[68:69]
	ds_read2_b64 v[70:73], v80 offset0:7 offset1:8
	ds_read2_b64 v[74:77], v80 offset0:9 offset1:10
	ds_read2_b64 v[81:84], v80 offset0:11 offset1:12
	s_waitcnt lgkmcnt(2)
	v_fma_f64 v[28:29], -v[42:43], v[70:71], v[28:29]
	v_fma_f64 v[30:31], -v[42:43], v[72:73], v[30:31]
	s_waitcnt lgkmcnt(1)
	v_fma_f64 v[32:33], -v[42:43], v[74:75], v[32:33]
	v_fma_f64 v[34:35], -v[42:43], v[76:77], v[34:35]
	;; [unrolled: 3-line block ×3, first 2 shown]
.LBB25_36:
	s_or_b32 exec_lo, exec_lo, s1
	s_mov_b32 s1, exec_lo
	s_waitcnt lgkmcnt(0)
	s_barrier
	buffer_gl0_inv
	v_cmpx_eq_u32_e32 7, v0
	s_cbranch_execz .LBB25_39
; %bb.37:
	ds_write_b64 v1, v[28:29]
	ds_write2_b64 v80, v[30:31], v[32:33] offset0:8 offset1:9
	ds_write2_b64 v80, v[34:35], v[36:37] offset0:10 offset1:11
	ds_write_b64 v80, v[46:47] offset:96
	ds_read_b64 v[70:71], v1
	s_waitcnt lgkmcnt(0)
	v_cmp_neq_f64_e32 vcc_lo, 0, v[70:71]
	s_and_b32 exec_lo, exec_lo, vcc_lo
	s_cbranch_execz .LBB25_39
; %bb.38:
	v_div_scale_f64 v[72:73], null, v[70:71], v[70:71], 1.0
	v_rcp_f64_e32 v[74:75], v[72:73]
	v_fma_f64 v[76:77], -v[72:73], v[74:75], 1.0
	v_fma_f64 v[74:75], v[74:75], v[76:77], v[74:75]
	v_fma_f64 v[76:77], -v[72:73], v[74:75], 1.0
	v_fma_f64 v[74:75], v[74:75], v[76:77], v[74:75]
	v_div_scale_f64 v[76:77], vcc_lo, 1.0, v[70:71], 1.0
	v_mul_f64 v[78:79], v[76:77], v[74:75]
	v_fma_f64 v[72:73], -v[72:73], v[78:79], v[76:77]
	v_div_fmas_f64 v[72:73], v[72:73], v[74:75], v[78:79]
	v_div_fixup_f64 v[70:71], v[72:73], v[70:71], 1.0
	ds_write_b64 v1, v[70:71]
.LBB25_39:
	s_or_b32 exec_lo, exec_lo, s1
	s_waitcnt lgkmcnt(0)
	s_barrier
	buffer_gl0_inv
	ds_read_b64 v[70:71], v1
	s_mov_b32 s1, exec_lo
	v_cmpx_lt_u32_e32 7, v0
	s_cbranch_execz .LBB25_41
; %bb.40:
	s_waitcnt lgkmcnt(0)
	v_mul_f64 v[28:29], v[28:29], v[70:71]
	ds_read2_b64 v[72:75], v80 offset0:8 offset1:9
	ds_read2_b64 v[76:79], v80 offset0:10 offset1:11
	ds_read_b64 v[81:82], v80 offset:96
	s_waitcnt lgkmcnt(2)
	v_fma_f64 v[30:31], -v[28:29], v[72:73], v[30:31]
	v_fma_f64 v[32:33], -v[28:29], v[74:75], v[32:33]
	s_waitcnt lgkmcnt(1)
	v_fma_f64 v[34:35], -v[28:29], v[76:77], v[34:35]
	v_fma_f64 v[36:37], -v[28:29], v[78:79], v[36:37]
	s_waitcnt lgkmcnt(0)
	v_fma_f64 v[46:47], -v[28:29], v[81:82], v[46:47]
.LBB25_41:
	s_or_b32 exec_lo, exec_lo, s1
	s_mov_b32 s1, exec_lo
	s_waitcnt lgkmcnt(0)
	s_barrier
	buffer_gl0_inv
	v_cmpx_eq_u32_e32 8, v0
	s_cbranch_execz .LBB25_44
; %bb.42:
	ds_write_b64 v1, v[30:31]
	ds_write2_b64 v80, v[32:33], v[34:35] offset0:9 offset1:10
	ds_write2_b64 v80, v[36:37], v[46:47] offset0:11 offset1:12
	ds_read_b64 v[72:73], v1
	s_waitcnt lgkmcnt(0)
	v_cmp_neq_f64_e32 vcc_lo, 0, v[72:73]
	s_and_b32 exec_lo, exec_lo, vcc_lo
	s_cbranch_execz .LBB25_44
; %bb.43:
	v_div_scale_f64 v[74:75], null, v[72:73], v[72:73], 1.0
	v_rcp_f64_e32 v[76:77], v[74:75]
	v_fma_f64 v[78:79], -v[74:75], v[76:77], 1.0
	v_fma_f64 v[76:77], v[76:77], v[78:79], v[76:77]
	v_fma_f64 v[78:79], -v[74:75], v[76:77], 1.0
	v_fma_f64 v[76:77], v[76:77], v[78:79], v[76:77]
	v_div_scale_f64 v[78:79], vcc_lo, 1.0, v[72:73], 1.0
	v_mul_f64 v[81:82], v[78:79], v[76:77]
	v_fma_f64 v[74:75], -v[74:75], v[81:82], v[78:79]
	v_div_fmas_f64 v[74:75], v[74:75], v[76:77], v[81:82]
	v_div_fixup_f64 v[72:73], v[74:75], v[72:73], 1.0
	ds_write_b64 v1, v[72:73]
.LBB25_44:
	s_or_b32 exec_lo, exec_lo, s1
	s_waitcnt lgkmcnt(0)
	s_barrier
	buffer_gl0_inv
	ds_read_b64 v[72:73], v1
	s_mov_b32 s1, exec_lo
	v_cmpx_lt_u32_e32 8, v0
	s_cbranch_execz .LBB25_46
; %bb.45:
	s_waitcnt lgkmcnt(0)
	v_mul_f64 v[30:31], v[30:31], v[72:73]
	ds_read2_b64 v[74:77], v80 offset0:9 offset1:10
	ds_read2_b64 v[81:84], v80 offset0:11 offset1:12
	s_waitcnt lgkmcnt(1)
	v_fma_f64 v[32:33], -v[30:31], v[74:75], v[32:33]
	v_fma_f64 v[34:35], -v[30:31], v[76:77], v[34:35]
	s_waitcnt lgkmcnt(0)
	v_fma_f64 v[36:37], -v[30:31], v[81:82], v[36:37]
	v_fma_f64 v[46:47], -v[30:31], v[83:84], v[46:47]
.LBB25_46:
	s_or_b32 exec_lo, exec_lo, s1
	s_mov_b32 s1, exec_lo
	s_waitcnt lgkmcnt(0)
	s_barrier
	buffer_gl0_inv
	v_cmpx_eq_u32_e32 9, v0
	s_cbranch_execz .LBB25_49
; %bb.47:
	ds_write_b64 v1, v[32:33]
	ds_write2_b64 v80, v[34:35], v[36:37] offset0:10 offset1:11
	ds_write_b64 v80, v[46:47] offset:96
	ds_read_b64 v[74:75], v1
	s_waitcnt lgkmcnt(0)
	v_cmp_neq_f64_e32 vcc_lo, 0, v[74:75]
	s_and_b32 exec_lo, exec_lo, vcc_lo
	s_cbranch_execz .LBB25_49
; %bb.48:
	v_div_scale_f64 v[76:77], null, v[74:75], v[74:75], 1.0
	v_rcp_f64_e32 v[78:79], v[76:77]
	v_fma_f64 v[81:82], -v[76:77], v[78:79], 1.0
	v_fma_f64 v[78:79], v[78:79], v[81:82], v[78:79]
	v_fma_f64 v[81:82], -v[76:77], v[78:79], 1.0
	v_fma_f64 v[78:79], v[78:79], v[81:82], v[78:79]
	v_div_scale_f64 v[81:82], vcc_lo, 1.0, v[74:75], 1.0
	v_mul_f64 v[83:84], v[81:82], v[78:79]
	v_fma_f64 v[76:77], -v[76:77], v[83:84], v[81:82]
	v_div_fmas_f64 v[76:77], v[76:77], v[78:79], v[83:84]
	v_div_fixup_f64 v[74:75], v[76:77], v[74:75], 1.0
	ds_write_b64 v1, v[74:75]
.LBB25_49:
	s_or_b32 exec_lo, exec_lo, s1
	s_waitcnt lgkmcnt(0)
	s_barrier
	buffer_gl0_inv
	ds_read_b64 v[74:75], v1
	s_mov_b32 s1, exec_lo
	v_cmpx_lt_u32_e32 9, v0
	s_cbranch_execz .LBB25_51
; %bb.50:
	s_waitcnt lgkmcnt(0)
	v_mul_f64 v[32:33], v[32:33], v[74:75]
	ds_read2_b64 v[76:79], v80 offset0:10 offset1:11
	ds_read_b64 v[81:82], v80 offset:96
	s_waitcnt lgkmcnt(1)
	v_fma_f64 v[34:35], -v[32:33], v[76:77], v[34:35]
	v_fma_f64 v[36:37], -v[32:33], v[78:79], v[36:37]
	s_waitcnt lgkmcnt(0)
	v_fma_f64 v[46:47], -v[32:33], v[81:82], v[46:47]
.LBB25_51:
	s_or_b32 exec_lo, exec_lo, s1
	s_mov_b32 s1, exec_lo
	s_waitcnt lgkmcnt(0)
	s_barrier
	buffer_gl0_inv
	v_cmpx_eq_u32_e32 10, v0
	s_cbranch_execz .LBB25_54
; %bb.52:
	ds_write_b64 v1, v[34:35]
	ds_write2_b64 v80, v[36:37], v[46:47] offset0:11 offset1:12
	ds_read_b64 v[76:77], v1
	s_waitcnt lgkmcnt(0)
	v_cmp_neq_f64_e32 vcc_lo, 0, v[76:77]
	s_and_b32 exec_lo, exec_lo, vcc_lo
	s_cbranch_execz .LBB25_54
; %bb.53:
	v_div_scale_f64 v[78:79], null, v[76:77], v[76:77], 1.0
	v_rcp_f64_e32 v[81:82], v[78:79]
	v_fma_f64 v[83:84], -v[78:79], v[81:82], 1.0
	v_fma_f64 v[81:82], v[81:82], v[83:84], v[81:82]
	v_fma_f64 v[83:84], -v[78:79], v[81:82], 1.0
	v_fma_f64 v[81:82], v[81:82], v[83:84], v[81:82]
	v_div_scale_f64 v[83:84], vcc_lo, 1.0, v[76:77], 1.0
	v_mul_f64 v[85:86], v[83:84], v[81:82]
	v_fma_f64 v[78:79], -v[78:79], v[85:86], v[83:84]
	v_div_fmas_f64 v[78:79], v[78:79], v[81:82], v[85:86]
	v_div_fixup_f64 v[76:77], v[78:79], v[76:77], 1.0
	ds_write_b64 v1, v[76:77]
.LBB25_54:
	s_or_b32 exec_lo, exec_lo, s1
	s_waitcnt lgkmcnt(0)
	s_barrier
	buffer_gl0_inv
	ds_read_b64 v[76:77], v1
	s_mov_b32 s1, exec_lo
	v_cmpx_lt_u32_e32 10, v0
	s_cbranch_execz .LBB25_56
; %bb.55:
	s_waitcnt lgkmcnt(0)
	v_mul_f64 v[34:35], v[34:35], v[76:77]
	ds_read2_b64 v[81:84], v80 offset0:11 offset1:12
	s_waitcnt lgkmcnt(0)
	v_fma_f64 v[36:37], -v[34:35], v[81:82], v[36:37]
	v_fma_f64 v[46:47], -v[34:35], v[83:84], v[46:47]
.LBB25_56:
	s_or_b32 exec_lo, exec_lo, s1
	s_mov_b32 s1, exec_lo
	s_waitcnt lgkmcnt(0)
	s_barrier
	buffer_gl0_inv
	v_cmpx_eq_u32_e32 11, v0
	s_cbranch_execz .LBB25_59
; %bb.57:
	ds_write_b64 v1, v[36:37]
	ds_write_b64 v80, v[46:47] offset:96
	ds_read_b64 v[78:79], v1
	s_waitcnt lgkmcnt(0)
	v_cmp_neq_f64_e32 vcc_lo, 0, v[78:79]
	s_and_b32 exec_lo, exec_lo, vcc_lo
	s_cbranch_execz .LBB25_59
; %bb.58:
	v_div_scale_f64 v[81:82], null, v[78:79], v[78:79], 1.0
	v_rcp_f64_e32 v[83:84], v[81:82]
	v_fma_f64 v[85:86], -v[81:82], v[83:84], 1.0
	v_fma_f64 v[83:84], v[83:84], v[85:86], v[83:84]
	v_fma_f64 v[85:86], -v[81:82], v[83:84], 1.0
	v_fma_f64 v[83:84], v[83:84], v[85:86], v[83:84]
	v_div_scale_f64 v[85:86], vcc_lo, 1.0, v[78:79], 1.0
	v_mul_f64 v[87:88], v[85:86], v[83:84]
	v_fma_f64 v[81:82], -v[81:82], v[87:88], v[85:86]
	v_div_fmas_f64 v[81:82], v[81:82], v[83:84], v[87:88]
	v_div_fixup_f64 v[78:79], v[81:82], v[78:79], 1.0
	ds_write_b64 v1, v[78:79]
.LBB25_59:
	s_or_b32 exec_lo, exec_lo, s1
	s_waitcnt lgkmcnt(0)
	s_barrier
	buffer_gl0_inv
	ds_read_b64 v[78:79], v1
	s_mov_b32 s1, exec_lo
	v_cmpx_lt_u32_e32 11, v0
	s_cbranch_execz .LBB25_61
; %bb.60:
	s_waitcnt lgkmcnt(0)
	v_mul_f64 v[36:37], v[36:37], v[78:79]
	ds_read_b64 v[80:81], v80 offset:96
	s_waitcnt lgkmcnt(0)
	v_fma_f64 v[46:47], -v[36:37], v[80:81], v[46:47]
.LBB25_61:
	s_or_b32 exec_lo, exec_lo, s1
	s_mov_b32 s1, exec_lo
	s_waitcnt lgkmcnt(0)
	s_barrier
	buffer_gl0_inv
	v_cmpx_ne_u32_e32 12, v0
	s_xor_b32 s1, exec_lo, s1
	s_andn2_saveexec_b32 s1, s1
	s_cbranch_execz .LBB25_65
; %bb.62:
	s_mov_b32 s2, exec_lo
	ds_write_b64 v1, v[46:47]
	v_cmpx_neq_f64_e32 0, v[46:47]
	s_cbranch_execz .LBB25_64
; %bb.63:
	v_div_scale_f64 v[80:81], null, v[46:47], v[46:47], 1.0
	v_rcp_f64_e32 v[82:83], v[80:81]
	v_fma_f64 v[84:85], -v[80:81], v[82:83], 1.0
	v_fma_f64 v[82:83], v[82:83], v[84:85], v[82:83]
	v_fma_f64 v[84:85], -v[80:81], v[82:83], 1.0
	v_fma_f64 v[82:83], v[82:83], v[84:85], v[82:83]
	v_div_scale_f64 v[84:85], vcc_lo, 1.0, v[46:47], 1.0
	v_mul_f64 v[86:87], v[84:85], v[82:83]
	v_fma_f64 v[80:81], -v[80:81], v[86:87], v[84:85]
	v_div_fmas_f64 v[80:81], v[80:81], v[82:83], v[86:87]
	v_div_fixup_f64 v[80:81], v[80:81], v[46:47], 1.0
	ds_write_b64 v1, v[80:81]
.LBB25_64:
	s_or_b32 exec_lo, exec_lo, s2
.LBB25_65:
	s_or_b32 exec_lo, exec_lo, s1
	s_waitcnt lgkmcnt(0)
	s_barrier
	buffer_gl0_inv
	ds_read_b64 v[80:81], v1
	s_waitcnt lgkmcnt(0)
	s_barrier
	buffer_gl0_inv
	s_and_saveexec_b32 s3, s0
	s_cbranch_execz .LBB25_68
; %bb.66:
	s_load_dwordx2 s[0:1], s[4:5], 0x28
	v_lshlrev_b64 v[1:2], 2, v[2:3]
	v_cmp_eq_f64_e64 s2, 0, v[62:63]
	s_waitcnt lgkmcnt(0)
	v_add_co_u32 v1, vcc_lo, s0, v1
	v_add_co_ci_u32_e64 v2, null, s1, v2, vcc_lo
	v_cmp_eq_f64_e32 vcc_lo, 0, v[56:57]
	v_cmp_neq_f64_e64 s0, 0, v[58:59]
	v_cmp_eq_f64_e64 s1, 0, v[60:61]
	global_load_dword v82, v[1:2], off
	v_cndmask_b32_e64 v3, 0, 1, vcc_lo
	s_or_b32 vcc_lo, s0, vcc_lo
	v_cmp_eq_f64_e64 s0, 0, v[64:65]
	v_cndmask_b32_e32 v3, 2, v3, vcc_lo
	v_cmp_eq_u32_e32 vcc_lo, 0, v3
	s_and_b32 s1, s1, vcc_lo
	v_cndmask_b32_e64 v3, v3, 3, s1
	v_cmp_eq_f64_e64 s1, 0, v[66:67]
	v_cmp_eq_u32_e32 vcc_lo, 0, v3
	s_and_b32 s2, s2, vcc_lo
	v_cndmask_b32_e64 v3, v3, 4, s2
	v_cmp_eq_f64_e64 s2, 0, v[68:69]
	;; [unrolled: 4-line block ×8, first 2 shown]
	v_cmp_eq_u32_e32 vcc_lo, 0, v3
	s_and_b32 s0, s0, vcc_lo
	v_cndmask_b32_e64 v3, v3, 11, s0
	v_cmp_eq_u32_e32 vcc_lo, 0, v3
	s_and_b32 s0, s1, vcc_lo
	v_cndmask_b32_e64 v3, v3, 12, s0
	;; [unrolled: 3-line block ×3, first 2 shown]
	v_cmp_ne_u32_e64 s0, 0, v3
	s_waitcnt vmcnt(0)
	v_cmp_eq_u32_e32 vcc_lo, 0, v82
	s_and_b32 s0, vcc_lo, s0
	s_and_b32 exec_lo, exec_lo, s0
	s_cbranch_execz .LBB25_68
; %bb.67:
	v_add_nc_u32_e32 v3, s9, v3
	global_store_dword v[1:2], v3, off
.LBB25_68:
	s_or_b32 exec_lo, exec_lo, s3
	v_mul_f64 v[1:2], v[46:47], v[80:81]
	v_cmp_lt_u32_e32 vcc_lo, 12, v0
	flat_store_dwordx2 v[4:5], v[48:49]
	flat_store_dwordx2 v[44:45], v[50:51]
	;; [unrolled: 1-line block ×7, first 2 shown]
	v_cndmask_b32_e32 v2, v47, v2, vcc_lo
	v_cndmask_b32_e32 v1, v46, v1, vcc_lo
	flat_store_dwordx2 v[14:15], v[28:29]
	flat_store_dwordx2 v[18:19], v[30:31]
	;; [unrolled: 1-line block ×6, first 2 shown]
.LBB25_69:
	s_endpgm
	.section	.rodata,"a",@progbits
	.p2align	6, 0x0
	.amdhsa_kernel _ZN9rocsolver6v33100L23getf2_npvt_small_kernelILi13EdiiPKPdEEvT1_T3_lS5_lPT2_S5_S5_
		.amdhsa_group_segment_fixed_size 0
		.amdhsa_private_segment_fixed_size 0
		.amdhsa_kernarg_size 312
		.amdhsa_user_sgpr_count 6
		.amdhsa_user_sgpr_private_segment_buffer 1
		.amdhsa_user_sgpr_dispatch_ptr 0
		.amdhsa_user_sgpr_queue_ptr 0
		.amdhsa_user_sgpr_kernarg_segment_ptr 1
		.amdhsa_user_sgpr_dispatch_id 0
		.amdhsa_user_sgpr_flat_scratch_init 0
		.amdhsa_user_sgpr_private_segment_size 0
		.amdhsa_wavefront_size32 1
		.amdhsa_uses_dynamic_stack 0
		.amdhsa_system_sgpr_private_segment_wavefront_offset 0
		.amdhsa_system_sgpr_workgroup_id_x 1
		.amdhsa_system_sgpr_workgroup_id_y 1
		.amdhsa_system_sgpr_workgroup_id_z 0
		.amdhsa_system_sgpr_workgroup_info 0
		.amdhsa_system_vgpr_workitem_id 1
		.amdhsa_next_free_vgpr 89
		.amdhsa_next_free_sgpr 11
		.amdhsa_reserve_vcc 1
		.amdhsa_reserve_flat_scratch 1
		.amdhsa_float_round_mode_32 0
		.amdhsa_float_round_mode_16_64 0
		.amdhsa_float_denorm_mode_32 3
		.amdhsa_float_denorm_mode_16_64 3
		.amdhsa_dx10_clamp 1
		.amdhsa_ieee_mode 1
		.amdhsa_fp16_overflow 0
		.amdhsa_workgroup_processor_mode 1
		.amdhsa_memory_ordered 1
		.amdhsa_forward_progress 1
		.amdhsa_shared_vgpr_count 0
		.amdhsa_exception_fp_ieee_invalid_op 0
		.amdhsa_exception_fp_denorm_src 0
		.amdhsa_exception_fp_ieee_div_zero 0
		.amdhsa_exception_fp_ieee_overflow 0
		.amdhsa_exception_fp_ieee_underflow 0
		.amdhsa_exception_fp_ieee_inexact 0
		.amdhsa_exception_int_div_zero 0
	.end_amdhsa_kernel
	.section	.text._ZN9rocsolver6v33100L23getf2_npvt_small_kernelILi13EdiiPKPdEEvT1_T3_lS5_lPT2_S5_S5_,"axG",@progbits,_ZN9rocsolver6v33100L23getf2_npvt_small_kernelILi13EdiiPKPdEEvT1_T3_lS5_lPT2_S5_S5_,comdat
.Lfunc_end25:
	.size	_ZN9rocsolver6v33100L23getf2_npvt_small_kernelILi13EdiiPKPdEEvT1_T3_lS5_lPT2_S5_S5_, .Lfunc_end25-_ZN9rocsolver6v33100L23getf2_npvt_small_kernelILi13EdiiPKPdEEvT1_T3_lS5_lPT2_S5_S5_
                                        ; -- End function
	.set _ZN9rocsolver6v33100L23getf2_npvt_small_kernelILi13EdiiPKPdEEvT1_T3_lS5_lPT2_S5_S5_.num_vgpr, 89
	.set _ZN9rocsolver6v33100L23getf2_npvt_small_kernelILi13EdiiPKPdEEvT1_T3_lS5_lPT2_S5_S5_.num_agpr, 0
	.set _ZN9rocsolver6v33100L23getf2_npvt_small_kernelILi13EdiiPKPdEEvT1_T3_lS5_lPT2_S5_S5_.numbered_sgpr, 11
	.set _ZN9rocsolver6v33100L23getf2_npvt_small_kernelILi13EdiiPKPdEEvT1_T3_lS5_lPT2_S5_S5_.num_named_barrier, 0
	.set _ZN9rocsolver6v33100L23getf2_npvt_small_kernelILi13EdiiPKPdEEvT1_T3_lS5_lPT2_S5_S5_.private_seg_size, 0
	.set _ZN9rocsolver6v33100L23getf2_npvt_small_kernelILi13EdiiPKPdEEvT1_T3_lS5_lPT2_S5_S5_.uses_vcc, 1
	.set _ZN9rocsolver6v33100L23getf2_npvt_small_kernelILi13EdiiPKPdEEvT1_T3_lS5_lPT2_S5_S5_.uses_flat_scratch, 1
	.set _ZN9rocsolver6v33100L23getf2_npvt_small_kernelILi13EdiiPKPdEEvT1_T3_lS5_lPT2_S5_S5_.has_dyn_sized_stack, 0
	.set _ZN9rocsolver6v33100L23getf2_npvt_small_kernelILi13EdiiPKPdEEvT1_T3_lS5_lPT2_S5_S5_.has_recursion, 0
	.set _ZN9rocsolver6v33100L23getf2_npvt_small_kernelILi13EdiiPKPdEEvT1_T3_lS5_lPT2_S5_S5_.has_indirect_call, 0
	.section	.AMDGPU.csdata,"",@progbits
; Kernel info:
; codeLenInByte = 5352
; TotalNumSgprs: 13
; NumVgprs: 89
; ScratchSize: 0
; MemoryBound: 0
; FloatMode: 240
; IeeeMode: 1
; LDSByteSize: 0 bytes/workgroup (compile time only)
; SGPRBlocks: 0
; VGPRBlocks: 11
; NumSGPRsForWavesPerEU: 13
; NumVGPRsForWavesPerEU: 89
; Occupancy: 10
; WaveLimiterHint : 1
; COMPUTE_PGM_RSRC2:SCRATCH_EN: 0
; COMPUTE_PGM_RSRC2:USER_SGPR: 6
; COMPUTE_PGM_RSRC2:TRAP_HANDLER: 0
; COMPUTE_PGM_RSRC2:TGID_X_EN: 1
; COMPUTE_PGM_RSRC2:TGID_Y_EN: 1
; COMPUTE_PGM_RSRC2:TGID_Z_EN: 0
; COMPUTE_PGM_RSRC2:TIDIG_COMP_CNT: 1
	.section	.text._ZN9rocsolver6v33100L18getf2_small_kernelILi14EdiiPKPdEEvT1_T3_lS5_lPS5_llPT2_S5_S5_S7_l,"axG",@progbits,_ZN9rocsolver6v33100L18getf2_small_kernelILi14EdiiPKPdEEvT1_T3_lS5_lPS5_llPT2_S5_S5_S7_l,comdat
	.globl	_ZN9rocsolver6v33100L18getf2_small_kernelILi14EdiiPKPdEEvT1_T3_lS5_lPS5_llPT2_S5_S5_S7_l ; -- Begin function _ZN9rocsolver6v33100L18getf2_small_kernelILi14EdiiPKPdEEvT1_T3_lS5_lPS5_llPT2_S5_S5_S7_l
	.p2align	8
	.type	_ZN9rocsolver6v33100L18getf2_small_kernelILi14EdiiPKPdEEvT1_T3_lS5_lPS5_llPT2_S5_S5_S7_l,@function
_ZN9rocsolver6v33100L18getf2_small_kernelILi14EdiiPKPdEEvT1_T3_lS5_lPS5_llPT2_S5_S5_S7_l: ; @_ZN9rocsolver6v33100L18getf2_small_kernelILi14EdiiPKPdEEvT1_T3_lS5_lPS5_llPT2_S5_S5_S7_l
; %bb.0:
	s_clause 0x1
	s_load_dword s0, s[4:5], 0x6c
	s_load_dwordx2 s[12:13], s[4:5], 0x48
	s_waitcnt lgkmcnt(0)
	s_lshr_b32 s0, s0, 16
	v_mad_u64_u32 v[4:5], null, s7, s0, v[1:2]
	s_mov_b32 s0, exec_lo
	v_cmpx_gt_i32_e64 s12, v4
	s_cbranch_execz .LBB26_235
; %bb.1:
	s_clause 0x1
	s_load_dwordx4 s[0:3], s[4:5], 0x8
	s_load_dwordx4 s[8:11], s[4:5], 0x50
	v_ashrrev_i32_e32 v5, 31, v4
	v_mov_b32_e32 v30, 0
	v_mov_b32_e32 v31, 0
	v_lshlrev_b64 v[2:3], 3, v[4:5]
	s_waitcnt lgkmcnt(0)
	v_add_co_u32 v2, vcc_lo, s0, v2
	v_add_co_ci_u32_e64 v3, null, s1, v3, vcc_lo
	s_cmp_eq_u64 s[8:9], 0
	s_cselect_b32 s6, -1, 0
	global_load_dwordx2 v[2:3], v[2:3], off
	s_and_b32 vcc_lo, exec_lo, s6
	s_cbranch_vccnz .LBB26_3
; %bb.2:
	v_mul_lo_u32 v8, s11, v4
	v_mul_lo_u32 v9, s10, v5
	v_mad_u64_u32 v[6:7], null, s10, v4, 0
	v_add3_u32 v7, v7, v9, v8
	v_lshlrev_b64 v[6:7], 2, v[6:7]
	v_add_co_u32 v30, vcc_lo, s8, v6
	v_add_co_ci_u32_e64 v31, null, s9, v7, vcc_lo
.LBB26_3:
	s_load_dword s8, s[4:5], 0x18
	s_lshl_b64 s[0:1], s[2:3], 3
	s_load_dword s2, s[4:5], 0x0
	s_waitcnt vmcnt(0)
	v_add_co_u32 v38, vcc_lo, v2, s0
	v_lshlrev_b32_e32 v36, 3, v0
	v_add_co_ci_u32_e64 v39, null, s1, v3, vcc_lo
	v_add_co_u32 v8, vcc_lo, v38, v36
	v_add_co_ci_u32_e64 v9, null, 0, v39, vcc_lo
	s_waitcnt lgkmcnt(0)
	v_add3_u32 v6, s8, s8, v0
	s_ashr_i32 s9, s8, 31
	s_max_i32 s0, s2, 14
	s_lshl_b64 s[10:11], s[8:9], 3
	v_mul_lo_u32 v1, s0, v1
	v_add_nc_u32_e32 v2, s8, v6
	v_ashrrev_i32_e32 v7, 31, v6
	v_add_co_u32 v12, vcc_lo, v8, s10
	v_add_co_ci_u32_e64 v13, null, s11, v9, vcc_lo
	v_add_nc_u32_e32 v10, s8, v2
	v_ashrrev_i32_e32 v3, 31, v2
	v_lshlrev_b64 v[6:7], 3, v[6:7]
	v_lshl_add_u32 v40, v1, 3, 0
	v_lshlrev_b32_e32 v41, 3, v1
	v_add_nc_u32_e32 v14, s8, v10
	v_lshlrev_b64 v[2:3], 3, v[2:3]
	v_ashrrev_i32_e32 v11, 31, v10
	v_add_co_u32 v6, vcc_lo, v38, v6
	v_add_nc_u32_e32 v18, s8, v14
	v_ashrrev_i32_e32 v15, 31, v14
	v_add_co_ci_u32_e64 v7, null, v39, v7, vcc_lo
	v_add_co_u32 v2, vcc_lo, v38, v2
	v_add_nc_u32_e32 v22, s8, v18
	v_add_co_ci_u32_e64 v3, null, v39, v3, vcc_lo
	v_ashrrev_i32_e32 v19, 31, v18
	v_lshlrev_b64 v[10:11], 3, v[10:11]
	v_lshlrev_b64 v[20:21], 3, v[14:15]
	s_clause 0x3
	flat_load_dwordx2 v[26:27], v[8:9]
	flat_load_dwordx2 v[24:25], v[12:13]
	flat_load_dwordx2 v[14:15], v[6:7]
	flat_load_dwordx2 v[16:17], v[2:3]
	v_ashrrev_i32_e32 v23, 31, v22
	v_add_nc_u32_e32 v8, s8, v22
	v_lshlrev_b64 v[6:7], 3, v[18:19]
	v_add_co_u32 v2, vcc_lo, v38, v10
	v_lshlrev_b64 v[12:13], 3, v[22:23]
	v_add_nc_u32_e32 v28, s8, v8
	v_add_co_ci_u32_e64 v3, null, v39, v11, vcc_lo
	v_add_co_u32 v10, vcc_lo, v38, v20
	v_add_co_ci_u32_e64 v11, null, v39, v21, vcc_lo
	v_add_co_u32 v6, vcc_lo, v38, v6
	v_add_nc_u32_e32 v32, s8, v28
	v_add_co_ci_u32_e64 v7, null, v39, v7, vcc_lo
	v_add_co_u32 v12, vcc_lo, v38, v12
	v_add_co_ci_u32_e64 v13, null, v39, v13, vcc_lo
	v_ashrrev_i32_e32 v29, 31, v28
	s_clause 0x3
	flat_load_dwordx2 v[22:23], v[2:3]
	flat_load_dwordx2 v[18:19], v[10:11]
	;; [unrolled: 1-line block ×4, first 2 shown]
	v_add_nc_u32_e32 v10, s8, v32
	v_ashrrev_i32_e32 v9, 31, v8
	v_ashrrev_i32_e32 v33, 31, v32
	v_lshlrev_b64 v[6:7], 3, v[28:29]
	s_cmp_lt_i32 s2, 2
	v_add_nc_u32_e32 v28, s8, v10
	v_lshlrev_b64 v[8:9], 3, v[8:9]
	v_lshlrev_b64 v[12:13], 3, v[32:33]
	v_ashrrev_i32_e32 v11, 31, v10
	v_add_nc_u32_e32 v32, s8, v28
	v_ashrrev_i32_e32 v29, 31, v28
	v_add_co_u32 v8, vcc_lo, v38, v8
	v_lshlrev_b64 v[10:11], 3, v[10:11]
	v_ashrrev_i32_e32 v33, 31, v32
	v_add_co_ci_u32_e64 v9, null, v39, v9, vcc_lo
	v_add_co_u32 v6, vcc_lo, v38, v6
	v_lshlrev_b64 v[28:29], 3, v[28:29]
	v_add_co_ci_u32_e64 v7, null, v39, v7, vcc_lo
	v_add_co_u32 v12, vcc_lo, v38, v12
	v_lshlrev_b64 v[32:33], 3, v[32:33]
	v_add_co_ci_u32_e64 v13, null, v39, v13, vcc_lo
	v_add_co_u32 v10, vcc_lo, v38, v10
	v_add_co_ci_u32_e64 v11, null, v39, v11, vcc_lo
	v_add_co_u32 v34, vcc_lo, v38, v28
	;; [unrolled: 2-line block ×3, first 2 shown]
	v_add_co_ci_u32_e64 v33, null, v39, v33, vcc_lo
	s_clause 0x5
	flat_load_dwordx2 v[28:29], v[8:9]
	flat_load_dwordx2 v[6:7], v[6:7]
	flat_load_dwordx2 v[8:9], v[12:13]
	flat_load_dwordx2 v[10:11], v[10:11]
	flat_load_dwordx2 v[12:13], v[34:35]
	flat_load_dwordx2 v[32:33], v[32:33]
	v_add_nc_u32_e32 v34, v40, v36
	v_mov_b32_e32 v36, 0
	s_waitcnt vmcnt(13) lgkmcnt(13)
	ds_write_b64 v34, v[26:27]
	s_waitcnt vmcnt(0) lgkmcnt(0)
	s_barrier
	buffer_gl0_inv
	ds_read_b64 v[34:35], v40
	s_cbranch_scc1 .LBB26_6
; %bb.4:
	v_add3_u32 v1, v41, 0, 8
	v_mov_b32_e32 v36, 0
	s_mov_b32 s0, 1
.LBB26_5:                               ; =>This Inner Loop Header: Depth=1
	ds_read_b64 v[42:43], v1
	v_add_nc_u32_e32 v1, 8, v1
	s_waitcnt lgkmcnt(0)
	v_cmp_lt_f64_e64 vcc_lo, |v[34:35]|, |v[42:43]|
	v_cndmask_b32_e32 v35, v35, v43, vcc_lo
	v_cndmask_b32_e32 v34, v34, v42, vcc_lo
	v_cndmask_b32_e64 v36, v36, s0, vcc_lo
	s_add_i32 s0, s0, 1
	s_cmp_eq_u32 s2, s0
	s_cbranch_scc0 .LBB26_5
.LBB26_6:
	s_mov_b32 s0, exec_lo
                                        ; implicit-def: $vgpr43
	v_cmpx_ne_u32_e64 v0, v36
	s_xor_b32 s0, exec_lo, s0
	s_cbranch_execz .LBB26_12
; %bb.7:
	s_mov_b32 s1, exec_lo
	v_cmpx_eq_u32_e32 0, v0
	s_cbranch_execz .LBB26_11
; %bb.8:
	v_cmp_ne_u32_e32 vcc_lo, 0, v36
	s_xor_b32 s3, s6, -1
	s_and_b32 s7, s3, vcc_lo
	s_and_saveexec_b32 s3, s7
	s_cbranch_execz .LBB26_10
; %bb.9:
	v_ashrrev_i32_e32 v37, 31, v36
	v_lshlrev_b64 v[0:1], 2, v[36:37]
	v_add_co_u32 v0, vcc_lo, v30, v0
	v_add_co_ci_u32_e64 v1, null, v31, v1, vcc_lo
	s_clause 0x1
	global_load_dword v37, v[0:1], off
	global_load_dword v42, v[30:31], off
	s_waitcnt vmcnt(1)
	global_store_dword v[30:31], v37, off
	s_waitcnt vmcnt(0)
	global_store_dword v[0:1], v42, off
.LBB26_10:
	s_or_b32 exec_lo, exec_lo, s3
	v_mov_b32_e32 v0, v36
.LBB26_11:
	s_or_b32 exec_lo, exec_lo, s1
	v_mov_b32_e32 v43, v0
                                        ; implicit-def: $vgpr0
.LBB26_12:
	s_or_saveexec_b32 s0, s0
	v_mov_b32_e32 v37, v43
	s_xor_b32 exec_lo, exec_lo, s0
	s_cbranch_execz .LBB26_14
; %bb.13:
	v_mov_b32_e32 v43, 0
	v_mov_b32_e32 v37, v0
	ds_write2_b64 v40, v[24:25], v[14:15] offset0:1 offset1:2
	ds_write2_b64 v40, v[16:17], v[22:23] offset0:3 offset1:4
	;; [unrolled: 1-line block ×6, first 2 shown]
	ds_write_b64 v40, v[32:33] offset:104
.LBB26_14:
	s_or_b32 exec_lo, exec_lo, s0
	s_waitcnt lgkmcnt(0)
	v_cmp_eq_f64_e64 s0, 0, v[34:35]
	s_mov_b32 s1, exec_lo
	s_waitcnt_vscnt null, 0x0
	s_barrier
	buffer_gl0_inv
	v_cmpx_lt_i32_e32 0, v43
	s_cbranch_execz .LBB26_16
; %bb.15:
	v_div_scale_f64 v[0:1], null, v[34:35], v[34:35], 1.0
	v_div_scale_f64 v[48:49], vcc_lo, 1.0, v[34:35], 1.0
	v_rcp_f64_e32 v[44:45], v[0:1]
	v_fma_f64 v[46:47], -v[0:1], v[44:45], 1.0
	v_fma_f64 v[44:45], v[44:45], v[46:47], v[44:45]
	v_fma_f64 v[46:47], -v[0:1], v[44:45], 1.0
	v_fma_f64 v[44:45], v[44:45], v[46:47], v[44:45]
	v_mul_f64 v[46:47], v[48:49], v[44:45]
	v_fma_f64 v[0:1], -v[0:1], v[46:47], v[48:49]
	v_div_fmas_f64 v[0:1], v[0:1], v[44:45], v[46:47]
	v_div_fixup_f64 v[0:1], v[0:1], v[34:35], 1.0
	v_cndmask_b32_e64 v1, v1, v35, s0
	v_cndmask_b32_e64 v0, v0, v34, s0
	v_mul_f64 v[26:27], v[26:27], v[0:1]
	ds_read2_b64 v[44:47], v40 offset0:1 offset1:2
	ds_read2_b64 v[48:51], v40 offset0:3 offset1:4
	;; [unrolled: 1-line block ×6, first 2 shown]
	ds_read_b64 v[0:1], v40 offset:104
	s_waitcnt lgkmcnt(6)
	v_fma_f64 v[24:25], -v[26:27], v[44:45], v[24:25]
	v_fma_f64 v[14:15], -v[26:27], v[46:47], v[14:15]
	s_waitcnt lgkmcnt(5)
	v_fma_f64 v[16:17], -v[26:27], v[48:49], v[16:17]
	v_fma_f64 v[22:23], -v[26:27], v[50:51], v[22:23]
	;; [unrolled: 3-line block ×6, first 2 shown]
	s_waitcnt lgkmcnt(0)
	v_fma_f64 v[32:33], -v[26:27], v[0:1], v[32:33]
.LBB26_16:
	s_or_b32 exec_lo, exec_lo, s1
	v_lshl_add_u32 v0, v43, 3, v40
	s_barrier
	buffer_gl0_inv
	v_mov_b32_e32 v34, 1
	ds_write_b64 v0, v[24:25]
	s_waitcnt lgkmcnt(0)
	s_barrier
	buffer_gl0_inv
	ds_read_b64 v[0:1], v40 offset:8
	s_cmp_lt_i32 s2, 3
	s_cbranch_scc1 .LBB26_19
; %bb.17:
	v_add3_u32 v35, v41, 0, 16
	v_mov_b32_e32 v34, 1
	s_mov_b32 s1, 2
.LBB26_18:                              ; =>This Inner Loop Header: Depth=1
	ds_read_b64 v[44:45], v35
	v_add_nc_u32_e32 v35, 8, v35
	s_waitcnt lgkmcnt(0)
	v_cmp_lt_f64_e64 vcc_lo, |v[0:1]|, |v[44:45]|
	v_cndmask_b32_e32 v1, v1, v45, vcc_lo
	v_cndmask_b32_e32 v0, v0, v44, vcc_lo
	v_cndmask_b32_e64 v34, v34, s1, vcc_lo
	s_add_i32 s1, s1, 1
	s_cmp_lg_u32 s2, s1
	s_cbranch_scc1 .LBB26_18
.LBB26_19:
	s_mov_b32 s1, exec_lo
	v_cmpx_ne_u32_e64 v43, v34
	s_xor_b32 s1, exec_lo, s1
	s_cbranch_execz .LBB26_25
; %bb.20:
	s_mov_b32 s3, exec_lo
	v_cmpx_eq_u32_e32 1, v43
	s_cbranch_execz .LBB26_24
; %bb.21:
	v_cmp_ne_u32_e32 vcc_lo, 1, v34
	s_xor_b32 s7, s6, -1
	s_and_b32 s9, s7, vcc_lo
	s_and_saveexec_b32 s7, s9
	s_cbranch_execz .LBB26_23
; %bb.22:
	v_ashrrev_i32_e32 v35, 31, v34
	v_lshlrev_b64 v[35:36], 2, v[34:35]
	v_add_co_u32 v35, vcc_lo, v30, v35
	v_add_co_ci_u32_e64 v36, null, v31, v36, vcc_lo
	s_clause 0x1
	global_load_dword v37, v[35:36], off
	global_load_dword v42, v[30:31], off offset:4
	s_waitcnt vmcnt(1)
	global_store_dword v[30:31], v37, off offset:4
	s_waitcnt vmcnt(0)
	global_store_dword v[35:36], v42, off
.LBB26_23:
	s_or_b32 exec_lo, exec_lo, s7
	v_mov_b32_e32 v37, v34
	v_mov_b32_e32 v43, v34
.LBB26_24:
	s_or_b32 exec_lo, exec_lo, s3
.LBB26_25:
	s_andn2_saveexec_b32 s1, s1
	s_cbranch_execz .LBB26_27
; %bb.26:
	v_mov_b32_e32 v43, 1
	ds_write2_b64 v40, v[14:15], v[16:17] offset0:2 offset1:3
	ds_write2_b64 v40, v[22:23], v[18:19] offset0:4 offset1:5
	;; [unrolled: 1-line block ×6, first 2 shown]
.LBB26_27:
	s_or_b32 exec_lo, exec_lo, s1
	s_waitcnt lgkmcnt(0)
	v_cmp_neq_f64_e64 s1, 0, v[0:1]
	s_mov_b32 s3, exec_lo
	s_waitcnt_vscnt null, 0x0
	s_barrier
	buffer_gl0_inv
	v_cmpx_lt_i32_e32 1, v43
	s_cbranch_execz .LBB26_29
; %bb.28:
	v_div_scale_f64 v[34:35], null, v[0:1], v[0:1], 1.0
	v_div_scale_f64 v[48:49], vcc_lo, 1.0, v[0:1], 1.0
	v_rcp_f64_e32 v[44:45], v[34:35]
	v_fma_f64 v[46:47], -v[34:35], v[44:45], 1.0
	v_fma_f64 v[44:45], v[44:45], v[46:47], v[44:45]
	v_fma_f64 v[46:47], -v[34:35], v[44:45], 1.0
	v_fma_f64 v[44:45], v[44:45], v[46:47], v[44:45]
	v_mul_f64 v[46:47], v[48:49], v[44:45]
	v_fma_f64 v[34:35], -v[34:35], v[46:47], v[48:49]
	v_div_fmas_f64 v[34:35], v[34:35], v[44:45], v[46:47]
	ds_read2_b64 v[44:47], v40 offset0:2 offset1:3
	ds_read2_b64 v[48:51], v40 offset0:4 offset1:5
	;; [unrolled: 1-line block ×6, first 2 shown]
	v_div_fixup_f64 v[34:35], v[34:35], v[0:1], 1.0
	v_cndmask_b32_e64 v1, v1, v35, s1
	v_cndmask_b32_e64 v0, v0, v34, s1
	v_mul_f64 v[24:25], v[24:25], v[0:1]
	s_waitcnt lgkmcnt(5)
	v_fma_f64 v[14:15], -v[24:25], v[44:45], v[14:15]
	v_fma_f64 v[16:17], -v[24:25], v[46:47], v[16:17]
	s_waitcnt lgkmcnt(4)
	v_fma_f64 v[22:23], -v[24:25], v[48:49], v[22:23]
	v_fma_f64 v[18:19], -v[24:25], v[50:51], v[18:19]
	;; [unrolled: 3-line block ×6, first 2 shown]
.LBB26_29:
	s_or_b32 exec_lo, exec_lo, s3
	v_lshl_add_u32 v0, v43, 3, v40
	s_barrier
	buffer_gl0_inv
	v_mov_b32_e32 v34, 2
	ds_write_b64 v0, v[14:15]
	s_waitcnt lgkmcnt(0)
	s_barrier
	buffer_gl0_inv
	ds_read_b64 v[0:1], v40 offset:16
	s_cmp_lt_i32 s2, 4
	s_mov_b32 s3, 3
	s_cbranch_scc1 .LBB26_32
; %bb.30:
	v_add3_u32 v35, v41, 0, 24
	v_mov_b32_e32 v34, 2
.LBB26_31:                              ; =>This Inner Loop Header: Depth=1
	ds_read_b64 v[44:45], v35
	v_add_nc_u32_e32 v35, 8, v35
	s_waitcnt lgkmcnt(0)
	v_cmp_lt_f64_e64 vcc_lo, |v[0:1]|, |v[44:45]|
	v_cndmask_b32_e32 v1, v1, v45, vcc_lo
	v_cndmask_b32_e32 v0, v0, v44, vcc_lo
	v_cndmask_b32_e64 v34, v34, s3, vcc_lo
	s_add_i32 s3, s3, 1
	s_cmp_lg_u32 s2, s3
	s_cbranch_scc1 .LBB26_31
.LBB26_32:
	v_cndmask_b32_e64 v35, 2, 1, s0
	v_cndmask_b32_e64 v36, 0, 1, s0
	s_mov_b32 s0, exec_lo
	v_cndmask_b32_e64 v42, v35, v36, s1
	s_waitcnt lgkmcnt(0)
	v_cmpx_eq_f64_e32 0, v[0:1]
	s_xor_b32 s0, exec_lo, s0
; %bb.33:
	v_cmp_ne_u32_e32 vcc_lo, 0, v42
	v_cndmask_b32_e32 v42, 3, v42, vcc_lo
; %bb.34:
	s_andn2_saveexec_b32 s0, s0
	s_cbranch_execz .LBB26_36
; %bb.35:
	v_div_scale_f64 v[35:36], null, v[0:1], v[0:1], 1.0
	v_rcp_f64_e32 v[44:45], v[35:36]
	v_fma_f64 v[46:47], -v[35:36], v[44:45], 1.0
	v_fma_f64 v[44:45], v[44:45], v[46:47], v[44:45]
	v_fma_f64 v[46:47], -v[35:36], v[44:45], 1.0
	v_fma_f64 v[44:45], v[44:45], v[46:47], v[44:45]
	v_div_scale_f64 v[46:47], vcc_lo, 1.0, v[0:1], 1.0
	v_mul_f64 v[48:49], v[46:47], v[44:45]
	v_fma_f64 v[35:36], -v[35:36], v[48:49], v[46:47]
	v_div_fmas_f64 v[35:36], v[35:36], v[44:45], v[48:49]
	v_div_fixup_f64 v[0:1], v[35:36], v[0:1], 1.0
.LBB26_36:
	s_or_b32 exec_lo, exec_lo, s0
	s_mov_b32 s0, exec_lo
	v_cmpx_ne_u32_e64 v43, v34
	s_xor_b32 s0, exec_lo, s0
	s_cbranch_execz .LBB26_42
; %bb.37:
	s_mov_b32 s1, exec_lo
	v_cmpx_eq_u32_e32 2, v43
	s_cbranch_execz .LBB26_41
; %bb.38:
	v_cmp_ne_u32_e32 vcc_lo, 2, v34
	s_xor_b32 s3, s6, -1
	s_and_b32 s7, s3, vcc_lo
	s_and_saveexec_b32 s3, s7
	s_cbranch_execz .LBB26_40
; %bb.39:
	v_ashrrev_i32_e32 v35, 31, v34
	v_lshlrev_b64 v[35:36], 2, v[34:35]
	v_add_co_u32 v35, vcc_lo, v30, v35
	v_add_co_ci_u32_e64 v36, null, v31, v36, vcc_lo
	s_clause 0x1
	global_load_dword v37, v[35:36], off
	global_load_dword v43, v[30:31], off offset:8
	s_waitcnt vmcnt(1)
	global_store_dword v[30:31], v37, off offset:8
	s_waitcnt vmcnt(0)
	global_store_dword v[35:36], v43, off
.LBB26_40:
	s_or_b32 exec_lo, exec_lo, s3
	v_mov_b32_e32 v37, v34
	v_mov_b32_e32 v43, v34
.LBB26_41:
	s_or_b32 exec_lo, exec_lo, s1
.LBB26_42:
	s_andn2_saveexec_b32 s0, s0
	s_cbranch_execz .LBB26_44
; %bb.43:
	v_mov_b32_e32 v43, 2
	ds_write2_b64 v40, v[16:17], v[22:23] offset0:3 offset1:4
	ds_write2_b64 v40, v[18:19], v[20:21] offset0:5 offset1:6
	;; [unrolled: 1-line block ×5, first 2 shown]
	ds_write_b64 v40, v[32:33] offset:104
.LBB26_44:
	s_or_b32 exec_lo, exec_lo, s0
	s_mov_b32 s0, exec_lo
	s_waitcnt lgkmcnt(0)
	s_waitcnt_vscnt null, 0x0
	s_barrier
	buffer_gl0_inv
	v_cmpx_lt_i32_e32 2, v43
	s_cbranch_execz .LBB26_46
; %bb.45:
	v_mul_f64 v[14:15], v[14:15], v[0:1]
	ds_read2_b64 v[44:47], v40 offset0:3 offset1:4
	ds_read2_b64 v[48:51], v40 offset0:5 offset1:6
	;; [unrolled: 1-line block ×5, first 2 shown]
	ds_read_b64 v[0:1], v40 offset:104
	s_waitcnt lgkmcnt(5)
	v_fma_f64 v[16:17], -v[14:15], v[44:45], v[16:17]
	v_fma_f64 v[22:23], -v[14:15], v[46:47], v[22:23]
	s_waitcnt lgkmcnt(4)
	v_fma_f64 v[18:19], -v[14:15], v[48:49], v[18:19]
	v_fma_f64 v[20:21], -v[14:15], v[50:51], v[20:21]
	;; [unrolled: 3-line block ×5, first 2 shown]
	s_waitcnt lgkmcnt(0)
	v_fma_f64 v[32:33], -v[14:15], v[0:1], v[32:33]
.LBB26_46:
	s_or_b32 exec_lo, exec_lo, s0
	v_lshl_add_u32 v0, v43, 3, v40
	s_barrier
	buffer_gl0_inv
	v_mov_b32_e32 v34, 3
	ds_write_b64 v0, v[16:17]
	s_waitcnt lgkmcnt(0)
	s_barrier
	buffer_gl0_inv
	ds_read_b64 v[0:1], v40 offset:24
	s_cmp_lt_i32 s2, 5
	s_cbranch_scc1 .LBB26_49
; %bb.47:
	v_mov_b32_e32 v34, 3
	v_add3_u32 v35, v41, 0, 32
	s_mov_b32 s0, 4
.LBB26_48:                              ; =>This Inner Loop Header: Depth=1
	ds_read_b64 v[44:45], v35
	v_add_nc_u32_e32 v35, 8, v35
	s_waitcnt lgkmcnt(0)
	v_cmp_lt_f64_e64 vcc_lo, |v[0:1]|, |v[44:45]|
	v_cndmask_b32_e32 v1, v1, v45, vcc_lo
	v_cndmask_b32_e32 v0, v0, v44, vcc_lo
	v_cndmask_b32_e64 v34, v34, s0, vcc_lo
	s_add_i32 s0, s0, 1
	s_cmp_lg_u32 s2, s0
	s_cbranch_scc1 .LBB26_48
.LBB26_49:
	s_mov_b32 s0, exec_lo
	s_waitcnt lgkmcnt(0)
	v_cmpx_eq_f64_e32 0, v[0:1]
	s_xor_b32 s0, exec_lo, s0
; %bb.50:
	v_cmp_ne_u32_e32 vcc_lo, 0, v42
	v_cndmask_b32_e32 v42, 4, v42, vcc_lo
; %bb.51:
	s_andn2_saveexec_b32 s0, s0
	s_cbranch_execz .LBB26_53
; %bb.52:
	v_div_scale_f64 v[35:36], null, v[0:1], v[0:1], 1.0
	v_rcp_f64_e32 v[44:45], v[35:36]
	v_fma_f64 v[46:47], -v[35:36], v[44:45], 1.0
	v_fma_f64 v[44:45], v[44:45], v[46:47], v[44:45]
	v_fma_f64 v[46:47], -v[35:36], v[44:45], 1.0
	v_fma_f64 v[44:45], v[44:45], v[46:47], v[44:45]
	v_div_scale_f64 v[46:47], vcc_lo, 1.0, v[0:1], 1.0
	v_mul_f64 v[48:49], v[46:47], v[44:45]
	v_fma_f64 v[35:36], -v[35:36], v[48:49], v[46:47]
	v_div_fmas_f64 v[35:36], v[35:36], v[44:45], v[48:49]
	v_div_fixup_f64 v[0:1], v[35:36], v[0:1], 1.0
.LBB26_53:
	s_or_b32 exec_lo, exec_lo, s0
	s_mov_b32 s0, exec_lo
	v_cmpx_ne_u32_e64 v43, v34
	s_xor_b32 s0, exec_lo, s0
	s_cbranch_execz .LBB26_59
; %bb.54:
	s_mov_b32 s1, exec_lo
	v_cmpx_eq_u32_e32 3, v43
	s_cbranch_execz .LBB26_58
; %bb.55:
	v_cmp_ne_u32_e32 vcc_lo, 3, v34
	s_xor_b32 s3, s6, -1
	s_and_b32 s7, s3, vcc_lo
	s_and_saveexec_b32 s3, s7
	s_cbranch_execz .LBB26_57
; %bb.56:
	v_ashrrev_i32_e32 v35, 31, v34
	v_lshlrev_b64 v[35:36], 2, v[34:35]
	v_add_co_u32 v35, vcc_lo, v30, v35
	v_add_co_ci_u32_e64 v36, null, v31, v36, vcc_lo
	s_clause 0x1
	global_load_dword v37, v[35:36], off
	global_load_dword v43, v[30:31], off offset:12
	s_waitcnt vmcnt(1)
	global_store_dword v[30:31], v37, off offset:12
	s_waitcnt vmcnt(0)
	global_store_dword v[35:36], v43, off
.LBB26_57:
	s_or_b32 exec_lo, exec_lo, s3
	v_mov_b32_e32 v37, v34
	v_mov_b32_e32 v43, v34
.LBB26_58:
	s_or_b32 exec_lo, exec_lo, s1
.LBB26_59:
	s_andn2_saveexec_b32 s0, s0
	s_cbranch_execz .LBB26_61
; %bb.60:
	v_mov_b32_e32 v43, 3
	ds_write2_b64 v40, v[22:23], v[18:19] offset0:4 offset1:5
	ds_write2_b64 v40, v[20:21], v[2:3] offset0:6 offset1:7
	;; [unrolled: 1-line block ×5, first 2 shown]
.LBB26_61:
	s_or_b32 exec_lo, exec_lo, s0
	s_mov_b32 s0, exec_lo
	s_waitcnt lgkmcnt(0)
	s_waitcnt_vscnt null, 0x0
	s_barrier
	buffer_gl0_inv
	v_cmpx_lt_i32_e32 3, v43
	s_cbranch_execz .LBB26_63
; %bb.62:
	v_mul_f64 v[16:17], v[16:17], v[0:1]
	ds_read2_b64 v[44:47], v40 offset0:4 offset1:5
	ds_read2_b64 v[48:51], v40 offset0:6 offset1:7
	ds_read2_b64 v[52:55], v40 offset0:8 offset1:9
	ds_read2_b64 v[56:59], v40 offset0:10 offset1:11
	ds_read2_b64 v[60:63], v40 offset0:12 offset1:13
	s_waitcnt lgkmcnt(4)
	v_fma_f64 v[22:23], -v[16:17], v[44:45], v[22:23]
	v_fma_f64 v[18:19], -v[16:17], v[46:47], v[18:19]
	s_waitcnt lgkmcnt(3)
	v_fma_f64 v[20:21], -v[16:17], v[48:49], v[20:21]
	v_fma_f64 v[2:3], -v[16:17], v[50:51], v[2:3]
	;; [unrolled: 3-line block ×5, first 2 shown]
.LBB26_63:
	s_or_b32 exec_lo, exec_lo, s0
	v_lshl_add_u32 v0, v43, 3, v40
	s_barrier
	buffer_gl0_inv
	v_mov_b32_e32 v34, 4
	ds_write_b64 v0, v[22:23]
	s_waitcnt lgkmcnt(0)
	s_barrier
	buffer_gl0_inv
	ds_read_b64 v[0:1], v40 offset:32
	s_cmp_lt_i32 s2, 6
	s_cbranch_scc1 .LBB26_66
; %bb.64:
	v_add3_u32 v35, v41, 0, 40
	v_mov_b32_e32 v34, 4
	s_mov_b32 s0, 5
.LBB26_65:                              ; =>This Inner Loop Header: Depth=1
	ds_read_b64 v[44:45], v35
	v_add_nc_u32_e32 v35, 8, v35
	s_waitcnt lgkmcnt(0)
	v_cmp_lt_f64_e64 vcc_lo, |v[0:1]|, |v[44:45]|
	v_cndmask_b32_e32 v1, v1, v45, vcc_lo
	v_cndmask_b32_e32 v0, v0, v44, vcc_lo
	v_cndmask_b32_e64 v34, v34, s0, vcc_lo
	s_add_i32 s0, s0, 1
	s_cmp_lg_u32 s2, s0
	s_cbranch_scc1 .LBB26_65
.LBB26_66:
	s_mov_b32 s0, exec_lo
	s_waitcnt lgkmcnt(0)
	v_cmpx_eq_f64_e32 0, v[0:1]
	s_xor_b32 s0, exec_lo, s0
; %bb.67:
	v_cmp_ne_u32_e32 vcc_lo, 0, v42
	v_cndmask_b32_e32 v42, 5, v42, vcc_lo
; %bb.68:
	s_andn2_saveexec_b32 s0, s0
	s_cbranch_execz .LBB26_70
; %bb.69:
	v_div_scale_f64 v[35:36], null, v[0:1], v[0:1], 1.0
	v_rcp_f64_e32 v[44:45], v[35:36]
	v_fma_f64 v[46:47], -v[35:36], v[44:45], 1.0
	v_fma_f64 v[44:45], v[44:45], v[46:47], v[44:45]
	v_fma_f64 v[46:47], -v[35:36], v[44:45], 1.0
	v_fma_f64 v[44:45], v[44:45], v[46:47], v[44:45]
	v_div_scale_f64 v[46:47], vcc_lo, 1.0, v[0:1], 1.0
	v_mul_f64 v[48:49], v[46:47], v[44:45]
	v_fma_f64 v[35:36], -v[35:36], v[48:49], v[46:47]
	v_div_fmas_f64 v[35:36], v[35:36], v[44:45], v[48:49]
	v_div_fixup_f64 v[0:1], v[35:36], v[0:1], 1.0
.LBB26_70:
	s_or_b32 exec_lo, exec_lo, s0
	s_mov_b32 s0, exec_lo
	v_cmpx_ne_u32_e64 v43, v34
	s_xor_b32 s0, exec_lo, s0
	s_cbranch_execz .LBB26_76
; %bb.71:
	s_mov_b32 s1, exec_lo
	v_cmpx_eq_u32_e32 4, v43
	s_cbranch_execz .LBB26_75
; %bb.72:
	v_cmp_ne_u32_e32 vcc_lo, 4, v34
	s_xor_b32 s3, s6, -1
	s_and_b32 s7, s3, vcc_lo
	s_and_saveexec_b32 s3, s7
	s_cbranch_execz .LBB26_74
; %bb.73:
	v_ashrrev_i32_e32 v35, 31, v34
	v_lshlrev_b64 v[35:36], 2, v[34:35]
	v_add_co_u32 v35, vcc_lo, v30, v35
	v_add_co_ci_u32_e64 v36, null, v31, v36, vcc_lo
	s_clause 0x1
	global_load_dword v37, v[35:36], off
	global_load_dword v43, v[30:31], off offset:16
	s_waitcnt vmcnt(1)
	global_store_dword v[30:31], v37, off offset:16
	s_waitcnt vmcnt(0)
	global_store_dword v[35:36], v43, off
.LBB26_74:
	s_or_b32 exec_lo, exec_lo, s3
	v_mov_b32_e32 v37, v34
	v_mov_b32_e32 v43, v34
.LBB26_75:
	s_or_b32 exec_lo, exec_lo, s1
.LBB26_76:
	s_andn2_saveexec_b32 s0, s0
	s_cbranch_execz .LBB26_78
; %bb.77:
	v_mov_b32_e32 v43, 4
	ds_write2_b64 v40, v[18:19], v[20:21] offset0:5 offset1:6
	ds_write2_b64 v40, v[2:3], v[28:29] offset0:7 offset1:8
	;; [unrolled: 1-line block ×4, first 2 shown]
	ds_write_b64 v40, v[32:33] offset:104
.LBB26_78:
	s_or_b32 exec_lo, exec_lo, s0
	s_mov_b32 s0, exec_lo
	s_waitcnt lgkmcnt(0)
	s_waitcnt_vscnt null, 0x0
	s_barrier
	buffer_gl0_inv
	v_cmpx_lt_i32_e32 4, v43
	s_cbranch_execz .LBB26_80
; %bb.79:
	v_mul_f64 v[22:23], v[22:23], v[0:1]
	ds_read2_b64 v[44:47], v40 offset0:5 offset1:6
	ds_read2_b64 v[48:51], v40 offset0:7 offset1:8
	;; [unrolled: 1-line block ×4, first 2 shown]
	ds_read_b64 v[0:1], v40 offset:104
	s_waitcnt lgkmcnt(4)
	v_fma_f64 v[18:19], -v[22:23], v[44:45], v[18:19]
	v_fma_f64 v[20:21], -v[22:23], v[46:47], v[20:21]
	s_waitcnt lgkmcnt(3)
	v_fma_f64 v[2:3], -v[22:23], v[48:49], v[2:3]
	v_fma_f64 v[28:29], -v[22:23], v[50:51], v[28:29]
	;; [unrolled: 3-line block ×4, first 2 shown]
	s_waitcnt lgkmcnt(0)
	v_fma_f64 v[32:33], -v[22:23], v[0:1], v[32:33]
.LBB26_80:
	s_or_b32 exec_lo, exec_lo, s0
	v_lshl_add_u32 v0, v43, 3, v40
	s_barrier
	buffer_gl0_inv
	v_mov_b32_e32 v34, 5
	ds_write_b64 v0, v[18:19]
	s_waitcnt lgkmcnt(0)
	s_barrier
	buffer_gl0_inv
	ds_read_b64 v[0:1], v40 offset:40
	s_cmp_lt_i32 s2, 7
	s_cbranch_scc1 .LBB26_83
; %bb.81:
	v_add3_u32 v35, v41, 0, 48
	v_mov_b32_e32 v34, 5
	s_mov_b32 s0, 6
.LBB26_82:                              ; =>This Inner Loop Header: Depth=1
	ds_read_b64 v[44:45], v35
	v_add_nc_u32_e32 v35, 8, v35
	s_waitcnt lgkmcnt(0)
	v_cmp_lt_f64_e64 vcc_lo, |v[0:1]|, |v[44:45]|
	v_cndmask_b32_e32 v1, v1, v45, vcc_lo
	v_cndmask_b32_e32 v0, v0, v44, vcc_lo
	v_cndmask_b32_e64 v34, v34, s0, vcc_lo
	s_add_i32 s0, s0, 1
	s_cmp_lg_u32 s2, s0
	s_cbranch_scc1 .LBB26_82
.LBB26_83:
	s_mov_b32 s0, exec_lo
	s_waitcnt lgkmcnt(0)
	v_cmpx_eq_f64_e32 0, v[0:1]
	s_xor_b32 s0, exec_lo, s0
; %bb.84:
	v_cmp_ne_u32_e32 vcc_lo, 0, v42
	v_cndmask_b32_e32 v42, 6, v42, vcc_lo
; %bb.85:
	s_andn2_saveexec_b32 s0, s0
	s_cbranch_execz .LBB26_87
; %bb.86:
	v_div_scale_f64 v[35:36], null, v[0:1], v[0:1], 1.0
	v_rcp_f64_e32 v[44:45], v[35:36]
	v_fma_f64 v[46:47], -v[35:36], v[44:45], 1.0
	v_fma_f64 v[44:45], v[44:45], v[46:47], v[44:45]
	v_fma_f64 v[46:47], -v[35:36], v[44:45], 1.0
	v_fma_f64 v[44:45], v[44:45], v[46:47], v[44:45]
	v_div_scale_f64 v[46:47], vcc_lo, 1.0, v[0:1], 1.0
	v_mul_f64 v[48:49], v[46:47], v[44:45]
	v_fma_f64 v[35:36], -v[35:36], v[48:49], v[46:47]
	v_div_fmas_f64 v[35:36], v[35:36], v[44:45], v[48:49]
	v_div_fixup_f64 v[0:1], v[35:36], v[0:1], 1.0
.LBB26_87:
	s_or_b32 exec_lo, exec_lo, s0
	s_mov_b32 s0, exec_lo
	v_cmpx_ne_u32_e64 v43, v34
	s_xor_b32 s0, exec_lo, s0
	s_cbranch_execz .LBB26_93
; %bb.88:
	s_mov_b32 s1, exec_lo
	v_cmpx_eq_u32_e32 5, v43
	s_cbranch_execz .LBB26_92
; %bb.89:
	v_cmp_ne_u32_e32 vcc_lo, 5, v34
	s_xor_b32 s3, s6, -1
	s_and_b32 s7, s3, vcc_lo
	s_and_saveexec_b32 s3, s7
	s_cbranch_execz .LBB26_91
; %bb.90:
	v_ashrrev_i32_e32 v35, 31, v34
	v_lshlrev_b64 v[35:36], 2, v[34:35]
	v_add_co_u32 v35, vcc_lo, v30, v35
	v_add_co_ci_u32_e64 v36, null, v31, v36, vcc_lo
	s_clause 0x1
	global_load_dword v37, v[35:36], off
	global_load_dword v43, v[30:31], off offset:20
	s_waitcnt vmcnt(1)
	global_store_dword v[30:31], v37, off offset:20
	s_waitcnt vmcnt(0)
	global_store_dword v[35:36], v43, off
.LBB26_91:
	s_or_b32 exec_lo, exec_lo, s3
	v_mov_b32_e32 v37, v34
	v_mov_b32_e32 v43, v34
.LBB26_92:
	s_or_b32 exec_lo, exec_lo, s1
.LBB26_93:
	s_andn2_saveexec_b32 s0, s0
	s_cbranch_execz .LBB26_95
; %bb.94:
	v_mov_b32_e32 v43, 5
	ds_write2_b64 v40, v[20:21], v[2:3] offset0:6 offset1:7
	ds_write2_b64 v40, v[28:29], v[6:7] offset0:8 offset1:9
	;; [unrolled: 1-line block ×4, first 2 shown]
.LBB26_95:
	s_or_b32 exec_lo, exec_lo, s0
	s_mov_b32 s0, exec_lo
	s_waitcnt lgkmcnt(0)
	s_waitcnt_vscnt null, 0x0
	s_barrier
	buffer_gl0_inv
	v_cmpx_lt_i32_e32 5, v43
	s_cbranch_execz .LBB26_97
; %bb.96:
	v_mul_f64 v[18:19], v[18:19], v[0:1]
	ds_read2_b64 v[44:47], v40 offset0:6 offset1:7
	ds_read2_b64 v[48:51], v40 offset0:8 offset1:9
	;; [unrolled: 1-line block ×4, first 2 shown]
	s_waitcnt lgkmcnt(3)
	v_fma_f64 v[20:21], -v[18:19], v[44:45], v[20:21]
	v_fma_f64 v[2:3], -v[18:19], v[46:47], v[2:3]
	s_waitcnt lgkmcnt(2)
	v_fma_f64 v[28:29], -v[18:19], v[48:49], v[28:29]
	v_fma_f64 v[6:7], -v[18:19], v[50:51], v[6:7]
	;; [unrolled: 3-line block ×4, first 2 shown]
.LBB26_97:
	s_or_b32 exec_lo, exec_lo, s0
	v_lshl_add_u32 v0, v43, 3, v40
	s_barrier
	buffer_gl0_inv
	v_mov_b32_e32 v34, 6
	ds_write_b64 v0, v[20:21]
	s_waitcnt lgkmcnt(0)
	s_barrier
	buffer_gl0_inv
	ds_read_b64 v[0:1], v40 offset:48
	s_cmp_lt_i32 s2, 8
	s_cbranch_scc1 .LBB26_100
; %bb.98:
	v_add3_u32 v35, v41, 0, 56
	v_mov_b32_e32 v34, 6
	s_mov_b32 s0, 7
.LBB26_99:                              ; =>This Inner Loop Header: Depth=1
	ds_read_b64 v[44:45], v35
	v_add_nc_u32_e32 v35, 8, v35
	s_waitcnt lgkmcnt(0)
	v_cmp_lt_f64_e64 vcc_lo, |v[0:1]|, |v[44:45]|
	v_cndmask_b32_e32 v1, v1, v45, vcc_lo
	v_cndmask_b32_e32 v0, v0, v44, vcc_lo
	v_cndmask_b32_e64 v34, v34, s0, vcc_lo
	s_add_i32 s0, s0, 1
	s_cmp_lg_u32 s2, s0
	s_cbranch_scc1 .LBB26_99
.LBB26_100:
	s_mov_b32 s0, exec_lo
	s_waitcnt lgkmcnt(0)
	v_cmpx_eq_f64_e32 0, v[0:1]
	s_xor_b32 s0, exec_lo, s0
; %bb.101:
	v_cmp_ne_u32_e32 vcc_lo, 0, v42
	v_cndmask_b32_e32 v42, 7, v42, vcc_lo
; %bb.102:
	s_andn2_saveexec_b32 s0, s0
	s_cbranch_execz .LBB26_104
; %bb.103:
	v_div_scale_f64 v[35:36], null, v[0:1], v[0:1], 1.0
	v_rcp_f64_e32 v[44:45], v[35:36]
	v_fma_f64 v[46:47], -v[35:36], v[44:45], 1.0
	v_fma_f64 v[44:45], v[44:45], v[46:47], v[44:45]
	v_fma_f64 v[46:47], -v[35:36], v[44:45], 1.0
	v_fma_f64 v[44:45], v[44:45], v[46:47], v[44:45]
	v_div_scale_f64 v[46:47], vcc_lo, 1.0, v[0:1], 1.0
	v_mul_f64 v[48:49], v[46:47], v[44:45]
	v_fma_f64 v[35:36], -v[35:36], v[48:49], v[46:47]
	v_div_fmas_f64 v[35:36], v[35:36], v[44:45], v[48:49]
	v_div_fixup_f64 v[0:1], v[35:36], v[0:1], 1.0
.LBB26_104:
	s_or_b32 exec_lo, exec_lo, s0
	s_mov_b32 s0, exec_lo
	v_cmpx_ne_u32_e64 v43, v34
	s_xor_b32 s0, exec_lo, s0
	s_cbranch_execz .LBB26_110
; %bb.105:
	s_mov_b32 s1, exec_lo
	v_cmpx_eq_u32_e32 6, v43
	s_cbranch_execz .LBB26_109
; %bb.106:
	v_cmp_ne_u32_e32 vcc_lo, 6, v34
	s_xor_b32 s3, s6, -1
	s_and_b32 s7, s3, vcc_lo
	s_and_saveexec_b32 s3, s7
	s_cbranch_execz .LBB26_108
; %bb.107:
	v_ashrrev_i32_e32 v35, 31, v34
	v_lshlrev_b64 v[35:36], 2, v[34:35]
	v_add_co_u32 v35, vcc_lo, v30, v35
	v_add_co_ci_u32_e64 v36, null, v31, v36, vcc_lo
	s_clause 0x1
	global_load_dword v37, v[35:36], off
	global_load_dword v43, v[30:31], off offset:24
	s_waitcnt vmcnt(1)
	global_store_dword v[30:31], v37, off offset:24
	s_waitcnt vmcnt(0)
	global_store_dword v[35:36], v43, off
.LBB26_108:
	s_or_b32 exec_lo, exec_lo, s3
	v_mov_b32_e32 v37, v34
	v_mov_b32_e32 v43, v34
.LBB26_109:
	s_or_b32 exec_lo, exec_lo, s1
.LBB26_110:
	s_andn2_saveexec_b32 s0, s0
	s_cbranch_execz .LBB26_112
; %bb.111:
	v_mov_b32_e32 v43, 6
	ds_write2_b64 v40, v[2:3], v[28:29] offset0:7 offset1:8
	ds_write2_b64 v40, v[6:7], v[8:9] offset0:9 offset1:10
	;; [unrolled: 1-line block ×3, first 2 shown]
	ds_write_b64 v40, v[32:33] offset:104
.LBB26_112:
	s_or_b32 exec_lo, exec_lo, s0
	s_mov_b32 s0, exec_lo
	s_waitcnt lgkmcnt(0)
	s_waitcnt_vscnt null, 0x0
	s_barrier
	buffer_gl0_inv
	v_cmpx_lt_i32_e32 6, v43
	s_cbranch_execz .LBB26_114
; %bb.113:
	v_mul_f64 v[20:21], v[20:21], v[0:1]
	ds_read2_b64 v[44:47], v40 offset0:7 offset1:8
	ds_read2_b64 v[48:51], v40 offset0:9 offset1:10
	;; [unrolled: 1-line block ×3, first 2 shown]
	ds_read_b64 v[0:1], v40 offset:104
	s_waitcnt lgkmcnt(3)
	v_fma_f64 v[2:3], -v[20:21], v[44:45], v[2:3]
	v_fma_f64 v[28:29], -v[20:21], v[46:47], v[28:29]
	s_waitcnt lgkmcnt(2)
	v_fma_f64 v[6:7], -v[20:21], v[48:49], v[6:7]
	v_fma_f64 v[8:9], -v[20:21], v[50:51], v[8:9]
	;; [unrolled: 3-line block ×3, first 2 shown]
	s_waitcnt lgkmcnt(0)
	v_fma_f64 v[32:33], -v[20:21], v[0:1], v[32:33]
.LBB26_114:
	s_or_b32 exec_lo, exec_lo, s0
	v_lshl_add_u32 v0, v43, 3, v40
	s_barrier
	buffer_gl0_inv
	v_mov_b32_e32 v34, 7
	ds_write_b64 v0, v[2:3]
	s_waitcnt lgkmcnt(0)
	s_barrier
	buffer_gl0_inv
	ds_read_b64 v[0:1], v40 offset:56
	s_cmp_lt_i32 s2, 9
	s_cbranch_scc1 .LBB26_117
; %bb.115:
	v_add3_u32 v35, v41, 0, 64
	v_mov_b32_e32 v34, 7
	s_mov_b32 s0, 8
.LBB26_116:                             ; =>This Inner Loop Header: Depth=1
	ds_read_b64 v[44:45], v35
	v_add_nc_u32_e32 v35, 8, v35
	s_waitcnt lgkmcnt(0)
	v_cmp_lt_f64_e64 vcc_lo, |v[0:1]|, |v[44:45]|
	v_cndmask_b32_e32 v1, v1, v45, vcc_lo
	v_cndmask_b32_e32 v0, v0, v44, vcc_lo
	v_cndmask_b32_e64 v34, v34, s0, vcc_lo
	s_add_i32 s0, s0, 1
	s_cmp_lg_u32 s2, s0
	s_cbranch_scc1 .LBB26_116
.LBB26_117:
	s_mov_b32 s0, exec_lo
	s_waitcnt lgkmcnt(0)
	v_cmpx_eq_f64_e32 0, v[0:1]
	s_xor_b32 s0, exec_lo, s0
; %bb.118:
	v_cmp_ne_u32_e32 vcc_lo, 0, v42
	v_cndmask_b32_e32 v42, 8, v42, vcc_lo
; %bb.119:
	s_andn2_saveexec_b32 s0, s0
	s_cbranch_execz .LBB26_121
; %bb.120:
	v_div_scale_f64 v[35:36], null, v[0:1], v[0:1], 1.0
	v_rcp_f64_e32 v[44:45], v[35:36]
	v_fma_f64 v[46:47], -v[35:36], v[44:45], 1.0
	v_fma_f64 v[44:45], v[44:45], v[46:47], v[44:45]
	v_fma_f64 v[46:47], -v[35:36], v[44:45], 1.0
	v_fma_f64 v[44:45], v[44:45], v[46:47], v[44:45]
	v_div_scale_f64 v[46:47], vcc_lo, 1.0, v[0:1], 1.0
	v_mul_f64 v[48:49], v[46:47], v[44:45]
	v_fma_f64 v[35:36], -v[35:36], v[48:49], v[46:47]
	v_div_fmas_f64 v[35:36], v[35:36], v[44:45], v[48:49]
	v_div_fixup_f64 v[0:1], v[35:36], v[0:1], 1.0
.LBB26_121:
	s_or_b32 exec_lo, exec_lo, s0
	s_mov_b32 s0, exec_lo
	v_cmpx_ne_u32_e64 v43, v34
	s_xor_b32 s0, exec_lo, s0
	s_cbranch_execz .LBB26_127
; %bb.122:
	s_mov_b32 s1, exec_lo
	v_cmpx_eq_u32_e32 7, v43
	s_cbranch_execz .LBB26_126
; %bb.123:
	v_cmp_ne_u32_e32 vcc_lo, 7, v34
	s_xor_b32 s3, s6, -1
	s_and_b32 s7, s3, vcc_lo
	s_and_saveexec_b32 s3, s7
	s_cbranch_execz .LBB26_125
; %bb.124:
	v_ashrrev_i32_e32 v35, 31, v34
	v_lshlrev_b64 v[35:36], 2, v[34:35]
	v_add_co_u32 v35, vcc_lo, v30, v35
	v_add_co_ci_u32_e64 v36, null, v31, v36, vcc_lo
	s_clause 0x1
	global_load_dword v37, v[35:36], off
	global_load_dword v43, v[30:31], off offset:28
	s_waitcnt vmcnt(1)
	global_store_dword v[30:31], v37, off offset:28
	s_waitcnt vmcnt(0)
	global_store_dword v[35:36], v43, off
.LBB26_125:
	s_or_b32 exec_lo, exec_lo, s3
	v_mov_b32_e32 v37, v34
	v_mov_b32_e32 v43, v34
.LBB26_126:
	s_or_b32 exec_lo, exec_lo, s1
.LBB26_127:
	s_andn2_saveexec_b32 s0, s0
	s_cbranch_execz .LBB26_129
; %bb.128:
	v_mov_b32_e32 v43, 7
	ds_write2_b64 v40, v[28:29], v[6:7] offset0:8 offset1:9
	ds_write2_b64 v40, v[8:9], v[10:11] offset0:10 offset1:11
	;; [unrolled: 1-line block ×3, first 2 shown]
.LBB26_129:
	s_or_b32 exec_lo, exec_lo, s0
	s_mov_b32 s0, exec_lo
	s_waitcnt lgkmcnt(0)
	s_waitcnt_vscnt null, 0x0
	s_barrier
	buffer_gl0_inv
	v_cmpx_lt_i32_e32 7, v43
	s_cbranch_execz .LBB26_131
; %bb.130:
	v_mul_f64 v[2:3], v[2:3], v[0:1]
	ds_read2_b64 v[44:47], v40 offset0:8 offset1:9
	ds_read2_b64 v[48:51], v40 offset0:10 offset1:11
	;; [unrolled: 1-line block ×3, first 2 shown]
	s_waitcnt lgkmcnt(2)
	v_fma_f64 v[28:29], -v[2:3], v[44:45], v[28:29]
	v_fma_f64 v[6:7], -v[2:3], v[46:47], v[6:7]
	s_waitcnt lgkmcnt(1)
	v_fma_f64 v[8:9], -v[2:3], v[48:49], v[8:9]
	v_fma_f64 v[10:11], -v[2:3], v[50:51], v[10:11]
	;; [unrolled: 3-line block ×3, first 2 shown]
.LBB26_131:
	s_or_b32 exec_lo, exec_lo, s0
	v_lshl_add_u32 v0, v43, 3, v40
	s_barrier
	buffer_gl0_inv
	v_mov_b32_e32 v34, 8
	ds_write_b64 v0, v[28:29]
	s_waitcnt lgkmcnt(0)
	s_barrier
	buffer_gl0_inv
	ds_read_b64 v[0:1], v40 offset:64
	s_cmp_lt_i32 s2, 10
	s_cbranch_scc1 .LBB26_134
; %bb.132:
	v_add3_u32 v35, v41, 0, 0x48
	v_mov_b32_e32 v34, 8
	s_mov_b32 s0, 9
.LBB26_133:                             ; =>This Inner Loop Header: Depth=1
	ds_read_b64 v[44:45], v35
	v_add_nc_u32_e32 v35, 8, v35
	s_waitcnt lgkmcnt(0)
	v_cmp_lt_f64_e64 vcc_lo, |v[0:1]|, |v[44:45]|
	v_cndmask_b32_e32 v1, v1, v45, vcc_lo
	v_cndmask_b32_e32 v0, v0, v44, vcc_lo
	v_cndmask_b32_e64 v34, v34, s0, vcc_lo
	s_add_i32 s0, s0, 1
	s_cmp_lg_u32 s2, s0
	s_cbranch_scc1 .LBB26_133
.LBB26_134:
	s_mov_b32 s0, exec_lo
	s_waitcnt lgkmcnt(0)
	v_cmpx_eq_f64_e32 0, v[0:1]
	s_xor_b32 s0, exec_lo, s0
; %bb.135:
	v_cmp_ne_u32_e32 vcc_lo, 0, v42
	v_cndmask_b32_e32 v42, 9, v42, vcc_lo
; %bb.136:
	s_andn2_saveexec_b32 s0, s0
	s_cbranch_execz .LBB26_138
; %bb.137:
	v_div_scale_f64 v[35:36], null, v[0:1], v[0:1], 1.0
	v_rcp_f64_e32 v[44:45], v[35:36]
	v_fma_f64 v[46:47], -v[35:36], v[44:45], 1.0
	v_fma_f64 v[44:45], v[44:45], v[46:47], v[44:45]
	v_fma_f64 v[46:47], -v[35:36], v[44:45], 1.0
	v_fma_f64 v[44:45], v[44:45], v[46:47], v[44:45]
	v_div_scale_f64 v[46:47], vcc_lo, 1.0, v[0:1], 1.0
	v_mul_f64 v[48:49], v[46:47], v[44:45]
	v_fma_f64 v[35:36], -v[35:36], v[48:49], v[46:47]
	v_div_fmas_f64 v[35:36], v[35:36], v[44:45], v[48:49]
	v_div_fixup_f64 v[0:1], v[35:36], v[0:1], 1.0
.LBB26_138:
	s_or_b32 exec_lo, exec_lo, s0
	s_mov_b32 s0, exec_lo
	v_cmpx_ne_u32_e64 v43, v34
	s_xor_b32 s0, exec_lo, s0
	s_cbranch_execz .LBB26_144
; %bb.139:
	s_mov_b32 s1, exec_lo
	v_cmpx_eq_u32_e32 8, v43
	s_cbranch_execz .LBB26_143
; %bb.140:
	v_cmp_ne_u32_e32 vcc_lo, 8, v34
	s_xor_b32 s3, s6, -1
	s_and_b32 s7, s3, vcc_lo
	s_and_saveexec_b32 s3, s7
	s_cbranch_execz .LBB26_142
; %bb.141:
	v_ashrrev_i32_e32 v35, 31, v34
	v_lshlrev_b64 v[35:36], 2, v[34:35]
	v_add_co_u32 v35, vcc_lo, v30, v35
	v_add_co_ci_u32_e64 v36, null, v31, v36, vcc_lo
	s_clause 0x1
	global_load_dword v37, v[35:36], off
	global_load_dword v43, v[30:31], off offset:32
	s_waitcnt vmcnt(1)
	global_store_dword v[30:31], v37, off offset:32
	s_waitcnt vmcnt(0)
	global_store_dword v[35:36], v43, off
.LBB26_142:
	s_or_b32 exec_lo, exec_lo, s3
	v_mov_b32_e32 v37, v34
	v_mov_b32_e32 v43, v34
.LBB26_143:
	s_or_b32 exec_lo, exec_lo, s1
.LBB26_144:
	s_andn2_saveexec_b32 s0, s0
	s_cbranch_execz .LBB26_146
; %bb.145:
	v_mov_b32_e32 v43, 8
	ds_write2_b64 v40, v[6:7], v[8:9] offset0:9 offset1:10
	ds_write2_b64 v40, v[10:11], v[12:13] offset0:11 offset1:12
	ds_write_b64 v40, v[32:33] offset:104
.LBB26_146:
	s_or_b32 exec_lo, exec_lo, s0
	s_mov_b32 s0, exec_lo
	s_waitcnt lgkmcnt(0)
	s_waitcnt_vscnt null, 0x0
	s_barrier
	buffer_gl0_inv
	v_cmpx_lt_i32_e32 8, v43
	s_cbranch_execz .LBB26_148
; %bb.147:
	v_mul_f64 v[28:29], v[28:29], v[0:1]
	ds_read2_b64 v[44:47], v40 offset0:9 offset1:10
	ds_read2_b64 v[48:51], v40 offset0:11 offset1:12
	ds_read_b64 v[0:1], v40 offset:104
	s_waitcnt lgkmcnt(2)
	v_fma_f64 v[6:7], -v[28:29], v[44:45], v[6:7]
	v_fma_f64 v[8:9], -v[28:29], v[46:47], v[8:9]
	s_waitcnt lgkmcnt(1)
	v_fma_f64 v[10:11], -v[28:29], v[48:49], v[10:11]
	v_fma_f64 v[12:13], -v[28:29], v[50:51], v[12:13]
	s_waitcnt lgkmcnt(0)
	v_fma_f64 v[32:33], -v[28:29], v[0:1], v[32:33]
.LBB26_148:
	s_or_b32 exec_lo, exec_lo, s0
	v_lshl_add_u32 v0, v43, 3, v40
	s_barrier
	buffer_gl0_inv
	v_mov_b32_e32 v34, 9
	ds_write_b64 v0, v[6:7]
	s_waitcnt lgkmcnt(0)
	s_barrier
	buffer_gl0_inv
	ds_read_b64 v[0:1], v40 offset:72
	s_cmp_lt_i32 s2, 11
	s_cbranch_scc1 .LBB26_151
; %bb.149:
	v_add3_u32 v35, v41, 0, 0x50
	v_mov_b32_e32 v34, 9
	s_mov_b32 s0, 10
.LBB26_150:                             ; =>This Inner Loop Header: Depth=1
	ds_read_b64 v[44:45], v35
	v_add_nc_u32_e32 v35, 8, v35
	s_waitcnt lgkmcnt(0)
	v_cmp_lt_f64_e64 vcc_lo, |v[0:1]|, |v[44:45]|
	v_cndmask_b32_e32 v1, v1, v45, vcc_lo
	v_cndmask_b32_e32 v0, v0, v44, vcc_lo
	v_cndmask_b32_e64 v34, v34, s0, vcc_lo
	s_add_i32 s0, s0, 1
	s_cmp_lg_u32 s2, s0
	s_cbranch_scc1 .LBB26_150
.LBB26_151:
	s_mov_b32 s0, exec_lo
	s_waitcnt lgkmcnt(0)
	v_cmpx_eq_f64_e32 0, v[0:1]
	s_xor_b32 s0, exec_lo, s0
; %bb.152:
	v_cmp_ne_u32_e32 vcc_lo, 0, v42
	v_cndmask_b32_e32 v42, 10, v42, vcc_lo
; %bb.153:
	s_andn2_saveexec_b32 s0, s0
	s_cbranch_execz .LBB26_155
; %bb.154:
	v_div_scale_f64 v[35:36], null, v[0:1], v[0:1], 1.0
	v_rcp_f64_e32 v[44:45], v[35:36]
	v_fma_f64 v[46:47], -v[35:36], v[44:45], 1.0
	v_fma_f64 v[44:45], v[44:45], v[46:47], v[44:45]
	v_fma_f64 v[46:47], -v[35:36], v[44:45], 1.0
	v_fma_f64 v[44:45], v[44:45], v[46:47], v[44:45]
	v_div_scale_f64 v[46:47], vcc_lo, 1.0, v[0:1], 1.0
	v_mul_f64 v[48:49], v[46:47], v[44:45]
	v_fma_f64 v[35:36], -v[35:36], v[48:49], v[46:47]
	v_div_fmas_f64 v[35:36], v[35:36], v[44:45], v[48:49]
	v_div_fixup_f64 v[0:1], v[35:36], v[0:1], 1.0
.LBB26_155:
	s_or_b32 exec_lo, exec_lo, s0
	s_mov_b32 s0, exec_lo
	v_cmpx_ne_u32_e64 v43, v34
	s_xor_b32 s0, exec_lo, s0
	s_cbranch_execz .LBB26_161
; %bb.156:
	s_mov_b32 s1, exec_lo
	v_cmpx_eq_u32_e32 9, v43
	s_cbranch_execz .LBB26_160
; %bb.157:
	v_cmp_ne_u32_e32 vcc_lo, 9, v34
	s_xor_b32 s3, s6, -1
	s_and_b32 s7, s3, vcc_lo
	s_and_saveexec_b32 s3, s7
	s_cbranch_execz .LBB26_159
; %bb.158:
	v_ashrrev_i32_e32 v35, 31, v34
	v_lshlrev_b64 v[35:36], 2, v[34:35]
	v_add_co_u32 v35, vcc_lo, v30, v35
	v_add_co_ci_u32_e64 v36, null, v31, v36, vcc_lo
	s_clause 0x1
	global_load_dword v37, v[35:36], off
	global_load_dword v43, v[30:31], off offset:36
	s_waitcnt vmcnt(1)
	global_store_dword v[30:31], v37, off offset:36
	s_waitcnt vmcnt(0)
	global_store_dword v[35:36], v43, off
.LBB26_159:
	s_or_b32 exec_lo, exec_lo, s3
	v_mov_b32_e32 v37, v34
	v_mov_b32_e32 v43, v34
.LBB26_160:
	s_or_b32 exec_lo, exec_lo, s1
.LBB26_161:
	s_andn2_saveexec_b32 s0, s0
	s_cbranch_execz .LBB26_163
; %bb.162:
	v_mov_b32_e32 v43, 9
	ds_write2_b64 v40, v[8:9], v[10:11] offset0:10 offset1:11
	ds_write2_b64 v40, v[12:13], v[32:33] offset0:12 offset1:13
.LBB26_163:
	s_or_b32 exec_lo, exec_lo, s0
	s_mov_b32 s0, exec_lo
	s_waitcnt lgkmcnt(0)
	s_waitcnt_vscnt null, 0x0
	s_barrier
	buffer_gl0_inv
	v_cmpx_lt_i32_e32 9, v43
	s_cbranch_execz .LBB26_165
; %bb.164:
	v_mul_f64 v[6:7], v[6:7], v[0:1]
	ds_read2_b64 v[44:47], v40 offset0:10 offset1:11
	ds_read2_b64 v[48:51], v40 offset0:12 offset1:13
	s_waitcnt lgkmcnt(1)
	v_fma_f64 v[8:9], -v[6:7], v[44:45], v[8:9]
	v_fma_f64 v[10:11], -v[6:7], v[46:47], v[10:11]
	s_waitcnt lgkmcnt(0)
	v_fma_f64 v[12:13], -v[6:7], v[48:49], v[12:13]
	v_fma_f64 v[32:33], -v[6:7], v[50:51], v[32:33]
.LBB26_165:
	s_or_b32 exec_lo, exec_lo, s0
	v_lshl_add_u32 v0, v43, 3, v40
	s_barrier
	buffer_gl0_inv
	v_mov_b32_e32 v34, 10
	ds_write_b64 v0, v[8:9]
	s_waitcnt lgkmcnt(0)
	s_barrier
	buffer_gl0_inv
	ds_read_b64 v[0:1], v40 offset:80
	s_cmp_lt_i32 s2, 12
	s_cbranch_scc1 .LBB26_168
; %bb.166:
	v_add3_u32 v35, v41, 0, 0x58
	v_mov_b32_e32 v34, 10
	s_mov_b32 s0, 11
.LBB26_167:                             ; =>This Inner Loop Header: Depth=1
	ds_read_b64 v[44:45], v35
	v_add_nc_u32_e32 v35, 8, v35
	s_waitcnt lgkmcnt(0)
	v_cmp_lt_f64_e64 vcc_lo, |v[0:1]|, |v[44:45]|
	v_cndmask_b32_e32 v1, v1, v45, vcc_lo
	v_cndmask_b32_e32 v0, v0, v44, vcc_lo
	v_cndmask_b32_e64 v34, v34, s0, vcc_lo
	s_add_i32 s0, s0, 1
	s_cmp_lg_u32 s2, s0
	s_cbranch_scc1 .LBB26_167
.LBB26_168:
	s_mov_b32 s0, exec_lo
	s_waitcnt lgkmcnt(0)
	v_cmpx_eq_f64_e32 0, v[0:1]
	s_xor_b32 s0, exec_lo, s0
; %bb.169:
	v_cmp_ne_u32_e32 vcc_lo, 0, v42
	v_cndmask_b32_e32 v42, 11, v42, vcc_lo
; %bb.170:
	s_andn2_saveexec_b32 s0, s0
	s_cbranch_execz .LBB26_172
; %bb.171:
	v_div_scale_f64 v[35:36], null, v[0:1], v[0:1], 1.0
	v_rcp_f64_e32 v[44:45], v[35:36]
	v_fma_f64 v[46:47], -v[35:36], v[44:45], 1.0
	v_fma_f64 v[44:45], v[44:45], v[46:47], v[44:45]
	v_fma_f64 v[46:47], -v[35:36], v[44:45], 1.0
	v_fma_f64 v[44:45], v[44:45], v[46:47], v[44:45]
	v_div_scale_f64 v[46:47], vcc_lo, 1.0, v[0:1], 1.0
	v_mul_f64 v[48:49], v[46:47], v[44:45]
	v_fma_f64 v[35:36], -v[35:36], v[48:49], v[46:47]
	v_div_fmas_f64 v[35:36], v[35:36], v[44:45], v[48:49]
	v_div_fixup_f64 v[0:1], v[35:36], v[0:1], 1.0
.LBB26_172:
	s_or_b32 exec_lo, exec_lo, s0
	s_mov_b32 s0, exec_lo
	v_cmpx_ne_u32_e64 v43, v34
	s_xor_b32 s0, exec_lo, s0
	s_cbranch_execz .LBB26_178
; %bb.173:
	s_mov_b32 s1, exec_lo
	v_cmpx_eq_u32_e32 10, v43
	s_cbranch_execz .LBB26_177
; %bb.174:
	v_cmp_ne_u32_e32 vcc_lo, 10, v34
	s_xor_b32 s3, s6, -1
	s_and_b32 s7, s3, vcc_lo
	s_and_saveexec_b32 s3, s7
	s_cbranch_execz .LBB26_176
; %bb.175:
	v_ashrrev_i32_e32 v35, 31, v34
	v_lshlrev_b64 v[35:36], 2, v[34:35]
	v_add_co_u32 v35, vcc_lo, v30, v35
	v_add_co_ci_u32_e64 v36, null, v31, v36, vcc_lo
	s_clause 0x1
	global_load_dword v37, v[35:36], off
	global_load_dword v43, v[30:31], off offset:40
	s_waitcnt vmcnt(1)
	global_store_dword v[30:31], v37, off offset:40
	s_waitcnt vmcnt(0)
	global_store_dword v[35:36], v43, off
.LBB26_176:
	s_or_b32 exec_lo, exec_lo, s3
	v_mov_b32_e32 v37, v34
	v_mov_b32_e32 v43, v34
.LBB26_177:
	s_or_b32 exec_lo, exec_lo, s1
.LBB26_178:
	s_andn2_saveexec_b32 s0, s0
	s_cbranch_execz .LBB26_180
; %bb.179:
	v_mov_b32_e32 v43, 10
	ds_write2_b64 v40, v[10:11], v[12:13] offset0:11 offset1:12
	ds_write_b64 v40, v[32:33] offset:104
.LBB26_180:
	s_or_b32 exec_lo, exec_lo, s0
	s_mov_b32 s0, exec_lo
	s_waitcnt lgkmcnt(0)
	s_waitcnt_vscnt null, 0x0
	s_barrier
	buffer_gl0_inv
	v_cmpx_lt_i32_e32 10, v43
	s_cbranch_execz .LBB26_182
; %bb.181:
	v_mul_f64 v[8:9], v[8:9], v[0:1]
	ds_read2_b64 v[44:47], v40 offset0:11 offset1:12
	ds_read_b64 v[0:1], v40 offset:104
	s_waitcnt lgkmcnt(1)
	v_fma_f64 v[10:11], -v[8:9], v[44:45], v[10:11]
	v_fma_f64 v[12:13], -v[8:9], v[46:47], v[12:13]
	s_waitcnt lgkmcnt(0)
	v_fma_f64 v[32:33], -v[8:9], v[0:1], v[32:33]
.LBB26_182:
	s_or_b32 exec_lo, exec_lo, s0
	v_lshl_add_u32 v0, v43, 3, v40
	s_barrier
	buffer_gl0_inv
	v_mov_b32_e32 v34, 11
	ds_write_b64 v0, v[10:11]
	s_waitcnt lgkmcnt(0)
	s_barrier
	buffer_gl0_inv
	ds_read_b64 v[0:1], v40 offset:88
	s_cmp_lt_i32 s2, 13
	s_cbranch_scc1 .LBB26_185
; %bb.183:
	v_add3_u32 v35, v41, 0, 0x60
	v_mov_b32_e32 v34, 11
	s_mov_b32 s0, 12
.LBB26_184:                             ; =>This Inner Loop Header: Depth=1
	ds_read_b64 v[44:45], v35
	v_add_nc_u32_e32 v35, 8, v35
	s_waitcnt lgkmcnt(0)
	v_cmp_lt_f64_e64 vcc_lo, |v[0:1]|, |v[44:45]|
	v_cndmask_b32_e32 v1, v1, v45, vcc_lo
	v_cndmask_b32_e32 v0, v0, v44, vcc_lo
	v_cndmask_b32_e64 v34, v34, s0, vcc_lo
	s_add_i32 s0, s0, 1
	s_cmp_lg_u32 s2, s0
	s_cbranch_scc1 .LBB26_184
.LBB26_185:
	s_mov_b32 s0, exec_lo
	s_waitcnt lgkmcnt(0)
	v_cmpx_eq_f64_e32 0, v[0:1]
	s_xor_b32 s0, exec_lo, s0
; %bb.186:
	v_cmp_ne_u32_e32 vcc_lo, 0, v42
	v_cndmask_b32_e32 v42, 12, v42, vcc_lo
; %bb.187:
	s_andn2_saveexec_b32 s0, s0
	s_cbranch_execz .LBB26_189
; %bb.188:
	v_div_scale_f64 v[35:36], null, v[0:1], v[0:1], 1.0
	v_rcp_f64_e32 v[44:45], v[35:36]
	v_fma_f64 v[46:47], -v[35:36], v[44:45], 1.0
	v_fma_f64 v[44:45], v[44:45], v[46:47], v[44:45]
	v_fma_f64 v[46:47], -v[35:36], v[44:45], 1.0
	v_fma_f64 v[44:45], v[44:45], v[46:47], v[44:45]
	v_div_scale_f64 v[46:47], vcc_lo, 1.0, v[0:1], 1.0
	v_mul_f64 v[48:49], v[46:47], v[44:45]
	v_fma_f64 v[35:36], -v[35:36], v[48:49], v[46:47]
	v_div_fmas_f64 v[35:36], v[35:36], v[44:45], v[48:49]
	v_div_fixup_f64 v[0:1], v[35:36], v[0:1], 1.0
.LBB26_189:
	s_or_b32 exec_lo, exec_lo, s0
	s_mov_b32 s0, exec_lo
	v_cmpx_ne_u32_e64 v43, v34
	s_xor_b32 s0, exec_lo, s0
	s_cbranch_execz .LBB26_195
; %bb.190:
	s_mov_b32 s1, exec_lo
	v_cmpx_eq_u32_e32 11, v43
	s_cbranch_execz .LBB26_194
; %bb.191:
	v_cmp_ne_u32_e32 vcc_lo, 11, v34
	s_xor_b32 s3, s6, -1
	s_and_b32 s7, s3, vcc_lo
	s_and_saveexec_b32 s3, s7
	s_cbranch_execz .LBB26_193
; %bb.192:
	v_ashrrev_i32_e32 v35, 31, v34
	v_lshlrev_b64 v[35:36], 2, v[34:35]
	v_add_co_u32 v35, vcc_lo, v30, v35
	v_add_co_ci_u32_e64 v36, null, v31, v36, vcc_lo
	s_clause 0x1
	global_load_dword v37, v[35:36], off
	global_load_dword v43, v[30:31], off offset:44
	s_waitcnt vmcnt(1)
	global_store_dword v[30:31], v37, off offset:44
	s_waitcnt vmcnt(0)
	global_store_dword v[35:36], v43, off
.LBB26_193:
	s_or_b32 exec_lo, exec_lo, s3
	v_mov_b32_e32 v37, v34
	v_mov_b32_e32 v43, v34
.LBB26_194:
	s_or_b32 exec_lo, exec_lo, s1
.LBB26_195:
	s_andn2_saveexec_b32 s0, s0
; %bb.196:
	v_mov_b32_e32 v43, 11
	ds_write2_b64 v40, v[12:13], v[32:33] offset0:12 offset1:13
; %bb.197:
	s_or_b32 exec_lo, exec_lo, s0
	s_mov_b32 s0, exec_lo
	s_waitcnt lgkmcnt(0)
	s_waitcnt_vscnt null, 0x0
	s_barrier
	buffer_gl0_inv
	v_cmpx_lt_i32_e32 11, v43
	s_cbranch_execz .LBB26_199
; %bb.198:
	v_mul_f64 v[10:11], v[10:11], v[0:1]
	ds_read2_b64 v[44:47], v40 offset0:12 offset1:13
	s_waitcnt lgkmcnt(0)
	v_fma_f64 v[12:13], -v[10:11], v[44:45], v[12:13]
	v_fma_f64 v[32:33], -v[10:11], v[46:47], v[32:33]
.LBB26_199:
	s_or_b32 exec_lo, exec_lo, s0
	v_lshl_add_u32 v0, v43, 3, v40
	s_barrier
	buffer_gl0_inv
	v_mov_b32_e32 v34, 12
	ds_write_b64 v0, v[12:13]
	s_waitcnt lgkmcnt(0)
	s_barrier
	buffer_gl0_inv
	ds_read_b64 v[0:1], v40 offset:96
	s_cmp_lt_i32 s2, 14
	s_cbranch_scc1 .LBB26_202
; %bb.200:
	v_add3_u32 v35, v41, 0, 0x68
	v_mov_b32_e32 v34, 12
	s_mov_b32 s0, 13
.LBB26_201:                             ; =>This Inner Loop Header: Depth=1
	ds_read_b64 v[44:45], v35
	v_add_nc_u32_e32 v35, 8, v35
	s_waitcnt lgkmcnt(0)
	v_cmp_lt_f64_e64 vcc_lo, |v[0:1]|, |v[44:45]|
	v_cndmask_b32_e32 v1, v1, v45, vcc_lo
	v_cndmask_b32_e32 v0, v0, v44, vcc_lo
	v_cndmask_b32_e64 v34, v34, s0, vcc_lo
	s_add_i32 s0, s0, 1
	s_cmp_lg_u32 s2, s0
	s_cbranch_scc1 .LBB26_201
.LBB26_202:
	s_mov_b32 s0, exec_lo
	s_waitcnt lgkmcnt(0)
	v_cmpx_eq_f64_e32 0, v[0:1]
	s_xor_b32 s0, exec_lo, s0
; %bb.203:
	v_cmp_ne_u32_e32 vcc_lo, 0, v42
	v_cndmask_b32_e32 v42, 13, v42, vcc_lo
; %bb.204:
	s_andn2_saveexec_b32 s0, s0
	s_cbranch_execz .LBB26_206
; %bb.205:
	v_div_scale_f64 v[35:36], null, v[0:1], v[0:1], 1.0
	v_rcp_f64_e32 v[44:45], v[35:36]
	v_fma_f64 v[46:47], -v[35:36], v[44:45], 1.0
	v_fma_f64 v[44:45], v[44:45], v[46:47], v[44:45]
	v_fma_f64 v[46:47], -v[35:36], v[44:45], 1.0
	v_fma_f64 v[44:45], v[44:45], v[46:47], v[44:45]
	v_div_scale_f64 v[46:47], vcc_lo, 1.0, v[0:1], 1.0
	v_mul_f64 v[48:49], v[46:47], v[44:45]
	v_fma_f64 v[35:36], -v[35:36], v[48:49], v[46:47]
	v_div_fmas_f64 v[35:36], v[35:36], v[44:45], v[48:49]
	v_div_fixup_f64 v[0:1], v[35:36], v[0:1], 1.0
.LBB26_206:
	s_or_b32 exec_lo, exec_lo, s0
	s_mov_b32 s0, exec_lo
	v_cmpx_ne_u32_e64 v43, v34
	s_xor_b32 s0, exec_lo, s0
	s_cbranch_execz .LBB26_212
; %bb.207:
	s_mov_b32 s1, exec_lo
	v_cmpx_eq_u32_e32 12, v43
	s_cbranch_execz .LBB26_211
; %bb.208:
	v_cmp_ne_u32_e32 vcc_lo, 12, v34
	s_xor_b32 s3, s6, -1
	s_and_b32 s7, s3, vcc_lo
	s_and_saveexec_b32 s3, s7
	s_cbranch_execz .LBB26_210
; %bb.209:
	v_ashrrev_i32_e32 v35, 31, v34
	v_lshlrev_b64 v[35:36], 2, v[34:35]
	v_add_co_u32 v35, vcc_lo, v30, v35
	v_add_co_ci_u32_e64 v36, null, v31, v36, vcc_lo
	s_clause 0x1
	global_load_dword v37, v[35:36], off
	global_load_dword v43, v[30:31], off offset:48
	s_waitcnt vmcnt(1)
	global_store_dword v[30:31], v37, off offset:48
	s_waitcnt vmcnt(0)
	global_store_dword v[35:36], v43, off
.LBB26_210:
	s_or_b32 exec_lo, exec_lo, s3
	v_mov_b32_e32 v37, v34
	v_mov_b32_e32 v43, v34
.LBB26_211:
	s_or_b32 exec_lo, exec_lo, s1
.LBB26_212:
	s_andn2_saveexec_b32 s0, s0
; %bb.213:
	v_mov_b32_e32 v43, 12
	ds_write_b64 v40, v[32:33] offset:104
; %bb.214:
	s_or_b32 exec_lo, exec_lo, s0
	s_mov_b32 s0, exec_lo
	s_waitcnt lgkmcnt(0)
	s_waitcnt_vscnt null, 0x0
	s_barrier
	buffer_gl0_inv
	v_cmpx_lt_i32_e32 12, v43
	s_cbranch_execz .LBB26_216
; %bb.215:
	v_mul_f64 v[12:13], v[12:13], v[0:1]
	ds_read_b64 v[0:1], v40 offset:104
	s_waitcnt lgkmcnt(0)
	v_fma_f64 v[32:33], -v[12:13], v[0:1], v[32:33]
.LBB26_216:
	s_or_b32 exec_lo, exec_lo, s0
	v_lshl_add_u32 v0, v43, 3, v40
	s_barrier
	buffer_gl0_inv
	v_mov_b32_e32 v34, 13
	ds_write_b64 v0, v[32:33]
	s_waitcnt lgkmcnt(0)
	s_barrier
	buffer_gl0_inv
	ds_read_b64 v[0:1], v40 offset:104
	s_cmp_lt_i32 s2, 15
	s_cbranch_scc1 .LBB26_219
; %bb.217:
	v_add3_u32 v35, v41, 0, 0x70
	v_mov_b32_e32 v34, 13
	s_mov_b32 s0, 14
.LBB26_218:                             ; =>This Inner Loop Header: Depth=1
	ds_read_b64 v[40:41], v35
	v_add_nc_u32_e32 v35, 8, v35
	s_waitcnt lgkmcnt(0)
	v_cmp_lt_f64_e64 vcc_lo, |v[0:1]|, |v[40:41]|
	v_cndmask_b32_e32 v1, v1, v41, vcc_lo
	v_cndmask_b32_e32 v0, v0, v40, vcc_lo
	v_cndmask_b32_e64 v34, v34, s0, vcc_lo
	s_add_i32 s0, s0, 1
	s_cmp_lg_u32 s2, s0
	s_cbranch_scc1 .LBB26_218
.LBB26_219:
	s_mov_b32 s0, exec_lo
	s_waitcnt lgkmcnt(0)
	v_cmpx_eq_f64_e32 0, v[0:1]
	s_xor_b32 s0, exec_lo, s0
; %bb.220:
	v_cmp_ne_u32_e32 vcc_lo, 0, v42
	v_cndmask_b32_e32 v42, 14, v42, vcc_lo
; %bb.221:
	s_andn2_saveexec_b32 s0, s0
	s_cbranch_execz .LBB26_223
; %bb.222:
	v_div_scale_f64 v[35:36], null, v[0:1], v[0:1], 1.0
	v_rcp_f64_e32 v[40:41], v[35:36]
	v_fma_f64 v[44:45], -v[35:36], v[40:41], 1.0
	v_fma_f64 v[40:41], v[40:41], v[44:45], v[40:41]
	v_fma_f64 v[44:45], -v[35:36], v[40:41], 1.0
	v_fma_f64 v[40:41], v[40:41], v[44:45], v[40:41]
	v_div_scale_f64 v[44:45], vcc_lo, 1.0, v[0:1], 1.0
	v_mul_f64 v[46:47], v[44:45], v[40:41]
	v_fma_f64 v[35:36], -v[35:36], v[46:47], v[44:45]
	v_div_fmas_f64 v[35:36], v[35:36], v[40:41], v[46:47]
	v_div_fixup_f64 v[0:1], v[35:36], v[0:1], 1.0
.LBB26_223:
	s_or_b32 exec_lo, exec_lo, s0
	v_mov_b32_e32 v35, 13
	s_mov_b32 s0, exec_lo
	v_cmpx_ne_u32_e64 v43, v34
	s_cbranch_execz .LBB26_229
; %bb.224:
	s_mov_b32 s1, exec_lo
	v_cmpx_eq_u32_e32 13, v43
	s_cbranch_execz .LBB26_228
; %bb.225:
	v_cmp_ne_u32_e32 vcc_lo, 13, v34
	s_xor_b32 s2, s6, -1
	s_and_b32 s3, s2, vcc_lo
	s_and_saveexec_b32 s2, s3
	s_cbranch_execz .LBB26_227
; %bb.226:
	v_ashrrev_i32_e32 v35, 31, v34
	v_lshlrev_b64 v[35:36], 2, v[34:35]
	v_add_co_u32 v35, vcc_lo, v30, v35
	v_add_co_ci_u32_e64 v36, null, v31, v36, vcc_lo
	s_clause 0x1
	global_load_dword v37, v[35:36], off
	global_load_dword v40, v[30:31], off offset:52
	s_waitcnt vmcnt(1)
	global_store_dword v[30:31], v37, off offset:52
	s_waitcnt vmcnt(0)
	global_store_dword v[35:36], v40, off
.LBB26_227:
	s_or_b32 exec_lo, exec_lo, s2
	v_mov_b32_e32 v37, v34
	v_mov_b32_e32 v43, v34
.LBB26_228:
	s_or_b32 exec_lo, exec_lo, s1
	v_mov_b32_e32 v35, v43
.LBB26_229:
	s_or_b32 exec_lo, exec_lo, s0
	s_load_dwordx8 s[0:7], s[4:5], 0x28
	v_ashrrev_i32_e32 v36, 31, v35
	s_mov_b32 s9, exec_lo
	s_waitcnt lgkmcnt(0)
	s_waitcnt_vscnt null, 0x0
	s_barrier
	buffer_gl0_inv
	s_barrier
	buffer_gl0_inv
	v_cmpx_gt_i32_e32 14, v35
	s_cbranch_execz .LBB26_231
; %bb.230:
	v_mul_lo_u32 v34, s5, v4
	v_mul_lo_u32 v40, s4, v5
	v_mad_u64_u32 v[30:31], null, s4, v4, 0
	s_lshl_b64 s[2:3], s[2:3], 2
	v_add3_u32 v31, v31, v40, v34
	v_lshlrev_b64 v[30:31], 2, v[30:31]
	v_add_co_u32 v34, vcc_lo, s0, v30
	v_add_co_ci_u32_e64 v40, null, s1, v31, vcc_lo
	v_lshlrev_b64 v[30:31], 2, v[35:36]
	v_add_co_u32 v34, vcc_lo, v34, s2
	v_add_co_ci_u32_e64 v40, null, s3, v40, vcc_lo
	v_add_co_u32 v30, vcc_lo, v34, v30
	v_add_co_ci_u32_e64 v31, null, v40, v31, vcc_lo
	v_add3_u32 v34, v37, s13, 1
	global_store_dword v[30:31], v34, off
.LBB26_231:
	s_or_b32 exec_lo, exec_lo, s9
	s_mov_b32 s1, exec_lo
	v_cmpx_eq_u32_e32 0, v35
	s_cbranch_execz .LBB26_234
; %bb.232:
	v_lshlrev_b64 v[4:5], 2, v[4:5]
	v_cmp_ne_u32_e64 s0, 0, v42
	v_add_co_u32 v4, vcc_lo, s6, v4
	v_add_co_ci_u32_e64 v5, null, s7, v5, vcc_lo
	global_load_dword v30, v[4:5], off
	s_waitcnt vmcnt(0)
	v_cmp_eq_u32_e32 vcc_lo, 0, v30
	s_and_b32 s0, vcc_lo, s0
	s_and_b32 exec_lo, exec_lo, s0
	s_cbranch_execz .LBB26_234
; %bb.233:
	v_add_nc_u32_e32 v30, s13, v42
	global_store_dword v[4:5], v30, off
.LBB26_234:
	s_or_b32 exec_lo, exec_lo, s1
	v_lshlrev_b64 v[30:31], 3, v[35:36]
	v_mul_f64 v[0:1], v[32:33], v[0:1]
	v_add3_u32 v4, s8, s8, v35
	v_cmp_lt_i32_e32 vcc_lo, 13, v35
	v_add_co_u32 v30, s0, v38, v30
	v_add_nc_u32_e32 v34, s8, v4
	v_add_co_ci_u32_e64 v31, null, v39, v31, s0
	v_add_co_u32 v36, s0, v30, s10
	v_ashrrev_i32_e32 v5, 31, v4
	v_add_co_ci_u32_e64 v37, null, s11, v31, s0
	v_add_nc_u32_e32 v40, s8, v34
	v_ashrrev_i32_e32 v35, 31, v34
	v_lshlrev_b64 v[4:5], 3, v[4:5]
	flat_store_dwordx2 v[30:31], v[26:27]
	flat_store_dwordx2 v[36:37], v[24:25]
	v_add_nc_u32_e32 v24, s8, v40
	v_lshlrev_b64 v[26:27], 3, v[34:35]
	v_cndmask_b32_e32 v1, v33, v1, vcc_lo
	v_cndmask_b32_e32 v0, v32, v0, vcc_lo
	v_add_co_u32 v4, vcc_lo, v38, v4
	v_add_nc_u32_e32 v30, s8, v24
	v_ashrrev_i32_e32 v41, 31, v40
	v_add_co_ci_u32_e64 v5, null, v39, v5, vcc_lo
	v_add_co_u32 v26, vcc_lo, v38, v26
	v_ashrrev_i32_e32 v25, 31, v24
	v_add_co_ci_u32_e64 v27, null, v39, v27, vcc_lo
	v_ashrrev_i32_e32 v31, 31, v30
	v_lshlrev_b64 v[32:33], 3, v[40:41]
	flat_store_dwordx2 v[4:5], v[14:15]
	flat_store_dwordx2 v[26:27], v[16:17]
	v_lshlrev_b64 v[4:5], 3, v[24:25]
	v_add_nc_u32_e32 v24, s8, v30
	v_lshlrev_b64 v[16:17], 3, v[30:31]
	v_add_co_u32 v14, vcc_lo, v38, v32
	v_add_co_ci_u32_e64 v15, null, v39, v33, vcc_lo
	v_add_co_u32 v4, vcc_lo, v38, v4
	v_add_co_ci_u32_e64 v5, null, v39, v5, vcc_lo
	v_add_co_u32 v16, vcc_lo, v38, v16
	v_add_nc_u32_e32 v26, s8, v24
	v_add_co_ci_u32_e64 v17, null, v39, v17, vcc_lo
	v_ashrrev_i32_e32 v25, 31, v24
	flat_store_dwordx2 v[14:15], v[22:23]
	flat_store_dwordx2 v[4:5], v[18:19]
	;; [unrolled: 1-line block ×3, first 2 shown]
	v_add_nc_u32_e32 v16, s8, v26
	v_ashrrev_i32_e32 v27, 31, v26
	v_lshlrev_b64 v[14:15], 3, v[24:25]
	v_add_nc_u32_e32 v18, s8, v16
	v_lshlrev_b64 v[4:5], 3, v[26:27]
	v_ashrrev_i32_e32 v17, 31, v16
	v_add_co_u32 v14, vcc_lo, v38, v14
	v_add_co_ci_u32_e64 v15, null, v39, v15, vcc_lo
	v_add_nc_u32_e32 v20, s8, v18
	v_add_co_u32 v4, vcc_lo, v38, v4
	v_add_co_ci_u32_e64 v5, null, v39, v5, vcc_lo
	v_ashrrev_i32_e32 v19, 31, v18
	flat_store_dwordx2 v[14:15], v[2:3]
	v_add_nc_u32_e32 v14, s8, v20
	flat_store_dwordx2 v[4:5], v[28:29]
	v_ashrrev_i32_e32 v21, 31, v20
	v_lshlrev_b64 v[4:5], 3, v[18:19]
	v_lshlrev_b64 v[2:3], 3, v[16:17]
	v_add_nc_u32_e32 v18, s8, v14
	v_ashrrev_i32_e32 v15, 31, v14
	v_lshlrev_b64 v[16:17], 3, v[20:21]
	v_ashrrev_i32_e32 v19, 31, v18
	v_add_co_u32 v2, vcc_lo, v38, v2
	v_lshlrev_b64 v[14:15], 3, v[14:15]
	v_add_co_ci_u32_e64 v3, null, v39, v3, vcc_lo
	v_add_co_u32 v4, vcc_lo, v38, v4
	v_lshlrev_b64 v[18:19], 3, v[18:19]
	v_add_co_ci_u32_e64 v5, null, v39, v5, vcc_lo
	v_add_co_u32 v16, vcc_lo, v38, v16
	v_add_co_ci_u32_e64 v17, null, v39, v17, vcc_lo
	v_add_co_u32 v14, vcc_lo, v38, v14
	;; [unrolled: 2-line block ×3, first 2 shown]
	v_add_co_ci_u32_e64 v19, null, v39, v19, vcc_lo
	flat_store_dwordx2 v[2:3], v[6:7]
	flat_store_dwordx2 v[4:5], v[8:9]
	;; [unrolled: 1-line block ×5, first 2 shown]
.LBB26_235:
	s_endpgm
	.section	.rodata,"a",@progbits
	.p2align	6, 0x0
	.amdhsa_kernel _ZN9rocsolver6v33100L18getf2_small_kernelILi14EdiiPKPdEEvT1_T3_lS5_lPS5_llPT2_S5_S5_S7_l
		.amdhsa_group_segment_fixed_size 0
		.amdhsa_private_segment_fixed_size 0
		.amdhsa_kernarg_size 352
		.amdhsa_user_sgpr_count 6
		.amdhsa_user_sgpr_private_segment_buffer 1
		.amdhsa_user_sgpr_dispatch_ptr 0
		.amdhsa_user_sgpr_queue_ptr 0
		.amdhsa_user_sgpr_kernarg_segment_ptr 1
		.amdhsa_user_sgpr_dispatch_id 0
		.amdhsa_user_sgpr_flat_scratch_init 0
		.amdhsa_user_sgpr_private_segment_size 0
		.amdhsa_wavefront_size32 1
		.amdhsa_uses_dynamic_stack 0
		.amdhsa_system_sgpr_private_segment_wavefront_offset 0
		.amdhsa_system_sgpr_workgroup_id_x 1
		.amdhsa_system_sgpr_workgroup_id_y 1
		.amdhsa_system_sgpr_workgroup_id_z 0
		.amdhsa_system_sgpr_workgroup_info 0
		.amdhsa_system_vgpr_workitem_id 1
		.amdhsa_next_free_vgpr 68
		.amdhsa_next_free_sgpr 14
		.amdhsa_reserve_vcc 1
		.amdhsa_reserve_flat_scratch 1
		.amdhsa_float_round_mode_32 0
		.amdhsa_float_round_mode_16_64 0
		.amdhsa_float_denorm_mode_32 3
		.amdhsa_float_denorm_mode_16_64 3
		.amdhsa_dx10_clamp 1
		.amdhsa_ieee_mode 1
		.amdhsa_fp16_overflow 0
		.amdhsa_workgroup_processor_mode 1
		.amdhsa_memory_ordered 1
		.amdhsa_forward_progress 1
		.amdhsa_shared_vgpr_count 0
		.amdhsa_exception_fp_ieee_invalid_op 0
		.amdhsa_exception_fp_denorm_src 0
		.amdhsa_exception_fp_ieee_div_zero 0
		.amdhsa_exception_fp_ieee_overflow 0
		.amdhsa_exception_fp_ieee_underflow 0
		.amdhsa_exception_fp_ieee_inexact 0
		.amdhsa_exception_int_div_zero 0
	.end_amdhsa_kernel
	.section	.text._ZN9rocsolver6v33100L18getf2_small_kernelILi14EdiiPKPdEEvT1_T3_lS5_lPS5_llPT2_S5_S5_S7_l,"axG",@progbits,_ZN9rocsolver6v33100L18getf2_small_kernelILi14EdiiPKPdEEvT1_T3_lS5_lPS5_llPT2_S5_S5_S7_l,comdat
.Lfunc_end26:
	.size	_ZN9rocsolver6v33100L18getf2_small_kernelILi14EdiiPKPdEEvT1_T3_lS5_lPS5_llPT2_S5_S5_S7_l, .Lfunc_end26-_ZN9rocsolver6v33100L18getf2_small_kernelILi14EdiiPKPdEEvT1_T3_lS5_lPS5_llPT2_S5_S5_S7_l
                                        ; -- End function
	.set _ZN9rocsolver6v33100L18getf2_small_kernelILi14EdiiPKPdEEvT1_T3_lS5_lPS5_llPT2_S5_S5_S7_l.num_vgpr, 68
	.set _ZN9rocsolver6v33100L18getf2_small_kernelILi14EdiiPKPdEEvT1_T3_lS5_lPS5_llPT2_S5_S5_S7_l.num_agpr, 0
	.set _ZN9rocsolver6v33100L18getf2_small_kernelILi14EdiiPKPdEEvT1_T3_lS5_lPS5_llPT2_S5_S5_S7_l.numbered_sgpr, 14
	.set _ZN9rocsolver6v33100L18getf2_small_kernelILi14EdiiPKPdEEvT1_T3_lS5_lPS5_llPT2_S5_S5_S7_l.num_named_barrier, 0
	.set _ZN9rocsolver6v33100L18getf2_small_kernelILi14EdiiPKPdEEvT1_T3_lS5_lPS5_llPT2_S5_S5_S7_l.private_seg_size, 0
	.set _ZN9rocsolver6v33100L18getf2_small_kernelILi14EdiiPKPdEEvT1_T3_lS5_lPS5_llPT2_S5_S5_S7_l.uses_vcc, 1
	.set _ZN9rocsolver6v33100L18getf2_small_kernelILi14EdiiPKPdEEvT1_T3_lS5_lPS5_llPT2_S5_S5_S7_l.uses_flat_scratch, 1
	.set _ZN9rocsolver6v33100L18getf2_small_kernelILi14EdiiPKPdEEvT1_T3_lS5_lPS5_llPT2_S5_S5_S7_l.has_dyn_sized_stack, 0
	.set _ZN9rocsolver6v33100L18getf2_small_kernelILi14EdiiPKPdEEvT1_T3_lS5_lPS5_llPT2_S5_S5_S7_l.has_recursion, 0
	.set _ZN9rocsolver6v33100L18getf2_small_kernelILi14EdiiPKPdEEvT1_T3_lS5_lPS5_llPT2_S5_S5_S7_l.has_indirect_call, 0
	.section	.AMDGPU.csdata,"",@progbits
; Kernel info:
; codeLenInByte = 9644
; TotalNumSgprs: 16
; NumVgprs: 68
; ScratchSize: 0
; MemoryBound: 0
; FloatMode: 240
; IeeeMode: 1
; LDSByteSize: 0 bytes/workgroup (compile time only)
; SGPRBlocks: 0
; VGPRBlocks: 8
; NumSGPRsForWavesPerEU: 16
; NumVGPRsForWavesPerEU: 68
; Occupancy: 12
; WaveLimiterHint : 1
; COMPUTE_PGM_RSRC2:SCRATCH_EN: 0
; COMPUTE_PGM_RSRC2:USER_SGPR: 6
; COMPUTE_PGM_RSRC2:TRAP_HANDLER: 0
; COMPUTE_PGM_RSRC2:TGID_X_EN: 1
; COMPUTE_PGM_RSRC2:TGID_Y_EN: 1
; COMPUTE_PGM_RSRC2:TGID_Z_EN: 0
; COMPUTE_PGM_RSRC2:TIDIG_COMP_CNT: 1
	.section	.text._ZN9rocsolver6v33100L23getf2_npvt_small_kernelILi14EdiiPKPdEEvT1_T3_lS5_lPT2_S5_S5_,"axG",@progbits,_ZN9rocsolver6v33100L23getf2_npvt_small_kernelILi14EdiiPKPdEEvT1_T3_lS5_lPT2_S5_S5_,comdat
	.globl	_ZN9rocsolver6v33100L23getf2_npvt_small_kernelILi14EdiiPKPdEEvT1_T3_lS5_lPT2_S5_S5_ ; -- Begin function _ZN9rocsolver6v33100L23getf2_npvt_small_kernelILi14EdiiPKPdEEvT1_T3_lS5_lPT2_S5_S5_
	.p2align	8
	.type	_ZN9rocsolver6v33100L23getf2_npvt_small_kernelILi14EdiiPKPdEEvT1_T3_lS5_lPT2_S5_S5_,@function
_ZN9rocsolver6v33100L23getf2_npvt_small_kernelILi14EdiiPKPdEEvT1_T3_lS5_lPT2_S5_S5_: ; @_ZN9rocsolver6v33100L23getf2_npvt_small_kernelILi14EdiiPKPdEEvT1_T3_lS5_lPT2_S5_S5_
; %bb.0:
	s_clause 0x1
	s_load_dword s0, s[4:5], 0x44
	s_load_dwordx2 s[8:9], s[4:5], 0x30
	s_waitcnt lgkmcnt(0)
	s_lshr_b32 s10, s0, 16
	s_mov_b32 s0, exec_lo
	v_mad_u64_u32 v[2:3], null, s7, s10, v[1:2]
	v_cmpx_gt_i32_e64 s8, v2
	s_cbranch_execz .LBB27_74
; %bb.1:
	s_clause 0x1
	s_load_dwordx4 s[0:3], s[4:5], 0x8
	s_load_dword s6, s[4:5], 0x18
	v_ashrrev_i32_e32 v3, 31, v2
	v_lshlrev_b32_e32 v32, 3, v0
	v_lshlrev_b32_e32 v60, 3, v1
	s_mulk_i32 s10, 0x70
	v_mad_u32_u24 v86, 0x70, v1, 0
	v_lshlrev_b64 v[4:5], 3, v[2:3]
	v_add3_u32 v1, 0, s10, v60
	s_waitcnt lgkmcnt(0)
	v_add_co_u32 v4, vcc_lo, s0, v4
	v_add_co_ci_u32_e64 v5, null, s1, v5, vcc_lo
	v_add3_u32 v6, s6, s6, v0
	s_lshl_b64 s[0:1], s[2:3], 3
	s_ashr_i32 s7, s6, 31
	global_load_dwordx2 v[4:5], v[4:5], off
	s_lshl_b64 s[2:3], s[6:7], 3
	v_add_nc_u32_e32 v8, s6, v6
	v_ashrrev_i32_e32 v7, 31, v6
	v_add_nc_u32_e32 v10, s6, v8
	v_ashrrev_i32_e32 v9, 31, v8
	v_lshlrev_b64 v[6:7], 3, v[6:7]
	v_add_nc_u32_e32 v12, s6, v10
	v_ashrrev_i32_e32 v11, 31, v10
	v_lshlrev_b64 v[8:9], 3, v[8:9]
	;; [unrolled: 3-line block ×6, first 2 shown]
	v_add_nc_u32_e32 v22, s6, v20
	v_lshlrev_b64 v[28:29], 3, v[18:19]
	v_ashrrev_i32_e32 v21, 31, v20
	v_add_nc_u32_e32 v24, s6, v22
	v_ashrrev_i32_e32 v23, 31, v22
	v_lshlrev_b64 v[20:21], 3, v[20:21]
	v_add_nc_u32_e32 v26, s6, v24
	v_ashrrev_i32_e32 v25, 31, v24
	v_lshlrev_b64 v[22:23], 3, v[22:23]
	;; [unrolled: 3-line block ×3, first 2 shown]
	v_ashrrev_i32_e32 v19, 31, v18
	v_lshlrev_b64 v[26:27], 3, v[26:27]
	v_lshlrev_b64 v[30:31], 3, v[18:19]
	s_waitcnt vmcnt(0)
	v_add_co_u32 v33, vcc_lo, v4, s0
	v_add_co_ci_u32_e64 v34, null, s1, v5, vcc_lo
	v_cmp_ne_u32_e64 s1, 0, v0
	v_add_co_u32 v4, vcc_lo, v33, v32
	v_add_co_ci_u32_e64 v5, null, 0, v34, vcc_lo
	v_add_co_u32 v6, vcc_lo, v33, v6
	v_add_co_ci_u32_e64 v7, null, v34, v7, vcc_lo
	;; [unrolled: 2-line block ×14, first 2 shown]
	s_clause 0xd
	flat_load_dwordx2 v[38:39], v[10:11]
	flat_load_dwordx2 v[40:41], v[12:13]
	;; [unrolled: 1-line block ×14, first 2 shown]
	v_cmp_eq_u32_e64 s0, 0, v0
	s_and_saveexec_b32 s2, s0
	s_cbranch_execz .LBB27_4
; %bb.2:
	s_waitcnt vmcnt(5) lgkmcnt(5)
	ds_write_b64 v1, v[52:53]
	s_waitcnt vmcnt(3) lgkmcnt(4)
	ds_write2_b64 v86, v[54:55], v[56:57] offset0:1 offset1:2
	s_waitcnt vmcnt(2) lgkmcnt(4)
	ds_write2_b64 v86, v[58:59], v[38:39] offset0:3 offset1:4
	ds_write2_b64 v86, v[40:41], v[42:43] offset0:5 offset1:6
	;; [unrolled: 1-line block ×4, first 2 shown]
	s_waitcnt vmcnt(1) lgkmcnt(7)
	ds_write2_b64 v86, v[36:37], v[48:49] offset0:11 offset1:12
	s_waitcnt vmcnt(0) lgkmcnt(7)
	ds_write_b64 v86, v[50:51] offset:104
	ds_read_b64 v[60:61], v1
	s_waitcnt lgkmcnt(0)
	v_cmp_neq_f64_e32 vcc_lo, 0, v[60:61]
	s_and_b32 exec_lo, exec_lo, vcc_lo
	s_cbranch_execz .LBB27_4
; %bb.3:
	v_div_scale_f64 v[62:63], null, v[60:61], v[60:61], 1.0
	v_rcp_f64_e32 v[64:65], v[62:63]
	v_fma_f64 v[66:67], -v[62:63], v[64:65], 1.0
	v_fma_f64 v[64:65], v[64:65], v[66:67], v[64:65]
	v_fma_f64 v[66:67], -v[62:63], v[64:65], 1.0
	v_fma_f64 v[64:65], v[64:65], v[66:67], v[64:65]
	v_div_scale_f64 v[66:67], vcc_lo, 1.0, v[60:61], 1.0
	v_mul_f64 v[68:69], v[66:67], v[64:65]
	v_fma_f64 v[62:63], -v[62:63], v[68:69], v[66:67]
	v_div_fmas_f64 v[62:63], v[62:63], v[64:65], v[68:69]
	v_div_fixup_f64 v[60:61], v[62:63], v[60:61], 1.0
	ds_write_b64 v1, v[60:61]
.LBB27_4:
	s_or_b32 exec_lo, exec_lo, s2
	s_waitcnt vmcnt(0) lgkmcnt(0)
	s_barrier
	buffer_gl0_inv
	ds_read_b64 v[60:61], v1
	s_and_saveexec_b32 s2, s1
	s_cbranch_execz .LBB27_6
; %bb.5:
	s_waitcnt lgkmcnt(0)
	v_mul_f64 v[52:53], v[52:53], v[60:61]
	ds_read2_b64 v[62:65], v86 offset0:1 offset1:2
	ds_read2_b64 v[66:69], v86 offset0:3 offset1:4
	;; [unrolled: 1-line block ×6, first 2 shown]
	ds_read_b64 v[87:88], v86 offset:104
	s_waitcnt lgkmcnt(6)
	v_fma_f64 v[54:55], -v[52:53], v[62:63], v[54:55]
	v_fma_f64 v[56:57], -v[52:53], v[64:65], v[56:57]
	s_waitcnt lgkmcnt(5)
	v_fma_f64 v[58:59], -v[52:53], v[66:67], v[58:59]
	v_fma_f64 v[38:39], -v[52:53], v[68:69], v[38:39]
	;; [unrolled: 3-line block ×6, first 2 shown]
	s_waitcnt lgkmcnt(0)
	v_fma_f64 v[50:51], -v[52:53], v[87:88], v[50:51]
.LBB27_6:
	s_or_b32 exec_lo, exec_lo, s2
	s_mov_b32 s1, exec_lo
	s_waitcnt lgkmcnt(0)
	s_barrier
	buffer_gl0_inv
	v_cmpx_eq_u32_e32 1, v0
	s_cbranch_execz .LBB27_9
; %bb.7:
	ds_write_b64 v1, v[54:55]
	ds_write2_b64 v86, v[56:57], v[58:59] offset0:2 offset1:3
	ds_write2_b64 v86, v[38:39], v[40:41] offset0:4 offset1:5
	;; [unrolled: 1-line block ×6, first 2 shown]
	ds_read_b64 v[62:63], v1
	s_waitcnt lgkmcnt(0)
	v_cmp_neq_f64_e32 vcc_lo, 0, v[62:63]
	s_and_b32 exec_lo, exec_lo, vcc_lo
	s_cbranch_execz .LBB27_9
; %bb.8:
	v_div_scale_f64 v[64:65], null, v[62:63], v[62:63], 1.0
	v_rcp_f64_e32 v[66:67], v[64:65]
	v_fma_f64 v[68:69], -v[64:65], v[66:67], 1.0
	v_fma_f64 v[66:67], v[66:67], v[68:69], v[66:67]
	v_fma_f64 v[68:69], -v[64:65], v[66:67], 1.0
	v_fma_f64 v[66:67], v[66:67], v[68:69], v[66:67]
	v_div_scale_f64 v[68:69], vcc_lo, 1.0, v[62:63], 1.0
	v_mul_f64 v[70:71], v[68:69], v[66:67]
	v_fma_f64 v[64:65], -v[64:65], v[70:71], v[68:69]
	v_div_fmas_f64 v[64:65], v[64:65], v[66:67], v[70:71]
	v_div_fixup_f64 v[62:63], v[64:65], v[62:63], 1.0
	ds_write_b64 v1, v[62:63]
.LBB27_9:
	s_or_b32 exec_lo, exec_lo, s1
	s_waitcnt lgkmcnt(0)
	s_barrier
	buffer_gl0_inv
	ds_read_b64 v[62:63], v1
	s_mov_b32 s1, exec_lo
	v_cmpx_lt_u32_e32 1, v0
	s_cbranch_execz .LBB27_11
; %bb.10:
	s_waitcnt lgkmcnt(0)
	v_mul_f64 v[54:55], v[54:55], v[62:63]
	ds_read2_b64 v[64:67], v86 offset0:2 offset1:3
	ds_read2_b64 v[68:71], v86 offset0:4 offset1:5
	;; [unrolled: 1-line block ×6, first 2 shown]
	s_waitcnt lgkmcnt(5)
	v_fma_f64 v[56:57], -v[54:55], v[64:65], v[56:57]
	v_fma_f64 v[58:59], -v[54:55], v[66:67], v[58:59]
	s_waitcnt lgkmcnt(4)
	v_fma_f64 v[38:39], -v[54:55], v[68:69], v[38:39]
	v_fma_f64 v[40:41], -v[54:55], v[70:71], v[40:41]
	;; [unrolled: 3-line block ×6, first 2 shown]
.LBB27_11:
	s_or_b32 exec_lo, exec_lo, s1
	s_mov_b32 s1, exec_lo
	s_waitcnt lgkmcnt(0)
	s_barrier
	buffer_gl0_inv
	v_cmpx_eq_u32_e32 2, v0
	s_cbranch_execz .LBB27_14
; %bb.12:
	ds_write_b64 v1, v[56:57]
	ds_write2_b64 v86, v[58:59], v[38:39] offset0:3 offset1:4
	ds_write2_b64 v86, v[40:41], v[42:43] offset0:5 offset1:6
	;; [unrolled: 1-line block ×5, first 2 shown]
	ds_write_b64 v86, v[50:51] offset:104
	ds_read_b64 v[64:65], v1
	s_waitcnt lgkmcnt(0)
	v_cmp_neq_f64_e32 vcc_lo, 0, v[64:65]
	s_and_b32 exec_lo, exec_lo, vcc_lo
	s_cbranch_execz .LBB27_14
; %bb.13:
	v_div_scale_f64 v[66:67], null, v[64:65], v[64:65], 1.0
	v_rcp_f64_e32 v[68:69], v[66:67]
	v_fma_f64 v[70:71], -v[66:67], v[68:69], 1.0
	v_fma_f64 v[68:69], v[68:69], v[70:71], v[68:69]
	v_fma_f64 v[70:71], -v[66:67], v[68:69], 1.0
	v_fma_f64 v[68:69], v[68:69], v[70:71], v[68:69]
	v_div_scale_f64 v[70:71], vcc_lo, 1.0, v[64:65], 1.0
	v_mul_f64 v[72:73], v[70:71], v[68:69]
	v_fma_f64 v[66:67], -v[66:67], v[72:73], v[70:71]
	v_div_fmas_f64 v[66:67], v[66:67], v[68:69], v[72:73]
	v_div_fixup_f64 v[64:65], v[66:67], v[64:65], 1.0
	ds_write_b64 v1, v[64:65]
.LBB27_14:
	s_or_b32 exec_lo, exec_lo, s1
	s_waitcnt lgkmcnt(0)
	s_barrier
	buffer_gl0_inv
	ds_read_b64 v[64:65], v1
	s_mov_b32 s1, exec_lo
	v_cmpx_lt_u32_e32 2, v0
	s_cbranch_execz .LBB27_16
; %bb.15:
	s_waitcnt lgkmcnt(0)
	v_mul_f64 v[56:57], v[56:57], v[64:65]
	ds_read2_b64 v[66:69], v86 offset0:3 offset1:4
	ds_read2_b64 v[70:73], v86 offset0:5 offset1:6
	;; [unrolled: 1-line block ×5, first 2 shown]
	ds_read_b64 v[87:88], v86 offset:104
	s_waitcnt lgkmcnt(5)
	v_fma_f64 v[58:59], -v[56:57], v[66:67], v[58:59]
	v_fma_f64 v[38:39], -v[56:57], v[68:69], v[38:39]
	s_waitcnt lgkmcnt(4)
	v_fma_f64 v[40:41], -v[56:57], v[70:71], v[40:41]
	v_fma_f64 v[42:43], -v[56:57], v[72:73], v[42:43]
	;; [unrolled: 3-line block ×5, first 2 shown]
	s_waitcnt lgkmcnt(0)
	v_fma_f64 v[50:51], -v[56:57], v[87:88], v[50:51]
.LBB27_16:
	s_or_b32 exec_lo, exec_lo, s1
	s_mov_b32 s1, exec_lo
	s_waitcnt lgkmcnt(0)
	s_barrier
	buffer_gl0_inv
	v_cmpx_eq_u32_e32 3, v0
	s_cbranch_execz .LBB27_19
; %bb.17:
	ds_write_b64 v1, v[58:59]
	ds_write2_b64 v86, v[38:39], v[40:41] offset0:4 offset1:5
	ds_write2_b64 v86, v[42:43], v[44:45] offset0:6 offset1:7
	;; [unrolled: 1-line block ×5, first 2 shown]
	ds_read_b64 v[66:67], v1
	s_waitcnt lgkmcnt(0)
	v_cmp_neq_f64_e32 vcc_lo, 0, v[66:67]
	s_and_b32 exec_lo, exec_lo, vcc_lo
	s_cbranch_execz .LBB27_19
; %bb.18:
	v_div_scale_f64 v[68:69], null, v[66:67], v[66:67], 1.0
	v_rcp_f64_e32 v[70:71], v[68:69]
	v_fma_f64 v[72:73], -v[68:69], v[70:71], 1.0
	v_fma_f64 v[70:71], v[70:71], v[72:73], v[70:71]
	v_fma_f64 v[72:73], -v[68:69], v[70:71], 1.0
	v_fma_f64 v[70:71], v[70:71], v[72:73], v[70:71]
	v_div_scale_f64 v[72:73], vcc_lo, 1.0, v[66:67], 1.0
	v_mul_f64 v[74:75], v[72:73], v[70:71]
	v_fma_f64 v[68:69], -v[68:69], v[74:75], v[72:73]
	v_div_fmas_f64 v[68:69], v[68:69], v[70:71], v[74:75]
	v_div_fixup_f64 v[66:67], v[68:69], v[66:67], 1.0
	ds_write_b64 v1, v[66:67]
.LBB27_19:
	s_or_b32 exec_lo, exec_lo, s1
	s_waitcnt lgkmcnt(0)
	s_barrier
	buffer_gl0_inv
	ds_read_b64 v[66:67], v1
	s_mov_b32 s1, exec_lo
	v_cmpx_lt_u32_e32 3, v0
	s_cbranch_execz .LBB27_21
; %bb.20:
	s_waitcnt lgkmcnt(0)
	v_mul_f64 v[58:59], v[58:59], v[66:67]
	ds_read2_b64 v[68:71], v86 offset0:4 offset1:5
	ds_read2_b64 v[72:75], v86 offset0:6 offset1:7
	;; [unrolled: 1-line block ×5, first 2 shown]
	s_waitcnt lgkmcnt(4)
	v_fma_f64 v[38:39], -v[58:59], v[68:69], v[38:39]
	v_fma_f64 v[40:41], -v[58:59], v[70:71], v[40:41]
	s_waitcnt lgkmcnt(3)
	v_fma_f64 v[42:43], -v[58:59], v[72:73], v[42:43]
	v_fma_f64 v[44:45], -v[58:59], v[74:75], v[44:45]
	;; [unrolled: 3-line block ×5, first 2 shown]
.LBB27_21:
	s_or_b32 exec_lo, exec_lo, s1
	s_mov_b32 s1, exec_lo
	s_waitcnt lgkmcnt(0)
	s_barrier
	buffer_gl0_inv
	v_cmpx_eq_u32_e32 4, v0
	s_cbranch_execz .LBB27_24
; %bb.22:
	ds_write_b64 v1, v[38:39]
	ds_write2_b64 v86, v[40:41], v[42:43] offset0:5 offset1:6
	ds_write2_b64 v86, v[44:45], v[30:31] offset0:7 offset1:8
	;; [unrolled: 1-line block ×4, first 2 shown]
	ds_write_b64 v86, v[50:51] offset:104
	ds_read_b64 v[68:69], v1
	s_waitcnt lgkmcnt(0)
	v_cmp_neq_f64_e32 vcc_lo, 0, v[68:69]
	s_and_b32 exec_lo, exec_lo, vcc_lo
	s_cbranch_execz .LBB27_24
; %bb.23:
	v_div_scale_f64 v[70:71], null, v[68:69], v[68:69], 1.0
	v_rcp_f64_e32 v[72:73], v[70:71]
	v_fma_f64 v[74:75], -v[70:71], v[72:73], 1.0
	v_fma_f64 v[72:73], v[72:73], v[74:75], v[72:73]
	v_fma_f64 v[74:75], -v[70:71], v[72:73], 1.0
	v_fma_f64 v[72:73], v[72:73], v[74:75], v[72:73]
	v_div_scale_f64 v[74:75], vcc_lo, 1.0, v[68:69], 1.0
	v_mul_f64 v[76:77], v[74:75], v[72:73]
	v_fma_f64 v[70:71], -v[70:71], v[76:77], v[74:75]
	v_div_fmas_f64 v[70:71], v[70:71], v[72:73], v[76:77]
	v_div_fixup_f64 v[68:69], v[70:71], v[68:69], 1.0
	ds_write_b64 v1, v[68:69]
.LBB27_24:
	s_or_b32 exec_lo, exec_lo, s1
	s_waitcnt lgkmcnt(0)
	s_barrier
	buffer_gl0_inv
	ds_read_b64 v[68:69], v1
	s_mov_b32 s1, exec_lo
	v_cmpx_lt_u32_e32 4, v0
	s_cbranch_execz .LBB27_26
; %bb.25:
	s_waitcnt lgkmcnt(0)
	v_mul_f64 v[38:39], v[38:39], v[68:69]
	ds_read2_b64 v[70:73], v86 offset0:5 offset1:6
	ds_read2_b64 v[74:77], v86 offset0:7 offset1:8
	;; [unrolled: 1-line block ×4, first 2 shown]
	ds_read_b64 v[87:88], v86 offset:104
	s_waitcnt lgkmcnt(4)
	v_fma_f64 v[40:41], -v[38:39], v[70:71], v[40:41]
	v_fma_f64 v[42:43], -v[38:39], v[72:73], v[42:43]
	s_waitcnt lgkmcnt(3)
	v_fma_f64 v[44:45], -v[38:39], v[74:75], v[44:45]
	v_fma_f64 v[30:31], -v[38:39], v[76:77], v[30:31]
	s_waitcnt lgkmcnt(2)
	v_fma_f64 v[32:33], -v[38:39], v[78:79], v[32:33]
	v_fma_f64 v[34:35], -v[38:39], v[80:81], v[34:35]
	s_waitcnt lgkmcnt(1)
	v_fma_f64 v[36:37], -v[38:39], v[82:83], v[36:37]
	v_fma_f64 v[48:49], -v[38:39], v[84:85], v[48:49]
	s_waitcnt lgkmcnt(0)
	v_fma_f64 v[50:51], -v[38:39], v[87:88], v[50:51]
.LBB27_26:
	s_or_b32 exec_lo, exec_lo, s1
	s_mov_b32 s1, exec_lo
	s_waitcnt lgkmcnt(0)
	s_barrier
	buffer_gl0_inv
	v_cmpx_eq_u32_e32 5, v0
	s_cbranch_execz .LBB27_29
; %bb.27:
	ds_write_b64 v1, v[40:41]
	ds_write2_b64 v86, v[42:43], v[44:45] offset0:6 offset1:7
	ds_write2_b64 v86, v[30:31], v[32:33] offset0:8 offset1:9
	;; [unrolled: 1-line block ×4, first 2 shown]
	ds_read_b64 v[70:71], v1
	s_waitcnt lgkmcnt(0)
	v_cmp_neq_f64_e32 vcc_lo, 0, v[70:71]
	s_and_b32 exec_lo, exec_lo, vcc_lo
	s_cbranch_execz .LBB27_29
; %bb.28:
	v_div_scale_f64 v[72:73], null, v[70:71], v[70:71], 1.0
	v_rcp_f64_e32 v[74:75], v[72:73]
	v_fma_f64 v[76:77], -v[72:73], v[74:75], 1.0
	v_fma_f64 v[74:75], v[74:75], v[76:77], v[74:75]
	v_fma_f64 v[76:77], -v[72:73], v[74:75], 1.0
	v_fma_f64 v[74:75], v[74:75], v[76:77], v[74:75]
	v_div_scale_f64 v[76:77], vcc_lo, 1.0, v[70:71], 1.0
	v_mul_f64 v[78:79], v[76:77], v[74:75]
	v_fma_f64 v[72:73], -v[72:73], v[78:79], v[76:77]
	v_div_fmas_f64 v[72:73], v[72:73], v[74:75], v[78:79]
	v_div_fixup_f64 v[70:71], v[72:73], v[70:71], 1.0
	ds_write_b64 v1, v[70:71]
.LBB27_29:
	s_or_b32 exec_lo, exec_lo, s1
	s_waitcnt lgkmcnt(0)
	s_barrier
	buffer_gl0_inv
	ds_read_b64 v[70:71], v1
	s_mov_b32 s1, exec_lo
	v_cmpx_lt_u32_e32 5, v0
	s_cbranch_execz .LBB27_31
; %bb.30:
	s_waitcnt lgkmcnt(0)
	v_mul_f64 v[40:41], v[40:41], v[70:71]
	ds_read2_b64 v[72:75], v86 offset0:6 offset1:7
	ds_read2_b64 v[76:79], v86 offset0:8 offset1:9
	;; [unrolled: 1-line block ×4, first 2 shown]
	s_waitcnt lgkmcnt(3)
	v_fma_f64 v[42:43], -v[40:41], v[72:73], v[42:43]
	v_fma_f64 v[44:45], -v[40:41], v[74:75], v[44:45]
	s_waitcnt lgkmcnt(2)
	v_fma_f64 v[30:31], -v[40:41], v[76:77], v[30:31]
	v_fma_f64 v[32:33], -v[40:41], v[78:79], v[32:33]
	;; [unrolled: 3-line block ×4, first 2 shown]
.LBB27_31:
	s_or_b32 exec_lo, exec_lo, s1
	s_mov_b32 s1, exec_lo
	s_waitcnt lgkmcnt(0)
	s_barrier
	buffer_gl0_inv
	v_cmpx_eq_u32_e32 6, v0
	s_cbranch_execz .LBB27_34
; %bb.32:
	ds_write_b64 v1, v[42:43]
	ds_write2_b64 v86, v[44:45], v[30:31] offset0:7 offset1:8
	ds_write2_b64 v86, v[32:33], v[34:35] offset0:9 offset1:10
	;; [unrolled: 1-line block ×3, first 2 shown]
	ds_write_b64 v86, v[50:51] offset:104
	ds_read_b64 v[72:73], v1
	s_waitcnt lgkmcnt(0)
	v_cmp_neq_f64_e32 vcc_lo, 0, v[72:73]
	s_and_b32 exec_lo, exec_lo, vcc_lo
	s_cbranch_execz .LBB27_34
; %bb.33:
	v_div_scale_f64 v[74:75], null, v[72:73], v[72:73], 1.0
	v_rcp_f64_e32 v[76:77], v[74:75]
	v_fma_f64 v[78:79], -v[74:75], v[76:77], 1.0
	v_fma_f64 v[76:77], v[76:77], v[78:79], v[76:77]
	v_fma_f64 v[78:79], -v[74:75], v[76:77], 1.0
	v_fma_f64 v[76:77], v[76:77], v[78:79], v[76:77]
	v_div_scale_f64 v[78:79], vcc_lo, 1.0, v[72:73], 1.0
	v_mul_f64 v[80:81], v[78:79], v[76:77]
	v_fma_f64 v[74:75], -v[74:75], v[80:81], v[78:79]
	v_div_fmas_f64 v[74:75], v[74:75], v[76:77], v[80:81]
	v_div_fixup_f64 v[72:73], v[74:75], v[72:73], 1.0
	ds_write_b64 v1, v[72:73]
.LBB27_34:
	s_or_b32 exec_lo, exec_lo, s1
	s_waitcnt lgkmcnt(0)
	s_barrier
	buffer_gl0_inv
	ds_read_b64 v[72:73], v1
	s_mov_b32 s1, exec_lo
	v_cmpx_lt_u32_e32 6, v0
	s_cbranch_execz .LBB27_36
; %bb.35:
	s_waitcnt lgkmcnt(0)
	v_mul_f64 v[42:43], v[42:43], v[72:73]
	ds_read2_b64 v[74:77], v86 offset0:7 offset1:8
	ds_read2_b64 v[78:81], v86 offset0:9 offset1:10
	;; [unrolled: 1-line block ×3, first 2 shown]
	ds_read_b64 v[87:88], v86 offset:104
	s_waitcnt lgkmcnt(3)
	v_fma_f64 v[44:45], -v[42:43], v[74:75], v[44:45]
	v_fma_f64 v[30:31], -v[42:43], v[76:77], v[30:31]
	s_waitcnt lgkmcnt(2)
	v_fma_f64 v[32:33], -v[42:43], v[78:79], v[32:33]
	v_fma_f64 v[34:35], -v[42:43], v[80:81], v[34:35]
	;; [unrolled: 3-line block ×3, first 2 shown]
	s_waitcnt lgkmcnt(0)
	v_fma_f64 v[50:51], -v[42:43], v[87:88], v[50:51]
.LBB27_36:
	s_or_b32 exec_lo, exec_lo, s1
	s_mov_b32 s1, exec_lo
	s_waitcnt lgkmcnt(0)
	s_barrier
	buffer_gl0_inv
	v_cmpx_eq_u32_e32 7, v0
	s_cbranch_execz .LBB27_39
; %bb.37:
	ds_write_b64 v1, v[44:45]
	ds_write2_b64 v86, v[30:31], v[32:33] offset0:8 offset1:9
	ds_write2_b64 v86, v[34:35], v[36:37] offset0:10 offset1:11
	ds_write2_b64 v86, v[48:49], v[50:51] offset0:12 offset1:13
	ds_read_b64 v[74:75], v1
	s_waitcnt lgkmcnt(0)
	v_cmp_neq_f64_e32 vcc_lo, 0, v[74:75]
	s_and_b32 exec_lo, exec_lo, vcc_lo
	s_cbranch_execz .LBB27_39
; %bb.38:
	v_div_scale_f64 v[76:77], null, v[74:75], v[74:75], 1.0
	v_rcp_f64_e32 v[78:79], v[76:77]
	v_fma_f64 v[80:81], -v[76:77], v[78:79], 1.0
	v_fma_f64 v[78:79], v[78:79], v[80:81], v[78:79]
	v_fma_f64 v[80:81], -v[76:77], v[78:79], 1.0
	v_fma_f64 v[78:79], v[78:79], v[80:81], v[78:79]
	v_div_scale_f64 v[80:81], vcc_lo, 1.0, v[74:75], 1.0
	v_mul_f64 v[82:83], v[80:81], v[78:79]
	v_fma_f64 v[76:77], -v[76:77], v[82:83], v[80:81]
	v_div_fmas_f64 v[76:77], v[76:77], v[78:79], v[82:83]
	v_div_fixup_f64 v[74:75], v[76:77], v[74:75], 1.0
	ds_write_b64 v1, v[74:75]
.LBB27_39:
	s_or_b32 exec_lo, exec_lo, s1
	s_waitcnt lgkmcnt(0)
	s_barrier
	buffer_gl0_inv
	ds_read_b64 v[74:75], v1
	s_mov_b32 s1, exec_lo
	v_cmpx_lt_u32_e32 7, v0
	s_cbranch_execz .LBB27_41
; %bb.40:
	s_waitcnt lgkmcnt(0)
	v_mul_f64 v[44:45], v[44:45], v[74:75]
	ds_read2_b64 v[76:79], v86 offset0:8 offset1:9
	ds_read2_b64 v[80:83], v86 offset0:10 offset1:11
	;; [unrolled: 1-line block ×3, first 2 shown]
	s_waitcnt lgkmcnt(2)
	v_fma_f64 v[30:31], -v[44:45], v[76:77], v[30:31]
	v_fma_f64 v[32:33], -v[44:45], v[78:79], v[32:33]
	s_waitcnt lgkmcnt(1)
	v_fma_f64 v[34:35], -v[44:45], v[80:81], v[34:35]
	v_fma_f64 v[36:37], -v[44:45], v[82:83], v[36:37]
	s_waitcnt lgkmcnt(0)
	v_fma_f64 v[48:49], -v[44:45], v[87:88], v[48:49]
	v_fma_f64 v[50:51], -v[44:45], v[89:90], v[50:51]
.LBB27_41:
	s_or_b32 exec_lo, exec_lo, s1
	s_mov_b32 s1, exec_lo
	s_waitcnt lgkmcnt(0)
	s_barrier
	buffer_gl0_inv
	v_cmpx_eq_u32_e32 8, v0
	s_cbranch_execz .LBB27_44
; %bb.42:
	ds_write_b64 v1, v[30:31]
	ds_write2_b64 v86, v[32:33], v[34:35] offset0:9 offset1:10
	ds_write2_b64 v86, v[36:37], v[48:49] offset0:11 offset1:12
	ds_write_b64 v86, v[50:51] offset:104
	ds_read_b64 v[76:77], v1
	s_waitcnt lgkmcnt(0)
	v_cmp_neq_f64_e32 vcc_lo, 0, v[76:77]
	s_and_b32 exec_lo, exec_lo, vcc_lo
	s_cbranch_execz .LBB27_44
; %bb.43:
	v_div_scale_f64 v[78:79], null, v[76:77], v[76:77], 1.0
	v_rcp_f64_e32 v[80:81], v[78:79]
	v_fma_f64 v[82:83], -v[78:79], v[80:81], 1.0
	v_fma_f64 v[80:81], v[80:81], v[82:83], v[80:81]
	v_fma_f64 v[82:83], -v[78:79], v[80:81], 1.0
	v_fma_f64 v[80:81], v[80:81], v[82:83], v[80:81]
	v_div_scale_f64 v[82:83], vcc_lo, 1.0, v[76:77], 1.0
	v_mul_f64 v[84:85], v[82:83], v[80:81]
	v_fma_f64 v[78:79], -v[78:79], v[84:85], v[82:83]
	v_div_fmas_f64 v[78:79], v[78:79], v[80:81], v[84:85]
	v_div_fixup_f64 v[76:77], v[78:79], v[76:77], 1.0
	ds_write_b64 v1, v[76:77]
.LBB27_44:
	s_or_b32 exec_lo, exec_lo, s1
	s_waitcnt lgkmcnt(0)
	s_barrier
	buffer_gl0_inv
	ds_read_b64 v[76:77], v1
	s_mov_b32 s1, exec_lo
	v_cmpx_lt_u32_e32 8, v0
	s_cbranch_execz .LBB27_46
; %bb.45:
	s_waitcnt lgkmcnt(0)
	v_mul_f64 v[30:31], v[30:31], v[76:77]
	ds_read2_b64 v[78:81], v86 offset0:9 offset1:10
	ds_read2_b64 v[82:85], v86 offset0:11 offset1:12
	ds_read_b64 v[87:88], v86 offset:104
	s_waitcnt lgkmcnt(2)
	v_fma_f64 v[32:33], -v[30:31], v[78:79], v[32:33]
	v_fma_f64 v[34:35], -v[30:31], v[80:81], v[34:35]
	s_waitcnt lgkmcnt(1)
	v_fma_f64 v[36:37], -v[30:31], v[82:83], v[36:37]
	v_fma_f64 v[48:49], -v[30:31], v[84:85], v[48:49]
	s_waitcnt lgkmcnt(0)
	v_fma_f64 v[50:51], -v[30:31], v[87:88], v[50:51]
.LBB27_46:
	s_or_b32 exec_lo, exec_lo, s1
	s_mov_b32 s1, exec_lo
	s_waitcnt lgkmcnt(0)
	s_barrier
	buffer_gl0_inv
	v_cmpx_eq_u32_e32 9, v0
	s_cbranch_execz .LBB27_49
; %bb.47:
	ds_write_b64 v1, v[32:33]
	ds_write2_b64 v86, v[34:35], v[36:37] offset0:10 offset1:11
	ds_write2_b64 v86, v[48:49], v[50:51] offset0:12 offset1:13
	ds_read_b64 v[78:79], v1
	s_waitcnt lgkmcnt(0)
	v_cmp_neq_f64_e32 vcc_lo, 0, v[78:79]
	s_and_b32 exec_lo, exec_lo, vcc_lo
	s_cbranch_execz .LBB27_49
; %bb.48:
	v_div_scale_f64 v[80:81], null, v[78:79], v[78:79], 1.0
	v_rcp_f64_e32 v[82:83], v[80:81]
	v_fma_f64 v[84:85], -v[80:81], v[82:83], 1.0
	v_fma_f64 v[82:83], v[82:83], v[84:85], v[82:83]
	v_fma_f64 v[84:85], -v[80:81], v[82:83], 1.0
	v_fma_f64 v[82:83], v[82:83], v[84:85], v[82:83]
	v_div_scale_f64 v[84:85], vcc_lo, 1.0, v[78:79], 1.0
	v_mul_f64 v[87:88], v[84:85], v[82:83]
	v_fma_f64 v[80:81], -v[80:81], v[87:88], v[84:85]
	v_div_fmas_f64 v[80:81], v[80:81], v[82:83], v[87:88]
	v_div_fixup_f64 v[78:79], v[80:81], v[78:79], 1.0
	ds_write_b64 v1, v[78:79]
.LBB27_49:
	s_or_b32 exec_lo, exec_lo, s1
	s_waitcnt lgkmcnt(0)
	s_barrier
	buffer_gl0_inv
	ds_read_b64 v[78:79], v1
	s_mov_b32 s1, exec_lo
	v_cmpx_lt_u32_e32 9, v0
	s_cbranch_execz .LBB27_51
; %bb.50:
	s_waitcnt lgkmcnt(0)
	v_mul_f64 v[32:33], v[32:33], v[78:79]
	ds_read2_b64 v[80:83], v86 offset0:10 offset1:11
	ds_read2_b64 v[87:90], v86 offset0:12 offset1:13
	s_waitcnt lgkmcnt(1)
	v_fma_f64 v[34:35], -v[32:33], v[80:81], v[34:35]
	v_fma_f64 v[36:37], -v[32:33], v[82:83], v[36:37]
	s_waitcnt lgkmcnt(0)
	v_fma_f64 v[48:49], -v[32:33], v[87:88], v[48:49]
	v_fma_f64 v[50:51], -v[32:33], v[89:90], v[50:51]
.LBB27_51:
	s_or_b32 exec_lo, exec_lo, s1
	s_mov_b32 s1, exec_lo
	s_waitcnt lgkmcnt(0)
	s_barrier
	buffer_gl0_inv
	v_cmpx_eq_u32_e32 10, v0
	s_cbranch_execz .LBB27_54
; %bb.52:
	ds_write_b64 v1, v[34:35]
	ds_write2_b64 v86, v[36:37], v[48:49] offset0:11 offset1:12
	ds_write_b64 v86, v[50:51] offset:104
	ds_read_b64 v[80:81], v1
	s_waitcnt lgkmcnt(0)
	v_cmp_neq_f64_e32 vcc_lo, 0, v[80:81]
	s_and_b32 exec_lo, exec_lo, vcc_lo
	s_cbranch_execz .LBB27_54
; %bb.53:
	v_div_scale_f64 v[82:83], null, v[80:81], v[80:81], 1.0
	v_rcp_f64_e32 v[84:85], v[82:83]
	v_fma_f64 v[87:88], -v[82:83], v[84:85], 1.0
	v_fma_f64 v[84:85], v[84:85], v[87:88], v[84:85]
	v_fma_f64 v[87:88], -v[82:83], v[84:85], 1.0
	v_fma_f64 v[84:85], v[84:85], v[87:88], v[84:85]
	v_div_scale_f64 v[87:88], vcc_lo, 1.0, v[80:81], 1.0
	v_mul_f64 v[89:90], v[87:88], v[84:85]
	v_fma_f64 v[82:83], -v[82:83], v[89:90], v[87:88]
	v_div_fmas_f64 v[82:83], v[82:83], v[84:85], v[89:90]
	v_div_fixup_f64 v[80:81], v[82:83], v[80:81], 1.0
	ds_write_b64 v1, v[80:81]
.LBB27_54:
	s_or_b32 exec_lo, exec_lo, s1
	s_waitcnt lgkmcnt(0)
	s_barrier
	buffer_gl0_inv
	ds_read_b64 v[80:81], v1
	s_mov_b32 s1, exec_lo
	v_cmpx_lt_u32_e32 10, v0
	s_cbranch_execz .LBB27_56
; %bb.55:
	s_waitcnt lgkmcnt(0)
	v_mul_f64 v[34:35], v[34:35], v[80:81]
	ds_read2_b64 v[82:85], v86 offset0:11 offset1:12
	ds_read_b64 v[87:88], v86 offset:104
	s_waitcnt lgkmcnt(1)
	v_fma_f64 v[36:37], -v[34:35], v[82:83], v[36:37]
	v_fma_f64 v[48:49], -v[34:35], v[84:85], v[48:49]
	s_waitcnt lgkmcnt(0)
	v_fma_f64 v[50:51], -v[34:35], v[87:88], v[50:51]
.LBB27_56:
	s_or_b32 exec_lo, exec_lo, s1
	s_mov_b32 s1, exec_lo
	s_waitcnt lgkmcnt(0)
	s_barrier
	buffer_gl0_inv
	v_cmpx_eq_u32_e32 11, v0
	s_cbranch_execz .LBB27_59
; %bb.57:
	ds_write_b64 v1, v[36:37]
	ds_write2_b64 v86, v[48:49], v[50:51] offset0:12 offset1:13
	ds_read_b64 v[82:83], v1
	s_waitcnt lgkmcnt(0)
	v_cmp_neq_f64_e32 vcc_lo, 0, v[82:83]
	s_and_b32 exec_lo, exec_lo, vcc_lo
	s_cbranch_execz .LBB27_59
; %bb.58:
	v_div_scale_f64 v[84:85], null, v[82:83], v[82:83], 1.0
	v_rcp_f64_e32 v[87:88], v[84:85]
	v_fma_f64 v[89:90], -v[84:85], v[87:88], 1.0
	v_fma_f64 v[87:88], v[87:88], v[89:90], v[87:88]
	v_fma_f64 v[89:90], -v[84:85], v[87:88], 1.0
	v_fma_f64 v[87:88], v[87:88], v[89:90], v[87:88]
	v_div_scale_f64 v[89:90], vcc_lo, 1.0, v[82:83], 1.0
	v_mul_f64 v[91:92], v[89:90], v[87:88]
	v_fma_f64 v[84:85], -v[84:85], v[91:92], v[89:90]
	v_div_fmas_f64 v[84:85], v[84:85], v[87:88], v[91:92]
	v_div_fixup_f64 v[82:83], v[84:85], v[82:83], 1.0
	ds_write_b64 v1, v[82:83]
.LBB27_59:
	s_or_b32 exec_lo, exec_lo, s1
	s_waitcnt lgkmcnt(0)
	s_barrier
	buffer_gl0_inv
	ds_read_b64 v[82:83], v1
	s_mov_b32 s1, exec_lo
	v_cmpx_lt_u32_e32 11, v0
	s_cbranch_execz .LBB27_61
; %bb.60:
	s_waitcnt lgkmcnt(0)
	v_mul_f64 v[36:37], v[36:37], v[82:83]
	ds_read2_b64 v[87:90], v86 offset0:12 offset1:13
	s_waitcnt lgkmcnt(0)
	v_fma_f64 v[48:49], -v[36:37], v[87:88], v[48:49]
	v_fma_f64 v[50:51], -v[36:37], v[89:90], v[50:51]
.LBB27_61:
	s_or_b32 exec_lo, exec_lo, s1
	s_mov_b32 s1, exec_lo
	s_waitcnt lgkmcnt(0)
	s_barrier
	buffer_gl0_inv
	v_cmpx_eq_u32_e32 12, v0
	s_cbranch_execz .LBB27_64
; %bb.62:
	ds_write_b64 v1, v[48:49]
	ds_write_b64 v86, v[50:51] offset:104
	ds_read_b64 v[84:85], v1
	s_waitcnt lgkmcnt(0)
	v_cmp_neq_f64_e32 vcc_lo, 0, v[84:85]
	s_and_b32 exec_lo, exec_lo, vcc_lo
	s_cbranch_execz .LBB27_64
; %bb.63:
	v_div_scale_f64 v[87:88], null, v[84:85], v[84:85], 1.0
	v_rcp_f64_e32 v[89:90], v[87:88]
	v_fma_f64 v[91:92], -v[87:88], v[89:90], 1.0
	v_fma_f64 v[89:90], v[89:90], v[91:92], v[89:90]
	v_fma_f64 v[91:92], -v[87:88], v[89:90], 1.0
	v_fma_f64 v[89:90], v[89:90], v[91:92], v[89:90]
	v_div_scale_f64 v[91:92], vcc_lo, 1.0, v[84:85], 1.0
	v_mul_f64 v[93:94], v[91:92], v[89:90]
	v_fma_f64 v[87:88], -v[87:88], v[93:94], v[91:92]
	v_div_fmas_f64 v[87:88], v[87:88], v[89:90], v[93:94]
	v_div_fixup_f64 v[84:85], v[87:88], v[84:85], 1.0
	ds_write_b64 v1, v[84:85]
.LBB27_64:
	s_or_b32 exec_lo, exec_lo, s1
	s_waitcnt lgkmcnt(0)
	s_barrier
	buffer_gl0_inv
	ds_read_b64 v[84:85], v1
	s_mov_b32 s1, exec_lo
	v_cmpx_lt_u32_e32 12, v0
	s_cbranch_execz .LBB27_66
; %bb.65:
	s_waitcnt lgkmcnt(0)
	v_mul_f64 v[48:49], v[48:49], v[84:85]
	ds_read_b64 v[86:87], v86 offset:104
	s_waitcnt lgkmcnt(0)
	v_fma_f64 v[50:51], -v[48:49], v[86:87], v[50:51]
.LBB27_66:
	s_or_b32 exec_lo, exec_lo, s1
	s_mov_b32 s1, exec_lo
	s_waitcnt lgkmcnt(0)
	s_barrier
	buffer_gl0_inv
	v_cmpx_ne_u32_e32 13, v0
	s_xor_b32 s1, exec_lo, s1
	s_andn2_saveexec_b32 s1, s1
	s_cbranch_execz .LBB27_70
; %bb.67:
	s_mov_b32 s2, exec_lo
	ds_write_b64 v1, v[50:51]
	v_cmpx_neq_f64_e32 0, v[50:51]
	s_cbranch_execz .LBB27_69
; %bb.68:
	v_div_scale_f64 v[86:87], null, v[50:51], v[50:51], 1.0
	v_rcp_f64_e32 v[88:89], v[86:87]
	v_fma_f64 v[90:91], -v[86:87], v[88:89], 1.0
	v_fma_f64 v[88:89], v[88:89], v[90:91], v[88:89]
	v_fma_f64 v[90:91], -v[86:87], v[88:89], 1.0
	v_fma_f64 v[88:89], v[88:89], v[90:91], v[88:89]
	v_div_scale_f64 v[90:91], vcc_lo, 1.0, v[50:51], 1.0
	v_mul_f64 v[92:93], v[90:91], v[88:89]
	v_fma_f64 v[86:87], -v[86:87], v[92:93], v[90:91]
	v_div_fmas_f64 v[86:87], v[86:87], v[88:89], v[92:93]
	v_div_fixup_f64 v[86:87], v[86:87], v[50:51], 1.0
	ds_write_b64 v1, v[86:87]
.LBB27_69:
	s_or_b32 exec_lo, exec_lo, s2
.LBB27_70:
	s_or_b32 exec_lo, exec_lo, s1
	s_waitcnt lgkmcnt(0)
	s_barrier
	buffer_gl0_inv
	ds_read_b64 v[86:87], v1
	s_waitcnt lgkmcnt(0)
	s_barrier
	buffer_gl0_inv
	s_and_saveexec_b32 s3, s0
	s_cbranch_execz .LBB27_73
; %bb.71:
	s_load_dwordx2 s[0:1], s[4:5], 0x28
	v_lshlrev_b64 v[1:2], 2, v[2:3]
	v_cmp_eq_f64_e64 s2, 0, v[66:67]
	s_waitcnt lgkmcnt(0)
	v_add_co_u32 v1, vcc_lo, s0, v1
	v_add_co_ci_u32_e64 v2, null, s1, v2, vcc_lo
	v_cmp_eq_f64_e32 vcc_lo, 0, v[60:61]
	v_cmp_neq_f64_e64 s0, 0, v[62:63]
	v_cmp_eq_f64_e64 s1, 0, v[64:65]
	global_load_dword v88, v[1:2], off
	v_cndmask_b32_e64 v3, 0, 1, vcc_lo
	s_or_b32 vcc_lo, s0, vcc_lo
	v_cmp_eq_f64_e64 s0, 0, v[68:69]
	v_cndmask_b32_e32 v3, 2, v3, vcc_lo
	v_cmp_eq_u32_e32 vcc_lo, 0, v3
	s_and_b32 s1, s1, vcc_lo
	v_cndmask_b32_e64 v3, v3, 3, s1
	v_cmp_eq_f64_e64 s1, 0, v[70:71]
	v_cmp_eq_u32_e32 vcc_lo, 0, v3
	s_and_b32 s2, s2, vcc_lo
	v_cndmask_b32_e64 v3, v3, 4, s2
	v_cmp_eq_f64_e64 s2, 0, v[72:73]
	;; [unrolled: 4-line block ×9, first 2 shown]
	v_cmp_eq_u32_e32 vcc_lo, 0, v3
	s_and_b32 s1, s1, vcc_lo
	v_cndmask_b32_e64 v3, v3, 12, s1
	v_cmp_eq_u32_e32 vcc_lo, 0, v3
	s_and_b32 s1, s2, vcc_lo
	v_cndmask_b32_e64 v3, v3, 13, s1
	;; [unrolled: 3-line block ×3, first 2 shown]
	v_cmp_ne_u32_e64 s0, 0, v3
	s_waitcnt vmcnt(0)
	v_cmp_eq_u32_e32 vcc_lo, 0, v88
	s_and_b32 s0, vcc_lo, s0
	s_and_b32 exec_lo, exec_lo, s0
	s_cbranch_execz .LBB27_73
; %bb.72:
	v_add_nc_u32_e32 v3, s9, v3
	global_store_dword v[1:2], v3, off
.LBB27_73:
	s_or_b32 exec_lo, exec_lo, s3
	v_mul_f64 v[1:2], v[50:51], v[86:87]
	v_cmp_lt_u32_e32 vcc_lo, 13, v0
	flat_store_dwordx2 v[4:5], v[52:53]
	flat_store_dwordx2 v[46:47], v[54:55]
	;; [unrolled: 1-line block ×8, first 2 shown]
	v_cndmask_b32_e32 v2, v51, v2, vcc_lo
	v_cndmask_b32_e32 v1, v50, v1, vcc_lo
	flat_store_dwordx2 v[16:17], v[30:31]
	flat_store_dwordx2 v[20:21], v[32:33]
	;; [unrolled: 1-line block ×6, first 2 shown]
.LBB27_74:
	s_endpgm
	.section	.rodata,"a",@progbits
	.p2align	6, 0x0
	.amdhsa_kernel _ZN9rocsolver6v33100L23getf2_npvt_small_kernelILi14EdiiPKPdEEvT1_T3_lS5_lPT2_S5_S5_
		.amdhsa_group_segment_fixed_size 0
		.amdhsa_private_segment_fixed_size 0
		.amdhsa_kernarg_size 312
		.amdhsa_user_sgpr_count 6
		.amdhsa_user_sgpr_private_segment_buffer 1
		.amdhsa_user_sgpr_dispatch_ptr 0
		.amdhsa_user_sgpr_queue_ptr 0
		.amdhsa_user_sgpr_kernarg_segment_ptr 1
		.amdhsa_user_sgpr_dispatch_id 0
		.amdhsa_user_sgpr_flat_scratch_init 0
		.amdhsa_user_sgpr_private_segment_size 0
		.amdhsa_wavefront_size32 1
		.amdhsa_uses_dynamic_stack 0
		.amdhsa_system_sgpr_private_segment_wavefront_offset 0
		.amdhsa_system_sgpr_workgroup_id_x 1
		.amdhsa_system_sgpr_workgroup_id_y 1
		.amdhsa_system_sgpr_workgroup_id_z 0
		.amdhsa_system_sgpr_workgroup_info 0
		.amdhsa_system_vgpr_workitem_id 1
		.amdhsa_next_free_vgpr 95
		.amdhsa_next_free_sgpr 11
		.amdhsa_reserve_vcc 1
		.amdhsa_reserve_flat_scratch 1
		.amdhsa_float_round_mode_32 0
		.amdhsa_float_round_mode_16_64 0
		.amdhsa_float_denorm_mode_32 3
		.amdhsa_float_denorm_mode_16_64 3
		.amdhsa_dx10_clamp 1
		.amdhsa_ieee_mode 1
		.amdhsa_fp16_overflow 0
		.amdhsa_workgroup_processor_mode 1
		.amdhsa_memory_ordered 1
		.amdhsa_forward_progress 1
		.amdhsa_shared_vgpr_count 0
		.amdhsa_exception_fp_ieee_invalid_op 0
		.amdhsa_exception_fp_denorm_src 0
		.amdhsa_exception_fp_ieee_div_zero 0
		.amdhsa_exception_fp_ieee_overflow 0
		.amdhsa_exception_fp_ieee_underflow 0
		.amdhsa_exception_fp_ieee_inexact 0
		.amdhsa_exception_int_div_zero 0
	.end_amdhsa_kernel
	.section	.text._ZN9rocsolver6v33100L23getf2_npvt_small_kernelILi14EdiiPKPdEEvT1_T3_lS5_lPT2_S5_S5_,"axG",@progbits,_ZN9rocsolver6v33100L23getf2_npvt_small_kernelILi14EdiiPKPdEEvT1_T3_lS5_lPT2_S5_S5_,comdat
.Lfunc_end27:
	.size	_ZN9rocsolver6v33100L23getf2_npvt_small_kernelILi14EdiiPKPdEEvT1_T3_lS5_lPT2_S5_S5_, .Lfunc_end27-_ZN9rocsolver6v33100L23getf2_npvt_small_kernelILi14EdiiPKPdEEvT1_T3_lS5_lPT2_S5_S5_
                                        ; -- End function
	.set _ZN9rocsolver6v33100L23getf2_npvt_small_kernelILi14EdiiPKPdEEvT1_T3_lS5_lPT2_S5_S5_.num_vgpr, 95
	.set _ZN9rocsolver6v33100L23getf2_npvt_small_kernelILi14EdiiPKPdEEvT1_T3_lS5_lPT2_S5_S5_.num_agpr, 0
	.set _ZN9rocsolver6v33100L23getf2_npvt_small_kernelILi14EdiiPKPdEEvT1_T3_lS5_lPT2_S5_S5_.numbered_sgpr, 11
	.set _ZN9rocsolver6v33100L23getf2_npvt_small_kernelILi14EdiiPKPdEEvT1_T3_lS5_lPT2_S5_S5_.num_named_barrier, 0
	.set _ZN9rocsolver6v33100L23getf2_npvt_small_kernelILi14EdiiPKPdEEvT1_T3_lS5_lPT2_S5_S5_.private_seg_size, 0
	.set _ZN9rocsolver6v33100L23getf2_npvt_small_kernelILi14EdiiPKPdEEvT1_T3_lS5_lPT2_S5_S5_.uses_vcc, 1
	.set _ZN9rocsolver6v33100L23getf2_npvt_small_kernelILi14EdiiPKPdEEvT1_T3_lS5_lPT2_S5_S5_.uses_flat_scratch, 1
	.set _ZN9rocsolver6v33100L23getf2_npvt_small_kernelILi14EdiiPKPdEEvT1_T3_lS5_lPT2_S5_S5_.has_dyn_sized_stack, 0
	.set _ZN9rocsolver6v33100L23getf2_npvt_small_kernelILi14EdiiPKPdEEvT1_T3_lS5_lPT2_S5_S5_.has_recursion, 0
	.set _ZN9rocsolver6v33100L23getf2_npvt_small_kernelILi14EdiiPKPdEEvT1_T3_lS5_lPT2_S5_S5_.has_indirect_call, 0
	.section	.AMDGPU.csdata,"",@progbits
; Kernel info:
; codeLenInByte = 5880
; TotalNumSgprs: 13
; NumVgprs: 95
; ScratchSize: 0
; MemoryBound: 0
; FloatMode: 240
; IeeeMode: 1
; LDSByteSize: 0 bytes/workgroup (compile time only)
; SGPRBlocks: 0
; VGPRBlocks: 11
; NumSGPRsForWavesPerEU: 13
; NumVGPRsForWavesPerEU: 95
; Occupancy: 10
; WaveLimiterHint : 1
; COMPUTE_PGM_RSRC2:SCRATCH_EN: 0
; COMPUTE_PGM_RSRC2:USER_SGPR: 6
; COMPUTE_PGM_RSRC2:TRAP_HANDLER: 0
; COMPUTE_PGM_RSRC2:TGID_X_EN: 1
; COMPUTE_PGM_RSRC2:TGID_Y_EN: 1
; COMPUTE_PGM_RSRC2:TGID_Z_EN: 0
; COMPUTE_PGM_RSRC2:TIDIG_COMP_CNT: 1
	.section	.text._ZN9rocsolver6v33100L18getf2_small_kernelILi15EdiiPKPdEEvT1_T3_lS5_lPS5_llPT2_S5_S5_S7_l,"axG",@progbits,_ZN9rocsolver6v33100L18getf2_small_kernelILi15EdiiPKPdEEvT1_T3_lS5_lPS5_llPT2_S5_S5_S7_l,comdat
	.globl	_ZN9rocsolver6v33100L18getf2_small_kernelILi15EdiiPKPdEEvT1_T3_lS5_lPS5_llPT2_S5_S5_S7_l ; -- Begin function _ZN9rocsolver6v33100L18getf2_small_kernelILi15EdiiPKPdEEvT1_T3_lS5_lPS5_llPT2_S5_S5_S7_l
	.p2align	8
	.type	_ZN9rocsolver6v33100L18getf2_small_kernelILi15EdiiPKPdEEvT1_T3_lS5_lPS5_llPT2_S5_S5_S7_l,@function
_ZN9rocsolver6v33100L18getf2_small_kernelILi15EdiiPKPdEEvT1_T3_lS5_lPS5_llPT2_S5_S5_S7_l: ; @_ZN9rocsolver6v33100L18getf2_small_kernelILi15EdiiPKPdEEvT1_T3_lS5_lPS5_llPT2_S5_S5_S7_l
; %bb.0:
	s_clause 0x1
	s_load_dword s0, s[4:5], 0x6c
	s_load_dwordx2 s[12:13], s[4:5], 0x48
	s_waitcnt lgkmcnt(0)
	s_lshr_b32 s0, s0, 16
	v_mad_u64_u32 v[2:3], null, s7, s0, v[1:2]
	s_mov_b32 s0, exec_lo
	v_cmpx_gt_i32_e64 s12, v2
	s_cbranch_execz .LBB28_252
; %bb.1:
	s_clause 0x1
	s_load_dwordx4 s[0:3], s[4:5], 0x8
	s_load_dwordx4 s[8:11], s[4:5], 0x50
	v_ashrrev_i32_e32 v3, 31, v2
	v_mov_b32_e32 v32, 0
	v_mov_b32_e32 v33, 0
	v_lshlrev_b64 v[4:5], 3, v[2:3]
	s_waitcnt lgkmcnt(0)
	v_add_co_u32 v4, vcc_lo, s0, v4
	v_add_co_ci_u32_e64 v5, null, s1, v5, vcc_lo
	s_cmp_eq_u64 s[8:9], 0
	s_cselect_b32 s6, -1, 0
	global_load_dwordx2 v[4:5], v[4:5], off
	s_and_b32 vcc_lo, exec_lo, s6
	s_cbranch_vccnz .LBB28_3
; %bb.2:
	v_mul_lo_u32 v8, s11, v2
	v_mul_lo_u32 v9, s10, v3
	v_mad_u64_u32 v[6:7], null, s10, v2, 0
	v_add3_u32 v7, v7, v9, v8
	v_lshlrev_b64 v[6:7], 2, v[6:7]
	v_add_co_u32 v32, vcc_lo, s8, v6
	v_add_co_ci_u32_e64 v33, null, s9, v7, vcc_lo
.LBB28_3:
	s_load_dword s8, s[4:5], 0x18
	s_lshl_b64 s[0:1], s[2:3], 3
	s_load_dword s2, s[4:5], 0x0
	s_waitcnt vmcnt(0)
	v_add_co_u32 v40, vcc_lo, v4, s0
	v_lshlrev_b32_e32 v43, 3, v0
	v_add_co_ci_u32_e64 v41, null, s1, v5, vcc_lo
	v_add_co_u32 v8, vcc_lo, v40, v43
	v_add_co_ci_u32_e64 v9, null, 0, v41, vcc_lo
	s_waitcnt lgkmcnt(0)
	v_add3_u32 v6, s8, s8, v0
	s_ashr_i32 s9, s8, 31
	s_max_i32 s0, s2, 15
	s_lshl_b64 s[10:11], s[8:9], 3
	v_mul_lo_u32 v1, s0, v1
	v_add_nc_u32_e32 v4, s8, v6
	v_ashrrev_i32_e32 v7, 31, v6
	v_add_co_u32 v12, vcc_lo, v8, s10
	v_add_co_ci_u32_e64 v13, null, s11, v9, vcc_lo
	v_add_nc_u32_e32 v10, s8, v4
	v_ashrrev_i32_e32 v5, 31, v4
	v_lshlrev_b64 v[6:7], 3, v[6:7]
	v_lshl_add_u32 v42, v1, 3, 0
	s_cmp_lt_i32 s2, 2
	v_add_nc_u32_e32 v14, s8, v10
	v_ashrrev_i32_e32 v11, 31, v10
	v_lshlrev_b64 v[4:5], 3, v[4:5]
	v_add_co_u32 v6, vcc_lo, v40, v6
	v_add_nc_u32_e32 v16, s8, v14
	v_ashrrev_i32_e32 v15, 31, v14
	v_lshlrev_b64 v[10:11], 3, v[10:11]
	v_add_co_ci_u32_e64 v7, null, v41, v7, vcc_lo
	v_add_nc_u32_e32 v18, s8, v16
	v_add_co_u32 v4, vcc_lo, v40, v4
	v_lshlrev_b64 v[14:15], 3, v[14:15]
	v_add_co_ci_u32_e64 v5, null, v41, v5, vcc_lo
	v_ashrrev_i32_e32 v17, 31, v16
	s_clause 0x3
	flat_load_dwordx2 v[24:25], v[8:9]
	flat_load_dwordx2 v[20:21], v[12:13]
	;; [unrolled: 1-line block ×4, first 2 shown]
	v_add_co_u32 v6, vcc_lo, v40, v10
	v_ashrrev_i32_e32 v19, 31, v18
	v_add_nc_u32_e32 v10, s8, v18
	v_add_co_ci_u32_e64 v7, null, v41, v11, vcc_lo
	v_lshlrev_b64 v[8:9], 3, v[16:17]
	v_add_co_u32 v12, vcc_lo, v40, v14
	v_add_co_ci_u32_e64 v13, null, v41, v15, vcc_lo
	v_lshlrev_b64 v[14:15], 3, v[18:19]
	v_add_nc_u32_e32 v28, s8, v10
	v_add_co_u32 v8, vcc_lo, v40, v8
	v_add_co_ci_u32_e64 v9, null, v41, v9, vcc_lo
	v_add_nc_u32_e32 v30, s8, v28
	v_add_co_u32 v16, vcc_lo, v40, v14
	v_add_co_ci_u32_e64 v17, null, v41, v15, vcc_lo
	v_ashrrev_i32_e32 v29, 31, v28
	s_clause 0x3
	flat_load_dwordx2 v[26:27], v[6:7]
	flat_load_dwordx2 v[18:19], v[12:13]
	;; [unrolled: 1-line block ×4, first 2 shown]
	v_add_nc_u32_e32 v8, s8, v30
	v_ashrrev_i32_e32 v11, 31, v10
	v_ashrrev_i32_e32 v31, 31, v30
	v_lshlrev_b64 v[6:7], 3, v[28:29]
	v_add_nc_u32_e32 v28, s8, v8
	v_lshlrev_b64 v[10:11], 3, v[10:11]
	v_lshlrev_b64 v[12:13], 3, v[30:31]
	v_ashrrev_i32_e32 v9, 31, v8
	v_add_nc_u32_e32 v30, s8, v28
	v_ashrrev_i32_e32 v29, 31, v28
	v_add_co_u32 v10, vcc_lo, v40, v10
	v_lshlrev_b64 v[8:9], 3, v[8:9]
	v_add_nc_u32_e32 v34, s8, v30
	v_add_co_ci_u32_e64 v11, null, v41, v11, vcc_lo
	v_add_co_u32 v6, vcc_lo, v40, v6
	v_lshlrev_b64 v[28:29], 3, v[28:29]
	v_ashrrev_i32_e32 v31, 31, v30
	v_add_co_ci_u32_e64 v7, null, v41, v7, vcc_lo
	v_add_co_u32 v12, vcc_lo, v40, v12
	v_ashrrev_i32_e32 v35, 31, v34
	v_add_co_ci_u32_e64 v13, null, v41, v13, vcc_lo
	v_add_co_u32 v8, vcc_lo, v40, v8
	v_add_co_ci_u32_e64 v9, null, v41, v9, vcc_lo
	v_lshlrev_b64 v[30:31], 3, v[30:31]
	v_add_co_u32 v36, vcc_lo, v40, v28
	v_add_co_ci_u32_e64 v37, null, v41, v29, vcc_lo
	v_lshlrev_b64 v[28:29], 3, v[34:35]
	v_add_co_u32 v34, vcc_lo, v40, v30
	v_add_co_ci_u32_e64 v35, null, v41, v31, vcc_lo
	v_add_co_u32 v38, vcc_lo, v40, v28
	v_add_co_ci_u32_e64 v39, null, v41, v29, vcc_lo
	s_clause 0x6
	flat_load_dwordx2 v[30:31], v[10:11]
	flat_load_dwordx2 v[28:29], v[6:7]
	flat_load_dwordx2 v[6:7], v[12:13]
	flat_load_dwordx2 v[8:9], v[8:9]
	flat_load_dwordx2 v[10:11], v[36:37]
	flat_load_dwordx2 v[12:13], v[34:35]
	flat_load_dwordx2 v[34:35], v[38:39]
	v_add_nc_u32_e32 v36, v42, v43
	v_mov_b32_e32 v38, 0
	v_lshlrev_b32_e32 v43, 3, v1
	s_waitcnt vmcnt(14) lgkmcnt(14)
	ds_write_b64 v36, v[24:25]
	s_waitcnt vmcnt(0) lgkmcnt(0)
	s_barrier
	buffer_gl0_inv
	ds_read_b64 v[36:37], v42
	s_cbranch_scc1 .LBB28_6
; %bb.4:
	v_add3_u32 v1, v43, 0, 8
	v_mov_b32_e32 v38, 0
	s_mov_b32 s0, 1
.LBB28_5:                               ; =>This Inner Loop Header: Depth=1
	ds_read_b64 v[44:45], v1
	v_add_nc_u32_e32 v1, 8, v1
	s_waitcnt lgkmcnt(0)
	v_cmp_lt_f64_e64 vcc_lo, |v[36:37]|, |v[44:45]|
	v_cndmask_b32_e32 v37, v37, v45, vcc_lo
	v_cndmask_b32_e32 v36, v36, v44, vcc_lo
	v_cndmask_b32_e64 v38, v38, s0, vcc_lo
	s_add_i32 s0, s0, 1
	s_cmp_eq_u32 s2, s0
	s_cbranch_scc0 .LBB28_5
.LBB28_6:
	s_mov_b32 s0, exec_lo
                                        ; implicit-def: $vgpr44
	v_cmpx_ne_u32_e64 v0, v38
	s_xor_b32 s0, exec_lo, s0
	s_cbranch_execz .LBB28_12
; %bb.7:
	s_mov_b32 s1, exec_lo
	v_cmpx_eq_u32_e32 0, v0
	s_cbranch_execz .LBB28_11
; %bb.8:
	v_cmp_ne_u32_e32 vcc_lo, 0, v38
	s_xor_b32 s3, s6, -1
	s_and_b32 s7, s3, vcc_lo
	s_and_saveexec_b32 s3, s7
	s_cbranch_execz .LBB28_10
; %bb.9:
	v_ashrrev_i32_e32 v39, 31, v38
	v_lshlrev_b64 v[0:1], 2, v[38:39]
	v_add_co_u32 v0, vcc_lo, v32, v0
	v_add_co_ci_u32_e64 v1, null, v33, v1, vcc_lo
	s_clause 0x1
	global_load_dword v39, v[0:1], off
	global_load_dword v44, v[32:33], off
	s_waitcnt vmcnt(1)
	global_store_dword v[32:33], v39, off
	s_waitcnt vmcnt(0)
	global_store_dword v[0:1], v44, off
.LBB28_10:
	s_or_b32 exec_lo, exec_lo, s3
	v_mov_b32_e32 v0, v38
.LBB28_11:
	s_or_b32 exec_lo, exec_lo, s1
	v_mov_b32_e32 v44, v0
                                        ; implicit-def: $vgpr0
.LBB28_12:
	s_or_saveexec_b32 s0, s0
	v_mov_b32_e32 v38, v44
	s_xor_b32 exec_lo, exec_lo, s0
	s_cbranch_execz .LBB28_14
; %bb.13:
	v_mov_b32_e32 v44, 0
	v_mov_b32_e32 v38, v0
	ds_write2_b64 v42, v[20:21], v[22:23] offset0:1 offset1:2
	ds_write2_b64 v42, v[4:5], v[26:27] offset0:3 offset1:4
	;; [unrolled: 1-line block ×7, first 2 shown]
.LBB28_14:
	s_or_b32 exec_lo, exec_lo, s0
	s_waitcnt lgkmcnt(0)
	v_cmp_eq_f64_e64 s0, 0, v[36:37]
	s_mov_b32 s1, exec_lo
	s_waitcnt_vscnt null, 0x0
	s_barrier
	buffer_gl0_inv
	v_cmpx_lt_i32_e32 0, v44
	s_cbranch_execz .LBB28_16
; %bb.15:
	v_div_scale_f64 v[0:1], null, v[36:37], v[36:37], 1.0
	v_div_scale_f64 v[49:50], vcc_lo, 1.0, v[36:37], 1.0
	v_rcp_f64_e32 v[45:46], v[0:1]
	v_fma_f64 v[47:48], -v[0:1], v[45:46], 1.0
	v_fma_f64 v[45:46], v[45:46], v[47:48], v[45:46]
	v_fma_f64 v[47:48], -v[0:1], v[45:46], 1.0
	v_fma_f64 v[45:46], v[45:46], v[47:48], v[45:46]
	v_mul_f64 v[47:48], v[49:50], v[45:46]
	v_fma_f64 v[0:1], -v[0:1], v[47:48], v[49:50]
	v_div_fmas_f64 v[0:1], v[0:1], v[45:46], v[47:48]
	ds_read2_b64 v[45:48], v42 offset0:1 offset1:2
	ds_read2_b64 v[49:52], v42 offset0:3 offset1:4
	;; [unrolled: 1-line block ×7, first 2 shown]
	v_div_fixup_f64 v[0:1], v[0:1], v[36:37], 1.0
	v_cndmask_b32_e64 v1, v1, v37, s0
	v_cndmask_b32_e64 v0, v0, v36, s0
	v_mul_f64 v[24:25], v[24:25], v[0:1]
	s_waitcnt lgkmcnt(6)
	v_fma_f64 v[20:21], -v[24:25], v[45:46], v[20:21]
	v_fma_f64 v[22:23], -v[24:25], v[47:48], v[22:23]
	s_waitcnt lgkmcnt(5)
	v_fma_f64 v[4:5], -v[24:25], v[49:50], v[4:5]
	v_fma_f64 v[26:27], -v[24:25], v[51:52], v[26:27]
	;; [unrolled: 3-line block ×7, first 2 shown]
.LBB28_16:
	s_or_b32 exec_lo, exec_lo, s1
	v_lshl_add_u32 v0, v44, 3, v42
	s_barrier
	buffer_gl0_inv
	v_mov_b32_e32 v36, 1
	ds_write_b64 v0, v[20:21]
	s_waitcnt lgkmcnt(0)
	s_barrier
	buffer_gl0_inv
	ds_read_b64 v[0:1], v42 offset:8
	s_cmp_lt_i32 s2, 3
	s_cbranch_scc1 .LBB28_19
; %bb.17:
	v_add3_u32 v37, v43, 0, 16
	v_mov_b32_e32 v36, 1
	s_mov_b32 s1, 2
.LBB28_18:                              ; =>This Inner Loop Header: Depth=1
	ds_read_b64 v[45:46], v37
	v_add_nc_u32_e32 v37, 8, v37
	s_waitcnt lgkmcnt(0)
	v_cmp_lt_f64_e64 vcc_lo, |v[0:1]|, |v[45:46]|
	v_cndmask_b32_e32 v1, v1, v46, vcc_lo
	v_cndmask_b32_e32 v0, v0, v45, vcc_lo
	v_cndmask_b32_e64 v36, v36, s1, vcc_lo
	s_add_i32 s1, s1, 1
	s_cmp_lg_u32 s2, s1
	s_cbranch_scc1 .LBB28_18
.LBB28_19:
	s_mov_b32 s1, exec_lo
	v_cmpx_ne_u32_e64 v44, v36
	s_xor_b32 s1, exec_lo, s1
	s_cbranch_execz .LBB28_25
; %bb.20:
	s_mov_b32 s3, exec_lo
	v_cmpx_eq_u32_e32 1, v44
	s_cbranch_execz .LBB28_24
; %bb.21:
	v_cmp_ne_u32_e32 vcc_lo, 1, v36
	s_xor_b32 s7, s6, -1
	s_and_b32 s9, s7, vcc_lo
	s_and_saveexec_b32 s7, s9
	s_cbranch_execz .LBB28_23
; %bb.22:
	v_ashrrev_i32_e32 v37, 31, v36
	v_lshlrev_b64 v[37:38], 2, v[36:37]
	v_add_co_u32 v37, vcc_lo, v32, v37
	v_add_co_ci_u32_e64 v38, null, v33, v38, vcc_lo
	s_clause 0x1
	global_load_dword v39, v[37:38], off
	global_load_dword v44, v[32:33], off offset:4
	s_waitcnt vmcnt(1)
	global_store_dword v[32:33], v39, off offset:4
	s_waitcnt vmcnt(0)
	global_store_dword v[37:38], v44, off
.LBB28_23:
	s_or_b32 exec_lo, exec_lo, s7
	v_mov_b32_e32 v38, v36
	v_mov_b32_e32 v44, v36
.LBB28_24:
	s_or_b32 exec_lo, exec_lo, s3
.LBB28_25:
	s_andn2_saveexec_b32 s1, s1
	s_cbranch_execz .LBB28_27
; %bb.26:
	v_mov_b32_e32 v44, 1
	ds_write2_b64 v42, v[22:23], v[4:5] offset0:2 offset1:3
	ds_write2_b64 v42, v[26:27], v[18:19] offset0:4 offset1:5
	;; [unrolled: 1-line block ×6, first 2 shown]
	ds_write_b64 v42, v[34:35] offset:112
.LBB28_27:
	s_or_b32 exec_lo, exec_lo, s1
	s_waitcnt lgkmcnt(0)
	v_cmp_neq_f64_e64 s1, 0, v[0:1]
	s_mov_b32 s3, exec_lo
	s_waitcnt_vscnt null, 0x0
	s_barrier
	buffer_gl0_inv
	v_cmpx_lt_i32_e32 1, v44
	s_cbranch_execz .LBB28_29
; %bb.28:
	v_div_scale_f64 v[36:37], null, v[0:1], v[0:1], 1.0
	v_div_scale_f64 v[49:50], vcc_lo, 1.0, v[0:1], 1.0
	v_rcp_f64_e32 v[45:46], v[36:37]
	v_fma_f64 v[47:48], -v[36:37], v[45:46], 1.0
	v_fma_f64 v[45:46], v[45:46], v[47:48], v[45:46]
	v_fma_f64 v[47:48], -v[36:37], v[45:46], 1.0
	v_fma_f64 v[45:46], v[45:46], v[47:48], v[45:46]
	v_mul_f64 v[47:48], v[49:50], v[45:46]
	v_fma_f64 v[36:37], -v[36:37], v[47:48], v[49:50]
	v_div_fmas_f64 v[36:37], v[36:37], v[45:46], v[47:48]
	v_div_fixup_f64 v[36:37], v[36:37], v[0:1], 1.0
	v_cndmask_b32_e64 v1, v1, v37, s1
	v_cndmask_b32_e64 v0, v0, v36, s1
	v_mul_f64 v[20:21], v[20:21], v[0:1]
	ds_read2_b64 v[45:48], v42 offset0:2 offset1:3
	ds_read2_b64 v[49:52], v42 offset0:4 offset1:5
	;; [unrolled: 1-line block ×6, first 2 shown]
	ds_read_b64 v[0:1], v42 offset:112
	s_waitcnt lgkmcnt(6)
	v_fma_f64 v[22:23], -v[20:21], v[45:46], v[22:23]
	v_fma_f64 v[4:5], -v[20:21], v[47:48], v[4:5]
	s_waitcnt lgkmcnt(5)
	v_fma_f64 v[26:27], -v[20:21], v[49:50], v[26:27]
	v_fma_f64 v[18:19], -v[20:21], v[51:52], v[18:19]
	;; [unrolled: 3-line block ×6, first 2 shown]
	s_waitcnt lgkmcnt(0)
	v_fma_f64 v[34:35], -v[20:21], v[0:1], v[34:35]
.LBB28_29:
	s_or_b32 exec_lo, exec_lo, s3
	v_lshl_add_u32 v0, v44, 3, v42
	s_barrier
	buffer_gl0_inv
	v_mov_b32_e32 v36, 2
	ds_write_b64 v0, v[22:23]
	s_waitcnt lgkmcnt(0)
	s_barrier
	buffer_gl0_inv
	ds_read_b64 v[0:1], v42 offset:16
	s_cmp_lt_i32 s2, 4
	s_mov_b32 s3, 3
	s_cbranch_scc1 .LBB28_32
; %bb.30:
	v_add3_u32 v37, v43, 0, 24
	v_mov_b32_e32 v36, 2
.LBB28_31:                              ; =>This Inner Loop Header: Depth=1
	ds_read_b64 v[45:46], v37
	v_add_nc_u32_e32 v37, 8, v37
	s_waitcnt lgkmcnt(0)
	v_cmp_lt_f64_e64 vcc_lo, |v[0:1]|, |v[45:46]|
	v_cndmask_b32_e32 v1, v1, v46, vcc_lo
	v_cndmask_b32_e32 v0, v0, v45, vcc_lo
	v_cndmask_b32_e64 v36, v36, s3, vcc_lo
	s_add_i32 s3, s3, 1
	s_cmp_lg_u32 s2, s3
	s_cbranch_scc1 .LBB28_31
.LBB28_32:
	v_cndmask_b32_e64 v37, 2, 1, s0
	v_cndmask_b32_e64 v39, 0, 1, s0
	s_mov_b32 s0, exec_lo
	v_cndmask_b32_e64 v39, v37, v39, s1
	s_waitcnt lgkmcnt(0)
	v_cmpx_eq_f64_e32 0, v[0:1]
	s_xor_b32 s0, exec_lo, s0
; %bb.33:
	v_cmp_ne_u32_e32 vcc_lo, 0, v39
	v_cndmask_b32_e32 v39, 3, v39, vcc_lo
; %bb.34:
	s_andn2_saveexec_b32 s0, s0
	s_cbranch_execz .LBB28_36
; %bb.35:
	v_div_scale_f64 v[45:46], null, v[0:1], v[0:1], 1.0
	v_rcp_f64_e32 v[47:48], v[45:46]
	v_fma_f64 v[49:50], -v[45:46], v[47:48], 1.0
	v_fma_f64 v[47:48], v[47:48], v[49:50], v[47:48]
	v_fma_f64 v[49:50], -v[45:46], v[47:48], 1.0
	v_fma_f64 v[47:48], v[47:48], v[49:50], v[47:48]
	v_div_scale_f64 v[49:50], vcc_lo, 1.0, v[0:1], 1.0
	v_mul_f64 v[51:52], v[49:50], v[47:48]
	v_fma_f64 v[45:46], -v[45:46], v[51:52], v[49:50]
	v_div_fmas_f64 v[45:46], v[45:46], v[47:48], v[51:52]
	v_div_fixup_f64 v[0:1], v[45:46], v[0:1], 1.0
.LBB28_36:
	s_or_b32 exec_lo, exec_lo, s0
	s_mov_b32 s0, exec_lo
	v_cmpx_ne_u32_e64 v44, v36
	s_xor_b32 s0, exec_lo, s0
	s_cbranch_execz .LBB28_42
; %bb.37:
	s_mov_b32 s1, exec_lo
	v_cmpx_eq_u32_e32 2, v44
	s_cbranch_execz .LBB28_41
; %bb.38:
	v_cmp_ne_u32_e32 vcc_lo, 2, v36
	s_xor_b32 s3, s6, -1
	s_and_b32 s7, s3, vcc_lo
	s_and_saveexec_b32 s3, s7
	s_cbranch_execz .LBB28_40
; %bb.39:
	v_ashrrev_i32_e32 v37, 31, v36
	v_lshlrev_b64 v[37:38], 2, v[36:37]
	v_add_co_u32 v37, vcc_lo, v32, v37
	v_add_co_ci_u32_e64 v38, null, v33, v38, vcc_lo
	s_clause 0x1
	global_load_dword v44, v[37:38], off
	global_load_dword v45, v[32:33], off offset:8
	s_waitcnt vmcnt(1)
	global_store_dword v[32:33], v44, off offset:8
	s_waitcnt vmcnt(0)
	global_store_dword v[37:38], v45, off
.LBB28_40:
	s_or_b32 exec_lo, exec_lo, s3
	v_mov_b32_e32 v38, v36
	v_mov_b32_e32 v44, v36
.LBB28_41:
	s_or_b32 exec_lo, exec_lo, s1
.LBB28_42:
	s_andn2_saveexec_b32 s0, s0
	s_cbranch_execz .LBB28_44
; %bb.43:
	v_mov_b32_e32 v44, 2
	ds_write2_b64 v42, v[4:5], v[26:27] offset0:3 offset1:4
	ds_write2_b64 v42, v[18:19], v[14:15] offset0:5 offset1:6
	;; [unrolled: 1-line block ×6, first 2 shown]
.LBB28_44:
	s_or_b32 exec_lo, exec_lo, s0
	s_mov_b32 s0, exec_lo
	s_waitcnt lgkmcnt(0)
	s_waitcnt_vscnt null, 0x0
	s_barrier
	buffer_gl0_inv
	v_cmpx_lt_i32_e32 2, v44
	s_cbranch_execz .LBB28_46
; %bb.45:
	v_mul_f64 v[22:23], v[22:23], v[0:1]
	ds_read2_b64 v[45:48], v42 offset0:3 offset1:4
	ds_read2_b64 v[49:52], v42 offset0:5 offset1:6
	;; [unrolled: 1-line block ×6, first 2 shown]
	s_waitcnt lgkmcnt(5)
	v_fma_f64 v[4:5], -v[22:23], v[45:46], v[4:5]
	v_fma_f64 v[26:27], -v[22:23], v[47:48], v[26:27]
	s_waitcnt lgkmcnt(4)
	v_fma_f64 v[18:19], -v[22:23], v[49:50], v[18:19]
	v_fma_f64 v[14:15], -v[22:23], v[51:52], v[14:15]
	;; [unrolled: 3-line block ×6, first 2 shown]
.LBB28_46:
	s_or_b32 exec_lo, exec_lo, s0
	v_lshl_add_u32 v0, v44, 3, v42
	s_barrier
	buffer_gl0_inv
	v_mov_b32_e32 v36, 3
	ds_write_b64 v0, v[4:5]
	s_waitcnt lgkmcnt(0)
	s_barrier
	buffer_gl0_inv
	ds_read_b64 v[0:1], v42 offset:24
	s_cmp_lt_i32 s2, 5
	s_cbranch_scc1 .LBB28_49
; %bb.47:
	v_mov_b32_e32 v36, 3
	v_add3_u32 v37, v43, 0, 32
	s_mov_b32 s0, 4
.LBB28_48:                              ; =>This Inner Loop Header: Depth=1
	ds_read_b64 v[45:46], v37
	v_add_nc_u32_e32 v37, 8, v37
	s_waitcnt lgkmcnt(0)
	v_cmp_lt_f64_e64 vcc_lo, |v[0:1]|, |v[45:46]|
	v_cndmask_b32_e32 v1, v1, v46, vcc_lo
	v_cndmask_b32_e32 v0, v0, v45, vcc_lo
	v_cndmask_b32_e64 v36, v36, s0, vcc_lo
	s_add_i32 s0, s0, 1
	s_cmp_lg_u32 s2, s0
	s_cbranch_scc1 .LBB28_48
.LBB28_49:
	s_mov_b32 s0, exec_lo
	s_waitcnt lgkmcnt(0)
	v_cmpx_eq_f64_e32 0, v[0:1]
	s_xor_b32 s0, exec_lo, s0
; %bb.50:
	v_cmp_ne_u32_e32 vcc_lo, 0, v39
	v_cndmask_b32_e32 v39, 4, v39, vcc_lo
; %bb.51:
	s_andn2_saveexec_b32 s0, s0
	s_cbranch_execz .LBB28_53
; %bb.52:
	v_div_scale_f64 v[45:46], null, v[0:1], v[0:1], 1.0
	v_rcp_f64_e32 v[47:48], v[45:46]
	v_fma_f64 v[49:50], -v[45:46], v[47:48], 1.0
	v_fma_f64 v[47:48], v[47:48], v[49:50], v[47:48]
	v_fma_f64 v[49:50], -v[45:46], v[47:48], 1.0
	v_fma_f64 v[47:48], v[47:48], v[49:50], v[47:48]
	v_div_scale_f64 v[49:50], vcc_lo, 1.0, v[0:1], 1.0
	v_mul_f64 v[51:52], v[49:50], v[47:48]
	v_fma_f64 v[45:46], -v[45:46], v[51:52], v[49:50]
	v_div_fmas_f64 v[45:46], v[45:46], v[47:48], v[51:52]
	v_div_fixup_f64 v[0:1], v[45:46], v[0:1], 1.0
.LBB28_53:
	s_or_b32 exec_lo, exec_lo, s0
	s_mov_b32 s0, exec_lo
	v_cmpx_ne_u32_e64 v44, v36
	s_xor_b32 s0, exec_lo, s0
	s_cbranch_execz .LBB28_59
; %bb.54:
	s_mov_b32 s1, exec_lo
	v_cmpx_eq_u32_e32 3, v44
	s_cbranch_execz .LBB28_58
; %bb.55:
	v_cmp_ne_u32_e32 vcc_lo, 3, v36
	s_xor_b32 s3, s6, -1
	s_and_b32 s7, s3, vcc_lo
	s_and_saveexec_b32 s3, s7
	s_cbranch_execz .LBB28_57
; %bb.56:
	v_ashrrev_i32_e32 v37, 31, v36
	v_lshlrev_b64 v[37:38], 2, v[36:37]
	v_add_co_u32 v37, vcc_lo, v32, v37
	v_add_co_ci_u32_e64 v38, null, v33, v38, vcc_lo
	s_clause 0x1
	global_load_dword v44, v[37:38], off
	global_load_dword v45, v[32:33], off offset:12
	s_waitcnt vmcnt(1)
	global_store_dword v[32:33], v44, off offset:12
	s_waitcnt vmcnt(0)
	global_store_dword v[37:38], v45, off
.LBB28_57:
	s_or_b32 exec_lo, exec_lo, s3
	v_mov_b32_e32 v38, v36
	v_mov_b32_e32 v44, v36
.LBB28_58:
	s_or_b32 exec_lo, exec_lo, s1
.LBB28_59:
	s_andn2_saveexec_b32 s0, s0
	s_cbranch_execz .LBB28_61
; %bb.60:
	v_mov_b32_e32 v44, 3
	ds_write2_b64 v42, v[26:27], v[18:19] offset0:4 offset1:5
	ds_write2_b64 v42, v[14:15], v[16:17] offset0:6 offset1:7
	;; [unrolled: 1-line block ×5, first 2 shown]
	ds_write_b64 v42, v[34:35] offset:112
.LBB28_61:
	s_or_b32 exec_lo, exec_lo, s0
	s_mov_b32 s0, exec_lo
	s_waitcnt lgkmcnt(0)
	s_waitcnt_vscnt null, 0x0
	s_barrier
	buffer_gl0_inv
	v_cmpx_lt_i32_e32 3, v44
	s_cbranch_execz .LBB28_63
; %bb.62:
	v_mul_f64 v[4:5], v[4:5], v[0:1]
	ds_read2_b64 v[45:48], v42 offset0:4 offset1:5
	ds_read2_b64 v[49:52], v42 offset0:6 offset1:7
	;; [unrolled: 1-line block ×5, first 2 shown]
	ds_read_b64 v[0:1], v42 offset:112
	s_waitcnt lgkmcnt(5)
	v_fma_f64 v[26:27], -v[4:5], v[45:46], v[26:27]
	v_fma_f64 v[18:19], -v[4:5], v[47:48], v[18:19]
	s_waitcnt lgkmcnt(4)
	v_fma_f64 v[14:15], -v[4:5], v[49:50], v[14:15]
	v_fma_f64 v[16:17], -v[4:5], v[51:52], v[16:17]
	;; [unrolled: 3-line block ×5, first 2 shown]
	s_waitcnt lgkmcnt(0)
	v_fma_f64 v[34:35], -v[4:5], v[0:1], v[34:35]
.LBB28_63:
	s_or_b32 exec_lo, exec_lo, s0
	v_lshl_add_u32 v0, v44, 3, v42
	s_barrier
	buffer_gl0_inv
	v_mov_b32_e32 v36, 4
	ds_write_b64 v0, v[26:27]
	s_waitcnt lgkmcnt(0)
	s_barrier
	buffer_gl0_inv
	ds_read_b64 v[0:1], v42 offset:32
	s_cmp_lt_i32 s2, 6
	s_cbranch_scc1 .LBB28_66
; %bb.64:
	v_add3_u32 v37, v43, 0, 40
	v_mov_b32_e32 v36, 4
	s_mov_b32 s0, 5
.LBB28_65:                              ; =>This Inner Loop Header: Depth=1
	ds_read_b64 v[45:46], v37
	v_add_nc_u32_e32 v37, 8, v37
	s_waitcnt lgkmcnt(0)
	v_cmp_lt_f64_e64 vcc_lo, |v[0:1]|, |v[45:46]|
	v_cndmask_b32_e32 v1, v1, v46, vcc_lo
	v_cndmask_b32_e32 v0, v0, v45, vcc_lo
	v_cndmask_b32_e64 v36, v36, s0, vcc_lo
	s_add_i32 s0, s0, 1
	s_cmp_lg_u32 s2, s0
	s_cbranch_scc1 .LBB28_65
.LBB28_66:
	s_mov_b32 s0, exec_lo
	s_waitcnt lgkmcnt(0)
	v_cmpx_eq_f64_e32 0, v[0:1]
	s_xor_b32 s0, exec_lo, s0
; %bb.67:
	v_cmp_ne_u32_e32 vcc_lo, 0, v39
	v_cndmask_b32_e32 v39, 5, v39, vcc_lo
; %bb.68:
	s_andn2_saveexec_b32 s0, s0
	s_cbranch_execz .LBB28_70
; %bb.69:
	v_div_scale_f64 v[45:46], null, v[0:1], v[0:1], 1.0
	v_rcp_f64_e32 v[47:48], v[45:46]
	v_fma_f64 v[49:50], -v[45:46], v[47:48], 1.0
	v_fma_f64 v[47:48], v[47:48], v[49:50], v[47:48]
	v_fma_f64 v[49:50], -v[45:46], v[47:48], 1.0
	v_fma_f64 v[47:48], v[47:48], v[49:50], v[47:48]
	v_div_scale_f64 v[49:50], vcc_lo, 1.0, v[0:1], 1.0
	v_mul_f64 v[51:52], v[49:50], v[47:48]
	v_fma_f64 v[45:46], -v[45:46], v[51:52], v[49:50]
	v_div_fmas_f64 v[45:46], v[45:46], v[47:48], v[51:52]
	v_div_fixup_f64 v[0:1], v[45:46], v[0:1], 1.0
.LBB28_70:
	s_or_b32 exec_lo, exec_lo, s0
	s_mov_b32 s0, exec_lo
	v_cmpx_ne_u32_e64 v44, v36
	s_xor_b32 s0, exec_lo, s0
	s_cbranch_execz .LBB28_76
; %bb.71:
	s_mov_b32 s1, exec_lo
	v_cmpx_eq_u32_e32 4, v44
	s_cbranch_execz .LBB28_75
; %bb.72:
	v_cmp_ne_u32_e32 vcc_lo, 4, v36
	s_xor_b32 s3, s6, -1
	s_and_b32 s7, s3, vcc_lo
	s_and_saveexec_b32 s3, s7
	s_cbranch_execz .LBB28_74
; %bb.73:
	v_ashrrev_i32_e32 v37, 31, v36
	v_lshlrev_b64 v[37:38], 2, v[36:37]
	v_add_co_u32 v37, vcc_lo, v32, v37
	v_add_co_ci_u32_e64 v38, null, v33, v38, vcc_lo
	s_clause 0x1
	global_load_dword v44, v[37:38], off
	global_load_dword v45, v[32:33], off offset:16
	s_waitcnt vmcnt(1)
	global_store_dword v[32:33], v44, off offset:16
	s_waitcnt vmcnt(0)
	global_store_dword v[37:38], v45, off
.LBB28_74:
	s_or_b32 exec_lo, exec_lo, s3
	v_mov_b32_e32 v38, v36
	v_mov_b32_e32 v44, v36
.LBB28_75:
	s_or_b32 exec_lo, exec_lo, s1
.LBB28_76:
	s_andn2_saveexec_b32 s0, s0
	s_cbranch_execz .LBB28_78
; %bb.77:
	v_mov_b32_e32 v44, 4
	ds_write2_b64 v42, v[18:19], v[14:15] offset0:5 offset1:6
	ds_write2_b64 v42, v[16:17], v[30:31] offset0:7 offset1:8
	;; [unrolled: 1-line block ×5, first 2 shown]
.LBB28_78:
	s_or_b32 exec_lo, exec_lo, s0
	s_mov_b32 s0, exec_lo
	s_waitcnt lgkmcnt(0)
	s_waitcnt_vscnt null, 0x0
	s_barrier
	buffer_gl0_inv
	v_cmpx_lt_i32_e32 4, v44
	s_cbranch_execz .LBB28_80
; %bb.79:
	v_mul_f64 v[26:27], v[26:27], v[0:1]
	ds_read2_b64 v[45:48], v42 offset0:5 offset1:6
	ds_read2_b64 v[49:52], v42 offset0:7 offset1:8
	;; [unrolled: 1-line block ×5, first 2 shown]
	s_waitcnt lgkmcnt(4)
	v_fma_f64 v[18:19], -v[26:27], v[45:46], v[18:19]
	v_fma_f64 v[14:15], -v[26:27], v[47:48], v[14:15]
	s_waitcnt lgkmcnt(3)
	v_fma_f64 v[16:17], -v[26:27], v[49:50], v[16:17]
	v_fma_f64 v[30:31], -v[26:27], v[51:52], v[30:31]
	;; [unrolled: 3-line block ×5, first 2 shown]
.LBB28_80:
	s_or_b32 exec_lo, exec_lo, s0
	v_lshl_add_u32 v0, v44, 3, v42
	s_barrier
	buffer_gl0_inv
	v_mov_b32_e32 v36, 5
	ds_write_b64 v0, v[18:19]
	s_waitcnt lgkmcnt(0)
	s_barrier
	buffer_gl0_inv
	ds_read_b64 v[0:1], v42 offset:40
	s_cmp_lt_i32 s2, 7
	s_cbranch_scc1 .LBB28_83
; %bb.81:
	v_add3_u32 v37, v43, 0, 48
	v_mov_b32_e32 v36, 5
	s_mov_b32 s0, 6
.LBB28_82:                              ; =>This Inner Loop Header: Depth=1
	ds_read_b64 v[45:46], v37
	v_add_nc_u32_e32 v37, 8, v37
	s_waitcnt lgkmcnt(0)
	v_cmp_lt_f64_e64 vcc_lo, |v[0:1]|, |v[45:46]|
	v_cndmask_b32_e32 v1, v1, v46, vcc_lo
	v_cndmask_b32_e32 v0, v0, v45, vcc_lo
	v_cndmask_b32_e64 v36, v36, s0, vcc_lo
	s_add_i32 s0, s0, 1
	s_cmp_lg_u32 s2, s0
	s_cbranch_scc1 .LBB28_82
.LBB28_83:
	s_mov_b32 s0, exec_lo
	s_waitcnt lgkmcnt(0)
	v_cmpx_eq_f64_e32 0, v[0:1]
	s_xor_b32 s0, exec_lo, s0
; %bb.84:
	v_cmp_ne_u32_e32 vcc_lo, 0, v39
	v_cndmask_b32_e32 v39, 6, v39, vcc_lo
; %bb.85:
	s_andn2_saveexec_b32 s0, s0
	s_cbranch_execz .LBB28_87
; %bb.86:
	v_div_scale_f64 v[45:46], null, v[0:1], v[0:1], 1.0
	v_rcp_f64_e32 v[47:48], v[45:46]
	v_fma_f64 v[49:50], -v[45:46], v[47:48], 1.0
	v_fma_f64 v[47:48], v[47:48], v[49:50], v[47:48]
	v_fma_f64 v[49:50], -v[45:46], v[47:48], 1.0
	v_fma_f64 v[47:48], v[47:48], v[49:50], v[47:48]
	v_div_scale_f64 v[49:50], vcc_lo, 1.0, v[0:1], 1.0
	v_mul_f64 v[51:52], v[49:50], v[47:48]
	v_fma_f64 v[45:46], -v[45:46], v[51:52], v[49:50]
	v_div_fmas_f64 v[45:46], v[45:46], v[47:48], v[51:52]
	v_div_fixup_f64 v[0:1], v[45:46], v[0:1], 1.0
.LBB28_87:
	s_or_b32 exec_lo, exec_lo, s0
	s_mov_b32 s0, exec_lo
	v_cmpx_ne_u32_e64 v44, v36
	s_xor_b32 s0, exec_lo, s0
	s_cbranch_execz .LBB28_93
; %bb.88:
	s_mov_b32 s1, exec_lo
	v_cmpx_eq_u32_e32 5, v44
	s_cbranch_execz .LBB28_92
; %bb.89:
	v_cmp_ne_u32_e32 vcc_lo, 5, v36
	s_xor_b32 s3, s6, -1
	s_and_b32 s7, s3, vcc_lo
	s_and_saveexec_b32 s3, s7
	s_cbranch_execz .LBB28_91
; %bb.90:
	v_ashrrev_i32_e32 v37, 31, v36
	v_lshlrev_b64 v[37:38], 2, v[36:37]
	v_add_co_u32 v37, vcc_lo, v32, v37
	v_add_co_ci_u32_e64 v38, null, v33, v38, vcc_lo
	s_clause 0x1
	global_load_dword v44, v[37:38], off
	global_load_dword v45, v[32:33], off offset:20
	s_waitcnt vmcnt(1)
	global_store_dword v[32:33], v44, off offset:20
	s_waitcnt vmcnt(0)
	global_store_dword v[37:38], v45, off
.LBB28_91:
	s_or_b32 exec_lo, exec_lo, s3
	v_mov_b32_e32 v38, v36
	v_mov_b32_e32 v44, v36
.LBB28_92:
	s_or_b32 exec_lo, exec_lo, s1
.LBB28_93:
	s_andn2_saveexec_b32 s0, s0
	s_cbranch_execz .LBB28_95
; %bb.94:
	v_mov_b32_e32 v44, 5
	ds_write2_b64 v42, v[14:15], v[16:17] offset0:6 offset1:7
	ds_write2_b64 v42, v[30:31], v[28:29] offset0:8 offset1:9
	ds_write2_b64 v42, v[6:7], v[8:9] offset0:10 offset1:11
	ds_write2_b64 v42, v[10:11], v[12:13] offset0:12 offset1:13
	ds_write_b64 v42, v[34:35] offset:112
.LBB28_95:
	s_or_b32 exec_lo, exec_lo, s0
	s_mov_b32 s0, exec_lo
	s_waitcnt lgkmcnt(0)
	s_waitcnt_vscnt null, 0x0
	s_barrier
	buffer_gl0_inv
	v_cmpx_lt_i32_e32 5, v44
	s_cbranch_execz .LBB28_97
; %bb.96:
	v_mul_f64 v[18:19], v[18:19], v[0:1]
	ds_read2_b64 v[45:48], v42 offset0:6 offset1:7
	ds_read2_b64 v[49:52], v42 offset0:8 offset1:9
	;; [unrolled: 1-line block ×4, first 2 shown]
	ds_read_b64 v[0:1], v42 offset:112
	s_waitcnt lgkmcnt(4)
	v_fma_f64 v[14:15], -v[18:19], v[45:46], v[14:15]
	v_fma_f64 v[16:17], -v[18:19], v[47:48], v[16:17]
	s_waitcnt lgkmcnt(3)
	v_fma_f64 v[30:31], -v[18:19], v[49:50], v[30:31]
	v_fma_f64 v[28:29], -v[18:19], v[51:52], v[28:29]
	;; [unrolled: 3-line block ×4, first 2 shown]
	s_waitcnt lgkmcnt(0)
	v_fma_f64 v[34:35], -v[18:19], v[0:1], v[34:35]
.LBB28_97:
	s_or_b32 exec_lo, exec_lo, s0
	v_lshl_add_u32 v0, v44, 3, v42
	s_barrier
	buffer_gl0_inv
	v_mov_b32_e32 v36, 6
	ds_write_b64 v0, v[14:15]
	s_waitcnt lgkmcnt(0)
	s_barrier
	buffer_gl0_inv
	ds_read_b64 v[0:1], v42 offset:48
	s_cmp_lt_i32 s2, 8
	s_cbranch_scc1 .LBB28_100
; %bb.98:
	v_add3_u32 v37, v43, 0, 56
	v_mov_b32_e32 v36, 6
	s_mov_b32 s0, 7
.LBB28_99:                              ; =>This Inner Loop Header: Depth=1
	ds_read_b64 v[45:46], v37
	v_add_nc_u32_e32 v37, 8, v37
	s_waitcnt lgkmcnt(0)
	v_cmp_lt_f64_e64 vcc_lo, |v[0:1]|, |v[45:46]|
	v_cndmask_b32_e32 v1, v1, v46, vcc_lo
	v_cndmask_b32_e32 v0, v0, v45, vcc_lo
	v_cndmask_b32_e64 v36, v36, s0, vcc_lo
	s_add_i32 s0, s0, 1
	s_cmp_lg_u32 s2, s0
	s_cbranch_scc1 .LBB28_99
.LBB28_100:
	s_mov_b32 s0, exec_lo
	s_waitcnt lgkmcnt(0)
	v_cmpx_eq_f64_e32 0, v[0:1]
	s_xor_b32 s0, exec_lo, s0
; %bb.101:
	v_cmp_ne_u32_e32 vcc_lo, 0, v39
	v_cndmask_b32_e32 v39, 7, v39, vcc_lo
; %bb.102:
	s_andn2_saveexec_b32 s0, s0
	s_cbranch_execz .LBB28_104
; %bb.103:
	v_div_scale_f64 v[45:46], null, v[0:1], v[0:1], 1.0
	v_rcp_f64_e32 v[47:48], v[45:46]
	v_fma_f64 v[49:50], -v[45:46], v[47:48], 1.0
	v_fma_f64 v[47:48], v[47:48], v[49:50], v[47:48]
	v_fma_f64 v[49:50], -v[45:46], v[47:48], 1.0
	v_fma_f64 v[47:48], v[47:48], v[49:50], v[47:48]
	v_div_scale_f64 v[49:50], vcc_lo, 1.0, v[0:1], 1.0
	v_mul_f64 v[51:52], v[49:50], v[47:48]
	v_fma_f64 v[45:46], -v[45:46], v[51:52], v[49:50]
	v_div_fmas_f64 v[45:46], v[45:46], v[47:48], v[51:52]
	v_div_fixup_f64 v[0:1], v[45:46], v[0:1], 1.0
.LBB28_104:
	s_or_b32 exec_lo, exec_lo, s0
	s_mov_b32 s0, exec_lo
	v_cmpx_ne_u32_e64 v44, v36
	s_xor_b32 s0, exec_lo, s0
	s_cbranch_execz .LBB28_110
; %bb.105:
	s_mov_b32 s1, exec_lo
	v_cmpx_eq_u32_e32 6, v44
	s_cbranch_execz .LBB28_109
; %bb.106:
	v_cmp_ne_u32_e32 vcc_lo, 6, v36
	s_xor_b32 s3, s6, -1
	s_and_b32 s7, s3, vcc_lo
	s_and_saveexec_b32 s3, s7
	s_cbranch_execz .LBB28_108
; %bb.107:
	v_ashrrev_i32_e32 v37, 31, v36
	v_lshlrev_b64 v[37:38], 2, v[36:37]
	v_add_co_u32 v37, vcc_lo, v32, v37
	v_add_co_ci_u32_e64 v38, null, v33, v38, vcc_lo
	s_clause 0x1
	global_load_dword v44, v[37:38], off
	global_load_dword v45, v[32:33], off offset:24
	s_waitcnt vmcnt(1)
	global_store_dword v[32:33], v44, off offset:24
	s_waitcnt vmcnt(0)
	global_store_dword v[37:38], v45, off
.LBB28_108:
	s_or_b32 exec_lo, exec_lo, s3
	v_mov_b32_e32 v38, v36
	v_mov_b32_e32 v44, v36
.LBB28_109:
	s_or_b32 exec_lo, exec_lo, s1
.LBB28_110:
	s_andn2_saveexec_b32 s0, s0
	s_cbranch_execz .LBB28_112
; %bb.111:
	v_mov_b32_e32 v44, 6
	ds_write2_b64 v42, v[16:17], v[30:31] offset0:7 offset1:8
	ds_write2_b64 v42, v[28:29], v[6:7] offset0:9 offset1:10
	;; [unrolled: 1-line block ×4, first 2 shown]
.LBB28_112:
	s_or_b32 exec_lo, exec_lo, s0
	s_mov_b32 s0, exec_lo
	s_waitcnt lgkmcnt(0)
	s_waitcnt_vscnt null, 0x0
	s_barrier
	buffer_gl0_inv
	v_cmpx_lt_i32_e32 6, v44
	s_cbranch_execz .LBB28_114
; %bb.113:
	v_mul_f64 v[14:15], v[14:15], v[0:1]
	ds_read2_b64 v[45:48], v42 offset0:7 offset1:8
	ds_read2_b64 v[49:52], v42 offset0:9 offset1:10
	;; [unrolled: 1-line block ×4, first 2 shown]
	s_waitcnt lgkmcnt(3)
	v_fma_f64 v[16:17], -v[14:15], v[45:46], v[16:17]
	v_fma_f64 v[30:31], -v[14:15], v[47:48], v[30:31]
	s_waitcnt lgkmcnt(2)
	v_fma_f64 v[28:29], -v[14:15], v[49:50], v[28:29]
	v_fma_f64 v[6:7], -v[14:15], v[51:52], v[6:7]
	;; [unrolled: 3-line block ×4, first 2 shown]
.LBB28_114:
	s_or_b32 exec_lo, exec_lo, s0
	v_lshl_add_u32 v0, v44, 3, v42
	s_barrier
	buffer_gl0_inv
	v_mov_b32_e32 v36, 7
	ds_write_b64 v0, v[16:17]
	s_waitcnt lgkmcnt(0)
	s_barrier
	buffer_gl0_inv
	ds_read_b64 v[0:1], v42 offset:56
	s_cmp_lt_i32 s2, 9
	s_cbranch_scc1 .LBB28_117
; %bb.115:
	v_add3_u32 v37, v43, 0, 64
	v_mov_b32_e32 v36, 7
	s_mov_b32 s0, 8
.LBB28_116:                             ; =>This Inner Loop Header: Depth=1
	ds_read_b64 v[45:46], v37
	v_add_nc_u32_e32 v37, 8, v37
	s_waitcnt lgkmcnt(0)
	v_cmp_lt_f64_e64 vcc_lo, |v[0:1]|, |v[45:46]|
	v_cndmask_b32_e32 v1, v1, v46, vcc_lo
	v_cndmask_b32_e32 v0, v0, v45, vcc_lo
	v_cndmask_b32_e64 v36, v36, s0, vcc_lo
	s_add_i32 s0, s0, 1
	s_cmp_lg_u32 s2, s0
	s_cbranch_scc1 .LBB28_116
.LBB28_117:
	s_mov_b32 s0, exec_lo
	s_waitcnt lgkmcnt(0)
	v_cmpx_eq_f64_e32 0, v[0:1]
	s_xor_b32 s0, exec_lo, s0
; %bb.118:
	v_cmp_ne_u32_e32 vcc_lo, 0, v39
	v_cndmask_b32_e32 v39, 8, v39, vcc_lo
; %bb.119:
	s_andn2_saveexec_b32 s0, s0
	s_cbranch_execz .LBB28_121
; %bb.120:
	v_div_scale_f64 v[45:46], null, v[0:1], v[0:1], 1.0
	v_rcp_f64_e32 v[47:48], v[45:46]
	v_fma_f64 v[49:50], -v[45:46], v[47:48], 1.0
	v_fma_f64 v[47:48], v[47:48], v[49:50], v[47:48]
	v_fma_f64 v[49:50], -v[45:46], v[47:48], 1.0
	v_fma_f64 v[47:48], v[47:48], v[49:50], v[47:48]
	v_div_scale_f64 v[49:50], vcc_lo, 1.0, v[0:1], 1.0
	v_mul_f64 v[51:52], v[49:50], v[47:48]
	v_fma_f64 v[45:46], -v[45:46], v[51:52], v[49:50]
	v_div_fmas_f64 v[45:46], v[45:46], v[47:48], v[51:52]
	v_div_fixup_f64 v[0:1], v[45:46], v[0:1], 1.0
.LBB28_121:
	s_or_b32 exec_lo, exec_lo, s0
	s_mov_b32 s0, exec_lo
	v_cmpx_ne_u32_e64 v44, v36
	s_xor_b32 s0, exec_lo, s0
	s_cbranch_execz .LBB28_127
; %bb.122:
	s_mov_b32 s1, exec_lo
	v_cmpx_eq_u32_e32 7, v44
	s_cbranch_execz .LBB28_126
; %bb.123:
	v_cmp_ne_u32_e32 vcc_lo, 7, v36
	s_xor_b32 s3, s6, -1
	s_and_b32 s7, s3, vcc_lo
	s_and_saveexec_b32 s3, s7
	s_cbranch_execz .LBB28_125
; %bb.124:
	v_ashrrev_i32_e32 v37, 31, v36
	v_lshlrev_b64 v[37:38], 2, v[36:37]
	v_add_co_u32 v37, vcc_lo, v32, v37
	v_add_co_ci_u32_e64 v38, null, v33, v38, vcc_lo
	s_clause 0x1
	global_load_dword v44, v[37:38], off
	global_load_dword v45, v[32:33], off offset:28
	s_waitcnt vmcnt(1)
	global_store_dword v[32:33], v44, off offset:28
	s_waitcnt vmcnt(0)
	global_store_dword v[37:38], v45, off
.LBB28_125:
	s_or_b32 exec_lo, exec_lo, s3
	v_mov_b32_e32 v38, v36
	v_mov_b32_e32 v44, v36
.LBB28_126:
	s_or_b32 exec_lo, exec_lo, s1
.LBB28_127:
	s_andn2_saveexec_b32 s0, s0
	s_cbranch_execz .LBB28_129
; %bb.128:
	v_mov_b32_e32 v44, 7
	ds_write2_b64 v42, v[30:31], v[28:29] offset0:8 offset1:9
	ds_write2_b64 v42, v[6:7], v[8:9] offset0:10 offset1:11
	;; [unrolled: 1-line block ×3, first 2 shown]
	ds_write_b64 v42, v[34:35] offset:112
.LBB28_129:
	s_or_b32 exec_lo, exec_lo, s0
	s_mov_b32 s0, exec_lo
	s_waitcnt lgkmcnt(0)
	s_waitcnt_vscnt null, 0x0
	s_barrier
	buffer_gl0_inv
	v_cmpx_lt_i32_e32 7, v44
	s_cbranch_execz .LBB28_131
; %bb.130:
	v_mul_f64 v[16:17], v[16:17], v[0:1]
	ds_read2_b64 v[45:48], v42 offset0:8 offset1:9
	ds_read2_b64 v[49:52], v42 offset0:10 offset1:11
	;; [unrolled: 1-line block ×3, first 2 shown]
	ds_read_b64 v[0:1], v42 offset:112
	s_waitcnt lgkmcnt(3)
	v_fma_f64 v[30:31], -v[16:17], v[45:46], v[30:31]
	v_fma_f64 v[28:29], -v[16:17], v[47:48], v[28:29]
	s_waitcnt lgkmcnt(2)
	v_fma_f64 v[6:7], -v[16:17], v[49:50], v[6:7]
	v_fma_f64 v[8:9], -v[16:17], v[51:52], v[8:9]
	;; [unrolled: 3-line block ×3, first 2 shown]
	s_waitcnt lgkmcnt(0)
	v_fma_f64 v[34:35], -v[16:17], v[0:1], v[34:35]
.LBB28_131:
	s_or_b32 exec_lo, exec_lo, s0
	v_lshl_add_u32 v0, v44, 3, v42
	s_barrier
	buffer_gl0_inv
	v_mov_b32_e32 v36, 8
	ds_write_b64 v0, v[30:31]
	s_waitcnt lgkmcnt(0)
	s_barrier
	buffer_gl0_inv
	ds_read_b64 v[0:1], v42 offset:64
	s_cmp_lt_i32 s2, 10
	s_cbranch_scc1 .LBB28_134
; %bb.132:
	v_add3_u32 v37, v43, 0, 0x48
	v_mov_b32_e32 v36, 8
	s_mov_b32 s0, 9
.LBB28_133:                             ; =>This Inner Loop Header: Depth=1
	ds_read_b64 v[45:46], v37
	v_add_nc_u32_e32 v37, 8, v37
	s_waitcnt lgkmcnt(0)
	v_cmp_lt_f64_e64 vcc_lo, |v[0:1]|, |v[45:46]|
	v_cndmask_b32_e32 v1, v1, v46, vcc_lo
	v_cndmask_b32_e32 v0, v0, v45, vcc_lo
	v_cndmask_b32_e64 v36, v36, s0, vcc_lo
	s_add_i32 s0, s0, 1
	s_cmp_lg_u32 s2, s0
	s_cbranch_scc1 .LBB28_133
.LBB28_134:
	s_mov_b32 s0, exec_lo
	s_waitcnt lgkmcnt(0)
	v_cmpx_eq_f64_e32 0, v[0:1]
	s_xor_b32 s0, exec_lo, s0
; %bb.135:
	v_cmp_ne_u32_e32 vcc_lo, 0, v39
	v_cndmask_b32_e32 v39, 9, v39, vcc_lo
; %bb.136:
	s_andn2_saveexec_b32 s0, s0
	s_cbranch_execz .LBB28_138
; %bb.137:
	v_div_scale_f64 v[45:46], null, v[0:1], v[0:1], 1.0
	v_rcp_f64_e32 v[47:48], v[45:46]
	v_fma_f64 v[49:50], -v[45:46], v[47:48], 1.0
	v_fma_f64 v[47:48], v[47:48], v[49:50], v[47:48]
	v_fma_f64 v[49:50], -v[45:46], v[47:48], 1.0
	v_fma_f64 v[47:48], v[47:48], v[49:50], v[47:48]
	v_div_scale_f64 v[49:50], vcc_lo, 1.0, v[0:1], 1.0
	v_mul_f64 v[51:52], v[49:50], v[47:48]
	v_fma_f64 v[45:46], -v[45:46], v[51:52], v[49:50]
	v_div_fmas_f64 v[45:46], v[45:46], v[47:48], v[51:52]
	v_div_fixup_f64 v[0:1], v[45:46], v[0:1], 1.0
.LBB28_138:
	s_or_b32 exec_lo, exec_lo, s0
	s_mov_b32 s0, exec_lo
	v_cmpx_ne_u32_e64 v44, v36
	s_xor_b32 s0, exec_lo, s0
	s_cbranch_execz .LBB28_144
; %bb.139:
	s_mov_b32 s1, exec_lo
	v_cmpx_eq_u32_e32 8, v44
	s_cbranch_execz .LBB28_143
; %bb.140:
	v_cmp_ne_u32_e32 vcc_lo, 8, v36
	s_xor_b32 s3, s6, -1
	s_and_b32 s7, s3, vcc_lo
	s_and_saveexec_b32 s3, s7
	s_cbranch_execz .LBB28_142
; %bb.141:
	v_ashrrev_i32_e32 v37, 31, v36
	v_lshlrev_b64 v[37:38], 2, v[36:37]
	v_add_co_u32 v37, vcc_lo, v32, v37
	v_add_co_ci_u32_e64 v38, null, v33, v38, vcc_lo
	s_clause 0x1
	global_load_dword v44, v[37:38], off
	global_load_dword v45, v[32:33], off offset:32
	s_waitcnt vmcnt(1)
	global_store_dword v[32:33], v44, off offset:32
	s_waitcnt vmcnt(0)
	global_store_dword v[37:38], v45, off
.LBB28_142:
	s_or_b32 exec_lo, exec_lo, s3
	v_mov_b32_e32 v38, v36
	v_mov_b32_e32 v44, v36
.LBB28_143:
	s_or_b32 exec_lo, exec_lo, s1
.LBB28_144:
	s_andn2_saveexec_b32 s0, s0
	s_cbranch_execz .LBB28_146
; %bb.145:
	v_mov_b32_e32 v44, 8
	ds_write2_b64 v42, v[28:29], v[6:7] offset0:9 offset1:10
	ds_write2_b64 v42, v[8:9], v[10:11] offset0:11 offset1:12
	;; [unrolled: 1-line block ×3, first 2 shown]
.LBB28_146:
	s_or_b32 exec_lo, exec_lo, s0
	s_mov_b32 s0, exec_lo
	s_waitcnt lgkmcnt(0)
	s_waitcnt_vscnt null, 0x0
	s_barrier
	buffer_gl0_inv
	v_cmpx_lt_i32_e32 8, v44
	s_cbranch_execz .LBB28_148
; %bb.147:
	v_mul_f64 v[30:31], v[30:31], v[0:1]
	ds_read2_b64 v[45:48], v42 offset0:9 offset1:10
	ds_read2_b64 v[49:52], v42 offset0:11 offset1:12
	;; [unrolled: 1-line block ×3, first 2 shown]
	s_waitcnt lgkmcnt(2)
	v_fma_f64 v[28:29], -v[30:31], v[45:46], v[28:29]
	v_fma_f64 v[6:7], -v[30:31], v[47:48], v[6:7]
	s_waitcnt lgkmcnt(1)
	v_fma_f64 v[8:9], -v[30:31], v[49:50], v[8:9]
	v_fma_f64 v[10:11], -v[30:31], v[51:52], v[10:11]
	;; [unrolled: 3-line block ×3, first 2 shown]
.LBB28_148:
	s_or_b32 exec_lo, exec_lo, s0
	v_lshl_add_u32 v0, v44, 3, v42
	s_barrier
	buffer_gl0_inv
	v_mov_b32_e32 v36, 9
	ds_write_b64 v0, v[28:29]
	s_waitcnt lgkmcnt(0)
	s_barrier
	buffer_gl0_inv
	ds_read_b64 v[0:1], v42 offset:72
	s_cmp_lt_i32 s2, 11
	s_cbranch_scc1 .LBB28_151
; %bb.149:
	v_add3_u32 v37, v43, 0, 0x50
	v_mov_b32_e32 v36, 9
	s_mov_b32 s0, 10
.LBB28_150:                             ; =>This Inner Loop Header: Depth=1
	ds_read_b64 v[45:46], v37
	v_add_nc_u32_e32 v37, 8, v37
	s_waitcnt lgkmcnt(0)
	v_cmp_lt_f64_e64 vcc_lo, |v[0:1]|, |v[45:46]|
	v_cndmask_b32_e32 v1, v1, v46, vcc_lo
	v_cndmask_b32_e32 v0, v0, v45, vcc_lo
	v_cndmask_b32_e64 v36, v36, s0, vcc_lo
	s_add_i32 s0, s0, 1
	s_cmp_lg_u32 s2, s0
	s_cbranch_scc1 .LBB28_150
.LBB28_151:
	s_mov_b32 s0, exec_lo
	s_waitcnt lgkmcnt(0)
	v_cmpx_eq_f64_e32 0, v[0:1]
	s_xor_b32 s0, exec_lo, s0
; %bb.152:
	v_cmp_ne_u32_e32 vcc_lo, 0, v39
	v_cndmask_b32_e32 v39, 10, v39, vcc_lo
; %bb.153:
	s_andn2_saveexec_b32 s0, s0
	s_cbranch_execz .LBB28_155
; %bb.154:
	v_div_scale_f64 v[45:46], null, v[0:1], v[0:1], 1.0
	v_rcp_f64_e32 v[47:48], v[45:46]
	v_fma_f64 v[49:50], -v[45:46], v[47:48], 1.0
	v_fma_f64 v[47:48], v[47:48], v[49:50], v[47:48]
	v_fma_f64 v[49:50], -v[45:46], v[47:48], 1.0
	v_fma_f64 v[47:48], v[47:48], v[49:50], v[47:48]
	v_div_scale_f64 v[49:50], vcc_lo, 1.0, v[0:1], 1.0
	v_mul_f64 v[51:52], v[49:50], v[47:48]
	v_fma_f64 v[45:46], -v[45:46], v[51:52], v[49:50]
	v_div_fmas_f64 v[45:46], v[45:46], v[47:48], v[51:52]
	v_div_fixup_f64 v[0:1], v[45:46], v[0:1], 1.0
.LBB28_155:
	s_or_b32 exec_lo, exec_lo, s0
	s_mov_b32 s0, exec_lo
	v_cmpx_ne_u32_e64 v44, v36
	s_xor_b32 s0, exec_lo, s0
	s_cbranch_execz .LBB28_161
; %bb.156:
	s_mov_b32 s1, exec_lo
	v_cmpx_eq_u32_e32 9, v44
	s_cbranch_execz .LBB28_160
; %bb.157:
	v_cmp_ne_u32_e32 vcc_lo, 9, v36
	s_xor_b32 s3, s6, -1
	s_and_b32 s7, s3, vcc_lo
	s_and_saveexec_b32 s3, s7
	s_cbranch_execz .LBB28_159
; %bb.158:
	v_ashrrev_i32_e32 v37, 31, v36
	v_lshlrev_b64 v[37:38], 2, v[36:37]
	v_add_co_u32 v37, vcc_lo, v32, v37
	v_add_co_ci_u32_e64 v38, null, v33, v38, vcc_lo
	s_clause 0x1
	global_load_dword v44, v[37:38], off
	global_load_dword v45, v[32:33], off offset:36
	s_waitcnt vmcnt(1)
	global_store_dword v[32:33], v44, off offset:36
	s_waitcnt vmcnt(0)
	global_store_dword v[37:38], v45, off
.LBB28_159:
	s_or_b32 exec_lo, exec_lo, s3
	v_mov_b32_e32 v38, v36
	v_mov_b32_e32 v44, v36
.LBB28_160:
	s_or_b32 exec_lo, exec_lo, s1
.LBB28_161:
	s_andn2_saveexec_b32 s0, s0
	s_cbranch_execz .LBB28_163
; %bb.162:
	v_mov_b32_e32 v44, 9
	ds_write2_b64 v42, v[6:7], v[8:9] offset0:10 offset1:11
	ds_write2_b64 v42, v[10:11], v[12:13] offset0:12 offset1:13
	ds_write_b64 v42, v[34:35] offset:112
.LBB28_163:
	s_or_b32 exec_lo, exec_lo, s0
	s_mov_b32 s0, exec_lo
	s_waitcnt lgkmcnt(0)
	s_waitcnt_vscnt null, 0x0
	s_barrier
	buffer_gl0_inv
	v_cmpx_lt_i32_e32 9, v44
	s_cbranch_execz .LBB28_165
; %bb.164:
	v_mul_f64 v[28:29], v[28:29], v[0:1]
	ds_read2_b64 v[45:48], v42 offset0:10 offset1:11
	ds_read2_b64 v[49:52], v42 offset0:12 offset1:13
	ds_read_b64 v[0:1], v42 offset:112
	s_waitcnt lgkmcnt(2)
	v_fma_f64 v[6:7], -v[28:29], v[45:46], v[6:7]
	v_fma_f64 v[8:9], -v[28:29], v[47:48], v[8:9]
	s_waitcnt lgkmcnt(1)
	v_fma_f64 v[10:11], -v[28:29], v[49:50], v[10:11]
	v_fma_f64 v[12:13], -v[28:29], v[51:52], v[12:13]
	s_waitcnt lgkmcnt(0)
	v_fma_f64 v[34:35], -v[28:29], v[0:1], v[34:35]
.LBB28_165:
	s_or_b32 exec_lo, exec_lo, s0
	v_lshl_add_u32 v0, v44, 3, v42
	s_barrier
	buffer_gl0_inv
	v_mov_b32_e32 v36, 10
	ds_write_b64 v0, v[6:7]
	s_waitcnt lgkmcnt(0)
	s_barrier
	buffer_gl0_inv
	ds_read_b64 v[0:1], v42 offset:80
	s_cmp_lt_i32 s2, 12
	s_cbranch_scc1 .LBB28_168
; %bb.166:
	v_add3_u32 v37, v43, 0, 0x58
	v_mov_b32_e32 v36, 10
	s_mov_b32 s0, 11
.LBB28_167:                             ; =>This Inner Loop Header: Depth=1
	ds_read_b64 v[45:46], v37
	v_add_nc_u32_e32 v37, 8, v37
	s_waitcnt lgkmcnt(0)
	v_cmp_lt_f64_e64 vcc_lo, |v[0:1]|, |v[45:46]|
	v_cndmask_b32_e32 v1, v1, v46, vcc_lo
	v_cndmask_b32_e32 v0, v0, v45, vcc_lo
	v_cndmask_b32_e64 v36, v36, s0, vcc_lo
	s_add_i32 s0, s0, 1
	s_cmp_lg_u32 s2, s0
	s_cbranch_scc1 .LBB28_167
.LBB28_168:
	s_mov_b32 s0, exec_lo
	s_waitcnt lgkmcnt(0)
	v_cmpx_eq_f64_e32 0, v[0:1]
	s_xor_b32 s0, exec_lo, s0
; %bb.169:
	v_cmp_ne_u32_e32 vcc_lo, 0, v39
	v_cndmask_b32_e32 v39, 11, v39, vcc_lo
; %bb.170:
	s_andn2_saveexec_b32 s0, s0
	s_cbranch_execz .LBB28_172
; %bb.171:
	v_div_scale_f64 v[45:46], null, v[0:1], v[0:1], 1.0
	v_rcp_f64_e32 v[47:48], v[45:46]
	v_fma_f64 v[49:50], -v[45:46], v[47:48], 1.0
	v_fma_f64 v[47:48], v[47:48], v[49:50], v[47:48]
	v_fma_f64 v[49:50], -v[45:46], v[47:48], 1.0
	v_fma_f64 v[47:48], v[47:48], v[49:50], v[47:48]
	v_div_scale_f64 v[49:50], vcc_lo, 1.0, v[0:1], 1.0
	v_mul_f64 v[51:52], v[49:50], v[47:48]
	v_fma_f64 v[45:46], -v[45:46], v[51:52], v[49:50]
	v_div_fmas_f64 v[45:46], v[45:46], v[47:48], v[51:52]
	v_div_fixup_f64 v[0:1], v[45:46], v[0:1], 1.0
.LBB28_172:
	s_or_b32 exec_lo, exec_lo, s0
	s_mov_b32 s0, exec_lo
	v_cmpx_ne_u32_e64 v44, v36
	s_xor_b32 s0, exec_lo, s0
	s_cbranch_execz .LBB28_178
; %bb.173:
	s_mov_b32 s1, exec_lo
	v_cmpx_eq_u32_e32 10, v44
	s_cbranch_execz .LBB28_177
; %bb.174:
	v_cmp_ne_u32_e32 vcc_lo, 10, v36
	s_xor_b32 s3, s6, -1
	s_and_b32 s7, s3, vcc_lo
	s_and_saveexec_b32 s3, s7
	s_cbranch_execz .LBB28_176
; %bb.175:
	v_ashrrev_i32_e32 v37, 31, v36
	v_lshlrev_b64 v[37:38], 2, v[36:37]
	v_add_co_u32 v37, vcc_lo, v32, v37
	v_add_co_ci_u32_e64 v38, null, v33, v38, vcc_lo
	s_clause 0x1
	global_load_dword v44, v[37:38], off
	global_load_dword v45, v[32:33], off offset:40
	s_waitcnt vmcnt(1)
	global_store_dword v[32:33], v44, off offset:40
	s_waitcnt vmcnt(0)
	global_store_dword v[37:38], v45, off
.LBB28_176:
	s_or_b32 exec_lo, exec_lo, s3
	v_mov_b32_e32 v38, v36
	v_mov_b32_e32 v44, v36
.LBB28_177:
	s_or_b32 exec_lo, exec_lo, s1
.LBB28_178:
	s_andn2_saveexec_b32 s0, s0
	s_cbranch_execz .LBB28_180
; %bb.179:
	v_mov_b32_e32 v44, 10
	ds_write2_b64 v42, v[8:9], v[10:11] offset0:11 offset1:12
	ds_write2_b64 v42, v[12:13], v[34:35] offset0:13 offset1:14
.LBB28_180:
	s_or_b32 exec_lo, exec_lo, s0
	s_mov_b32 s0, exec_lo
	s_waitcnt lgkmcnt(0)
	s_waitcnt_vscnt null, 0x0
	s_barrier
	buffer_gl0_inv
	v_cmpx_lt_i32_e32 10, v44
	s_cbranch_execz .LBB28_182
; %bb.181:
	v_mul_f64 v[6:7], v[6:7], v[0:1]
	ds_read2_b64 v[45:48], v42 offset0:11 offset1:12
	ds_read2_b64 v[49:52], v42 offset0:13 offset1:14
	s_waitcnt lgkmcnt(1)
	v_fma_f64 v[8:9], -v[6:7], v[45:46], v[8:9]
	v_fma_f64 v[10:11], -v[6:7], v[47:48], v[10:11]
	s_waitcnt lgkmcnt(0)
	v_fma_f64 v[12:13], -v[6:7], v[49:50], v[12:13]
	v_fma_f64 v[34:35], -v[6:7], v[51:52], v[34:35]
.LBB28_182:
	s_or_b32 exec_lo, exec_lo, s0
	v_lshl_add_u32 v0, v44, 3, v42
	s_barrier
	buffer_gl0_inv
	v_mov_b32_e32 v36, 11
	ds_write_b64 v0, v[8:9]
	s_waitcnt lgkmcnt(0)
	s_barrier
	buffer_gl0_inv
	ds_read_b64 v[0:1], v42 offset:88
	s_cmp_lt_i32 s2, 13
	s_cbranch_scc1 .LBB28_185
; %bb.183:
	v_add3_u32 v37, v43, 0, 0x60
	v_mov_b32_e32 v36, 11
	s_mov_b32 s0, 12
.LBB28_184:                             ; =>This Inner Loop Header: Depth=1
	ds_read_b64 v[45:46], v37
	v_add_nc_u32_e32 v37, 8, v37
	s_waitcnt lgkmcnt(0)
	v_cmp_lt_f64_e64 vcc_lo, |v[0:1]|, |v[45:46]|
	v_cndmask_b32_e32 v1, v1, v46, vcc_lo
	v_cndmask_b32_e32 v0, v0, v45, vcc_lo
	v_cndmask_b32_e64 v36, v36, s0, vcc_lo
	s_add_i32 s0, s0, 1
	s_cmp_lg_u32 s2, s0
	s_cbranch_scc1 .LBB28_184
.LBB28_185:
	s_mov_b32 s0, exec_lo
	s_waitcnt lgkmcnt(0)
	v_cmpx_eq_f64_e32 0, v[0:1]
	s_xor_b32 s0, exec_lo, s0
; %bb.186:
	v_cmp_ne_u32_e32 vcc_lo, 0, v39
	v_cndmask_b32_e32 v39, 12, v39, vcc_lo
; %bb.187:
	s_andn2_saveexec_b32 s0, s0
	s_cbranch_execz .LBB28_189
; %bb.188:
	v_div_scale_f64 v[45:46], null, v[0:1], v[0:1], 1.0
	v_rcp_f64_e32 v[47:48], v[45:46]
	v_fma_f64 v[49:50], -v[45:46], v[47:48], 1.0
	v_fma_f64 v[47:48], v[47:48], v[49:50], v[47:48]
	v_fma_f64 v[49:50], -v[45:46], v[47:48], 1.0
	v_fma_f64 v[47:48], v[47:48], v[49:50], v[47:48]
	v_div_scale_f64 v[49:50], vcc_lo, 1.0, v[0:1], 1.0
	v_mul_f64 v[51:52], v[49:50], v[47:48]
	v_fma_f64 v[45:46], -v[45:46], v[51:52], v[49:50]
	v_div_fmas_f64 v[45:46], v[45:46], v[47:48], v[51:52]
	v_div_fixup_f64 v[0:1], v[45:46], v[0:1], 1.0
.LBB28_189:
	s_or_b32 exec_lo, exec_lo, s0
	s_mov_b32 s0, exec_lo
	v_cmpx_ne_u32_e64 v44, v36
	s_xor_b32 s0, exec_lo, s0
	s_cbranch_execz .LBB28_195
; %bb.190:
	s_mov_b32 s1, exec_lo
	v_cmpx_eq_u32_e32 11, v44
	s_cbranch_execz .LBB28_194
; %bb.191:
	v_cmp_ne_u32_e32 vcc_lo, 11, v36
	s_xor_b32 s3, s6, -1
	s_and_b32 s7, s3, vcc_lo
	s_and_saveexec_b32 s3, s7
	s_cbranch_execz .LBB28_193
; %bb.192:
	v_ashrrev_i32_e32 v37, 31, v36
	v_lshlrev_b64 v[37:38], 2, v[36:37]
	v_add_co_u32 v37, vcc_lo, v32, v37
	v_add_co_ci_u32_e64 v38, null, v33, v38, vcc_lo
	s_clause 0x1
	global_load_dword v44, v[37:38], off
	global_load_dword v45, v[32:33], off offset:44
	s_waitcnt vmcnt(1)
	global_store_dword v[32:33], v44, off offset:44
	s_waitcnt vmcnt(0)
	global_store_dword v[37:38], v45, off
.LBB28_193:
	s_or_b32 exec_lo, exec_lo, s3
	v_mov_b32_e32 v38, v36
	v_mov_b32_e32 v44, v36
.LBB28_194:
	s_or_b32 exec_lo, exec_lo, s1
.LBB28_195:
	s_andn2_saveexec_b32 s0, s0
	s_cbranch_execz .LBB28_197
; %bb.196:
	v_mov_b32_e32 v44, 11
	ds_write2_b64 v42, v[10:11], v[12:13] offset0:12 offset1:13
	ds_write_b64 v42, v[34:35] offset:112
.LBB28_197:
	s_or_b32 exec_lo, exec_lo, s0
	s_mov_b32 s0, exec_lo
	s_waitcnt lgkmcnt(0)
	s_waitcnt_vscnt null, 0x0
	s_barrier
	buffer_gl0_inv
	v_cmpx_lt_i32_e32 11, v44
	s_cbranch_execz .LBB28_199
; %bb.198:
	v_mul_f64 v[8:9], v[8:9], v[0:1]
	ds_read2_b64 v[45:48], v42 offset0:12 offset1:13
	ds_read_b64 v[0:1], v42 offset:112
	s_waitcnt lgkmcnt(1)
	v_fma_f64 v[10:11], -v[8:9], v[45:46], v[10:11]
	v_fma_f64 v[12:13], -v[8:9], v[47:48], v[12:13]
	s_waitcnt lgkmcnt(0)
	v_fma_f64 v[34:35], -v[8:9], v[0:1], v[34:35]
.LBB28_199:
	s_or_b32 exec_lo, exec_lo, s0
	v_lshl_add_u32 v0, v44, 3, v42
	s_barrier
	buffer_gl0_inv
	v_mov_b32_e32 v36, 12
	ds_write_b64 v0, v[10:11]
	s_waitcnt lgkmcnt(0)
	s_barrier
	buffer_gl0_inv
	ds_read_b64 v[0:1], v42 offset:96
	s_cmp_lt_i32 s2, 14
	s_cbranch_scc1 .LBB28_202
; %bb.200:
	v_add3_u32 v37, v43, 0, 0x68
	v_mov_b32_e32 v36, 12
	s_mov_b32 s0, 13
.LBB28_201:                             ; =>This Inner Loop Header: Depth=1
	ds_read_b64 v[45:46], v37
	v_add_nc_u32_e32 v37, 8, v37
	s_waitcnt lgkmcnt(0)
	v_cmp_lt_f64_e64 vcc_lo, |v[0:1]|, |v[45:46]|
	v_cndmask_b32_e32 v1, v1, v46, vcc_lo
	v_cndmask_b32_e32 v0, v0, v45, vcc_lo
	v_cndmask_b32_e64 v36, v36, s0, vcc_lo
	s_add_i32 s0, s0, 1
	s_cmp_lg_u32 s2, s0
	s_cbranch_scc1 .LBB28_201
.LBB28_202:
	s_mov_b32 s0, exec_lo
	s_waitcnt lgkmcnt(0)
	v_cmpx_eq_f64_e32 0, v[0:1]
	s_xor_b32 s0, exec_lo, s0
; %bb.203:
	v_cmp_ne_u32_e32 vcc_lo, 0, v39
	v_cndmask_b32_e32 v39, 13, v39, vcc_lo
; %bb.204:
	s_andn2_saveexec_b32 s0, s0
	s_cbranch_execz .LBB28_206
; %bb.205:
	v_div_scale_f64 v[45:46], null, v[0:1], v[0:1], 1.0
	v_rcp_f64_e32 v[47:48], v[45:46]
	v_fma_f64 v[49:50], -v[45:46], v[47:48], 1.0
	v_fma_f64 v[47:48], v[47:48], v[49:50], v[47:48]
	v_fma_f64 v[49:50], -v[45:46], v[47:48], 1.0
	v_fma_f64 v[47:48], v[47:48], v[49:50], v[47:48]
	v_div_scale_f64 v[49:50], vcc_lo, 1.0, v[0:1], 1.0
	v_mul_f64 v[51:52], v[49:50], v[47:48]
	v_fma_f64 v[45:46], -v[45:46], v[51:52], v[49:50]
	v_div_fmas_f64 v[45:46], v[45:46], v[47:48], v[51:52]
	v_div_fixup_f64 v[0:1], v[45:46], v[0:1], 1.0
.LBB28_206:
	s_or_b32 exec_lo, exec_lo, s0
	s_mov_b32 s0, exec_lo
	v_cmpx_ne_u32_e64 v44, v36
	s_xor_b32 s0, exec_lo, s0
	s_cbranch_execz .LBB28_212
; %bb.207:
	s_mov_b32 s1, exec_lo
	v_cmpx_eq_u32_e32 12, v44
	s_cbranch_execz .LBB28_211
; %bb.208:
	v_cmp_ne_u32_e32 vcc_lo, 12, v36
	s_xor_b32 s3, s6, -1
	s_and_b32 s7, s3, vcc_lo
	s_and_saveexec_b32 s3, s7
	s_cbranch_execz .LBB28_210
; %bb.209:
	v_ashrrev_i32_e32 v37, 31, v36
	v_lshlrev_b64 v[37:38], 2, v[36:37]
	v_add_co_u32 v37, vcc_lo, v32, v37
	v_add_co_ci_u32_e64 v38, null, v33, v38, vcc_lo
	s_clause 0x1
	global_load_dword v44, v[37:38], off
	global_load_dword v45, v[32:33], off offset:48
	s_waitcnt vmcnt(1)
	global_store_dword v[32:33], v44, off offset:48
	s_waitcnt vmcnt(0)
	global_store_dword v[37:38], v45, off
.LBB28_210:
	s_or_b32 exec_lo, exec_lo, s3
	v_mov_b32_e32 v38, v36
	v_mov_b32_e32 v44, v36
.LBB28_211:
	s_or_b32 exec_lo, exec_lo, s1
.LBB28_212:
	s_andn2_saveexec_b32 s0, s0
; %bb.213:
	v_mov_b32_e32 v44, 12
	ds_write2_b64 v42, v[12:13], v[34:35] offset0:13 offset1:14
; %bb.214:
	s_or_b32 exec_lo, exec_lo, s0
	s_mov_b32 s0, exec_lo
	s_waitcnt lgkmcnt(0)
	s_waitcnt_vscnt null, 0x0
	s_barrier
	buffer_gl0_inv
	v_cmpx_lt_i32_e32 12, v44
	s_cbranch_execz .LBB28_216
; %bb.215:
	v_mul_f64 v[10:11], v[10:11], v[0:1]
	ds_read2_b64 v[45:48], v42 offset0:13 offset1:14
	s_waitcnt lgkmcnt(0)
	v_fma_f64 v[12:13], -v[10:11], v[45:46], v[12:13]
	v_fma_f64 v[34:35], -v[10:11], v[47:48], v[34:35]
.LBB28_216:
	s_or_b32 exec_lo, exec_lo, s0
	v_lshl_add_u32 v0, v44, 3, v42
	s_barrier
	buffer_gl0_inv
	v_mov_b32_e32 v36, 13
	ds_write_b64 v0, v[12:13]
	s_waitcnt lgkmcnt(0)
	s_barrier
	buffer_gl0_inv
	ds_read_b64 v[0:1], v42 offset:104
	s_cmp_lt_i32 s2, 15
	s_cbranch_scc1 .LBB28_219
; %bb.217:
	v_add3_u32 v37, v43, 0, 0x70
	v_mov_b32_e32 v36, 13
	s_mov_b32 s0, 14
.LBB28_218:                             ; =>This Inner Loop Header: Depth=1
	ds_read_b64 v[45:46], v37
	v_add_nc_u32_e32 v37, 8, v37
	s_waitcnt lgkmcnt(0)
	v_cmp_lt_f64_e64 vcc_lo, |v[0:1]|, |v[45:46]|
	v_cndmask_b32_e32 v1, v1, v46, vcc_lo
	v_cndmask_b32_e32 v0, v0, v45, vcc_lo
	v_cndmask_b32_e64 v36, v36, s0, vcc_lo
	s_add_i32 s0, s0, 1
	s_cmp_lg_u32 s2, s0
	s_cbranch_scc1 .LBB28_218
.LBB28_219:
	s_mov_b32 s0, exec_lo
	s_waitcnt lgkmcnt(0)
	v_cmpx_eq_f64_e32 0, v[0:1]
	s_xor_b32 s0, exec_lo, s0
; %bb.220:
	v_cmp_ne_u32_e32 vcc_lo, 0, v39
	v_cndmask_b32_e32 v39, 14, v39, vcc_lo
; %bb.221:
	s_andn2_saveexec_b32 s0, s0
	s_cbranch_execz .LBB28_223
; %bb.222:
	v_div_scale_f64 v[45:46], null, v[0:1], v[0:1], 1.0
	v_rcp_f64_e32 v[47:48], v[45:46]
	v_fma_f64 v[49:50], -v[45:46], v[47:48], 1.0
	v_fma_f64 v[47:48], v[47:48], v[49:50], v[47:48]
	v_fma_f64 v[49:50], -v[45:46], v[47:48], 1.0
	v_fma_f64 v[47:48], v[47:48], v[49:50], v[47:48]
	v_div_scale_f64 v[49:50], vcc_lo, 1.0, v[0:1], 1.0
	v_mul_f64 v[51:52], v[49:50], v[47:48]
	v_fma_f64 v[45:46], -v[45:46], v[51:52], v[49:50]
	v_div_fmas_f64 v[45:46], v[45:46], v[47:48], v[51:52]
	v_div_fixup_f64 v[0:1], v[45:46], v[0:1], 1.0
.LBB28_223:
	s_or_b32 exec_lo, exec_lo, s0
	s_mov_b32 s0, exec_lo
	v_cmpx_ne_u32_e64 v44, v36
	s_xor_b32 s0, exec_lo, s0
	s_cbranch_execz .LBB28_229
; %bb.224:
	s_mov_b32 s1, exec_lo
	v_cmpx_eq_u32_e32 13, v44
	s_cbranch_execz .LBB28_228
; %bb.225:
	v_cmp_ne_u32_e32 vcc_lo, 13, v36
	s_xor_b32 s3, s6, -1
	s_and_b32 s7, s3, vcc_lo
	s_and_saveexec_b32 s3, s7
	s_cbranch_execz .LBB28_227
; %bb.226:
	v_ashrrev_i32_e32 v37, 31, v36
	v_lshlrev_b64 v[37:38], 2, v[36:37]
	v_add_co_u32 v37, vcc_lo, v32, v37
	v_add_co_ci_u32_e64 v38, null, v33, v38, vcc_lo
	s_clause 0x1
	global_load_dword v44, v[37:38], off
	global_load_dword v45, v[32:33], off offset:52
	s_waitcnt vmcnt(1)
	global_store_dword v[32:33], v44, off offset:52
	s_waitcnt vmcnt(0)
	global_store_dword v[37:38], v45, off
.LBB28_227:
	s_or_b32 exec_lo, exec_lo, s3
	v_mov_b32_e32 v38, v36
	v_mov_b32_e32 v44, v36
.LBB28_228:
	s_or_b32 exec_lo, exec_lo, s1
.LBB28_229:
	s_andn2_saveexec_b32 s0, s0
; %bb.230:
	v_mov_b32_e32 v44, 13
	ds_write_b64 v42, v[34:35] offset:112
; %bb.231:
	s_or_b32 exec_lo, exec_lo, s0
	s_mov_b32 s0, exec_lo
	s_waitcnt lgkmcnt(0)
	s_waitcnt_vscnt null, 0x0
	s_barrier
	buffer_gl0_inv
	v_cmpx_lt_i32_e32 13, v44
	s_cbranch_execz .LBB28_233
; %bb.232:
	v_mul_f64 v[12:13], v[12:13], v[0:1]
	ds_read_b64 v[0:1], v42 offset:112
	s_waitcnt lgkmcnt(0)
	v_fma_f64 v[34:35], -v[12:13], v[0:1], v[34:35]
.LBB28_233:
	s_or_b32 exec_lo, exec_lo, s0
	v_lshl_add_u32 v0, v44, 3, v42
	s_barrier
	buffer_gl0_inv
	v_mov_b32_e32 v37, 14
	ds_write_b64 v0, v[34:35]
	s_waitcnt lgkmcnt(0)
	s_barrier
	buffer_gl0_inv
	ds_read_b64 v[0:1], v42 offset:112
	s_cmp_lt_i32 s2, 16
	s_cbranch_scc1 .LBB28_236
; %bb.234:
	v_add3_u32 v36, v43, 0, 0x78
	v_mov_b32_e32 v37, 14
	s_mov_b32 s0, 15
.LBB28_235:                             ; =>This Inner Loop Header: Depth=1
	ds_read_b64 v[42:43], v36
	v_add_nc_u32_e32 v36, 8, v36
	s_waitcnt lgkmcnt(0)
	v_cmp_lt_f64_e64 vcc_lo, |v[0:1]|, |v[42:43]|
	v_cndmask_b32_e32 v1, v1, v43, vcc_lo
	v_cndmask_b32_e32 v0, v0, v42, vcc_lo
	v_cndmask_b32_e64 v37, v37, s0, vcc_lo
	s_add_i32 s0, s0, 1
	s_cmp_lg_u32 s2, s0
	s_cbranch_scc1 .LBB28_235
.LBB28_236:
	s_mov_b32 s0, exec_lo
	s_waitcnt lgkmcnt(0)
	v_cmpx_eq_f64_e32 0, v[0:1]
	s_xor_b32 s0, exec_lo, s0
; %bb.237:
	v_cmp_ne_u32_e32 vcc_lo, 0, v39
	v_cndmask_b32_e32 v39, 15, v39, vcc_lo
; %bb.238:
	s_andn2_saveexec_b32 s0, s0
	s_cbranch_execz .LBB28_240
; %bb.239:
	v_div_scale_f64 v[42:43], null, v[0:1], v[0:1], 1.0
	v_rcp_f64_e32 v[45:46], v[42:43]
	v_fma_f64 v[47:48], -v[42:43], v[45:46], 1.0
	v_fma_f64 v[45:46], v[45:46], v[47:48], v[45:46]
	v_fma_f64 v[47:48], -v[42:43], v[45:46], 1.0
	v_fma_f64 v[45:46], v[45:46], v[47:48], v[45:46]
	v_div_scale_f64 v[47:48], vcc_lo, 1.0, v[0:1], 1.0
	v_mul_f64 v[49:50], v[47:48], v[45:46]
	v_fma_f64 v[42:43], -v[42:43], v[49:50], v[47:48]
	v_div_fmas_f64 v[42:43], v[42:43], v[45:46], v[49:50]
	v_div_fixup_f64 v[0:1], v[42:43], v[0:1], 1.0
.LBB28_240:
	s_or_b32 exec_lo, exec_lo, s0
	v_mov_b32_e32 v36, 14
	s_mov_b32 s0, exec_lo
	v_cmpx_ne_u32_e64 v44, v37
	s_cbranch_execz .LBB28_246
; %bb.241:
	s_mov_b32 s1, exec_lo
	v_cmpx_eq_u32_e32 14, v44
	s_cbranch_execz .LBB28_245
; %bb.242:
	v_cmp_ne_u32_e32 vcc_lo, 14, v37
	s_xor_b32 s2, s6, -1
	s_and_b32 s3, s2, vcc_lo
	s_and_saveexec_b32 s2, s3
	s_cbranch_execz .LBB28_244
; %bb.243:
	v_ashrrev_i32_e32 v38, 31, v37
	v_lshlrev_b64 v[42:43], 2, v[37:38]
	v_add_co_u32 v42, vcc_lo, v32, v42
	v_add_co_ci_u32_e64 v43, null, v33, v43, vcc_lo
	s_clause 0x1
	global_load_dword v36, v[42:43], off
	global_load_dword v38, v[32:33], off offset:56
	s_waitcnt vmcnt(1)
	global_store_dword v[32:33], v36, off offset:56
	s_waitcnt vmcnt(0)
	global_store_dword v[42:43], v38, off
.LBB28_244:
	s_or_b32 exec_lo, exec_lo, s2
	v_mov_b32_e32 v38, v37
	v_mov_b32_e32 v44, v37
.LBB28_245:
	s_or_b32 exec_lo, exec_lo, s1
	v_mov_b32_e32 v36, v44
.LBB28_246:
	s_or_b32 exec_lo, exec_lo, s0
	s_load_dwordx8 s[0:7], s[4:5], 0x28
	v_ashrrev_i32_e32 v37, 31, v36
	s_mov_b32 s9, exec_lo
	s_waitcnt lgkmcnt(0)
	s_waitcnt_vscnt null, 0x0
	s_barrier
	buffer_gl0_inv
	s_barrier
	buffer_gl0_inv
	v_cmpx_gt_i32_e32 15, v36
	s_cbranch_execz .LBB28_248
; %bb.247:
	v_mul_lo_u32 v42, s5, v2
	v_mul_lo_u32 v43, s4, v3
	v_mad_u64_u32 v[32:33], null, s4, v2, 0
	s_lshl_b64 s[2:3], s[2:3], 2
	v_add3_u32 v38, v38, s13, 1
	v_add3_u32 v33, v33, v43, v42
	v_lshlrev_b64 v[32:33], 2, v[32:33]
	v_add_co_u32 v42, vcc_lo, s0, v32
	v_add_co_ci_u32_e64 v43, null, s1, v33, vcc_lo
	v_lshlrev_b64 v[32:33], 2, v[36:37]
	v_add_co_u32 v42, vcc_lo, v42, s2
	v_add_co_ci_u32_e64 v43, null, s3, v43, vcc_lo
	v_add_co_u32 v32, vcc_lo, v42, v32
	v_add_co_ci_u32_e64 v33, null, v43, v33, vcc_lo
	global_store_dword v[32:33], v38, off
.LBB28_248:
	s_or_b32 exec_lo, exec_lo, s9
	s_mov_b32 s1, exec_lo
	v_cmpx_eq_u32_e32 0, v36
	s_cbranch_execz .LBB28_251
; %bb.249:
	v_lshlrev_b64 v[2:3], 2, v[2:3]
	v_cmp_ne_u32_e64 s0, 0, v39
	v_add_co_u32 v2, vcc_lo, s6, v2
	v_add_co_ci_u32_e64 v3, null, s7, v3, vcc_lo
	global_load_dword v32, v[2:3], off
	s_waitcnt vmcnt(0)
	v_cmp_eq_u32_e32 vcc_lo, 0, v32
	s_and_b32 s0, vcc_lo, s0
	s_and_b32 exec_lo, exec_lo, s0
	s_cbranch_execz .LBB28_251
; %bb.250:
	v_add_nc_u32_e32 v32, s13, v39
	global_store_dword v[2:3], v32, off
.LBB28_251:
	s_or_b32 exec_lo, exec_lo, s1
	v_add3_u32 v2, s8, s8, v36
	v_lshlrev_b64 v[32:33], 3, v[36:37]
	v_mul_f64 v[0:1], v[34:35], v[0:1]
	v_cmp_lt_i32_e32 vcc_lo, 14, v36
	v_ashrrev_i32_e32 v3, 31, v2
	v_add_nc_u32_e32 v36, s8, v2
	v_add_co_u32 v32, s0, v40, v32
	v_add_co_ci_u32_e64 v33, null, v41, v33, s0
	v_lshlrev_b64 v[2:3], 3, v[2:3]
	v_add_co_u32 v42, s0, v32, s10
	v_ashrrev_i32_e32 v37, 31, v36
	v_add_co_ci_u32_e64 v43, null, s11, v33, s0
	v_add_co_u32 v2, s0, v40, v2
	v_add_nc_u32_e32 v38, s8, v36
	v_add_co_ci_u32_e64 v3, null, v41, v3, s0
	flat_store_dwordx2 v[32:33], v[24:25]
	v_lshlrev_b64 v[24:25], 3, v[36:37]
	flat_store_dwordx2 v[42:43], v[20:21]
	flat_store_dwordx2 v[2:3], v[22:23]
	v_add_nc_u32_e32 v20, s8, v38
	v_ashrrev_i32_e32 v39, 31, v38
	v_cndmask_b32_e32 v1, v35, v1, vcc_lo
	v_cndmask_b32_e32 v0, v34, v0, vcc_lo
	v_add_co_u32 v22, vcc_lo, v40, v24
	v_add_nc_u32_e32 v24, s8, v20
	v_lshlrev_b64 v[2:3], 3, v[38:39]
	v_ashrrev_i32_e32 v21, 31, v20
	v_add_co_ci_u32_e64 v23, null, v41, v25, vcc_lo
	v_add_nc_u32_e32 v32, s8, v24
	v_ashrrev_i32_e32 v25, 31, v24
	v_add_co_u32 v2, vcc_lo, v40, v2
	v_lshlrev_b64 v[20:21], 3, v[20:21]
	v_add_co_ci_u32_e64 v3, null, v41, v3, vcc_lo
	v_ashrrev_i32_e32 v33, 31, v32
	flat_store_dwordx2 v[22:23], v[4:5]
	flat_store_dwordx2 v[2:3], v[26:27]
	v_lshlrev_b64 v[2:3], 3, v[24:25]
	v_add_co_u32 v4, vcc_lo, v40, v20
	v_add_co_ci_u32_e64 v5, null, v41, v21, vcc_lo
	v_lshlrev_b64 v[20:21], 3, v[32:33]
	v_add_nc_u32_e32 v22, s8, v32
	v_add_co_u32 v2, vcc_lo, v40, v2
	v_add_co_ci_u32_e64 v3, null, v41, v3, vcc_lo
	v_add_co_u32 v20, vcc_lo, v40, v20
	v_add_nc_u32_e32 v24, s8, v22
	v_add_co_ci_u32_e64 v21, null, v41, v21, vcc_lo
	v_ashrrev_i32_e32 v23, 31, v22
	flat_store_dwordx2 v[4:5], v[18:19]
	flat_store_dwordx2 v[2:3], v[14:15]
	;; [unrolled: 1-line block ×3, first 2 shown]
	v_add_nc_u32_e32 v14, s8, v24
	v_ashrrev_i32_e32 v25, 31, v24
	v_lshlrev_b64 v[4:5], 3, v[22:23]
	v_add_nc_u32_e32 v16, s8, v14
	v_lshlrev_b64 v[2:3], 3, v[24:25]
	v_ashrrev_i32_e32 v15, 31, v14
	v_add_co_u32 v4, vcc_lo, v40, v4
	v_add_co_ci_u32_e64 v5, null, v41, v5, vcc_lo
	v_add_nc_u32_e32 v18, s8, v16
	v_add_co_u32 v2, vcc_lo, v40, v2
	v_add_co_ci_u32_e64 v3, null, v41, v3, vcc_lo
	v_ashrrev_i32_e32 v17, 31, v16
	flat_store_dwordx2 v[4:5], v[30:31]
	v_lshlrev_b64 v[4:5], 3, v[14:15]
	v_ashrrev_i32_e32 v19, 31, v18
	v_add_nc_u32_e32 v14, s8, v18
	flat_store_dwordx2 v[2:3], v[28:29]
	v_lshlrev_b64 v[2:3], 3, v[16:17]
	v_lshlrev_b64 v[16:17], 3, v[18:19]
	v_add_nc_u32_e32 v18, s8, v14
	v_ashrrev_i32_e32 v15, 31, v14
	v_add_co_u32 v4, vcc_lo, v40, v4
	v_add_co_ci_u32_e64 v5, null, v41, v5, vcc_lo
	v_ashrrev_i32_e32 v19, 31, v18
	v_lshlrev_b64 v[14:15], 3, v[14:15]
	v_add_co_u32 v2, vcc_lo, v40, v2
	v_add_co_ci_u32_e64 v3, null, v41, v3, vcc_lo
	v_lshlrev_b64 v[18:19], 3, v[18:19]
	v_add_co_u32 v16, vcc_lo, v40, v16
	v_add_co_ci_u32_e64 v17, null, v41, v17, vcc_lo
	v_add_co_u32 v14, vcc_lo, v40, v14
	v_add_co_ci_u32_e64 v15, null, v41, v15, vcc_lo
	;; [unrolled: 2-line block ×3, first 2 shown]
	flat_store_dwordx2 v[4:5], v[6:7]
	flat_store_dwordx2 v[2:3], v[8:9]
	;; [unrolled: 1-line block ×5, first 2 shown]
.LBB28_252:
	s_endpgm
	.section	.rodata,"a",@progbits
	.p2align	6, 0x0
	.amdhsa_kernel _ZN9rocsolver6v33100L18getf2_small_kernelILi15EdiiPKPdEEvT1_T3_lS5_lPS5_llPT2_S5_S5_S7_l
		.amdhsa_group_segment_fixed_size 0
		.amdhsa_private_segment_fixed_size 0
		.amdhsa_kernarg_size 352
		.amdhsa_user_sgpr_count 6
		.amdhsa_user_sgpr_private_segment_buffer 1
		.amdhsa_user_sgpr_dispatch_ptr 0
		.amdhsa_user_sgpr_queue_ptr 0
		.amdhsa_user_sgpr_kernarg_segment_ptr 1
		.amdhsa_user_sgpr_dispatch_id 0
		.amdhsa_user_sgpr_flat_scratch_init 0
		.amdhsa_user_sgpr_private_segment_size 0
		.amdhsa_wavefront_size32 1
		.amdhsa_uses_dynamic_stack 0
		.amdhsa_system_sgpr_private_segment_wavefront_offset 0
		.amdhsa_system_sgpr_workgroup_id_x 1
		.amdhsa_system_sgpr_workgroup_id_y 1
		.amdhsa_system_sgpr_workgroup_id_z 0
		.amdhsa_system_sgpr_workgroup_info 0
		.amdhsa_system_vgpr_workitem_id 1
		.amdhsa_next_free_vgpr 73
		.amdhsa_next_free_sgpr 14
		.amdhsa_reserve_vcc 1
		.amdhsa_reserve_flat_scratch 1
		.amdhsa_float_round_mode_32 0
		.amdhsa_float_round_mode_16_64 0
		.amdhsa_float_denorm_mode_32 3
		.amdhsa_float_denorm_mode_16_64 3
		.amdhsa_dx10_clamp 1
		.amdhsa_ieee_mode 1
		.amdhsa_fp16_overflow 0
		.amdhsa_workgroup_processor_mode 1
		.amdhsa_memory_ordered 1
		.amdhsa_forward_progress 1
		.amdhsa_shared_vgpr_count 0
		.amdhsa_exception_fp_ieee_invalid_op 0
		.amdhsa_exception_fp_denorm_src 0
		.amdhsa_exception_fp_ieee_div_zero 0
		.amdhsa_exception_fp_ieee_overflow 0
		.amdhsa_exception_fp_ieee_underflow 0
		.amdhsa_exception_fp_ieee_inexact 0
		.amdhsa_exception_int_div_zero 0
	.end_amdhsa_kernel
	.section	.text._ZN9rocsolver6v33100L18getf2_small_kernelILi15EdiiPKPdEEvT1_T3_lS5_lPS5_llPT2_S5_S5_S7_l,"axG",@progbits,_ZN9rocsolver6v33100L18getf2_small_kernelILi15EdiiPKPdEEvT1_T3_lS5_lPS5_llPT2_S5_S5_S7_l,comdat
.Lfunc_end28:
	.size	_ZN9rocsolver6v33100L18getf2_small_kernelILi15EdiiPKPdEEvT1_T3_lS5_lPS5_llPT2_S5_S5_S7_l, .Lfunc_end28-_ZN9rocsolver6v33100L18getf2_small_kernelILi15EdiiPKPdEEvT1_T3_lS5_lPS5_llPT2_S5_S5_S7_l
                                        ; -- End function
	.set _ZN9rocsolver6v33100L18getf2_small_kernelILi15EdiiPKPdEEvT1_T3_lS5_lPS5_llPT2_S5_S5_S7_l.num_vgpr, 73
	.set _ZN9rocsolver6v33100L18getf2_small_kernelILi15EdiiPKPdEEvT1_T3_lS5_lPS5_llPT2_S5_S5_S7_l.num_agpr, 0
	.set _ZN9rocsolver6v33100L18getf2_small_kernelILi15EdiiPKPdEEvT1_T3_lS5_lPS5_llPT2_S5_S5_S7_l.numbered_sgpr, 14
	.set _ZN9rocsolver6v33100L18getf2_small_kernelILi15EdiiPKPdEEvT1_T3_lS5_lPS5_llPT2_S5_S5_S7_l.num_named_barrier, 0
	.set _ZN9rocsolver6v33100L18getf2_small_kernelILi15EdiiPKPdEEvT1_T3_lS5_lPS5_llPT2_S5_S5_S7_l.private_seg_size, 0
	.set _ZN9rocsolver6v33100L18getf2_small_kernelILi15EdiiPKPdEEvT1_T3_lS5_lPS5_llPT2_S5_S5_S7_l.uses_vcc, 1
	.set _ZN9rocsolver6v33100L18getf2_small_kernelILi15EdiiPKPdEEvT1_T3_lS5_lPS5_llPT2_S5_S5_S7_l.uses_flat_scratch, 1
	.set _ZN9rocsolver6v33100L18getf2_small_kernelILi15EdiiPKPdEEvT1_T3_lS5_lPS5_llPT2_S5_S5_S7_l.has_dyn_sized_stack, 0
	.set _ZN9rocsolver6v33100L18getf2_small_kernelILi15EdiiPKPdEEvT1_T3_lS5_lPS5_llPT2_S5_S5_S7_l.has_recursion, 0
	.set _ZN9rocsolver6v33100L18getf2_small_kernelILi15EdiiPKPdEEvT1_T3_lS5_lPS5_llPT2_S5_S5_S7_l.has_indirect_call, 0
	.section	.AMDGPU.csdata,"",@progbits
; Kernel info:
; codeLenInByte = 10432
; TotalNumSgprs: 16
; NumVgprs: 73
; ScratchSize: 0
; MemoryBound: 0
; FloatMode: 240
; IeeeMode: 1
; LDSByteSize: 0 bytes/workgroup (compile time only)
; SGPRBlocks: 0
; VGPRBlocks: 9
; NumSGPRsForWavesPerEU: 16
; NumVGPRsForWavesPerEU: 73
; Occupancy: 12
; WaveLimiterHint : 1
; COMPUTE_PGM_RSRC2:SCRATCH_EN: 0
; COMPUTE_PGM_RSRC2:USER_SGPR: 6
; COMPUTE_PGM_RSRC2:TRAP_HANDLER: 0
; COMPUTE_PGM_RSRC2:TGID_X_EN: 1
; COMPUTE_PGM_RSRC2:TGID_Y_EN: 1
; COMPUTE_PGM_RSRC2:TGID_Z_EN: 0
; COMPUTE_PGM_RSRC2:TIDIG_COMP_CNT: 1
	.section	.text._ZN9rocsolver6v33100L23getf2_npvt_small_kernelILi15EdiiPKPdEEvT1_T3_lS5_lPT2_S5_S5_,"axG",@progbits,_ZN9rocsolver6v33100L23getf2_npvt_small_kernelILi15EdiiPKPdEEvT1_T3_lS5_lPT2_S5_S5_,comdat
	.globl	_ZN9rocsolver6v33100L23getf2_npvt_small_kernelILi15EdiiPKPdEEvT1_T3_lS5_lPT2_S5_S5_ ; -- Begin function _ZN9rocsolver6v33100L23getf2_npvt_small_kernelILi15EdiiPKPdEEvT1_T3_lS5_lPT2_S5_S5_
	.p2align	8
	.type	_ZN9rocsolver6v33100L23getf2_npvt_small_kernelILi15EdiiPKPdEEvT1_T3_lS5_lPT2_S5_S5_,@function
_ZN9rocsolver6v33100L23getf2_npvt_small_kernelILi15EdiiPKPdEEvT1_T3_lS5_lPT2_S5_S5_: ; @_ZN9rocsolver6v33100L23getf2_npvt_small_kernelILi15EdiiPKPdEEvT1_T3_lS5_lPT2_S5_S5_
; %bb.0:
	s_clause 0x1
	s_load_dword s0, s[4:5], 0x44
	s_load_dwordx2 s[8:9], s[4:5], 0x30
	s_waitcnt lgkmcnt(0)
	s_lshr_b32 s10, s0, 16
	s_mov_b32 s0, exec_lo
	v_mad_u64_u32 v[2:3], null, s7, s10, v[1:2]
	v_cmpx_gt_i32_e64 s8, v2
	s_cbranch_execz .LBB29_79
; %bb.1:
	s_clause 0x1
	s_load_dwordx4 s[0:3], s[4:5], 0x8
	s_load_dword s6, s[4:5], 0x18
	v_ashrrev_i32_e32 v3, 31, v2
	v_lshlrev_b32_e32 v34, 3, v0
	v_lshlrev_b32_e32 v64, 3, v1
	s_mulk_i32 s10, 0x78
	v_mad_u32_u24 v92, 0x78, v1, 0
	v_lshlrev_b64 v[4:5], 3, v[2:3]
	v_add3_u32 v1, 0, s10, v64
	s_waitcnt lgkmcnt(0)
	v_add_co_u32 v4, vcc_lo, s0, v4
	v_add_co_ci_u32_e64 v5, null, s1, v5, vcc_lo
	v_add3_u32 v6, s6, s6, v0
	s_lshl_b64 s[0:1], s[2:3], 3
	s_ashr_i32 s7, s6, 31
	global_load_dwordx2 v[4:5], v[4:5], off
	s_lshl_b64 s[2:3], s[6:7], 3
	v_add_nc_u32_e32 v8, s6, v6
	v_ashrrev_i32_e32 v7, 31, v6
	v_add_nc_u32_e32 v10, s6, v8
	v_ashrrev_i32_e32 v9, 31, v8
	v_lshlrev_b64 v[6:7], 3, v[6:7]
	v_add_nc_u32_e32 v12, s6, v10
	v_ashrrev_i32_e32 v11, 31, v10
	v_lshlrev_b64 v[8:9], 3, v[8:9]
	;; [unrolled: 3-line block ×7, first 2 shown]
	v_add_nc_u32_e32 v24, s6, v22
	v_lshlrev_b64 v[30:31], 3, v[20:21]
	v_ashrrev_i32_e32 v23, 31, v22
	v_add_nc_u32_e32 v26, s6, v24
	v_ashrrev_i32_e32 v25, 31, v24
	v_lshlrev_b64 v[22:23], 3, v[22:23]
	v_add_nc_u32_e32 v28, s6, v26
	v_ashrrev_i32_e32 v27, 31, v26
	v_lshlrev_b64 v[24:25], 3, v[24:25]
	v_add_nc_u32_e32 v20, s6, v28
	v_ashrrev_i32_e32 v29, 31, v28
	v_lshlrev_b64 v[26:27], 3, v[26:27]
	v_ashrrev_i32_e32 v21, 31, v20
	v_lshlrev_b64 v[28:29], 3, v[28:29]
	v_lshlrev_b64 v[32:33], 3, v[20:21]
	s_waitcnt vmcnt(0)
	v_add_co_u32 v35, vcc_lo, v4, s0
	v_add_co_ci_u32_e64 v36, null, s1, v5, vcc_lo
	v_cmp_ne_u32_e64 s1, 0, v0
	v_add_co_u32 v4, vcc_lo, v35, v34
	v_add_co_ci_u32_e64 v5, null, 0, v36, vcc_lo
	v_add_co_u32 v6, vcc_lo, v35, v6
	v_add_co_ci_u32_e64 v7, null, v36, v7, vcc_lo
	;; [unrolled: 2-line block ×15, first 2 shown]
	s_clause 0xe
	flat_load_dwordx2 v[38:39], v[10:11]
	flat_load_dwordx2 v[40:41], v[12:13]
	;; [unrolled: 1-line block ×15, first 2 shown]
	v_cmp_eq_u32_e64 s0, 0, v0
	s_and_saveexec_b32 s2, s0
	s_cbranch_execz .LBB29_4
; %bb.2:
	s_waitcnt vmcnt(6) lgkmcnt(6)
	ds_write_b64 v1, v[56:57]
	s_waitcnt vmcnt(4) lgkmcnt(5)
	ds_write2_b64 v92, v[58:59], v[60:61] offset0:1 offset1:2
	s_waitcnt vmcnt(3) lgkmcnt(5)
	ds_write2_b64 v92, v[62:63], v[38:39] offset0:3 offset1:4
	ds_write2_b64 v92, v[40:41], v[42:43] offset0:5 offset1:6
	ds_write2_b64 v92, v[44:45], v[46:47] offset0:7 offset1:8
	ds_write2_b64 v92, v[32:33], v[34:35] offset0:9 offset1:10
	s_waitcnt vmcnt(2) lgkmcnt(8)
	ds_write2_b64 v92, v[36:37], v[50:51] offset0:11 offset1:12
	s_waitcnt vmcnt(0) lgkmcnt(7)
	ds_write2_b64 v92, v[52:53], v[54:55] offset0:13 offset1:14
	ds_read_b64 v[64:65], v1
	s_waitcnt lgkmcnt(0)
	v_cmp_neq_f64_e32 vcc_lo, 0, v[64:65]
	s_and_b32 exec_lo, exec_lo, vcc_lo
	s_cbranch_execz .LBB29_4
; %bb.3:
	v_div_scale_f64 v[66:67], null, v[64:65], v[64:65], 1.0
	v_rcp_f64_e32 v[68:69], v[66:67]
	v_fma_f64 v[70:71], -v[66:67], v[68:69], 1.0
	v_fma_f64 v[68:69], v[68:69], v[70:71], v[68:69]
	v_fma_f64 v[70:71], -v[66:67], v[68:69], 1.0
	v_fma_f64 v[68:69], v[68:69], v[70:71], v[68:69]
	v_div_scale_f64 v[70:71], vcc_lo, 1.0, v[64:65], 1.0
	v_mul_f64 v[72:73], v[70:71], v[68:69]
	v_fma_f64 v[66:67], -v[66:67], v[72:73], v[70:71]
	v_div_fmas_f64 v[66:67], v[66:67], v[68:69], v[72:73]
	v_div_fixup_f64 v[64:65], v[66:67], v[64:65], 1.0
	ds_write_b64 v1, v[64:65]
.LBB29_4:
	s_or_b32 exec_lo, exec_lo, s2
	s_waitcnt vmcnt(0) lgkmcnt(0)
	s_barrier
	buffer_gl0_inv
	ds_read_b64 v[64:65], v1
	s_and_saveexec_b32 s2, s1
	s_cbranch_execz .LBB29_6
; %bb.5:
	s_waitcnt lgkmcnt(0)
	v_mul_f64 v[56:57], v[56:57], v[64:65]
	ds_read2_b64 v[66:69], v92 offset0:1 offset1:2
	ds_read2_b64 v[70:73], v92 offset0:3 offset1:4
	;; [unrolled: 1-line block ×7, first 2 shown]
	s_waitcnt lgkmcnt(6)
	v_fma_f64 v[58:59], -v[56:57], v[66:67], v[58:59]
	v_fma_f64 v[60:61], -v[56:57], v[68:69], v[60:61]
	s_waitcnt lgkmcnt(5)
	v_fma_f64 v[62:63], -v[56:57], v[70:71], v[62:63]
	v_fma_f64 v[38:39], -v[56:57], v[72:73], v[38:39]
	;; [unrolled: 3-line block ×7, first 2 shown]
.LBB29_6:
	s_or_b32 exec_lo, exec_lo, s2
	s_mov_b32 s1, exec_lo
	s_waitcnt lgkmcnt(0)
	s_barrier
	buffer_gl0_inv
	v_cmpx_eq_u32_e32 1, v0
	s_cbranch_execz .LBB29_9
; %bb.7:
	ds_write_b64 v1, v[58:59]
	ds_write2_b64 v92, v[60:61], v[62:63] offset0:2 offset1:3
	ds_write2_b64 v92, v[38:39], v[40:41] offset0:4 offset1:5
	;; [unrolled: 1-line block ×6, first 2 shown]
	ds_write_b64 v92, v[54:55] offset:112
	ds_read_b64 v[66:67], v1
	s_waitcnt lgkmcnt(0)
	v_cmp_neq_f64_e32 vcc_lo, 0, v[66:67]
	s_and_b32 exec_lo, exec_lo, vcc_lo
	s_cbranch_execz .LBB29_9
; %bb.8:
	v_div_scale_f64 v[68:69], null, v[66:67], v[66:67], 1.0
	v_rcp_f64_e32 v[70:71], v[68:69]
	v_fma_f64 v[72:73], -v[68:69], v[70:71], 1.0
	v_fma_f64 v[70:71], v[70:71], v[72:73], v[70:71]
	v_fma_f64 v[72:73], -v[68:69], v[70:71], 1.0
	v_fma_f64 v[70:71], v[70:71], v[72:73], v[70:71]
	v_div_scale_f64 v[72:73], vcc_lo, 1.0, v[66:67], 1.0
	v_mul_f64 v[74:75], v[72:73], v[70:71]
	v_fma_f64 v[68:69], -v[68:69], v[74:75], v[72:73]
	v_div_fmas_f64 v[68:69], v[68:69], v[70:71], v[74:75]
	v_div_fixup_f64 v[66:67], v[68:69], v[66:67], 1.0
	ds_write_b64 v1, v[66:67]
.LBB29_9:
	s_or_b32 exec_lo, exec_lo, s1
	s_waitcnt lgkmcnt(0)
	s_barrier
	buffer_gl0_inv
	ds_read_b64 v[66:67], v1
	s_mov_b32 s1, exec_lo
	v_cmpx_lt_u32_e32 1, v0
	s_cbranch_execz .LBB29_11
; %bb.10:
	s_waitcnt lgkmcnt(0)
	v_mul_f64 v[58:59], v[58:59], v[66:67]
	ds_read2_b64 v[68:71], v92 offset0:2 offset1:3
	ds_read2_b64 v[72:75], v92 offset0:4 offset1:5
	;; [unrolled: 1-line block ×6, first 2 shown]
	ds_read_b64 v[93:94], v92 offset:112
	s_waitcnt lgkmcnt(6)
	v_fma_f64 v[60:61], -v[58:59], v[68:69], v[60:61]
	v_fma_f64 v[62:63], -v[58:59], v[70:71], v[62:63]
	s_waitcnt lgkmcnt(5)
	v_fma_f64 v[38:39], -v[58:59], v[72:73], v[38:39]
	v_fma_f64 v[40:41], -v[58:59], v[74:75], v[40:41]
	;; [unrolled: 3-line block ×6, first 2 shown]
	s_waitcnt lgkmcnt(0)
	v_fma_f64 v[54:55], -v[58:59], v[93:94], v[54:55]
.LBB29_11:
	s_or_b32 exec_lo, exec_lo, s1
	s_mov_b32 s1, exec_lo
	s_waitcnt lgkmcnt(0)
	s_barrier
	buffer_gl0_inv
	v_cmpx_eq_u32_e32 2, v0
	s_cbranch_execz .LBB29_14
; %bb.12:
	ds_write_b64 v1, v[60:61]
	ds_write2_b64 v92, v[62:63], v[38:39] offset0:3 offset1:4
	ds_write2_b64 v92, v[40:41], v[42:43] offset0:5 offset1:6
	;; [unrolled: 1-line block ×6, first 2 shown]
	ds_read_b64 v[68:69], v1
	s_waitcnt lgkmcnt(0)
	v_cmp_neq_f64_e32 vcc_lo, 0, v[68:69]
	s_and_b32 exec_lo, exec_lo, vcc_lo
	s_cbranch_execz .LBB29_14
; %bb.13:
	v_div_scale_f64 v[70:71], null, v[68:69], v[68:69], 1.0
	v_rcp_f64_e32 v[72:73], v[70:71]
	v_fma_f64 v[74:75], -v[70:71], v[72:73], 1.0
	v_fma_f64 v[72:73], v[72:73], v[74:75], v[72:73]
	v_fma_f64 v[74:75], -v[70:71], v[72:73], 1.0
	v_fma_f64 v[72:73], v[72:73], v[74:75], v[72:73]
	v_div_scale_f64 v[74:75], vcc_lo, 1.0, v[68:69], 1.0
	v_mul_f64 v[76:77], v[74:75], v[72:73]
	v_fma_f64 v[70:71], -v[70:71], v[76:77], v[74:75]
	v_div_fmas_f64 v[70:71], v[70:71], v[72:73], v[76:77]
	v_div_fixup_f64 v[68:69], v[70:71], v[68:69], 1.0
	ds_write_b64 v1, v[68:69]
.LBB29_14:
	s_or_b32 exec_lo, exec_lo, s1
	s_waitcnt lgkmcnt(0)
	s_barrier
	buffer_gl0_inv
	ds_read_b64 v[68:69], v1
	s_mov_b32 s1, exec_lo
	v_cmpx_lt_u32_e32 2, v0
	s_cbranch_execz .LBB29_16
; %bb.15:
	s_waitcnt lgkmcnt(0)
	v_mul_f64 v[60:61], v[60:61], v[68:69]
	ds_read2_b64 v[70:73], v92 offset0:3 offset1:4
	ds_read2_b64 v[74:77], v92 offset0:5 offset1:6
	;; [unrolled: 1-line block ×6, first 2 shown]
	s_waitcnt lgkmcnt(5)
	v_fma_f64 v[62:63], -v[60:61], v[70:71], v[62:63]
	v_fma_f64 v[38:39], -v[60:61], v[72:73], v[38:39]
	s_waitcnt lgkmcnt(4)
	v_fma_f64 v[40:41], -v[60:61], v[74:75], v[40:41]
	v_fma_f64 v[42:43], -v[60:61], v[76:77], v[42:43]
	;; [unrolled: 3-line block ×6, first 2 shown]
.LBB29_16:
	s_or_b32 exec_lo, exec_lo, s1
	s_mov_b32 s1, exec_lo
	s_waitcnt lgkmcnt(0)
	s_barrier
	buffer_gl0_inv
	v_cmpx_eq_u32_e32 3, v0
	s_cbranch_execz .LBB29_19
; %bb.17:
	ds_write_b64 v1, v[62:63]
	ds_write2_b64 v92, v[38:39], v[40:41] offset0:4 offset1:5
	ds_write2_b64 v92, v[42:43], v[44:45] offset0:6 offset1:7
	;; [unrolled: 1-line block ×5, first 2 shown]
	ds_write_b64 v92, v[54:55] offset:112
	ds_read_b64 v[70:71], v1
	s_waitcnt lgkmcnt(0)
	v_cmp_neq_f64_e32 vcc_lo, 0, v[70:71]
	s_and_b32 exec_lo, exec_lo, vcc_lo
	s_cbranch_execz .LBB29_19
; %bb.18:
	v_div_scale_f64 v[72:73], null, v[70:71], v[70:71], 1.0
	v_rcp_f64_e32 v[74:75], v[72:73]
	v_fma_f64 v[76:77], -v[72:73], v[74:75], 1.0
	v_fma_f64 v[74:75], v[74:75], v[76:77], v[74:75]
	v_fma_f64 v[76:77], -v[72:73], v[74:75], 1.0
	v_fma_f64 v[74:75], v[74:75], v[76:77], v[74:75]
	v_div_scale_f64 v[76:77], vcc_lo, 1.0, v[70:71], 1.0
	v_mul_f64 v[78:79], v[76:77], v[74:75]
	v_fma_f64 v[72:73], -v[72:73], v[78:79], v[76:77]
	v_div_fmas_f64 v[72:73], v[72:73], v[74:75], v[78:79]
	v_div_fixup_f64 v[70:71], v[72:73], v[70:71], 1.0
	ds_write_b64 v1, v[70:71]
.LBB29_19:
	s_or_b32 exec_lo, exec_lo, s1
	s_waitcnt lgkmcnt(0)
	s_barrier
	buffer_gl0_inv
	ds_read_b64 v[70:71], v1
	s_mov_b32 s1, exec_lo
	v_cmpx_lt_u32_e32 3, v0
	s_cbranch_execz .LBB29_21
; %bb.20:
	s_waitcnt lgkmcnt(0)
	v_mul_f64 v[62:63], v[62:63], v[70:71]
	ds_read2_b64 v[72:75], v92 offset0:4 offset1:5
	ds_read2_b64 v[76:79], v92 offset0:6 offset1:7
	ds_read2_b64 v[80:83], v92 offset0:8 offset1:9
	ds_read2_b64 v[84:87], v92 offset0:10 offset1:11
	ds_read2_b64 v[88:91], v92 offset0:12 offset1:13
	ds_read_b64 v[93:94], v92 offset:112
	s_waitcnt lgkmcnt(5)
	v_fma_f64 v[38:39], -v[62:63], v[72:73], v[38:39]
	v_fma_f64 v[40:41], -v[62:63], v[74:75], v[40:41]
	s_waitcnt lgkmcnt(4)
	v_fma_f64 v[42:43], -v[62:63], v[76:77], v[42:43]
	v_fma_f64 v[44:45], -v[62:63], v[78:79], v[44:45]
	;; [unrolled: 3-line block ×5, first 2 shown]
	s_waitcnt lgkmcnt(0)
	v_fma_f64 v[54:55], -v[62:63], v[93:94], v[54:55]
.LBB29_21:
	s_or_b32 exec_lo, exec_lo, s1
	s_mov_b32 s1, exec_lo
	s_waitcnt lgkmcnt(0)
	s_barrier
	buffer_gl0_inv
	v_cmpx_eq_u32_e32 4, v0
	s_cbranch_execz .LBB29_24
; %bb.22:
	ds_write_b64 v1, v[38:39]
	ds_write2_b64 v92, v[40:41], v[42:43] offset0:5 offset1:6
	ds_write2_b64 v92, v[44:45], v[46:47] offset0:7 offset1:8
	;; [unrolled: 1-line block ×5, first 2 shown]
	ds_read_b64 v[72:73], v1
	s_waitcnt lgkmcnt(0)
	v_cmp_neq_f64_e32 vcc_lo, 0, v[72:73]
	s_and_b32 exec_lo, exec_lo, vcc_lo
	s_cbranch_execz .LBB29_24
; %bb.23:
	v_div_scale_f64 v[74:75], null, v[72:73], v[72:73], 1.0
	v_rcp_f64_e32 v[76:77], v[74:75]
	v_fma_f64 v[78:79], -v[74:75], v[76:77], 1.0
	v_fma_f64 v[76:77], v[76:77], v[78:79], v[76:77]
	v_fma_f64 v[78:79], -v[74:75], v[76:77], 1.0
	v_fma_f64 v[76:77], v[76:77], v[78:79], v[76:77]
	v_div_scale_f64 v[78:79], vcc_lo, 1.0, v[72:73], 1.0
	v_mul_f64 v[80:81], v[78:79], v[76:77]
	v_fma_f64 v[74:75], -v[74:75], v[80:81], v[78:79]
	v_div_fmas_f64 v[74:75], v[74:75], v[76:77], v[80:81]
	v_div_fixup_f64 v[72:73], v[74:75], v[72:73], 1.0
	ds_write_b64 v1, v[72:73]
.LBB29_24:
	s_or_b32 exec_lo, exec_lo, s1
	s_waitcnt lgkmcnt(0)
	s_barrier
	buffer_gl0_inv
	ds_read_b64 v[72:73], v1
	s_mov_b32 s1, exec_lo
	v_cmpx_lt_u32_e32 4, v0
	s_cbranch_execz .LBB29_26
; %bb.25:
	s_waitcnt lgkmcnt(0)
	v_mul_f64 v[38:39], v[38:39], v[72:73]
	ds_read2_b64 v[74:77], v92 offset0:5 offset1:6
	ds_read2_b64 v[78:81], v92 offset0:7 offset1:8
	;; [unrolled: 1-line block ×5, first 2 shown]
	s_waitcnt lgkmcnt(4)
	v_fma_f64 v[40:41], -v[38:39], v[74:75], v[40:41]
	v_fma_f64 v[42:43], -v[38:39], v[76:77], v[42:43]
	s_waitcnt lgkmcnt(3)
	v_fma_f64 v[44:45], -v[38:39], v[78:79], v[44:45]
	v_fma_f64 v[46:47], -v[38:39], v[80:81], v[46:47]
	;; [unrolled: 3-line block ×5, first 2 shown]
.LBB29_26:
	s_or_b32 exec_lo, exec_lo, s1
	s_mov_b32 s1, exec_lo
	s_waitcnt lgkmcnt(0)
	s_barrier
	buffer_gl0_inv
	v_cmpx_eq_u32_e32 5, v0
	s_cbranch_execz .LBB29_29
; %bb.27:
	ds_write_b64 v1, v[40:41]
	ds_write2_b64 v92, v[42:43], v[44:45] offset0:6 offset1:7
	ds_write2_b64 v92, v[46:47], v[32:33] offset0:8 offset1:9
	;; [unrolled: 1-line block ×4, first 2 shown]
	ds_write_b64 v92, v[54:55] offset:112
	ds_read_b64 v[74:75], v1
	s_waitcnt lgkmcnt(0)
	v_cmp_neq_f64_e32 vcc_lo, 0, v[74:75]
	s_and_b32 exec_lo, exec_lo, vcc_lo
	s_cbranch_execz .LBB29_29
; %bb.28:
	v_div_scale_f64 v[76:77], null, v[74:75], v[74:75], 1.0
	v_rcp_f64_e32 v[78:79], v[76:77]
	v_fma_f64 v[80:81], -v[76:77], v[78:79], 1.0
	v_fma_f64 v[78:79], v[78:79], v[80:81], v[78:79]
	v_fma_f64 v[80:81], -v[76:77], v[78:79], 1.0
	v_fma_f64 v[78:79], v[78:79], v[80:81], v[78:79]
	v_div_scale_f64 v[80:81], vcc_lo, 1.0, v[74:75], 1.0
	v_mul_f64 v[82:83], v[80:81], v[78:79]
	v_fma_f64 v[76:77], -v[76:77], v[82:83], v[80:81]
	v_div_fmas_f64 v[76:77], v[76:77], v[78:79], v[82:83]
	v_div_fixup_f64 v[74:75], v[76:77], v[74:75], 1.0
	ds_write_b64 v1, v[74:75]
.LBB29_29:
	s_or_b32 exec_lo, exec_lo, s1
	s_waitcnt lgkmcnt(0)
	s_barrier
	buffer_gl0_inv
	ds_read_b64 v[74:75], v1
	s_mov_b32 s1, exec_lo
	v_cmpx_lt_u32_e32 5, v0
	s_cbranch_execz .LBB29_31
; %bb.30:
	s_waitcnt lgkmcnt(0)
	v_mul_f64 v[40:41], v[40:41], v[74:75]
	ds_read2_b64 v[76:79], v92 offset0:6 offset1:7
	ds_read2_b64 v[80:83], v92 offset0:8 offset1:9
	;; [unrolled: 1-line block ×4, first 2 shown]
	ds_read_b64 v[93:94], v92 offset:112
	s_waitcnt lgkmcnt(4)
	v_fma_f64 v[42:43], -v[40:41], v[76:77], v[42:43]
	v_fma_f64 v[44:45], -v[40:41], v[78:79], v[44:45]
	s_waitcnt lgkmcnt(3)
	v_fma_f64 v[46:47], -v[40:41], v[80:81], v[46:47]
	v_fma_f64 v[32:33], -v[40:41], v[82:83], v[32:33]
	;; [unrolled: 3-line block ×4, first 2 shown]
	s_waitcnt lgkmcnt(0)
	v_fma_f64 v[54:55], -v[40:41], v[93:94], v[54:55]
.LBB29_31:
	s_or_b32 exec_lo, exec_lo, s1
	s_mov_b32 s1, exec_lo
	s_waitcnt lgkmcnt(0)
	s_barrier
	buffer_gl0_inv
	v_cmpx_eq_u32_e32 6, v0
	s_cbranch_execz .LBB29_34
; %bb.32:
	ds_write_b64 v1, v[42:43]
	ds_write2_b64 v92, v[44:45], v[46:47] offset0:7 offset1:8
	ds_write2_b64 v92, v[32:33], v[34:35] offset0:9 offset1:10
	;; [unrolled: 1-line block ×4, first 2 shown]
	ds_read_b64 v[76:77], v1
	s_waitcnt lgkmcnt(0)
	v_cmp_neq_f64_e32 vcc_lo, 0, v[76:77]
	s_and_b32 exec_lo, exec_lo, vcc_lo
	s_cbranch_execz .LBB29_34
; %bb.33:
	v_div_scale_f64 v[78:79], null, v[76:77], v[76:77], 1.0
	v_rcp_f64_e32 v[80:81], v[78:79]
	v_fma_f64 v[82:83], -v[78:79], v[80:81], 1.0
	v_fma_f64 v[80:81], v[80:81], v[82:83], v[80:81]
	v_fma_f64 v[82:83], -v[78:79], v[80:81], 1.0
	v_fma_f64 v[80:81], v[80:81], v[82:83], v[80:81]
	v_div_scale_f64 v[82:83], vcc_lo, 1.0, v[76:77], 1.0
	v_mul_f64 v[84:85], v[82:83], v[80:81]
	v_fma_f64 v[78:79], -v[78:79], v[84:85], v[82:83]
	v_div_fmas_f64 v[78:79], v[78:79], v[80:81], v[84:85]
	v_div_fixup_f64 v[76:77], v[78:79], v[76:77], 1.0
	ds_write_b64 v1, v[76:77]
.LBB29_34:
	s_or_b32 exec_lo, exec_lo, s1
	s_waitcnt lgkmcnt(0)
	s_barrier
	buffer_gl0_inv
	ds_read_b64 v[76:77], v1
	s_mov_b32 s1, exec_lo
	v_cmpx_lt_u32_e32 6, v0
	s_cbranch_execz .LBB29_36
; %bb.35:
	s_waitcnt lgkmcnt(0)
	v_mul_f64 v[42:43], v[42:43], v[76:77]
	ds_read2_b64 v[78:81], v92 offset0:7 offset1:8
	ds_read2_b64 v[82:85], v92 offset0:9 offset1:10
	;; [unrolled: 1-line block ×4, first 2 shown]
	s_waitcnt lgkmcnt(3)
	v_fma_f64 v[44:45], -v[42:43], v[78:79], v[44:45]
	v_fma_f64 v[46:47], -v[42:43], v[80:81], v[46:47]
	s_waitcnt lgkmcnt(2)
	v_fma_f64 v[32:33], -v[42:43], v[82:83], v[32:33]
	v_fma_f64 v[34:35], -v[42:43], v[84:85], v[34:35]
	s_waitcnt lgkmcnt(1)
	v_fma_f64 v[36:37], -v[42:43], v[86:87], v[36:37]
	v_fma_f64 v[50:51], -v[42:43], v[88:89], v[50:51]
	s_waitcnt lgkmcnt(0)
	v_fma_f64 v[52:53], -v[42:43], v[93:94], v[52:53]
	v_fma_f64 v[54:55], -v[42:43], v[95:96], v[54:55]
.LBB29_36:
	s_or_b32 exec_lo, exec_lo, s1
	s_mov_b32 s1, exec_lo
	s_waitcnt lgkmcnt(0)
	s_barrier
	buffer_gl0_inv
	v_cmpx_eq_u32_e32 7, v0
	s_cbranch_execz .LBB29_39
; %bb.37:
	ds_write_b64 v1, v[44:45]
	ds_write2_b64 v92, v[46:47], v[32:33] offset0:8 offset1:9
	ds_write2_b64 v92, v[34:35], v[36:37] offset0:10 offset1:11
	ds_write2_b64 v92, v[50:51], v[52:53] offset0:12 offset1:13
	ds_write_b64 v92, v[54:55] offset:112
	ds_read_b64 v[78:79], v1
	s_waitcnt lgkmcnt(0)
	v_cmp_neq_f64_e32 vcc_lo, 0, v[78:79]
	s_and_b32 exec_lo, exec_lo, vcc_lo
	s_cbranch_execz .LBB29_39
; %bb.38:
	v_div_scale_f64 v[80:81], null, v[78:79], v[78:79], 1.0
	v_rcp_f64_e32 v[82:83], v[80:81]
	v_fma_f64 v[84:85], -v[80:81], v[82:83], 1.0
	v_fma_f64 v[82:83], v[82:83], v[84:85], v[82:83]
	v_fma_f64 v[84:85], -v[80:81], v[82:83], 1.0
	v_fma_f64 v[82:83], v[82:83], v[84:85], v[82:83]
	v_div_scale_f64 v[84:85], vcc_lo, 1.0, v[78:79], 1.0
	v_mul_f64 v[86:87], v[84:85], v[82:83]
	v_fma_f64 v[80:81], -v[80:81], v[86:87], v[84:85]
	v_div_fmas_f64 v[80:81], v[80:81], v[82:83], v[86:87]
	v_div_fixup_f64 v[78:79], v[80:81], v[78:79], 1.0
	ds_write_b64 v1, v[78:79]
.LBB29_39:
	s_or_b32 exec_lo, exec_lo, s1
	s_waitcnt lgkmcnt(0)
	s_barrier
	buffer_gl0_inv
	ds_read_b64 v[78:79], v1
	s_mov_b32 s1, exec_lo
	v_cmpx_lt_u32_e32 7, v0
	s_cbranch_execz .LBB29_41
; %bb.40:
	s_waitcnt lgkmcnt(0)
	v_mul_f64 v[44:45], v[44:45], v[78:79]
	ds_read2_b64 v[80:83], v92 offset0:8 offset1:9
	ds_read2_b64 v[84:87], v92 offset0:10 offset1:11
	;; [unrolled: 1-line block ×3, first 2 shown]
	ds_read_b64 v[93:94], v92 offset:112
	s_waitcnt lgkmcnt(3)
	v_fma_f64 v[46:47], -v[44:45], v[80:81], v[46:47]
	v_fma_f64 v[32:33], -v[44:45], v[82:83], v[32:33]
	s_waitcnt lgkmcnt(2)
	v_fma_f64 v[34:35], -v[44:45], v[84:85], v[34:35]
	v_fma_f64 v[36:37], -v[44:45], v[86:87], v[36:37]
	;; [unrolled: 3-line block ×3, first 2 shown]
	s_waitcnt lgkmcnt(0)
	v_fma_f64 v[54:55], -v[44:45], v[93:94], v[54:55]
.LBB29_41:
	s_or_b32 exec_lo, exec_lo, s1
	s_mov_b32 s1, exec_lo
	s_waitcnt lgkmcnt(0)
	s_barrier
	buffer_gl0_inv
	v_cmpx_eq_u32_e32 8, v0
	s_cbranch_execz .LBB29_44
; %bb.42:
	ds_write_b64 v1, v[46:47]
	ds_write2_b64 v92, v[32:33], v[34:35] offset0:9 offset1:10
	ds_write2_b64 v92, v[36:37], v[50:51] offset0:11 offset1:12
	ds_write2_b64 v92, v[52:53], v[54:55] offset0:13 offset1:14
	ds_read_b64 v[80:81], v1
	s_waitcnt lgkmcnt(0)
	v_cmp_neq_f64_e32 vcc_lo, 0, v[80:81]
	s_and_b32 exec_lo, exec_lo, vcc_lo
	s_cbranch_execz .LBB29_44
; %bb.43:
	v_div_scale_f64 v[82:83], null, v[80:81], v[80:81], 1.0
	v_rcp_f64_e32 v[84:85], v[82:83]
	v_fma_f64 v[86:87], -v[82:83], v[84:85], 1.0
	v_fma_f64 v[84:85], v[84:85], v[86:87], v[84:85]
	v_fma_f64 v[86:87], -v[82:83], v[84:85], 1.0
	v_fma_f64 v[84:85], v[84:85], v[86:87], v[84:85]
	v_div_scale_f64 v[86:87], vcc_lo, 1.0, v[80:81], 1.0
	v_mul_f64 v[88:89], v[86:87], v[84:85]
	v_fma_f64 v[82:83], -v[82:83], v[88:89], v[86:87]
	v_div_fmas_f64 v[82:83], v[82:83], v[84:85], v[88:89]
	v_div_fixup_f64 v[80:81], v[82:83], v[80:81], 1.0
	ds_write_b64 v1, v[80:81]
.LBB29_44:
	s_or_b32 exec_lo, exec_lo, s1
	s_waitcnt lgkmcnt(0)
	s_barrier
	buffer_gl0_inv
	ds_read_b64 v[80:81], v1
	s_mov_b32 s1, exec_lo
	v_cmpx_lt_u32_e32 8, v0
	s_cbranch_execz .LBB29_46
; %bb.45:
	s_waitcnt lgkmcnt(0)
	v_mul_f64 v[46:47], v[46:47], v[80:81]
	ds_read2_b64 v[82:85], v92 offset0:9 offset1:10
	ds_read2_b64 v[86:89], v92 offset0:11 offset1:12
	;; [unrolled: 1-line block ×3, first 2 shown]
	s_waitcnt lgkmcnt(2)
	v_fma_f64 v[32:33], -v[46:47], v[82:83], v[32:33]
	v_fma_f64 v[34:35], -v[46:47], v[84:85], v[34:35]
	s_waitcnt lgkmcnt(1)
	v_fma_f64 v[36:37], -v[46:47], v[86:87], v[36:37]
	v_fma_f64 v[50:51], -v[46:47], v[88:89], v[50:51]
	;; [unrolled: 3-line block ×3, first 2 shown]
.LBB29_46:
	s_or_b32 exec_lo, exec_lo, s1
	s_mov_b32 s1, exec_lo
	s_waitcnt lgkmcnt(0)
	s_barrier
	buffer_gl0_inv
	v_cmpx_eq_u32_e32 9, v0
	s_cbranch_execz .LBB29_49
; %bb.47:
	ds_write_b64 v1, v[32:33]
	ds_write2_b64 v92, v[34:35], v[36:37] offset0:10 offset1:11
	ds_write2_b64 v92, v[50:51], v[52:53] offset0:12 offset1:13
	ds_write_b64 v92, v[54:55] offset:112
	ds_read_b64 v[82:83], v1
	s_waitcnt lgkmcnt(0)
	v_cmp_neq_f64_e32 vcc_lo, 0, v[82:83]
	s_and_b32 exec_lo, exec_lo, vcc_lo
	s_cbranch_execz .LBB29_49
; %bb.48:
	v_div_scale_f64 v[84:85], null, v[82:83], v[82:83], 1.0
	v_rcp_f64_e32 v[86:87], v[84:85]
	v_fma_f64 v[88:89], -v[84:85], v[86:87], 1.0
	v_fma_f64 v[86:87], v[86:87], v[88:89], v[86:87]
	v_fma_f64 v[88:89], -v[84:85], v[86:87], 1.0
	v_fma_f64 v[86:87], v[86:87], v[88:89], v[86:87]
	v_div_scale_f64 v[88:89], vcc_lo, 1.0, v[82:83], 1.0
	v_mul_f64 v[90:91], v[88:89], v[86:87]
	v_fma_f64 v[84:85], -v[84:85], v[90:91], v[88:89]
	v_div_fmas_f64 v[84:85], v[84:85], v[86:87], v[90:91]
	v_div_fixup_f64 v[82:83], v[84:85], v[82:83], 1.0
	ds_write_b64 v1, v[82:83]
.LBB29_49:
	s_or_b32 exec_lo, exec_lo, s1
	s_waitcnt lgkmcnt(0)
	s_barrier
	buffer_gl0_inv
	ds_read_b64 v[82:83], v1
	s_mov_b32 s1, exec_lo
	v_cmpx_lt_u32_e32 9, v0
	s_cbranch_execz .LBB29_51
; %bb.50:
	s_waitcnt lgkmcnt(0)
	v_mul_f64 v[32:33], v[32:33], v[82:83]
	ds_read2_b64 v[84:87], v92 offset0:10 offset1:11
	ds_read2_b64 v[88:91], v92 offset0:12 offset1:13
	ds_read_b64 v[93:94], v92 offset:112
	s_waitcnt lgkmcnt(2)
	v_fma_f64 v[34:35], -v[32:33], v[84:85], v[34:35]
	v_fma_f64 v[36:37], -v[32:33], v[86:87], v[36:37]
	s_waitcnt lgkmcnt(1)
	v_fma_f64 v[50:51], -v[32:33], v[88:89], v[50:51]
	v_fma_f64 v[52:53], -v[32:33], v[90:91], v[52:53]
	s_waitcnt lgkmcnt(0)
	v_fma_f64 v[54:55], -v[32:33], v[93:94], v[54:55]
.LBB29_51:
	s_or_b32 exec_lo, exec_lo, s1
	s_mov_b32 s1, exec_lo
	s_waitcnt lgkmcnt(0)
	s_barrier
	buffer_gl0_inv
	v_cmpx_eq_u32_e32 10, v0
	s_cbranch_execz .LBB29_54
; %bb.52:
	ds_write_b64 v1, v[34:35]
	ds_write2_b64 v92, v[36:37], v[50:51] offset0:11 offset1:12
	ds_write2_b64 v92, v[52:53], v[54:55] offset0:13 offset1:14
	ds_read_b64 v[84:85], v1
	s_waitcnt lgkmcnt(0)
	v_cmp_neq_f64_e32 vcc_lo, 0, v[84:85]
	s_and_b32 exec_lo, exec_lo, vcc_lo
	s_cbranch_execz .LBB29_54
; %bb.53:
	v_div_scale_f64 v[86:87], null, v[84:85], v[84:85], 1.0
	v_rcp_f64_e32 v[88:89], v[86:87]
	v_fma_f64 v[90:91], -v[86:87], v[88:89], 1.0
	v_fma_f64 v[88:89], v[88:89], v[90:91], v[88:89]
	v_fma_f64 v[90:91], -v[86:87], v[88:89], 1.0
	v_fma_f64 v[88:89], v[88:89], v[90:91], v[88:89]
	v_div_scale_f64 v[90:91], vcc_lo, 1.0, v[84:85], 1.0
	v_mul_f64 v[93:94], v[90:91], v[88:89]
	v_fma_f64 v[86:87], -v[86:87], v[93:94], v[90:91]
	v_div_fmas_f64 v[86:87], v[86:87], v[88:89], v[93:94]
	v_div_fixup_f64 v[84:85], v[86:87], v[84:85], 1.0
	ds_write_b64 v1, v[84:85]
.LBB29_54:
	s_or_b32 exec_lo, exec_lo, s1
	s_waitcnt lgkmcnt(0)
	s_barrier
	buffer_gl0_inv
	ds_read_b64 v[84:85], v1
	s_mov_b32 s1, exec_lo
	v_cmpx_lt_u32_e32 10, v0
	s_cbranch_execz .LBB29_56
; %bb.55:
	s_waitcnt lgkmcnt(0)
	v_mul_f64 v[34:35], v[34:35], v[84:85]
	ds_read2_b64 v[86:89], v92 offset0:11 offset1:12
	ds_read2_b64 v[93:96], v92 offset0:13 offset1:14
	s_waitcnt lgkmcnt(1)
	v_fma_f64 v[36:37], -v[34:35], v[86:87], v[36:37]
	v_fma_f64 v[50:51], -v[34:35], v[88:89], v[50:51]
	s_waitcnt lgkmcnt(0)
	v_fma_f64 v[52:53], -v[34:35], v[93:94], v[52:53]
	v_fma_f64 v[54:55], -v[34:35], v[95:96], v[54:55]
.LBB29_56:
	s_or_b32 exec_lo, exec_lo, s1
	s_mov_b32 s1, exec_lo
	s_waitcnt lgkmcnt(0)
	s_barrier
	buffer_gl0_inv
	v_cmpx_eq_u32_e32 11, v0
	s_cbranch_execz .LBB29_59
; %bb.57:
	ds_write_b64 v1, v[36:37]
	ds_write2_b64 v92, v[50:51], v[52:53] offset0:12 offset1:13
	ds_write_b64 v92, v[54:55] offset:112
	ds_read_b64 v[86:87], v1
	s_waitcnt lgkmcnt(0)
	v_cmp_neq_f64_e32 vcc_lo, 0, v[86:87]
	s_and_b32 exec_lo, exec_lo, vcc_lo
	s_cbranch_execz .LBB29_59
; %bb.58:
	v_div_scale_f64 v[88:89], null, v[86:87], v[86:87], 1.0
	v_rcp_f64_e32 v[90:91], v[88:89]
	v_fma_f64 v[93:94], -v[88:89], v[90:91], 1.0
	v_fma_f64 v[90:91], v[90:91], v[93:94], v[90:91]
	v_fma_f64 v[93:94], -v[88:89], v[90:91], 1.0
	v_fma_f64 v[90:91], v[90:91], v[93:94], v[90:91]
	v_div_scale_f64 v[93:94], vcc_lo, 1.0, v[86:87], 1.0
	v_mul_f64 v[95:96], v[93:94], v[90:91]
	v_fma_f64 v[88:89], -v[88:89], v[95:96], v[93:94]
	v_div_fmas_f64 v[88:89], v[88:89], v[90:91], v[95:96]
	v_div_fixup_f64 v[86:87], v[88:89], v[86:87], 1.0
	ds_write_b64 v1, v[86:87]
.LBB29_59:
	s_or_b32 exec_lo, exec_lo, s1
	s_waitcnt lgkmcnt(0)
	s_barrier
	buffer_gl0_inv
	ds_read_b64 v[86:87], v1
	s_mov_b32 s1, exec_lo
	v_cmpx_lt_u32_e32 11, v0
	s_cbranch_execz .LBB29_61
; %bb.60:
	s_waitcnt lgkmcnt(0)
	v_mul_f64 v[36:37], v[36:37], v[86:87]
	ds_read2_b64 v[88:91], v92 offset0:12 offset1:13
	ds_read_b64 v[93:94], v92 offset:112
	s_waitcnt lgkmcnt(1)
	v_fma_f64 v[50:51], -v[36:37], v[88:89], v[50:51]
	v_fma_f64 v[52:53], -v[36:37], v[90:91], v[52:53]
	s_waitcnt lgkmcnt(0)
	v_fma_f64 v[54:55], -v[36:37], v[93:94], v[54:55]
.LBB29_61:
	s_or_b32 exec_lo, exec_lo, s1
	s_mov_b32 s1, exec_lo
	s_waitcnt lgkmcnt(0)
	s_barrier
	buffer_gl0_inv
	v_cmpx_eq_u32_e32 12, v0
	s_cbranch_execz .LBB29_64
; %bb.62:
	ds_write_b64 v1, v[50:51]
	ds_write2_b64 v92, v[52:53], v[54:55] offset0:13 offset1:14
	ds_read_b64 v[88:89], v1
	s_waitcnt lgkmcnt(0)
	v_cmp_neq_f64_e32 vcc_lo, 0, v[88:89]
	s_and_b32 exec_lo, exec_lo, vcc_lo
	s_cbranch_execz .LBB29_64
; %bb.63:
	v_div_scale_f64 v[90:91], null, v[88:89], v[88:89], 1.0
	v_rcp_f64_e32 v[93:94], v[90:91]
	v_fma_f64 v[95:96], -v[90:91], v[93:94], 1.0
	v_fma_f64 v[93:94], v[93:94], v[95:96], v[93:94]
	v_fma_f64 v[95:96], -v[90:91], v[93:94], 1.0
	v_fma_f64 v[93:94], v[93:94], v[95:96], v[93:94]
	v_div_scale_f64 v[95:96], vcc_lo, 1.0, v[88:89], 1.0
	v_mul_f64 v[97:98], v[95:96], v[93:94]
	v_fma_f64 v[90:91], -v[90:91], v[97:98], v[95:96]
	v_div_fmas_f64 v[90:91], v[90:91], v[93:94], v[97:98]
	v_div_fixup_f64 v[88:89], v[90:91], v[88:89], 1.0
	ds_write_b64 v1, v[88:89]
.LBB29_64:
	s_or_b32 exec_lo, exec_lo, s1
	s_waitcnt lgkmcnt(0)
	s_barrier
	buffer_gl0_inv
	ds_read_b64 v[88:89], v1
	s_mov_b32 s1, exec_lo
	v_cmpx_lt_u32_e32 12, v0
	s_cbranch_execz .LBB29_66
; %bb.65:
	s_waitcnt lgkmcnt(0)
	v_mul_f64 v[50:51], v[50:51], v[88:89]
	ds_read2_b64 v[93:96], v92 offset0:13 offset1:14
	s_waitcnt lgkmcnt(0)
	v_fma_f64 v[52:53], -v[50:51], v[93:94], v[52:53]
	v_fma_f64 v[54:55], -v[50:51], v[95:96], v[54:55]
.LBB29_66:
	s_or_b32 exec_lo, exec_lo, s1
	s_mov_b32 s1, exec_lo
	s_waitcnt lgkmcnt(0)
	s_barrier
	buffer_gl0_inv
	v_cmpx_eq_u32_e32 13, v0
	s_cbranch_execz .LBB29_69
; %bb.67:
	ds_write_b64 v1, v[52:53]
	ds_write_b64 v92, v[54:55] offset:112
	ds_read_b64 v[90:91], v1
	s_waitcnt lgkmcnt(0)
	v_cmp_neq_f64_e32 vcc_lo, 0, v[90:91]
	s_and_b32 exec_lo, exec_lo, vcc_lo
	s_cbranch_execz .LBB29_69
; %bb.68:
	v_div_scale_f64 v[93:94], null, v[90:91], v[90:91], 1.0
	v_rcp_f64_e32 v[95:96], v[93:94]
	v_fma_f64 v[97:98], -v[93:94], v[95:96], 1.0
	v_fma_f64 v[95:96], v[95:96], v[97:98], v[95:96]
	v_fma_f64 v[97:98], -v[93:94], v[95:96], 1.0
	v_fma_f64 v[95:96], v[95:96], v[97:98], v[95:96]
	v_div_scale_f64 v[97:98], vcc_lo, 1.0, v[90:91], 1.0
	v_mul_f64 v[99:100], v[97:98], v[95:96]
	v_fma_f64 v[93:94], -v[93:94], v[99:100], v[97:98]
	v_div_fmas_f64 v[93:94], v[93:94], v[95:96], v[99:100]
	v_div_fixup_f64 v[90:91], v[93:94], v[90:91], 1.0
	ds_write_b64 v1, v[90:91]
.LBB29_69:
	s_or_b32 exec_lo, exec_lo, s1
	s_waitcnt lgkmcnt(0)
	s_barrier
	buffer_gl0_inv
	ds_read_b64 v[90:91], v1
	s_mov_b32 s1, exec_lo
	v_cmpx_lt_u32_e32 13, v0
	s_cbranch_execz .LBB29_71
; %bb.70:
	s_waitcnt lgkmcnt(0)
	v_mul_f64 v[52:53], v[52:53], v[90:91]
	ds_read_b64 v[92:93], v92 offset:112
	s_waitcnt lgkmcnt(0)
	v_fma_f64 v[54:55], -v[52:53], v[92:93], v[54:55]
.LBB29_71:
	s_or_b32 exec_lo, exec_lo, s1
	s_mov_b32 s1, exec_lo
	s_waitcnt lgkmcnt(0)
	s_barrier
	buffer_gl0_inv
	v_cmpx_ne_u32_e32 14, v0
	s_xor_b32 s1, exec_lo, s1
	s_andn2_saveexec_b32 s1, s1
	s_cbranch_execz .LBB29_75
; %bb.72:
	s_mov_b32 s2, exec_lo
	ds_write_b64 v1, v[54:55]
	v_cmpx_neq_f64_e32 0, v[54:55]
	s_cbranch_execz .LBB29_74
; %bb.73:
	v_div_scale_f64 v[92:93], null, v[54:55], v[54:55], 1.0
	v_rcp_f64_e32 v[94:95], v[92:93]
	v_fma_f64 v[96:97], -v[92:93], v[94:95], 1.0
	v_fma_f64 v[94:95], v[94:95], v[96:97], v[94:95]
	v_fma_f64 v[96:97], -v[92:93], v[94:95], 1.0
	v_fma_f64 v[94:95], v[94:95], v[96:97], v[94:95]
	v_div_scale_f64 v[96:97], vcc_lo, 1.0, v[54:55], 1.0
	v_mul_f64 v[98:99], v[96:97], v[94:95]
	v_fma_f64 v[92:93], -v[92:93], v[98:99], v[96:97]
	v_div_fmas_f64 v[92:93], v[92:93], v[94:95], v[98:99]
	v_div_fixup_f64 v[92:93], v[92:93], v[54:55], 1.0
	ds_write_b64 v1, v[92:93]
.LBB29_74:
	s_or_b32 exec_lo, exec_lo, s2
.LBB29_75:
	s_or_b32 exec_lo, exec_lo, s1
	s_waitcnt lgkmcnt(0)
	s_barrier
	buffer_gl0_inv
	ds_read_b64 v[92:93], v1
	s_waitcnt lgkmcnt(0)
	s_barrier
	buffer_gl0_inv
	s_and_saveexec_b32 s3, s0
	s_cbranch_execz .LBB29_78
; %bb.76:
	s_load_dwordx2 s[0:1], s[4:5], 0x28
	v_lshlrev_b64 v[1:2], 2, v[2:3]
	v_cmp_eq_f64_e64 s2, 0, v[70:71]
	s_waitcnt lgkmcnt(0)
	v_add_co_u32 v1, vcc_lo, s0, v1
	v_add_co_ci_u32_e64 v2, null, s1, v2, vcc_lo
	v_cmp_eq_f64_e32 vcc_lo, 0, v[64:65]
	v_cmp_neq_f64_e64 s0, 0, v[66:67]
	v_cmp_eq_f64_e64 s1, 0, v[68:69]
	global_load_dword v94, v[1:2], off
	v_cndmask_b32_e64 v3, 0, 1, vcc_lo
	s_or_b32 vcc_lo, s0, vcc_lo
	v_cmp_eq_f64_e64 s0, 0, v[72:73]
	v_cndmask_b32_e32 v3, 2, v3, vcc_lo
	v_cmp_eq_u32_e32 vcc_lo, 0, v3
	s_and_b32 s1, s1, vcc_lo
	v_cndmask_b32_e64 v3, v3, 3, s1
	v_cmp_eq_f64_e64 s1, 0, v[74:75]
	v_cmp_eq_u32_e32 vcc_lo, 0, v3
	s_and_b32 s2, s2, vcc_lo
	v_cndmask_b32_e64 v3, v3, 4, s2
	v_cmp_eq_f64_e64 s2, 0, v[76:77]
	;; [unrolled: 4-line block ×10, first 2 shown]
	v_cmp_eq_u32_e32 vcc_lo, 0, v3
	s_and_b32 s2, s2, vcc_lo
	v_cndmask_b32_e64 v3, v3, 13, s2
	v_cmp_eq_u32_e32 vcc_lo, 0, v3
	s_and_b32 s0, s0, vcc_lo
	v_cndmask_b32_e64 v3, v3, 14, s0
	;; [unrolled: 3-line block ×3, first 2 shown]
	v_cmp_ne_u32_e64 s0, 0, v3
	s_waitcnt vmcnt(0)
	v_cmp_eq_u32_e32 vcc_lo, 0, v94
	s_and_b32 s0, vcc_lo, s0
	s_and_b32 exec_lo, exec_lo, s0
	s_cbranch_execz .LBB29_78
; %bb.77:
	v_add_nc_u32_e32 v3, s9, v3
	global_store_dword v[1:2], v3, off
.LBB29_78:
	s_or_b32 exec_lo, exec_lo, s3
	v_mul_f64 v[1:2], v[54:55], v[92:93]
	v_cmp_lt_u32_e32 vcc_lo, 14, v0
	flat_store_dwordx2 v[4:5], v[56:57]
	flat_store_dwordx2 v[48:49], v[58:59]
	;; [unrolled: 1-line block ×9, first 2 shown]
	v_cndmask_b32_e32 v2, v55, v2, vcc_lo
	v_cndmask_b32_e32 v1, v54, v1, vcc_lo
	flat_store_dwordx2 v[18:19], v[32:33]
	flat_store_dwordx2 v[22:23], v[34:35]
	;; [unrolled: 1-line block ×6, first 2 shown]
.LBB29_79:
	s_endpgm
	.section	.rodata,"a",@progbits
	.p2align	6, 0x0
	.amdhsa_kernel _ZN9rocsolver6v33100L23getf2_npvt_small_kernelILi15EdiiPKPdEEvT1_T3_lS5_lPT2_S5_S5_
		.amdhsa_group_segment_fixed_size 0
		.amdhsa_private_segment_fixed_size 0
		.amdhsa_kernarg_size 312
		.amdhsa_user_sgpr_count 6
		.amdhsa_user_sgpr_private_segment_buffer 1
		.amdhsa_user_sgpr_dispatch_ptr 0
		.amdhsa_user_sgpr_queue_ptr 0
		.amdhsa_user_sgpr_kernarg_segment_ptr 1
		.amdhsa_user_sgpr_dispatch_id 0
		.amdhsa_user_sgpr_flat_scratch_init 0
		.amdhsa_user_sgpr_private_segment_size 0
		.amdhsa_wavefront_size32 1
		.amdhsa_uses_dynamic_stack 0
		.amdhsa_system_sgpr_private_segment_wavefront_offset 0
		.amdhsa_system_sgpr_workgroup_id_x 1
		.amdhsa_system_sgpr_workgroup_id_y 1
		.amdhsa_system_sgpr_workgroup_id_z 0
		.amdhsa_system_sgpr_workgroup_info 0
		.amdhsa_system_vgpr_workitem_id 1
		.amdhsa_next_free_vgpr 101
		.amdhsa_next_free_sgpr 11
		.amdhsa_reserve_vcc 1
		.amdhsa_reserve_flat_scratch 1
		.amdhsa_float_round_mode_32 0
		.amdhsa_float_round_mode_16_64 0
		.amdhsa_float_denorm_mode_32 3
		.amdhsa_float_denorm_mode_16_64 3
		.amdhsa_dx10_clamp 1
		.amdhsa_ieee_mode 1
		.amdhsa_fp16_overflow 0
		.amdhsa_workgroup_processor_mode 1
		.amdhsa_memory_ordered 1
		.amdhsa_forward_progress 1
		.amdhsa_shared_vgpr_count 0
		.amdhsa_exception_fp_ieee_invalid_op 0
		.amdhsa_exception_fp_denorm_src 0
		.amdhsa_exception_fp_ieee_div_zero 0
		.amdhsa_exception_fp_ieee_overflow 0
		.amdhsa_exception_fp_ieee_underflow 0
		.amdhsa_exception_fp_ieee_inexact 0
		.amdhsa_exception_int_div_zero 0
	.end_amdhsa_kernel
	.section	.text._ZN9rocsolver6v33100L23getf2_npvt_small_kernelILi15EdiiPKPdEEvT1_T3_lS5_lPT2_S5_S5_,"axG",@progbits,_ZN9rocsolver6v33100L23getf2_npvt_small_kernelILi15EdiiPKPdEEvT1_T3_lS5_lPT2_S5_S5_,comdat
.Lfunc_end29:
	.size	_ZN9rocsolver6v33100L23getf2_npvt_small_kernelILi15EdiiPKPdEEvT1_T3_lS5_lPT2_S5_S5_, .Lfunc_end29-_ZN9rocsolver6v33100L23getf2_npvt_small_kernelILi15EdiiPKPdEEvT1_T3_lS5_lPT2_S5_S5_
                                        ; -- End function
	.set _ZN9rocsolver6v33100L23getf2_npvt_small_kernelILi15EdiiPKPdEEvT1_T3_lS5_lPT2_S5_S5_.num_vgpr, 101
	.set _ZN9rocsolver6v33100L23getf2_npvt_small_kernelILi15EdiiPKPdEEvT1_T3_lS5_lPT2_S5_S5_.num_agpr, 0
	.set _ZN9rocsolver6v33100L23getf2_npvt_small_kernelILi15EdiiPKPdEEvT1_T3_lS5_lPT2_S5_S5_.numbered_sgpr, 11
	.set _ZN9rocsolver6v33100L23getf2_npvt_small_kernelILi15EdiiPKPdEEvT1_T3_lS5_lPT2_S5_S5_.num_named_barrier, 0
	.set _ZN9rocsolver6v33100L23getf2_npvt_small_kernelILi15EdiiPKPdEEvT1_T3_lS5_lPT2_S5_S5_.private_seg_size, 0
	.set _ZN9rocsolver6v33100L23getf2_npvt_small_kernelILi15EdiiPKPdEEvT1_T3_lS5_lPT2_S5_S5_.uses_vcc, 1
	.set _ZN9rocsolver6v33100L23getf2_npvt_small_kernelILi15EdiiPKPdEEvT1_T3_lS5_lPT2_S5_S5_.uses_flat_scratch, 1
	.set _ZN9rocsolver6v33100L23getf2_npvt_small_kernelILi15EdiiPKPdEEvT1_T3_lS5_lPT2_S5_S5_.has_dyn_sized_stack, 0
	.set _ZN9rocsolver6v33100L23getf2_npvt_small_kernelILi15EdiiPKPdEEvT1_T3_lS5_lPT2_S5_S5_.has_recursion, 0
	.set _ZN9rocsolver6v33100L23getf2_npvt_small_kernelILi15EdiiPKPdEEvT1_T3_lS5_lPT2_S5_S5_.has_indirect_call, 0
	.section	.AMDGPU.csdata,"",@progbits
; Kernel info:
; codeLenInByte = 6412
; TotalNumSgprs: 13
; NumVgprs: 101
; ScratchSize: 0
; MemoryBound: 0
; FloatMode: 240
; IeeeMode: 1
; LDSByteSize: 0 bytes/workgroup (compile time only)
; SGPRBlocks: 0
; VGPRBlocks: 12
; NumSGPRsForWavesPerEU: 13
; NumVGPRsForWavesPerEU: 101
; Occupancy: 9
; WaveLimiterHint : 1
; COMPUTE_PGM_RSRC2:SCRATCH_EN: 0
; COMPUTE_PGM_RSRC2:USER_SGPR: 6
; COMPUTE_PGM_RSRC2:TRAP_HANDLER: 0
; COMPUTE_PGM_RSRC2:TGID_X_EN: 1
; COMPUTE_PGM_RSRC2:TGID_Y_EN: 1
; COMPUTE_PGM_RSRC2:TGID_Z_EN: 0
; COMPUTE_PGM_RSRC2:TIDIG_COMP_CNT: 1
	.section	.text._ZN9rocsolver6v33100L18getf2_small_kernelILi16EdiiPKPdEEvT1_T3_lS5_lPS5_llPT2_S5_S5_S7_l,"axG",@progbits,_ZN9rocsolver6v33100L18getf2_small_kernelILi16EdiiPKPdEEvT1_T3_lS5_lPS5_llPT2_S5_S5_S7_l,comdat
	.globl	_ZN9rocsolver6v33100L18getf2_small_kernelILi16EdiiPKPdEEvT1_T3_lS5_lPS5_llPT2_S5_S5_S7_l ; -- Begin function _ZN9rocsolver6v33100L18getf2_small_kernelILi16EdiiPKPdEEvT1_T3_lS5_lPS5_llPT2_S5_S5_S7_l
	.p2align	8
	.type	_ZN9rocsolver6v33100L18getf2_small_kernelILi16EdiiPKPdEEvT1_T3_lS5_lPS5_llPT2_S5_S5_S7_l,@function
_ZN9rocsolver6v33100L18getf2_small_kernelILi16EdiiPKPdEEvT1_T3_lS5_lPS5_llPT2_S5_S5_S7_l: ; @_ZN9rocsolver6v33100L18getf2_small_kernelILi16EdiiPKPdEEvT1_T3_lS5_lPS5_llPT2_S5_S5_S7_l
; %bb.0:
	s_clause 0x1
	s_load_dword s0, s[4:5], 0x6c
	s_load_dwordx2 s[12:13], s[4:5], 0x48
	s_waitcnt lgkmcnt(0)
	s_lshr_b32 s0, s0, 16
	v_mad_u64_u32 v[66:67], null, s7, s0, v[1:2]
	s_mov_b32 s0, exec_lo
	v_cmpx_gt_i32_e64 s12, v66
	s_cbranch_execz .LBB30_269
; %bb.1:
	s_clause 0x1
	s_load_dwordx4 s[0:3], s[4:5], 0x8
	s_load_dwordx4 s[8:11], s[4:5], 0x50
	v_ashrrev_i32_e32 v67, 31, v66
	v_mov_b32_e32 v68, 0
	v_mov_b32_e32 v69, 0
	v_lshlrev_b64 v[2:3], 3, v[66:67]
	s_waitcnt lgkmcnt(0)
	v_add_co_u32 v2, vcc_lo, s0, v2
	v_add_co_ci_u32_e64 v3, null, s1, v3, vcc_lo
	s_cmp_eq_u64 s[8:9], 0
	s_cselect_b32 s6, -1, 0
	global_load_dwordx2 v[2:3], v[2:3], off
	s_and_b32 vcc_lo, exec_lo, s6
	s_cbranch_vccnz .LBB30_3
; %bb.2:
	v_mul_lo_u32 v6, s11, v66
	v_mul_lo_u32 v7, s10, v67
	v_mad_u64_u32 v[4:5], null, s10, v66, 0
	v_add3_u32 v5, v5, v7, v6
	v_lshlrev_b64 v[4:5], 2, v[4:5]
	v_add_co_u32 v68, vcc_lo, s8, v4
	v_add_co_ci_u32_e64 v69, null, s9, v5, vcc_lo
.LBB30_3:
	s_load_dword s8, s[4:5], 0x18
	s_lshl_b64 s[0:1], s[2:3], 3
	s_load_dword s2, s[4:5], 0x0
	s_waitcnt vmcnt(0)
	v_add_co_u32 v70, vcc_lo, v2, s0
	v_lshlrev_b32_e32 v38, 3, v0
	v_add_co_ci_u32_e64 v71, null, s1, v3, vcc_lo
	v_add_co_u32 v6, vcc_lo, v70, v38
	v_add_co_ci_u32_e64 v7, null, 0, v71, vcc_lo
	s_waitcnt lgkmcnt(0)
	v_add3_u32 v4, s8, s8, v0
	s_ashr_i32 s9, s8, 31
	s_max_i32 s0, s2, 16
	s_lshl_b64 s[10:11], s[8:9], 3
	v_mul_lo_u32 v1, s0, v1
	v_add_nc_u32_e32 v2, s8, v4
	v_ashrrev_i32_e32 v5, 31, v4
	v_add_co_u32 v10, vcc_lo, v6, s10
	v_add_co_ci_u32_e64 v11, null, s11, v7, vcc_lo
	v_add_nc_u32_e32 v8, s8, v2
	v_ashrrev_i32_e32 v3, 31, v2
	v_lshlrev_b64 v[4:5], 3, v[4:5]
	v_lshl_add_u32 v72, v1, 3, 0
	v_lshlrev_b32_e32 v73, 3, v1
	v_add_nc_u32_e32 v12, s8, v8
	v_ashrrev_i32_e32 v9, 31, v8
	v_lshlrev_b64 v[2:3], 3, v[2:3]
	v_add_co_u32 v14, vcc_lo, v70, v4
	v_add_nc_u32_e32 v18, s8, v12
	v_lshlrev_b64 v[16:17], 3, v[8:9]
	v_add_co_ci_u32_e64 v15, null, v71, v5, vcc_lo
	v_ashrrev_i32_e32 v13, 31, v12
	v_add_nc_u32_e32 v20, s8, v18
	v_add_co_u32 v8, vcc_lo, v70, v2
	v_add_co_ci_u32_e64 v9, null, v71, v3, vcc_lo
	v_ashrrev_i32_e32 v19, 31, v18
	s_clause 0x3
	flat_load_dwordx2 v[2:3], v[6:7]
	flat_load_dwordx2 v[4:5], v[10:11]
	;; [unrolled: 1-line block ×4, first 2 shown]
	v_add_co_u32 v10, vcc_lo, v70, v16
	v_ashrrev_i32_e32 v21, 31, v20
	v_add_nc_u32_e32 v16, s8, v20
	v_lshlrev_b64 v[12:13], 3, v[12:13]
	v_lshlrev_b64 v[14:15], 3, v[18:19]
	v_add_co_ci_u32_e64 v11, null, v71, v17, vcc_lo
	v_lshlrev_b64 v[18:19], 3, v[20:21]
	v_add_nc_u32_e32 v20, s8, v16
	v_add_co_u32 v12, vcc_lo, v70, v12
	v_add_co_ci_u32_e64 v13, null, v71, v13, vcc_lo
	v_add_co_u32 v14, vcc_lo, v70, v14
	v_ashrrev_i32_e32 v17, 31, v16
	v_ashrrev_i32_e32 v21, 31, v20
	v_add_nc_u32_e32 v24, s8, v20
	v_add_co_ci_u32_e64 v15, null, v71, v15, vcc_lo
	v_add_co_u32 v18, vcc_lo, v70, v18
	v_add_co_ci_u32_e64 v19, null, v71, v19, vcc_lo
	v_lshlrev_b64 v[22:23], 3, v[16:17]
	s_clause 0x3
	flat_load_dwordx2 v[10:11], v[10:11]
	flat_load_dwordx2 v[12:13], v[12:13]
	;; [unrolled: 1-line block ×4, first 2 shown]
	v_lshlrev_b64 v[18:19], 3, v[20:21]
	v_add_nc_u32_e32 v20, s8, v24
	v_ashrrev_i32_e32 v25, 31, v24
	s_cmp_lt_i32 s2, 2
	v_add_co_u32 v22, vcc_lo, v70, v22
	v_ashrrev_i32_e32 v21, 31, v20
	v_add_nc_u32_e32 v26, s8, v20
	v_add_co_ci_u32_e64 v23, null, v71, v23, vcc_lo
	v_add_co_u32 v28, vcc_lo, v70, v18
	v_lshlrev_b64 v[24:25], 3, v[24:25]
	v_add_co_ci_u32_e64 v29, null, v71, v19, vcc_lo
	v_lshlrev_b64 v[18:19], 3, v[20:21]
	v_add_nc_u32_e32 v20, s8, v26
	v_ashrrev_i32_e32 v27, 31, v26
	v_add_co_u32 v24, vcc_lo, v70, v24
	v_add_co_ci_u32_e64 v25, null, v71, v25, vcc_lo
	v_ashrrev_i32_e32 v21, 31, v20
	v_add_nc_u32_e32 v30, s8, v20
	v_add_co_u32 v32, vcc_lo, v70, v18
	v_lshlrev_b64 v[26:27], 3, v[26:27]
	v_add_co_ci_u32_e64 v33, null, v71, v19, vcc_lo
	v_lshlrev_b64 v[18:19], 3, v[20:21]
	v_add_nc_u32_e32 v20, s8, v30
	v_ashrrev_i32_e32 v31, 31, v30
	v_add_co_u32 v26, vcc_lo, v70, v26
	v_add_co_ci_u32_e64 v27, null, v71, v27, vcc_lo
	v_ashrrev_i32_e32 v21, 31, v20
	v_lshlrev_b64 v[30:31], 3, v[30:31]
	v_add_co_u32 v34, vcc_lo, v70, v18
	v_add_co_ci_u32_e64 v35, null, v71, v19, vcc_lo
	v_lshlrev_b64 v[18:19], 3, v[20:21]
	v_add_co_u32 v30, vcc_lo, v70, v30
	v_add_co_ci_u32_e64 v31, null, v71, v31, vcc_lo
	v_add_co_u32 v36, vcc_lo, v70, v18
	v_add_co_ci_u32_e64 v37, null, v71, v19, vcc_lo
	s_clause 0x7
	flat_load_dwordx2 v[18:19], v[22:23]
	flat_load_dwordx2 v[20:21], v[28:29]
	;; [unrolled: 1-line block ×8, first 2 shown]
	v_add_nc_u32_e32 v34, v72, v38
	v_mov_b32_e32 v36, 0
	s_waitcnt vmcnt(15) lgkmcnt(15)
	ds_write_b64 v34, v[2:3]
	s_waitcnt vmcnt(0) lgkmcnt(0)
	s_barrier
	buffer_gl0_inv
	ds_read_b64 v[34:35], v72
	s_cbranch_scc1 .LBB30_6
; %bb.4:
	v_add3_u32 v1, v73, 0, 8
	v_mov_b32_e32 v36, 0
	s_mov_b32 s0, 1
.LBB30_5:                               ; =>This Inner Loop Header: Depth=1
	ds_read_b64 v[37:38], v1
	v_add_nc_u32_e32 v1, 8, v1
	s_waitcnt lgkmcnt(0)
	v_cmp_lt_f64_e64 vcc_lo, |v[34:35]|, |v[37:38]|
	v_cndmask_b32_e32 v35, v35, v38, vcc_lo
	v_cndmask_b32_e32 v34, v34, v37, vcc_lo
	v_cndmask_b32_e64 v36, v36, s0, vcc_lo
	s_add_i32 s0, s0, 1
	s_cmp_eq_u32 s2, s0
	s_cbranch_scc0 .LBB30_5
.LBB30_6:
	s_mov_b32 s0, exec_lo
                                        ; implicit-def: $vgpr76
	v_cmpx_ne_u32_e64 v0, v36
	s_xor_b32 s0, exec_lo, s0
	s_cbranch_execz .LBB30_12
; %bb.7:
	s_mov_b32 s1, exec_lo
	v_cmpx_eq_u32_e32 0, v0
	s_cbranch_execz .LBB30_11
; %bb.8:
	v_cmp_ne_u32_e32 vcc_lo, 0, v36
	s_xor_b32 s3, s6, -1
	s_and_b32 s7, s3, vcc_lo
	s_and_saveexec_b32 s3, s7
	s_cbranch_execz .LBB30_10
; %bb.9:
	v_ashrrev_i32_e32 v37, 31, v36
	v_lshlrev_b64 v[0:1], 2, v[36:37]
	v_add_co_u32 v0, vcc_lo, v68, v0
	v_add_co_ci_u32_e64 v1, null, v69, v1, vcc_lo
	s_clause 0x1
	global_load_dword v37, v[0:1], off
	global_load_dword v38, v[68:69], off
	s_waitcnt vmcnt(1)
	global_store_dword v[68:69], v37, off
	s_waitcnt vmcnt(0)
	global_store_dword v[0:1], v38, off
.LBB30_10:
	s_or_b32 exec_lo, exec_lo, s3
	v_mov_b32_e32 v0, v36
.LBB30_11:
	s_or_b32 exec_lo, exec_lo, s1
	v_mov_b32_e32 v76, v0
                                        ; implicit-def: $vgpr0
.LBB30_12:
	s_or_saveexec_b32 s0, s0
	v_mov_b32_e32 v74, v76
	s_xor_b32 exec_lo, exec_lo, s0
	s_cbranch_execz .LBB30_14
; %bb.13:
	v_mov_b32_e32 v76, 0
	v_mov_b32_e32 v74, v0
	ds_write2_b64 v72, v[4:5], v[6:7] offset0:1 offset1:2
	ds_write2_b64 v72, v[8:9], v[10:11] offset0:3 offset1:4
	;; [unrolled: 1-line block ×7, first 2 shown]
	ds_write_b64 v72, v[32:33] offset:120
.LBB30_14:
	s_or_b32 exec_lo, exec_lo, s0
	s_waitcnt lgkmcnt(0)
	v_cmp_eq_f64_e64 s0, 0, v[34:35]
	s_mov_b32 s1, exec_lo
	s_waitcnt_vscnt null, 0x0
	s_barrier
	buffer_gl0_inv
	v_cmpx_lt_i32_e32 0, v76
	s_cbranch_execz .LBB30_16
; %bb.15:
	v_div_scale_f64 v[0:1], null, v[34:35], v[34:35], 1.0
	v_div_scale_f64 v[40:41], vcc_lo, 1.0, v[34:35], 1.0
	v_rcp_f64_e32 v[36:37], v[0:1]
	v_fma_f64 v[38:39], -v[0:1], v[36:37], 1.0
	v_fma_f64 v[36:37], v[36:37], v[38:39], v[36:37]
	v_fma_f64 v[38:39], -v[0:1], v[36:37], 1.0
	v_fma_f64 v[36:37], v[36:37], v[38:39], v[36:37]
	v_mul_f64 v[38:39], v[40:41], v[36:37]
	v_fma_f64 v[0:1], -v[0:1], v[38:39], v[40:41]
	v_div_fmas_f64 v[0:1], v[0:1], v[36:37], v[38:39]
	v_div_fixup_f64 v[0:1], v[0:1], v[34:35], 1.0
	v_cndmask_b32_e64 v1, v1, v35, s0
	v_cndmask_b32_e64 v0, v0, v34, s0
	v_mul_f64 v[2:3], v[2:3], v[0:1]
	ds_read2_b64 v[34:37], v72 offset0:1 offset1:2
	ds_read2_b64 v[38:41], v72 offset0:3 offset1:4
	;; [unrolled: 1-line block ×7, first 2 shown]
	ds_read_b64 v[0:1], v72 offset:120
	s_waitcnt lgkmcnt(7)
	v_fma_f64 v[4:5], -v[2:3], v[34:35], v[4:5]
	v_fma_f64 v[6:7], -v[2:3], v[36:37], v[6:7]
	s_waitcnt lgkmcnt(6)
	v_fma_f64 v[8:9], -v[2:3], v[38:39], v[8:9]
	v_fma_f64 v[10:11], -v[2:3], v[40:41], v[10:11]
	;; [unrolled: 3-line block ×7, first 2 shown]
	s_waitcnt lgkmcnt(0)
	v_fma_f64 v[32:33], -v[2:3], v[0:1], v[32:33]
.LBB30_16:
	s_or_b32 exec_lo, exec_lo, s1
	v_lshl_add_u32 v0, v76, 3, v72
	s_barrier
	buffer_gl0_inv
	v_mov_b32_e32 v34, 1
	ds_write_b64 v0, v[4:5]
	s_waitcnt lgkmcnt(0)
	s_barrier
	buffer_gl0_inv
	ds_read_b64 v[0:1], v72 offset:8
	s_cmp_lt_i32 s2, 3
	s_cbranch_scc1 .LBB30_19
; %bb.17:
	v_add3_u32 v35, v73, 0, 16
	v_mov_b32_e32 v34, 1
	s_mov_b32 s1, 2
.LBB30_18:                              ; =>This Inner Loop Header: Depth=1
	ds_read_b64 v[36:37], v35
	v_add_nc_u32_e32 v35, 8, v35
	s_waitcnt lgkmcnt(0)
	v_cmp_lt_f64_e64 vcc_lo, |v[0:1]|, |v[36:37]|
	v_cndmask_b32_e32 v1, v1, v37, vcc_lo
	v_cndmask_b32_e32 v0, v0, v36, vcc_lo
	v_cndmask_b32_e64 v34, v34, s1, vcc_lo
	s_add_i32 s1, s1, 1
	s_cmp_lg_u32 s2, s1
	s_cbranch_scc1 .LBB30_18
.LBB30_19:
	s_mov_b32 s1, exec_lo
	v_cmpx_ne_u32_e64 v76, v34
	s_xor_b32 s1, exec_lo, s1
	s_cbranch_execz .LBB30_25
; %bb.20:
	s_mov_b32 s3, exec_lo
	v_cmpx_eq_u32_e32 1, v76
	s_cbranch_execz .LBB30_24
; %bb.21:
	v_cmp_ne_u32_e32 vcc_lo, 1, v34
	s_xor_b32 s7, s6, -1
	s_and_b32 s9, s7, vcc_lo
	s_and_saveexec_b32 s7, s9
	s_cbranch_execz .LBB30_23
; %bb.22:
	v_ashrrev_i32_e32 v35, 31, v34
	v_lshlrev_b64 v[35:36], 2, v[34:35]
	v_add_co_u32 v35, vcc_lo, v68, v35
	v_add_co_ci_u32_e64 v36, null, v69, v36, vcc_lo
	s_clause 0x1
	global_load_dword v37, v[35:36], off
	global_load_dword v38, v[68:69], off offset:4
	s_waitcnt vmcnt(1)
	global_store_dword v[68:69], v37, off offset:4
	s_waitcnt vmcnt(0)
	global_store_dword v[35:36], v38, off
.LBB30_23:
	s_or_b32 exec_lo, exec_lo, s7
	v_mov_b32_e32 v74, v34
	v_mov_b32_e32 v76, v34
.LBB30_24:
	s_or_b32 exec_lo, exec_lo, s3
.LBB30_25:
	s_andn2_saveexec_b32 s1, s1
	s_cbranch_execz .LBB30_27
; %bb.26:
	v_mov_b32_e32 v76, 1
	ds_write2_b64 v72, v[6:7], v[8:9] offset0:2 offset1:3
	ds_write2_b64 v72, v[10:11], v[12:13] offset0:4 offset1:5
	;; [unrolled: 1-line block ×7, first 2 shown]
.LBB30_27:
	s_or_b32 exec_lo, exec_lo, s1
	s_waitcnt lgkmcnt(0)
	v_cmp_neq_f64_e64 s1, 0, v[0:1]
	s_mov_b32 s3, exec_lo
	s_waitcnt_vscnt null, 0x0
	s_barrier
	buffer_gl0_inv
	v_cmpx_lt_i32_e32 1, v76
	s_cbranch_execz .LBB30_29
; %bb.28:
	v_div_scale_f64 v[34:35], null, v[0:1], v[0:1], 1.0
	v_div_scale_f64 v[40:41], vcc_lo, 1.0, v[0:1], 1.0
	v_rcp_f64_e32 v[36:37], v[34:35]
	v_fma_f64 v[38:39], -v[34:35], v[36:37], 1.0
	v_fma_f64 v[36:37], v[36:37], v[38:39], v[36:37]
	v_fma_f64 v[38:39], -v[34:35], v[36:37], 1.0
	v_fma_f64 v[36:37], v[36:37], v[38:39], v[36:37]
	v_mul_f64 v[38:39], v[40:41], v[36:37]
	v_fma_f64 v[34:35], -v[34:35], v[38:39], v[40:41]
	v_div_fmas_f64 v[34:35], v[34:35], v[36:37], v[38:39]
	v_div_fixup_f64 v[34:35], v[34:35], v[0:1], 1.0
	v_cndmask_b32_e64 v1, v1, v35, s1
	v_cndmask_b32_e64 v0, v0, v34, s1
	ds_read2_b64 v[34:37], v72 offset0:2 offset1:3
	ds_read2_b64 v[38:41], v72 offset0:4 offset1:5
	;; [unrolled: 1-line block ×7, first 2 shown]
	v_mul_f64 v[4:5], v[4:5], v[0:1]
	s_waitcnt lgkmcnt(6)
	v_fma_f64 v[6:7], -v[4:5], v[34:35], v[6:7]
	v_fma_f64 v[8:9], -v[4:5], v[36:37], v[8:9]
	s_waitcnt lgkmcnt(5)
	v_fma_f64 v[10:11], -v[4:5], v[38:39], v[10:11]
	v_fma_f64 v[12:13], -v[4:5], v[40:41], v[12:13]
	;; [unrolled: 3-line block ×7, first 2 shown]
.LBB30_29:
	s_or_b32 exec_lo, exec_lo, s3
	v_lshl_add_u32 v0, v76, 3, v72
	s_barrier
	buffer_gl0_inv
	v_mov_b32_e32 v34, 2
	ds_write_b64 v0, v[6:7]
	s_waitcnt lgkmcnt(0)
	s_barrier
	buffer_gl0_inv
	ds_read_b64 v[0:1], v72 offset:16
	s_cmp_lt_i32 s2, 4
	s_mov_b32 s3, 3
	s_cbranch_scc1 .LBB30_32
; %bb.30:
	v_add3_u32 v35, v73, 0, 24
	v_mov_b32_e32 v34, 2
.LBB30_31:                              ; =>This Inner Loop Header: Depth=1
	ds_read_b64 v[36:37], v35
	v_add_nc_u32_e32 v35, 8, v35
	s_waitcnt lgkmcnt(0)
	v_cmp_lt_f64_e64 vcc_lo, |v[0:1]|, |v[36:37]|
	v_cndmask_b32_e32 v1, v1, v37, vcc_lo
	v_cndmask_b32_e32 v0, v0, v36, vcc_lo
	v_cndmask_b32_e64 v34, v34, s3, vcc_lo
	s_add_i32 s3, s3, 1
	s_cmp_lg_u32 s2, s3
	s_cbranch_scc1 .LBB30_31
.LBB30_32:
	v_cndmask_b32_e64 v35, 2, 1, s0
	v_cndmask_b32_e64 v36, 0, 1, s0
	s_mov_b32 s0, exec_lo
	v_cndmask_b32_e64 v75, v35, v36, s1
	s_waitcnt lgkmcnt(0)
	v_cmpx_eq_f64_e32 0, v[0:1]
	s_xor_b32 s0, exec_lo, s0
; %bb.33:
	v_cmp_ne_u32_e32 vcc_lo, 0, v75
	v_cndmask_b32_e32 v75, 3, v75, vcc_lo
; %bb.34:
	s_andn2_saveexec_b32 s0, s0
	s_cbranch_execz .LBB30_36
; %bb.35:
	v_div_scale_f64 v[35:36], null, v[0:1], v[0:1], 1.0
	v_rcp_f64_e32 v[37:38], v[35:36]
	v_fma_f64 v[39:40], -v[35:36], v[37:38], 1.0
	v_fma_f64 v[37:38], v[37:38], v[39:40], v[37:38]
	v_fma_f64 v[39:40], -v[35:36], v[37:38], 1.0
	v_fma_f64 v[37:38], v[37:38], v[39:40], v[37:38]
	v_div_scale_f64 v[39:40], vcc_lo, 1.0, v[0:1], 1.0
	v_mul_f64 v[41:42], v[39:40], v[37:38]
	v_fma_f64 v[35:36], -v[35:36], v[41:42], v[39:40]
	v_div_fmas_f64 v[35:36], v[35:36], v[37:38], v[41:42]
	v_div_fixup_f64 v[0:1], v[35:36], v[0:1], 1.0
.LBB30_36:
	s_or_b32 exec_lo, exec_lo, s0
	s_mov_b32 s0, exec_lo
	v_cmpx_ne_u32_e64 v76, v34
	s_xor_b32 s0, exec_lo, s0
	s_cbranch_execz .LBB30_42
; %bb.37:
	s_mov_b32 s1, exec_lo
	v_cmpx_eq_u32_e32 2, v76
	s_cbranch_execz .LBB30_41
; %bb.38:
	v_cmp_ne_u32_e32 vcc_lo, 2, v34
	s_xor_b32 s3, s6, -1
	s_and_b32 s7, s3, vcc_lo
	s_and_saveexec_b32 s3, s7
	s_cbranch_execz .LBB30_40
; %bb.39:
	v_ashrrev_i32_e32 v35, 31, v34
	v_lshlrev_b64 v[35:36], 2, v[34:35]
	v_add_co_u32 v35, vcc_lo, v68, v35
	v_add_co_ci_u32_e64 v36, null, v69, v36, vcc_lo
	s_clause 0x1
	global_load_dword v37, v[35:36], off
	global_load_dword v38, v[68:69], off offset:8
	s_waitcnt vmcnt(1)
	global_store_dword v[68:69], v37, off offset:8
	s_waitcnt vmcnt(0)
	global_store_dword v[35:36], v38, off
.LBB30_40:
	s_or_b32 exec_lo, exec_lo, s3
	v_mov_b32_e32 v74, v34
	v_mov_b32_e32 v76, v34
.LBB30_41:
	s_or_b32 exec_lo, exec_lo, s1
.LBB30_42:
	s_andn2_saveexec_b32 s0, s0
	s_cbranch_execz .LBB30_44
; %bb.43:
	v_mov_b32_e32 v76, 2
	ds_write2_b64 v72, v[8:9], v[10:11] offset0:3 offset1:4
	ds_write2_b64 v72, v[12:13], v[14:15] offset0:5 offset1:6
	;; [unrolled: 1-line block ×6, first 2 shown]
	ds_write_b64 v72, v[32:33] offset:120
.LBB30_44:
	s_or_b32 exec_lo, exec_lo, s0
	s_mov_b32 s0, exec_lo
	s_waitcnt lgkmcnt(0)
	s_waitcnt_vscnt null, 0x0
	s_barrier
	buffer_gl0_inv
	v_cmpx_lt_i32_e32 2, v76
	s_cbranch_execz .LBB30_46
; %bb.45:
	v_mul_f64 v[6:7], v[6:7], v[0:1]
	ds_read2_b64 v[34:37], v72 offset0:3 offset1:4
	ds_read2_b64 v[38:41], v72 offset0:5 offset1:6
	;; [unrolled: 1-line block ×6, first 2 shown]
	ds_read_b64 v[0:1], v72 offset:120
	s_waitcnt lgkmcnt(6)
	v_fma_f64 v[8:9], -v[6:7], v[34:35], v[8:9]
	v_fma_f64 v[10:11], -v[6:7], v[36:37], v[10:11]
	s_waitcnt lgkmcnt(5)
	v_fma_f64 v[12:13], -v[6:7], v[38:39], v[12:13]
	v_fma_f64 v[14:15], -v[6:7], v[40:41], v[14:15]
	;; [unrolled: 3-line block ×6, first 2 shown]
	s_waitcnt lgkmcnt(0)
	v_fma_f64 v[32:33], -v[6:7], v[0:1], v[32:33]
.LBB30_46:
	s_or_b32 exec_lo, exec_lo, s0
	v_lshl_add_u32 v0, v76, 3, v72
	s_barrier
	buffer_gl0_inv
	v_mov_b32_e32 v34, 3
	ds_write_b64 v0, v[8:9]
	s_waitcnt lgkmcnt(0)
	s_barrier
	buffer_gl0_inv
	ds_read_b64 v[0:1], v72 offset:24
	s_cmp_lt_i32 s2, 5
	s_cbranch_scc1 .LBB30_49
; %bb.47:
	v_mov_b32_e32 v34, 3
	v_add3_u32 v35, v73, 0, 32
	s_mov_b32 s0, 4
.LBB30_48:                              ; =>This Inner Loop Header: Depth=1
	ds_read_b64 v[36:37], v35
	v_add_nc_u32_e32 v35, 8, v35
	s_waitcnt lgkmcnt(0)
	v_cmp_lt_f64_e64 vcc_lo, |v[0:1]|, |v[36:37]|
	v_cndmask_b32_e32 v1, v1, v37, vcc_lo
	v_cndmask_b32_e32 v0, v0, v36, vcc_lo
	v_cndmask_b32_e64 v34, v34, s0, vcc_lo
	s_add_i32 s0, s0, 1
	s_cmp_lg_u32 s2, s0
	s_cbranch_scc1 .LBB30_48
.LBB30_49:
	s_mov_b32 s0, exec_lo
	s_waitcnt lgkmcnt(0)
	v_cmpx_eq_f64_e32 0, v[0:1]
	s_xor_b32 s0, exec_lo, s0
; %bb.50:
	v_cmp_ne_u32_e32 vcc_lo, 0, v75
	v_cndmask_b32_e32 v75, 4, v75, vcc_lo
; %bb.51:
	s_andn2_saveexec_b32 s0, s0
	s_cbranch_execz .LBB30_53
; %bb.52:
	v_div_scale_f64 v[35:36], null, v[0:1], v[0:1], 1.0
	v_rcp_f64_e32 v[37:38], v[35:36]
	v_fma_f64 v[39:40], -v[35:36], v[37:38], 1.0
	v_fma_f64 v[37:38], v[37:38], v[39:40], v[37:38]
	v_fma_f64 v[39:40], -v[35:36], v[37:38], 1.0
	v_fma_f64 v[37:38], v[37:38], v[39:40], v[37:38]
	v_div_scale_f64 v[39:40], vcc_lo, 1.0, v[0:1], 1.0
	v_mul_f64 v[41:42], v[39:40], v[37:38]
	v_fma_f64 v[35:36], -v[35:36], v[41:42], v[39:40]
	v_div_fmas_f64 v[35:36], v[35:36], v[37:38], v[41:42]
	v_div_fixup_f64 v[0:1], v[35:36], v[0:1], 1.0
.LBB30_53:
	s_or_b32 exec_lo, exec_lo, s0
	s_mov_b32 s0, exec_lo
	v_cmpx_ne_u32_e64 v76, v34
	s_xor_b32 s0, exec_lo, s0
	s_cbranch_execz .LBB30_59
; %bb.54:
	s_mov_b32 s1, exec_lo
	v_cmpx_eq_u32_e32 3, v76
	s_cbranch_execz .LBB30_58
; %bb.55:
	v_cmp_ne_u32_e32 vcc_lo, 3, v34
	s_xor_b32 s3, s6, -1
	s_and_b32 s7, s3, vcc_lo
	s_and_saveexec_b32 s3, s7
	s_cbranch_execz .LBB30_57
; %bb.56:
	v_ashrrev_i32_e32 v35, 31, v34
	v_lshlrev_b64 v[35:36], 2, v[34:35]
	v_add_co_u32 v35, vcc_lo, v68, v35
	v_add_co_ci_u32_e64 v36, null, v69, v36, vcc_lo
	s_clause 0x1
	global_load_dword v37, v[35:36], off
	global_load_dword v38, v[68:69], off offset:12
	s_waitcnt vmcnt(1)
	global_store_dword v[68:69], v37, off offset:12
	s_waitcnt vmcnt(0)
	global_store_dword v[35:36], v38, off
.LBB30_57:
	s_or_b32 exec_lo, exec_lo, s3
	v_mov_b32_e32 v74, v34
	v_mov_b32_e32 v76, v34
.LBB30_58:
	s_or_b32 exec_lo, exec_lo, s1
.LBB30_59:
	s_andn2_saveexec_b32 s0, s0
	s_cbranch_execz .LBB30_61
; %bb.60:
	v_mov_b32_e32 v76, 3
	ds_write2_b64 v72, v[10:11], v[12:13] offset0:4 offset1:5
	ds_write2_b64 v72, v[14:15], v[16:17] offset0:6 offset1:7
	;; [unrolled: 1-line block ×6, first 2 shown]
.LBB30_61:
	s_or_b32 exec_lo, exec_lo, s0
	s_mov_b32 s0, exec_lo
	s_waitcnt lgkmcnt(0)
	s_waitcnt_vscnt null, 0x0
	s_barrier
	buffer_gl0_inv
	v_cmpx_lt_i32_e32 3, v76
	s_cbranch_execz .LBB30_63
; %bb.62:
	v_mul_f64 v[8:9], v[8:9], v[0:1]
	ds_read2_b64 v[34:37], v72 offset0:4 offset1:5
	ds_read2_b64 v[38:41], v72 offset0:6 offset1:7
	;; [unrolled: 1-line block ×6, first 2 shown]
	s_waitcnt lgkmcnt(5)
	v_fma_f64 v[10:11], -v[8:9], v[34:35], v[10:11]
	v_fma_f64 v[12:13], -v[8:9], v[36:37], v[12:13]
	s_waitcnt lgkmcnt(4)
	v_fma_f64 v[14:15], -v[8:9], v[38:39], v[14:15]
	v_fma_f64 v[16:17], -v[8:9], v[40:41], v[16:17]
	s_waitcnt lgkmcnt(3)
	v_fma_f64 v[18:19], -v[8:9], v[42:43], v[18:19]
	v_fma_f64 v[20:21], -v[8:9], v[44:45], v[20:21]
	s_waitcnt lgkmcnt(2)
	v_fma_f64 v[22:23], -v[8:9], v[46:47], v[22:23]
	v_fma_f64 v[24:25], -v[8:9], v[48:49], v[24:25]
	s_waitcnt lgkmcnt(1)
	v_fma_f64 v[26:27], -v[8:9], v[50:51], v[26:27]
	v_fma_f64 v[28:29], -v[8:9], v[52:53], v[28:29]
	s_waitcnt lgkmcnt(0)
	v_fma_f64 v[30:31], -v[8:9], v[54:55], v[30:31]
	v_fma_f64 v[32:33], -v[8:9], v[56:57], v[32:33]
.LBB30_63:
	s_or_b32 exec_lo, exec_lo, s0
	v_lshl_add_u32 v0, v76, 3, v72
	s_barrier
	buffer_gl0_inv
	v_mov_b32_e32 v34, 4
	ds_write_b64 v0, v[10:11]
	s_waitcnt lgkmcnt(0)
	s_barrier
	buffer_gl0_inv
	ds_read_b64 v[0:1], v72 offset:32
	s_cmp_lt_i32 s2, 6
	s_cbranch_scc1 .LBB30_66
; %bb.64:
	v_add3_u32 v35, v73, 0, 40
	v_mov_b32_e32 v34, 4
	s_mov_b32 s0, 5
.LBB30_65:                              ; =>This Inner Loop Header: Depth=1
	ds_read_b64 v[36:37], v35
	v_add_nc_u32_e32 v35, 8, v35
	s_waitcnt lgkmcnt(0)
	v_cmp_lt_f64_e64 vcc_lo, |v[0:1]|, |v[36:37]|
	v_cndmask_b32_e32 v1, v1, v37, vcc_lo
	v_cndmask_b32_e32 v0, v0, v36, vcc_lo
	v_cndmask_b32_e64 v34, v34, s0, vcc_lo
	s_add_i32 s0, s0, 1
	s_cmp_lg_u32 s2, s0
	s_cbranch_scc1 .LBB30_65
.LBB30_66:
	s_mov_b32 s0, exec_lo
	s_waitcnt lgkmcnt(0)
	v_cmpx_eq_f64_e32 0, v[0:1]
	s_xor_b32 s0, exec_lo, s0
; %bb.67:
	v_cmp_ne_u32_e32 vcc_lo, 0, v75
	v_cndmask_b32_e32 v75, 5, v75, vcc_lo
; %bb.68:
	s_andn2_saveexec_b32 s0, s0
	s_cbranch_execz .LBB30_70
; %bb.69:
	v_div_scale_f64 v[35:36], null, v[0:1], v[0:1], 1.0
	v_rcp_f64_e32 v[37:38], v[35:36]
	v_fma_f64 v[39:40], -v[35:36], v[37:38], 1.0
	v_fma_f64 v[37:38], v[37:38], v[39:40], v[37:38]
	v_fma_f64 v[39:40], -v[35:36], v[37:38], 1.0
	v_fma_f64 v[37:38], v[37:38], v[39:40], v[37:38]
	v_div_scale_f64 v[39:40], vcc_lo, 1.0, v[0:1], 1.0
	v_mul_f64 v[41:42], v[39:40], v[37:38]
	v_fma_f64 v[35:36], -v[35:36], v[41:42], v[39:40]
	v_div_fmas_f64 v[35:36], v[35:36], v[37:38], v[41:42]
	v_div_fixup_f64 v[0:1], v[35:36], v[0:1], 1.0
.LBB30_70:
	s_or_b32 exec_lo, exec_lo, s0
	s_mov_b32 s0, exec_lo
	v_cmpx_ne_u32_e64 v76, v34
	s_xor_b32 s0, exec_lo, s0
	s_cbranch_execz .LBB30_76
; %bb.71:
	s_mov_b32 s1, exec_lo
	v_cmpx_eq_u32_e32 4, v76
	s_cbranch_execz .LBB30_75
; %bb.72:
	v_cmp_ne_u32_e32 vcc_lo, 4, v34
	s_xor_b32 s3, s6, -1
	s_and_b32 s7, s3, vcc_lo
	s_and_saveexec_b32 s3, s7
	s_cbranch_execz .LBB30_74
; %bb.73:
	v_ashrrev_i32_e32 v35, 31, v34
	v_lshlrev_b64 v[35:36], 2, v[34:35]
	v_add_co_u32 v35, vcc_lo, v68, v35
	v_add_co_ci_u32_e64 v36, null, v69, v36, vcc_lo
	s_clause 0x1
	global_load_dword v37, v[35:36], off
	global_load_dword v38, v[68:69], off offset:16
	s_waitcnt vmcnt(1)
	global_store_dword v[68:69], v37, off offset:16
	s_waitcnt vmcnt(0)
	global_store_dword v[35:36], v38, off
.LBB30_74:
	s_or_b32 exec_lo, exec_lo, s3
	v_mov_b32_e32 v74, v34
	v_mov_b32_e32 v76, v34
.LBB30_75:
	s_or_b32 exec_lo, exec_lo, s1
.LBB30_76:
	s_andn2_saveexec_b32 s0, s0
	s_cbranch_execz .LBB30_78
; %bb.77:
	v_mov_b32_e32 v76, 4
	ds_write2_b64 v72, v[12:13], v[14:15] offset0:5 offset1:6
	ds_write2_b64 v72, v[16:17], v[18:19] offset0:7 offset1:8
	;; [unrolled: 1-line block ×5, first 2 shown]
	ds_write_b64 v72, v[32:33] offset:120
.LBB30_78:
	s_or_b32 exec_lo, exec_lo, s0
	s_mov_b32 s0, exec_lo
	s_waitcnt lgkmcnt(0)
	s_waitcnt_vscnt null, 0x0
	s_barrier
	buffer_gl0_inv
	v_cmpx_lt_i32_e32 4, v76
	s_cbranch_execz .LBB30_80
; %bb.79:
	v_mul_f64 v[10:11], v[10:11], v[0:1]
	ds_read2_b64 v[34:37], v72 offset0:5 offset1:6
	ds_read2_b64 v[38:41], v72 offset0:7 offset1:8
	;; [unrolled: 1-line block ×5, first 2 shown]
	ds_read_b64 v[0:1], v72 offset:120
	s_waitcnt lgkmcnt(5)
	v_fma_f64 v[12:13], -v[10:11], v[34:35], v[12:13]
	v_fma_f64 v[14:15], -v[10:11], v[36:37], v[14:15]
	s_waitcnt lgkmcnt(4)
	v_fma_f64 v[16:17], -v[10:11], v[38:39], v[16:17]
	v_fma_f64 v[18:19], -v[10:11], v[40:41], v[18:19]
	;; [unrolled: 3-line block ×5, first 2 shown]
	s_waitcnt lgkmcnt(0)
	v_fma_f64 v[32:33], -v[10:11], v[0:1], v[32:33]
.LBB30_80:
	s_or_b32 exec_lo, exec_lo, s0
	v_lshl_add_u32 v0, v76, 3, v72
	s_barrier
	buffer_gl0_inv
	v_mov_b32_e32 v34, 5
	ds_write_b64 v0, v[12:13]
	s_waitcnt lgkmcnt(0)
	s_barrier
	buffer_gl0_inv
	ds_read_b64 v[0:1], v72 offset:40
	s_cmp_lt_i32 s2, 7
	s_cbranch_scc1 .LBB30_83
; %bb.81:
	v_add3_u32 v35, v73, 0, 48
	v_mov_b32_e32 v34, 5
	s_mov_b32 s0, 6
.LBB30_82:                              ; =>This Inner Loop Header: Depth=1
	ds_read_b64 v[36:37], v35
	v_add_nc_u32_e32 v35, 8, v35
	s_waitcnt lgkmcnt(0)
	v_cmp_lt_f64_e64 vcc_lo, |v[0:1]|, |v[36:37]|
	v_cndmask_b32_e32 v1, v1, v37, vcc_lo
	v_cndmask_b32_e32 v0, v0, v36, vcc_lo
	v_cndmask_b32_e64 v34, v34, s0, vcc_lo
	s_add_i32 s0, s0, 1
	s_cmp_lg_u32 s2, s0
	s_cbranch_scc1 .LBB30_82
.LBB30_83:
	s_mov_b32 s0, exec_lo
	s_waitcnt lgkmcnt(0)
	v_cmpx_eq_f64_e32 0, v[0:1]
	s_xor_b32 s0, exec_lo, s0
; %bb.84:
	v_cmp_ne_u32_e32 vcc_lo, 0, v75
	v_cndmask_b32_e32 v75, 6, v75, vcc_lo
; %bb.85:
	s_andn2_saveexec_b32 s0, s0
	s_cbranch_execz .LBB30_87
; %bb.86:
	v_div_scale_f64 v[35:36], null, v[0:1], v[0:1], 1.0
	v_rcp_f64_e32 v[37:38], v[35:36]
	v_fma_f64 v[39:40], -v[35:36], v[37:38], 1.0
	v_fma_f64 v[37:38], v[37:38], v[39:40], v[37:38]
	v_fma_f64 v[39:40], -v[35:36], v[37:38], 1.0
	v_fma_f64 v[37:38], v[37:38], v[39:40], v[37:38]
	v_div_scale_f64 v[39:40], vcc_lo, 1.0, v[0:1], 1.0
	v_mul_f64 v[41:42], v[39:40], v[37:38]
	v_fma_f64 v[35:36], -v[35:36], v[41:42], v[39:40]
	v_div_fmas_f64 v[35:36], v[35:36], v[37:38], v[41:42]
	v_div_fixup_f64 v[0:1], v[35:36], v[0:1], 1.0
.LBB30_87:
	s_or_b32 exec_lo, exec_lo, s0
	s_mov_b32 s0, exec_lo
	v_cmpx_ne_u32_e64 v76, v34
	s_xor_b32 s0, exec_lo, s0
	s_cbranch_execz .LBB30_93
; %bb.88:
	s_mov_b32 s1, exec_lo
	v_cmpx_eq_u32_e32 5, v76
	s_cbranch_execz .LBB30_92
; %bb.89:
	v_cmp_ne_u32_e32 vcc_lo, 5, v34
	s_xor_b32 s3, s6, -1
	s_and_b32 s7, s3, vcc_lo
	s_and_saveexec_b32 s3, s7
	s_cbranch_execz .LBB30_91
; %bb.90:
	v_ashrrev_i32_e32 v35, 31, v34
	v_lshlrev_b64 v[35:36], 2, v[34:35]
	v_add_co_u32 v35, vcc_lo, v68, v35
	v_add_co_ci_u32_e64 v36, null, v69, v36, vcc_lo
	s_clause 0x1
	global_load_dword v37, v[35:36], off
	global_load_dword v38, v[68:69], off offset:20
	s_waitcnt vmcnt(1)
	global_store_dword v[68:69], v37, off offset:20
	s_waitcnt vmcnt(0)
	global_store_dword v[35:36], v38, off
.LBB30_91:
	s_or_b32 exec_lo, exec_lo, s3
	v_mov_b32_e32 v74, v34
	v_mov_b32_e32 v76, v34
.LBB30_92:
	s_or_b32 exec_lo, exec_lo, s1
.LBB30_93:
	s_andn2_saveexec_b32 s0, s0
	s_cbranch_execz .LBB30_95
; %bb.94:
	v_mov_b32_e32 v76, 5
	ds_write2_b64 v72, v[14:15], v[16:17] offset0:6 offset1:7
	ds_write2_b64 v72, v[18:19], v[20:21] offset0:8 offset1:9
	;; [unrolled: 1-line block ×5, first 2 shown]
.LBB30_95:
	s_or_b32 exec_lo, exec_lo, s0
	s_mov_b32 s0, exec_lo
	s_waitcnt lgkmcnt(0)
	s_waitcnt_vscnt null, 0x0
	s_barrier
	buffer_gl0_inv
	v_cmpx_lt_i32_e32 5, v76
	s_cbranch_execz .LBB30_97
; %bb.96:
	v_mul_f64 v[12:13], v[12:13], v[0:1]
	ds_read2_b64 v[34:37], v72 offset0:6 offset1:7
	ds_read2_b64 v[38:41], v72 offset0:8 offset1:9
	;; [unrolled: 1-line block ×5, first 2 shown]
	s_waitcnt lgkmcnt(4)
	v_fma_f64 v[14:15], -v[12:13], v[34:35], v[14:15]
	v_fma_f64 v[16:17], -v[12:13], v[36:37], v[16:17]
	s_waitcnt lgkmcnt(3)
	v_fma_f64 v[18:19], -v[12:13], v[38:39], v[18:19]
	v_fma_f64 v[20:21], -v[12:13], v[40:41], v[20:21]
	s_waitcnt lgkmcnt(2)
	v_fma_f64 v[22:23], -v[12:13], v[42:43], v[22:23]
	v_fma_f64 v[24:25], -v[12:13], v[44:45], v[24:25]
	s_waitcnt lgkmcnt(1)
	v_fma_f64 v[26:27], -v[12:13], v[46:47], v[26:27]
	v_fma_f64 v[28:29], -v[12:13], v[48:49], v[28:29]
	s_waitcnt lgkmcnt(0)
	v_fma_f64 v[30:31], -v[12:13], v[50:51], v[30:31]
	v_fma_f64 v[32:33], -v[12:13], v[52:53], v[32:33]
.LBB30_97:
	s_or_b32 exec_lo, exec_lo, s0
	v_lshl_add_u32 v0, v76, 3, v72
	s_barrier
	buffer_gl0_inv
	v_mov_b32_e32 v34, 6
	ds_write_b64 v0, v[14:15]
	s_waitcnt lgkmcnt(0)
	s_barrier
	buffer_gl0_inv
	ds_read_b64 v[0:1], v72 offset:48
	s_cmp_lt_i32 s2, 8
	s_cbranch_scc1 .LBB30_100
; %bb.98:
	v_add3_u32 v35, v73, 0, 56
	v_mov_b32_e32 v34, 6
	s_mov_b32 s0, 7
.LBB30_99:                              ; =>This Inner Loop Header: Depth=1
	ds_read_b64 v[36:37], v35
	v_add_nc_u32_e32 v35, 8, v35
	s_waitcnt lgkmcnt(0)
	v_cmp_lt_f64_e64 vcc_lo, |v[0:1]|, |v[36:37]|
	v_cndmask_b32_e32 v1, v1, v37, vcc_lo
	v_cndmask_b32_e32 v0, v0, v36, vcc_lo
	v_cndmask_b32_e64 v34, v34, s0, vcc_lo
	s_add_i32 s0, s0, 1
	s_cmp_lg_u32 s2, s0
	s_cbranch_scc1 .LBB30_99
.LBB30_100:
	s_mov_b32 s0, exec_lo
	s_waitcnt lgkmcnt(0)
	v_cmpx_eq_f64_e32 0, v[0:1]
	s_xor_b32 s0, exec_lo, s0
; %bb.101:
	v_cmp_ne_u32_e32 vcc_lo, 0, v75
	v_cndmask_b32_e32 v75, 7, v75, vcc_lo
; %bb.102:
	s_andn2_saveexec_b32 s0, s0
	s_cbranch_execz .LBB30_104
; %bb.103:
	v_div_scale_f64 v[35:36], null, v[0:1], v[0:1], 1.0
	v_rcp_f64_e32 v[37:38], v[35:36]
	v_fma_f64 v[39:40], -v[35:36], v[37:38], 1.0
	v_fma_f64 v[37:38], v[37:38], v[39:40], v[37:38]
	v_fma_f64 v[39:40], -v[35:36], v[37:38], 1.0
	v_fma_f64 v[37:38], v[37:38], v[39:40], v[37:38]
	v_div_scale_f64 v[39:40], vcc_lo, 1.0, v[0:1], 1.0
	v_mul_f64 v[41:42], v[39:40], v[37:38]
	v_fma_f64 v[35:36], -v[35:36], v[41:42], v[39:40]
	v_div_fmas_f64 v[35:36], v[35:36], v[37:38], v[41:42]
	v_div_fixup_f64 v[0:1], v[35:36], v[0:1], 1.0
.LBB30_104:
	s_or_b32 exec_lo, exec_lo, s0
	s_mov_b32 s0, exec_lo
	v_cmpx_ne_u32_e64 v76, v34
	s_xor_b32 s0, exec_lo, s0
	s_cbranch_execz .LBB30_110
; %bb.105:
	s_mov_b32 s1, exec_lo
	v_cmpx_eq_u32_e32 6, v76
	s_cbranch_execz .LBB30_109
; %bb.106:
	v_cmp_ne_u32_e32 vcc_lo, 6, v34
	s_xor_b32 s3, s6, -1
	s_and_b32 s7, s3, vcc_lo
	s_and_saveexec_b32 s3, s7
	s_cbranch_execz .LBB30_108
; %bb.107:
	v_ashrrev_i32_e32 v35, 31, v34
	v_lshlrev_b64 v[35:36], 2, v[34:35]
	v_add_co_u32 v35, vcc_lo, v68, v35
	v_add_co_ci_u32_e64 v36, null, v69, v36, vcc_lo
	s_clause 0x1
	global_load_dword v37, v[35:36], off
	global_load_dword v38, v[68:69], off offset:24
	s_waitcnt vmcnt(1)
	global_store_dword v[68:69], v37, off offset:24
	s_waitcnt vmcnt(0)
	global_store_dword v[35:36], v38, off
.LBB30_108:
	s_or_b32 exec_lo, exec_lo, s3
	v_mov_b32_e32 v74, v34
	v_mov_b32_e32 v76, v34
.LBB30_109:
	s_or_b32 exec_lo, exec_lo, s1
.LBB30_110:
	s_andn2_saveexec_b32 s0, s0
	s_cbranch_execz .LBB30_112
; %bb.111:
	v_mov_b32_e32 v76, 6
	ds_write2_b64 v72, v[16:17], v[18:19] offset0:7 offset1:8
	ds_write2_b64 v72, v[20:21], v[22:23] offset0:9 offset1:10
	;; [unrolled: 1-line block ×4, first 2 shown]
	ds_write_b64 v72, v[32:33] offset:120
.LBB30_112:
	s_or_b32 exec_lo, exec_lo, s0
	s_mov_b32 s0, exec_lo
	s_waitcnt lgkmcnt(0)
	s_waitcnt_vscnt null, 0x0
	s_barrier
	buffer_gl0_inv
	v_cmpx_lt_i32_e32 6, v76
	s_cbranch_execz .LBB30_114
; %bb.113:
	v_mul_f64 v[14:15], v[14:15], v[0:1]
	ds_read2_b64 v[34:37], v72 offset0:7 offset1:8
	ds_read2_b64 v[38:41], v72 offset0:9 offset1:10
	;; [unrolled: 1-line block ×4, first 2 shown]
	ds_read_b64 v[0:1], v72 offset:120
	s_waitcnt lgkmcnt(4)
	v_fma_f64 v[16:17], -v[14:15], v[34:35], v[16:17]
	v_fma_f64 v[18:19], -v[14:15], v[36:37], v[18:19]
	s_waitcnt lgkmcnt(3)
	v_fma_f64 v[20:21], -v[14:15], v[38:39], v[20:21]
	v_fma_f64 v[22:23], -v[14:15], v[40:41], v[22:23]
	s_waitcnt lgkmcnt(2)
	v_fma_f64 v[24:25], -v[14:15], v[42:43], v[24:25]
	v_fma_f64 v[26:27], -v[14:15], v[44:45], v[26:27]
	s_waitcnt lgkmcnt(1)
	v_fma_f64 v[28:29], -v[14:15], v[46:47], v[28:29]
	v_fma_f64 v[30:31], -v[14:15], v[48:49], v[30:31]
	s_waitcnt lgkmcnt(0)
	v_fma_f64 v[32:33], -v[14:15], v[0:1], v[32:33]
.LBB30_114:
	s_or_b32 exec_lo, exec_lo, s0
	v_lshl_add_u32 v0, v76, 3, v72
	s_barrier
	buffer_gl0_inv
	v_mov_b32_e32 v34, 7
	ds_write_b64 v0, v[16:17]
	s_waitcnt lgkmcnt(0)
	s_barrier
	buffer_gl0_inv
	ds_read_b64 v[0:1], v72 offset:56
	s_cmp_lt_i32 s2, 9
	s_cbranch_scc1 .LBB30_117
; %bb.115:
	v_add3_u32 v35, v73, 0, 64
	v_mov_b32_e32 v34, 7
	s_mov_b32 s0, 8
.LBB30_116:                             ; =>This Inner Loop Header: Depth=1
	ds_read_b64 v[36:37], v35
	v_add_nc_u32_e32 v35, 8, v35
	s_waitcnt lgkmcnt(0)
	v_cmp_lt_f64_e64 vcc_lo, |v[0:1]|, |v[36:37]|
	v_cndmask_b32_e32 v1, v1, v37, vcc_lo
	v_cndmask_b32_e32 v0, v0, v36, vcc_lo
	v_cndmask_b32_e64 v34, v34, s0, vcc_lo
	s_add_i32 s0, s0, 1
	s_cmp_lg_u32 s2, s0
	s_cbranch_scc1 .LBB30_116
.LBB30_117:
	s_mov_b32 s0, exec_lo
	s_waitcnt lgkmcnt(0)
	v_cmpx_eq_f64_e32 0, v[0:1]
	s_xor_b32 s0, exec_lo, s0
; %bb.118:
	v_cmp_ne_u32_e32 vcc_lo, 0, v75
	v_cndmask_b32_e32 v75, 8, v75, vcc_lo
; %bb.119:
	s_andn2_saveexec_b32 s0, s0
	s_cbranch_execz .LBB30_121
; %bb.120:
	v_div_scale_f64 v[35:36], null, v[0:1], v[0:1], 1.0
	v_rcp_f64_e32 v[37:38], v[35:36]
	v_fma_f64 v[39:40], -v[35:36], v[37:38], 1.0
	v_fma_f64 v[37:38], v[37:38], v[39:40], v[37:38]
	v_fma_f64 v[39:40], -v[35:36], v[37:38], 1.0
	v_fma_f64 v[37:38], v[37:38], v[39:40], v[37:38]
	v_div_scale_f64 v[39:40], vcc_lo, 1.0, v[0:1], 1.0
	v_mul_f64 v[41:42], v[39:40], v[37:38]
	v_fma_f64 v[35:36], -v[35:36], v[41:42], v[39:40]
	v_div_fmas_f64 v[35:36], v[35:36], v[37:38], v[41:42]
	v_div_fixup_f64 v[0:1], v[35:36], v[0:1], 1.0
.LBB30_121:
	s_or_b32 exec_lo, exec_lo, s0
	s_mov_b32 s0, exec_lo
	v_cmpx_ne_u32_e64 v76, v34
	s_xor_b32 s0, exec_lo, s0
	s_cbranch_execz .LBB30_127
; %bb.122:
	s_mov_b32 s1, exec_lo
	v_cmpx_eq_u32_e32 7, v76
	s_cbranch_execz .LBB30_126
; %bb.123:
	v_cmp_ne_u32_e32 vcc_lo, 7, v34
	s_xor_b32 s3, s6, -1
	s_and_b32 s7, s3, vcc_lo
	s_and_saveexec_b32 s3, s7
	s_cbranch_execz .LBB30_125
; %bb.124:
	v_ashrrev_i32_e32 v35, 31, v34
	v_lshlrev_b64 v[35:36], 2, v[34:35]
	v_add_co_u32 v35, vcc_lo, v68, v35
	v_add_co_ci_u32_e64 v36, null, v69, v36, vcc_lo
	s_clause 0x1
	global_load_dword v37, v[35:36], off
	global_load_dword v38, v[68:69], off offset:28
	s_waitcnt vmcnt(1)
	global_store_dword v[68:69], v37, off offset:28
	s_waitcnt vmcnt(0)
	global_store_dword v[35:36], v38, off
.LBB30_125:
	s_or_b32 exec_lo, exec_lo, s3
	v_mov_b32_e32 v74, v34
	v_mov_b32_e32 v76, v34
.LBB30_126:
	s_or_b32 exec_lo, exec_lo, s1
.LBB30_127:
	s_andn2_saveexec_b32 s0, s0
	s_cbranch_execz .LBB30_129
; %bb.128:
	v_mov_b32_e32 v76, 7
	ds_write2_b64 v72, v[18:19], v[20:21] offset0:8 offset1:9
	ds_write2_b64 v72, v[22:23], v[24:25] offset0:10 offset1:11
	;; [unrolled: 1-line block ×4, first 2 shown]
.LBB30_129:
	s_or_b32 exec_lo, exec_lo, s0
	s_mov_b32 s0, exec_lo
	s_waitcnt lgkmcnt(0)
	s_waitcnt_vscnt null, 0x0
	s_barrier
	buffer_gl0_inv
	v_cmpx_lt_i32_e32 7, v76
	s_cbranch_execz .LBB30_131
; %bb.130:
	v_mul_f64 v[16:17], v[16:17], v[0:1]
	ds_read2_b64 v[34:37], v72 offset0:8 offset1:9
	ds_read2_b64 v[38:41], v72 offset0:10 offset1:11
	;; [unrolled: 1-line block ×4, first 2 shown]
	s_waitcnt lgkmcnt(3)
	v_fma_f64 v[18:19], -v[16:17], v[34:35], v[18:19]
	v_fma_f64 v[20:21], -v[16:17], v[36:37], v[20:21]
	s_waitcnt lgkmcnt(2)
	v_fma_f64 v[22:23], -v[16:17], v[38:39], v[22:23]
	v_fma_f64 v[24:25], -v[16:17], v[40:41], v[24:25]
	;; [unrolled: 3-line block ×4, first 2 shown]
.LBB30_131:
	s_or_b32 exec_lo, exec_lo, s0
	v_lshl_add_u32 v0, v76, 3, v72
	s_barrier
	buffer_gl0_inv
	v_mov_b32_e32 v34, 8
	ds_write_b64 v0, v[18:19]
	s_waitcnt lgkmcnt(0)
	s_barrier
	buffer_gl0_inv
	ds_read_b64 v[0:1], v72 offset:64
	s_cmp_lt_i32 s2, 10
	s_cbranch_scc1 .LBB30_134
; %bb.132:
	v_add3_u32 v35, v73, 0, 0x48
	v_mov_b32_e32 v34, 8
	s_mov_b32 s0, 9
.LBB30_133:                             ; =>This Inner Loop Header: Depth=1
	ds_read_b64 v[36:37], v35
	v_add_nc_u32_e32 v35, 8, v35
	s_waitcnt lgkmcnt(0)
	v_cmp_lt_f64_e64 vcc_lo, |v[0:1]|, |v[36:37]|
	v_cndmask_b32_e32 v1, v1, v37, vcc_lo
	v_cndmask_b32_e32 v0, v0, v36, vcc_lo
	v_cndmask_b32_e64 v34, v34, s0, vcc_lo
	s_add_i32 s0, s0, 1
	s_cmp_lg_u32 s2, s0
	s_cbranch_scc1 .LBB30_133
.LBB30_134:
	s_mov_b32 s0, exec_lo
	s_waitcnt lgkmcnt(0)
	v_cmpx_eq_f64_e32 0, v[0:1]
	s_xor_b32 s0, exec_lo, s0
; %bb.135:
	v_cmp_ne_u32_e32 vcc_lo, 0, v75
	v_cndmask_b32_e32 v75, 9, v75, vcc_lo
; %bb.136:
	s_andn2_saveexec_b32 s0, s0
	s_cbranch_execz .LBB30_138
; %bb.137:
	v_div_scale_f64 v[35:36], null, v[0:1], v[0:1], 1.0
	v_rcp_f64_e32 v[37:38], v[35:36]
	v_fma_f64 v[39:40], -v[35:36], v[37:38], 1.0
	v_fma_f64 v[37:38], v[37:38], v[39:40], v[37:38]
	v_fma_f64 v[39:40], -v[35:36], v[37:38], 1.0
	v_fma_f64 v[37:38], v[37:38], v[39:40], v[37:38]
	v_div_scale_f64 v[39:40], vcc_lo, 1.0, v[0:1], 1.0
	v_mul_f64 v[41:42], v[39:40], v[37:38]
	v_fma_f64 v[35:36], -v[35:36], v[41:42], v[39:40]
	v_div_fmas_f64 v[35:36], v[35:36], v[37:38], v[41:42]
	v_div_fixup_f64 v[0:1], v[35:36], v[0:1], 1.0
.LBB30_138:
	s_or_b32 exec_lo, exec_lo, s0
	s_mov_b32 s0, exec_lo
	v_cmpx_ne_u32_e64 v76, v34
	s_xor_b32 s0, exec_lo, s0
	s_cbranch_execz .LBB30_144
; %bb.139:
	s_mov_b32 s1, exec_lo
	v_cmpx_eq_u32_e32 8, v76
	s_cbranch_execz .LBB30_143
; %bb.140:
	v_cmp_ne_u32_e32 vcc_lo, 8, v34
	s_xor_b32 s3, s6, -1
	s_and_b32 s7, s3, vcc_lo
	s_and_saveexec_b32 s3, s7
	s_cbranch_execz .LBB30_142
; %bb.141:
	v_ashrrev_i32_e32 v35, 31, v34
	v_lshlrev_b64 v[35:36], 2, v[34:35]
	v_add_co_u32 v35, vcc_lo, v68, v35
	v_add_co_ci_u32_e64 v36, null, v69, v36, vcc_lo
	s_clause 0x1
	global_load_dword v37, v[35:36], off
	global_load_dword v38, v[68:69], off offset:32
	s_waitcnt vmcnt(1)
	global_store_dword v[68:69], v37, off offset:32
	s_waitcnt vmcnt(0)
	global_store_dword v[35:36], v38, off
.LBB30_142:
	s_or_b32 exec_lo, exec_lo, s3
	v_mov_b32_e32 v74, v34
	v_mov_b32_e32 v76, v34
.LBB30_143:
	s_or_b32 exec_lo, exec_lo, s1
.LBB30_144:
	s_andn2_saveexec_b32 s0, s0
	s_cbranch_execz .LBB30_146
; %bb.145:
	v_mov_b32_e32 v76, 8
	ds_write2_b64 v72, v[20:21], v[22:23] offset0:9 offset1:10
	ds_write2_b64 v72, v[24:25], v[26:27] offset0:11 offset1:12
	;; [unrolled: 1-line block ×3, first 2 shown]
	ds_write_b64 v72, v[32:33] offset:120
.LBB30_146:
	s_or_b32 exec_lo, exec_lo, s0
	s_mov_b32 s0, exec_lo
	s_waitcnt lgkmcnt(0)
	s_waitcnt_vscnt null, 0x0
	s_barrier
	buffer_gl0_inv
	v_cmpx_lt_i32_e32 8, v76
	s_cbranch_execz .LBB30_148
; %bb.147:
	v_mul_f64 v[18:19], v[18:19], v[0:1]
	ds_read2_b64 v[50:53], v72 offset0:11 offset1:12
	ds_read2_b64 v[34:37], v72 offset0:9 offset1:10
	;; [unrolled: 1-line block ×3, first 2 shown]
	ds_read_b64 v[58:59], v72 offset:120
	v_mov_b32_e32 v60, v26
	v_mov_b32_e32 v61, v27
	;; [unrolled: 1-line block ×8, first 2 shown]
	s_waitcnt lgkmcnt(3)
	v_fma_f64 v[0:1], -v[18:19], v[50:51], v[24:25]
	s_waitcnt lgkmcnt(2)
	v_fma_f64 v[20:21], -v[18:19], v[34:35], v[20:21]
	v_fma_f64 v[22:23], -v[18:19], v[36:37], v[22:23]
	v_mov_b32_e32 v24, v0
	v_mov_b32_e32 v51, v33
	v_mov_b32_e32 v50, v32
	v_mov_b32_e32 v49, v31
	v_mov_b32_e32 v48, v30
	v_mov_b32_e32 v47, v29
	v_mov_b32_e32 v46, v28
	v_mov_b32_e32 v45, v27
	v_mov_b32_e32 v44, v26
	v_fma_f64 v[44:45], -v[18:19], v[52:53], v[60:61]
	s_waitcnt lgkmcnt(1)
	v_fma_f64 v[46:47], -v[18:19], v[54:55], v[62:63]
	v_fma_f64 v[48:49], -v[18:19], v[56:57], v[64:65]
	s_waitcnt lgkmcnt(0)
	v_fma_f64 v[50:51], -v[18:19], v[58:59], v[77:78]
	v_mov_b32_e32 v43, v25
	v_mov_b32_e32 v42, v24
	;; [unrolled: 1-line block ×57, first 2 shown]
.LBB30_148:
	s_or_b32 exec_lo, exec_lo, s0
	v_lshl_add_u32 v0, v76, 3, v72
	s_barrier
	buffer_gl0_inv
	v_mov_b32_e32 v34, 9
	ds_write_b64 v0, v[20:21]
	s_waitcnt lgkmcnt(0)
	s_barrier
	buffer_gl0_inv
	ds_read_b64 v[0:1], v72 offset:72
	s_cmp_lt_i32 s2, 11
	s_cbranch_scc1 .LBB30_151
; %bb.149:
	v_add3_u32 v35, v73, 0, 0x50
	v_mov_b32_e32 v34, 9
	s_mov_b32 s0, 10
.LBB30_150:                             ; =>This Inner Loop Header: Depth=1
	ds_read_b64 v[36:37], v35
	v_add_nc_u32_e32 v35, 8, v35
	s_waitcnt lgkmcnt(0)
	v_cmp_lt_f64_e64 vcc_lo, |v[0:1]|, |v[36:37]|
	v_cndmask_b32_e32 v1, v1, v37, vcc_lo
	v_cndmask_b32_e32 v0, v0, v36, vcc_lo
	v_cndmask_b32_e64 v34, v34, s0, vcc_lo
	s_add_i32 s0, s0, 1
	s_cmp_lg_u32 s2, s0
	s_cbranch_scc1 .LBB30_150
.LBB30_151:
	s_mov_b32 s0, exec_lo
	s_waitcnt lgkmcnt(0)
	v_cmpx_eq_f64_e32 0, v[0:1]
	s_xor_b32 s0, exec_lo, s0
; %bb.152:
	v_cmp_ne_u32_e32 vcc_lo, 0, v75
	v_cndmask_b32_e32 v75, 10, v75, vcc_lo
; %bb.153:
	s_andn2_saveexec_b32 s0, s0
	s_cbranch_execz .LBB30_155
; %bb.154:
	v_div_scale_f64 v[35:36], null, v[0:1], v[0:1], 1.0
	v_rcp_f64_e32 v[37:38], v[35:36]
	v_fma_f64 v[39:40], -v[35:36], v[37:38], 1.0
	v_fma_f64 v[37:38], v[37:38], v[39:40], v[37:38]
	v_fma_f64 v[39:40], -v[35:36], v[37:38], 1.0
	v_fma_f64 v[37:38], v[37:38], v[39:40], v[37:38]
	v_div_scale_f64 v[39:40], vcc_lo, 1.0, v[0:1], 1.0
	v_mul_f64 v[41:42], v[39:40], v[37:38]
	v_fma_f64 v[35:36], -v[35:36], v[41:42], v[39:40]
	v_div_fmas_f64 v[35:36], v[35:36], v[37:38], v[41:42]
	v_div_fixup_f64 v[0:1], v[35:36], v[0:1], 1.0
.LBB30_155:
	s_or_b32 exec_lo, exec_lo, s0
	s_mov_b32 s0, exec_lo
	v_cmpx_ne_u32_e64 v76, v34
	s_xor_b32 s0, exec_lo, s0
	s_cbranch_execz .LBB30_161
; %bb.156:
	s_mov_b32 s1, exec_lo
	v_cmpx_eq_u32_e32 9, v76
	s_cbranch_execz .LBB30_160
; %bb.157:
	v_cmp_ne_u32_e32 vcc_lo, 9, v34
	s_xor_b32 s3, s6, -1
	s_and_b32 s7, s3, vcc_lo
	s_and_saveexec_b32 s3, s7
	s_cbranch_execz .LBB30_159
; %bb.158:
	v_ashrrev_i32_e32 v35, 31, v34
	v_lshlrev_b64 v[35:36], 2, v[34:35]
	v_add_co_u32 v35, vcc_lo, v68, v35
	v_add_co_ci_u32_e64 v36, null, v69, v36, vcc_lo
	s_clause 0x1
	global_load_dword v37, v[35:36], off
	global_load_dword v38, v[68:69], off offset:36
	s_waitcnt vmcnt(1)
	global_store_dword v[68:69], v37, off offset:36
	s_waitcnt vmcnt(0)
	global_store_dword v[35:36], v38, off
.LBB30_159:
	s_or_b32 exec_lo, exec_lo, s3
	v_mov_b32_e32 v74, v34
	v_mov_b32_e32 v76, v34
.LBB30_160:
	s_or_b32 exec_lo, exec_lo, s1
.LBB30_161:
	s_andn2_saveexec_b32 s0, s0
	s_cbranch_execz .LBB30_163
; %bb.162:
	v_mov_b32_e32 v34, v22
	v_mov_b32_e32 v35, v23
	;; [unrolled: 1-line block ×13, first 2 shown]
	ds_write2_b64 v72, v[34:35], v[36:37] offset0:10 offset1:11
	ds_write2_b64 v72, v[38:39], v[40:41] offset0:12 offset1:13
	;; [unrolled: 1-line block ×3, first 2 shown]
.LBB30_163:
	s_or_b32 exec_lo, exec_lo, s0
	s_mov_b32 s0, exec_lo
	s_waitcnt lgkmcnt(0)
	s_waitcnt_vscnt null, 0x0
	s_barrier
	buffer_gl0_inv
	v_cmpx_lt_i32_e32 9, v76
	s_cbranch_execz .LBB30_165
; %bb.164:
	v_mul_f64 v[0:1], v[20:21], v[0:1]
	ds_read2_b64 v[34:37], v72 offset0:10 offset1:11
	ds_read2_b64 v[38:41], v72 offset0:12 offset1:13
	;; [unrolled: 1-line block ×3, first 2 shown]
	v_mov_b32_e32 v46, v22
	v_mov_b32_e32 v47, v23
	;; [unrolled: 1-line block ×12, first 2 shown]
	s_waitcnt lgkmcnt(2)
	v_fma_f64 v[22:23], -v[0:1], v[34:35], v[46:47]
	v_fma_f64 v[24:25], -v[0:1], v[36:37], v[48:49]
	s_waitcnt lgkmcnt(1)
	v_fma_f64 v[26:27], -v[0:1], v[38:39], v[50:51]
	v_fma_f64 v[28:29], -v[0:1], v[40:41], v[52:53]
	s_waitcnt lgkmcnt(0)
	v_fma_f64 v[30:31], -v[0:1], v[42:43], v[54:55]
	v_fma_f64 v[32:33], -v[0:1], v[44:45], v[56:57]
	v_mov_b32_e32 v20, v0
	v_mov_b32_e32 v21, v1
.LBB30_165:
	s_or_b32 exec_lo, exec_lo, s0
	v_lshl_add_u32 v0, v76, 3, v72
	s_barrier
	buffer_gl0_inv
	v_mov_b32_e32 v34, 10
	ds_write_b64 v0, v[22:23]
	s_waitcnt lgkmcnt(0)
	s_barrier
	buffer_gl0_inv
	ds_read_b64 v[0:1], v72 offset:80
	s_cmp_lt_i32 s2, 12
	s_cbranch_scc1 .LBB30_168
; %bb.166:
	v_add3_u32 v35, v73, 0, 0x58
	v_mov_b32_e32 v34, 10
	s_mov_b32 s0, 11
.LBB30_167:                             ; =>This Inner Loop Header: Depth=1
	ds_read_b64 v[36:37], v35
	v_add_nc_u32_e32 v35, 8, v35
	s_waitcnt lgkmcnt(0)
	v_cmp_lt_f64_e64 vcc_lo, |v[0:1]|, |v[36:37]|
	v_cndmask_b32_e32 v1, v1, v37, vcc_lo
	v_cndmask_b32_e32 v0, v0, v36, vcc_lo
	v_cndmask_b32_e64 v34, v34, s0, vcc_lo
	s_add_i32 s0, s0, 1
	s_cmp_lg_u32 s2, s0
	s_cbranch_scc1 .LBB30_167
.LBB30_168:
	s_mov_b32 s0, exec_lo
	s_waitcnt lgkmcnt(0)
	v_cmpx_eq_f64_e32 0, v[0:1]
	s_xor_b32 s0, exec_lo, s0
; %bb.169:
	v_cmp_ne_u32_e32 vcc_lo, 0, v75
	v_cndmask_b32_e32 v75, 11, v75, vcc_lo
; %bb.170:
	s_andn2_saveexec_b32 s0, s0
	s_cbranch_execz .LBB30_172
; %bb.171:
	v_div_scale_f64 v[35:36], null, v[0:1], v[0:1], 1.0
	v_rcp_f64_e32 v[37:38], v[35:36]
	v_fma_f64 v[39:40], -v[35:36], v[37:38], 1.0
	v_fma_f64 v[37:38], v[37:38], v[39:40], v[37:38]
	v_fma_f64 v[39:40], -v[35:36], v[37:38], 1.0
	v_fma_f64 v[37:38], v[37:38], v[39:40], v[37:38]
	v_div_scale_f64 v[39:40], vcc_lo, 1.0, v[0:1], 1.0
	v_mul_f64 v[41:42], v[39:40], v[37:38]
	v_fma_f64 v[35:36], -v[35:36], v[41:42], v[39:40]
	v_div_fmas_f64 v[35:36], v[35:36], v[37:38], v[41:42]
	v_div_fixup_f64 v[0:1], v[35:36], v[0:1], 1.0
.LBB30_172:
	s_or_b32 exec_lo, exec_lo, s0
	s_mov_b32 s0, exec_lo
	v_cmpx_ne_u32_e64 v76, v34
	s_xor_b32 s0, exec_lo, s0
	s_cbranch_execz .LBB30_178
; %bb.173:
	s_mov_b32 s1, exec_lo
	v_cmpx_eq_u32_e32 10, v76
	s_cbranch_execz .LBB30_177
; %bb.174:
	v_cmp_ne_u32_e32 vcc_lo, 10, v34
	s_xor_b32 s3, s6, -1
	s_and_b32 s7, s3, vcc_lo
	s_and_saveexec_b32 s3, s7
	s_cbranch_execz .LBB30_176
; %bb.175:
	v_ashrrev_i32_e32 v35, 31, v34
	v_lshlrev_b64 v[35:36], 2, v[34:35]
	v_add_co_u32 v35, vcc_lo, v68, v35
	v_add_co_ci_u32_e64 v36, null, v69, v36, vcc_lo
	s_clause 0x1
	global_load_dword v37, v[35:36], off
	global_load_dword v38, v[68:69], off offset:40
	s_waitcnt vmcnt(1)
	global_store_dword v[68:69], v37, off offset:40
	s_waitcnt vmcnt(0)
	global_store_dword v[35:36], v38, off
.LBB30_176:
	s_or_b32 exec_lo, exec_lo, s3
	v_mov_b32_e32 v74, v34
	v_mov_b32_e32 v76, v34
.LBB30_177:
	s_or_b32 exec_lo, exec_lo, s1
.LBB30_178:
	s_andn2_saveexec_b32 s0, s0
	s_cbranch_execz .LBB30_180
; %bb.179:
	v_mov_b32_e32 v34, v24
	v_mov_b32_e32 v35, v25
	;; [unrolled: 1-line block ×11, first 2 shown]
	ds_write2_b64 v72, v[34:35], v[36:37] offset0:11 offset1:12
	ds_write2_b64 v72, v[38:39], v[40:41] offset0:13 offset1:14
	ds_write_b64 v72, v[42:43] offset:120
.LBB30_180:
	s_or_b32 exec_lo, exec_lo, s0
	s_mov_b32 s0, exec_lo
	s_waitcnt lgkmcnt(0)
	s_waitcnt_vscnt null, 0x0
	s_barrier
	buffer_gl0_inv
	v_cmpx_lt_i32_e32 10, v76
	s_cbranch_execz .LBB30_182
; %bb.181:
	v_mul_f64 v[0:1], v[22:23], v[0:1]
	ds_read2_b64 v[77:80], v72 offset0:11 offset1:12
	ds_read2_b64 v[81:84], v72 offset0:13 offset1:14
	ds_read_b64 v[85:86], v72 offset:120
	v_mov_b32_e32 v65, v33
	v_mov_b32_e32 v64, v32
	;; [unrolled: 1-line block ×42, first 2 shown]
	s_waitcnt lgkmcnt(2)
	v_fma_f64 v[56:57], -v[0:1], v[77:78], v[2:3]
	v_fma_f64 v[58:59], -v[0:1], v[79:80], v[4:5]
	s_waitcnt lgkmcnt(1)
	v_fma_f64 v[60:61], -v[0:1], v[81:82], v[6:7]
	v_fma_f64 v[62:63], -v[0:1], v[83:84], v[8:9]
	s_waitcnt lgkmcnt(0)
	v_fma_f64 v[64:65], -v[0:1], v[85:86], v[10:11]
	v_mov_b32_e32 v54, v0
	v_mov_b32_e32 v55, v1
	;; [unrolled: 1-line block ×34, first 2 shown]
.LBB30_182:
	s_or_b32 exec_lo, exec_lo, s0
	v_lshl_add_u32 v0, v76, 3, v72
	s_barrier
	buffer_gl0_inv
	v_mov_b32_e32 v34, 11
	ds_write_b64 v0, v[24:25]
	s_waitcnt lgkmcnt(0)
	s_barrier
	buffer_gl0_inv
	ds_read_b64 v[0:1], v72 offset:88
	s_cmp_lt_i32 s2, 13
	s_cbranch_scc1 .LBB30_185
; %bb.183:
	v_add3_u32 v35, v73, 0, 0x60
	v_mov_b32_e32 v34, 11
	s_mov_b32 s0, 12
.LBB30_184:                             ; =>This Inner Loop Header: Depth=1
	ds_read_b64 v[36:37], v35
	v_add_nc_u32_e32 v35, 8, v35
	s_waitcnt lgkmcnt(0)
	v_cmp_lt_f64_e64 vcc_lo, |v[0:1]|, |v[36:37]|
	v_cndmask_b32_e32 v1, v1, v37, vcc_lo
	v_cndmask_b32_e32 v0, v0, v36, vcc_lo
	v_cndmask_b32_e64 v34, v34, s0, vcc_lo
	s_add_i32 s0, s0, 1
	s_cmp_lg_u32 s2, s0
	s_cbranch_scc1 .LBB30_184
.LBB30_185:
	s_mov_b32 s0, exec_lo
	s_waitcnt lgkmcnt(0)
	v_cmpx_eq_f64_e32 0, v[0:1]
	s_xor_b32 s0, exec_lo, s0
; %bb.186:
	v_cmp_ne_u32_e32 vcc_lo, 0, v75
	v_cndmask_b32_e32 v75, 12, v75, vcc_lo
; %bb.187:
	s_andn2_saveexec_b32 s0, s0
	s_cbranch_execz .LBB30_189
; %bb.188:
	v_div_scale_f64 v[35:36], null, v[0:1], v[0:1], 1.0
	v_rcp_f64_e32 v[37:38], v[35:36]
	v_fma_f64 v[39:40], -v[35:36], v[37:38], 1.0
	v_fma_f64 v[37:38], v[37:38], v[39:40], v[37:38]
	v_fma_f64 v[39:40], -v[35:36], v[37:38], 1.0
	v_fma_f64 v[37:38], v[37:38], v[39:40], v[37:38]
	v_div_scale_f64 v[39:40], vcc_lo, 1.0, v[0:1], 1.0
	v_mul_f64 v[41:42], v[39:40], v[37:38]
	v_fma_f64 v[35:36], -v[35:36], v[41:42], v[39:40]
	v_div_fmas_f64 v[35:36], v[35:36], v[37:38], v[41:42]
	v_div_fixup_f64 v[0:1], v[35:36], v[0:1], 1.0
.LBB30_189:
	s_or_b32 exec_lo, exec_lo, s0
	s_mov_b32 s0, exec_lo
	v_cmpx_ne_u32_e64 v76, v34
	s_xor_b32 s0, exec_lo, s0
	s_cbranch_execz .LBB30_195
; %bb.190:
	s_mov_b32 s1, exec_lo
	v_cmpx_eq_u32_e32 11, v76
	s_cbranch_execz .LBB30_194
; %bb.191:
	v_cmp_ne_u32_e32 vcc_lo, 11, v34
	s_xor_b32 s3, s6, -1
	s_and_b32 s7, s3, vcc_lo
	s_and_saveexec_b32 s3, s7
	s_cbranch_execz .LBB30_193
; %bb.192:
	v_ashrrev_i32_e32 v35, 31, v34
	v_lshlrev_b64 v[35:36], 2, v[34:35]
	v_add_co_u32 v35, vcc_lo, v68, v35
	v_add_co_ci_u32_e64 v36, null, v69, v36, vcc_lo
	s_clause 0x1
	global_load_dword v37, v[35:36], off
	global_load_dword v38, v[68:69], off offset:44
	s_waitcnt vmcnt(1)
	global_store_dword v[68:69], v37, off offset:44
	s_waitcnt vmcnt(0)
	global_store_dword v[35:36], v38, off
.LBB30_193:
	s_or_b32 exec_lo, exec_lo, s3
	v_mov_b32_e32 v74, v34
	v_mov_b32_e32 v76, v34
.LBB30_194:
	s_or_b32 exec_lo, exec_lo, s1
.LBB30_195:
	s_andn2_saveexec_b32 s0, s0
	s_cbranch_execz .LBB30_197
; %bb.196:
	v_mov_b32_e32 v34, v26
	v_mov_b32_e32 v35, v27
	;; [unrolled: 1-line block ×9, first 2 shown]
	ds_write2_b64 v72, v[34:35], v[36:37] offset0:12 offset1:13
	ds_write2_b64 v72, v[38:39], v[40:41] offset0:14 offset1:15
.LBB30_197:
	s_or_b32 exec_lo, exec_lo, s0
	s_mov_b32 s0, exec_lo
	s_waitcnt lgkmcnt(0)
	s_waitcnt_vscnt null, 0x0
	s_barrier
	buffer_gl0_inv
	v_cmpx_lt_i32_e32 11, v76
	s_cbranch_execz .LBB30_199
; %bb.198:
	v_mul_f64 v[0:1], v[24:25], v[0:1]
	ds_read2_b64 v[34:37], v72 offset0:12 offset1:13
	ds_read2_b64 v[38:41], v72 offset0:14 offset1:15
	v_mov_b32_e32 v42, v26
	v_mov_b32_e32 v43, v27
	;; [unrolled: 1-line block ×8, first 2 shown]
	s_waitcnt lgkmcnt(1)
	v_fma_f64 v[26:27], -v[0:1], v[34:35], v[42:43]
	v_fma_f64 v[28:29], -v[0:1], v[36:37], v[44:45]
	s_waitcnt lgkmcnt(0)
	v_fma_f64 v[30:31], -v[0:1], v[38:39], v[46:47]
	v_fma_f64 v[32:33], -v[0:1], v[40:41], v[48:49]
	v_mov_b32_e32 v24, v0
	v_mov_b32_e32 v25, v1
.LBB30_199:
	s_or_b32 exec_lo, exec_lo, s0
	v_lshl_add_u32 v0, v76, 3, v72
	s_barrier
	buffer_gl0_inv
	v_mov_b32_e32 v34, 12
	ds_write_b64 v0, v[26:27]
	s_waitcnt lgkmcnt(0)
	s_barrier
	buffer_gl0_inv
	ds_read_b64 v[0:1], v72 offset:96
	s_cmp_lt_i32 s2, 14
	s_cbranch_scc1 .LBB30_202
; %bb.200:
	v_add3_u32 v35, v73, 0, 0x68
	v_mov_b32_e32 v34, 12
	s_mov_b32 s0, 13
.LBB30_201:                             ; =>This Inner Loop Header: Depth=1
	ds_read_b64 v[36:37], v35
	v_add_nc_u32_e32 v35, 8, v35
	s_waitcnt lgkmcnt(0)
	v_cmp_lt_f64_e64 vcc_lo, |v[0:1]|, |v[36:37]|
	v_cndmask_b32_e32 v1, v1, v37, vcc_lo
	v_cndmask_b32_e32 v0, v0, v36, vcc_lo
	v_cndmask_b32_e64 v34, v34, s0, vcc_lo
	s_add_i32 s0, s0, 1
	s_cmp_lg_u32 s2, s0
	s_cbranch_scc1 .LBB30_201
.LBB30_202:
	s_mov_b32 s0, exec_lo
	s_waitcnt lgkmcnt(0)
	v_cmpx_eq_f64_e32 0, v[0:1]
	s_xor_b32 s0, exec_lo, s0
; %bb.203:
	v_cmp_ne_u32_e32 vcc_lo, 0, v75
	v_cndmask_b32_e32 v75, 13, v75, vcc_lo
; %bb.204:
	s_andn2_saveexec_b32 s0, s0
	s_cbranch_execz .LBB30_206
; %bb.205:
	v_div_scale_f64 v[35:36], null, v[0:1], v[0:1], 1.0
	v_rcp_f64_e32 v[37:38], v[35:36]
	v_fma_f64 v[39:40], -v[35:36], v[37:38], 1.0
	v_fma_f64 v[37:38], v[37:38], v[39:40], v[37:38]
	v_fma_f64 v[39:40], -v[35:36], v[37:38], 1.0
	v_fma_f64 v[37:38], v[37:38], v[39:40], v[37:38]
	v_div_scale_f64 v[39:40], vcc_lo, 1.0, v[0:1], 1.0
	v_mul_f64 v[41:42], v[39:40], v[37:38]
	v_fma_f64 v[35:36], -v[35:36], v[41:42], v[39:40]
	v_div_fmas_f64 v[35:36], v[35:36], v[37:38], v[41:42]
	v_div_fixup_f64 v[0:1], v[35:36], v[0:1], 1.0
.LBB30_206:
	s_or_b32 exec_lo, exec_lo, s0
	s_mov_b32 s0, exec_lo
	v_cmpx_ne_u32_e64 v76, v34
	s_xor_b32 s0, exec_lo, s0
	s_cbranch_execz .LBB30_212
; %bb.207:
	s_mov_b32 s1, exec_lo
	v_cmpx_eq_u32_e32 12, v76
	s_cbranch_execz .LBB30_211
; %bb.208:
	v_cmp_ne_u32_e32 vcc_lo, 12, v34
	s_xor_b32 s3, s6, -1
	s_and_b32 s7, s3, vcc_lo
	s_and_saveexec_b32 s3, s7
	s_cbranch_execz .LBB30_210
; %bb.209:
	v_ashrrev_i32_e32 v35, 31, v34
	v_lshlrev_b64 v[35:36], 2, v[34:35]
	v_add_co_u32 v35, vcc_lo, v68, v35
	v_add_co_ci_u32_e64 v36, null, v69, v36, vcc_lo
	s_clause 0x1
	global_load_dword v37, v[35:36], off
	global_load_dword v38, v[68:69], off offset:48
	s_waitcnt vmcnt(1)
	global_store_dword v[68:69], v37, off offset:48
	s_waitcnt vmcnt(0)
	global_store_dword v[35:36], v38, off
.LBB30_210:
	s_or_b32 exec_lo, exec_lo, s3
	v_mov_b32_e32 v74, v34
	v_mov_b32_e32 v76, v34
.LBB30_211:
	s_or_b32 exec_lo, exec_lo, s1
.LBB30_212:
	s_andn2_saveexec_b32 s0, s0
	s_cbranch_execz .LBB30_214
; %bb.213:
	v_mov_b32_e32 v34, v28
	v_mov_b32_e32 v35, v29
	;; [unrolled: 1-line block ×7, first 2 shown]
	ds_write2_b64 v72, v[34:35], v[36:37] offset0:13 offset1:14
	ds_write_b64 v72, v[38:39] offset:120
.LBB30_214:
	s_or_b32 exec_lo, exec_lo, s0
	s_mov_b32 s0, exec_lo
	s_waitcnt lgkmcnt(0)
	s_waitcnt_vscnt null, 0x0
	s_barrier
	buffer_gl0_inv
	v_cmpx_lt_i32_e32 12, v76
	s_cbranch_execz .LBB30_216
; %bb.215:
	v_mul_f64 v[0:1], v[26:27], v[0:1]
	ds_read2_b64 v[34:37], v72 offset0:13 offset1:14
	ds_read_b64 v[38:39], v72 offset:120
	v_mov_b32_e32 v40, v28
	v_mov_b32_e32 v41, v29
	;; [unrolled: 1-line block ×6, first 2 shown]
	s_waitcnt lgkmcnt(1)
	v_fma_f64 v[28:29], -v[0:1], v[34:35], v[40:41]
	v_fma_f64 v[30:31], -v[0:1], v[36:37], v[42:43]
	s_waitcnt lgkmcnt(0)
	v_fma_f64 v[32:33], -v[0:1], v[38:39], v[44:45]
	v_mov_b32_e32 v26, v0
	v_mov_b32_e32 v27, v1
.LBB30_216:
	s_or_b32 exec_lo, exec_lo, s0
	v_lshl_add_u32 v0, v76, 3, v72
	s_barrier
	buffer_gl0_inv
	v_mov_b32_e32 v34, 13
	ds_write_b64 v0, v[28:29]
	s_waitcnt lgkmcnt(0)
	s_barrier
	buffer_gl0_inv
	ds_read_b64 v[0:1], v72 offset:104
	s_cmp_lt_i32 s2, 15
	s_cbranch_scc1 .LBB30_219
; %bb.217:
	v_add3_u32 v35, v73, 0, 0x70
	v_mov_b32_e32 v34, 13
	s_mov_b32 s0, 14
.LBB30_218:                             ; =>This Inner Loop Header: Depth=1
	ds_read_b64 v[36:37], v35
	v_add_nc_u32_e32 v35, 8, v35
	s_waitcnt lgkmcnt(0)
	v_cmp_lt_f64_e64 vcc_lo, |v[0:1]|, |v[36:37]|
	v_cndmask_b32_e32 v1, v1, v37, vcc_lo
	v_cndmask_b32_e32 v0, v0, v36, vcc_lo
	v_cndmask_b32_e64 v34, v34, s0, vcc_lo
	s_add_i32 s0, s0, 1
	s_cmp_lg_u32 s2, s0
	s_cbranch_scc1 .LBB30_218
.LBB30_219:
	s_mov_b32 s0, exec_lo
	s_waitcnt lgkmcnt(0)
	v_cmpx_eq_f64_e32 0, v[0:1]
	s_xor_b32 s0, exec_lo, s0
; %bb.220:
	v_cmp_ne_u32_e32 vcc_lo, 0, v75
	v_cndmask_b32_e32 v75, 14, v75, vcc_lo
; %bb.221:
	s_andn2_saveexec_b32 s0, s0
	s_cbranch_execz .LBB30_223
; %bb.222:
	v_div_scale_f64 v[35:36], null, v[0:1], v[0:1], 1.0
	v_rcp_f64_e32 v[37:38], v[35:36]
	v_fma_f64 v[39:40], -v[35:36], v[37:38], 1.0
	v_fma_f64 v[37:38], v[37:38], v[39:40], v[37:38]
	v_fma_f64 v[39:40], -v[35:36], v[37:38], 1.0
	v_fma_f64 v[37:38], v[37:38], v[39:40], v[37:38]
	v_div_scale_f64 v[39:40], vcc_lo, 1.0, v[0:1], 1.0
	v_mul_f64 v[41:42], v[39:40], v[37:38]
	v_fma_f64 v[35:36], -v[35:36], v[41:42], v[39:40]
	v_div_fmas_f64 v[35:36], v[35:36], v[37:38], v[41:42]
	v_div_fixup_f64 v[0:1], v[35:36], v[0:1], 1.0
.LBB30_223:
	s_or_b32 exec_lo, exec_lo, s0
	s_mov_b32 s0, exec_lo
	v_cmpx_ne_u32_e64 v76, v34
	s_xor_b32 s0, exec_lo, s0
	s_cbranch_execz .LBB30_229
; %bb.224:
	s_mov_b32 s1, exec_lo
	v_cmpx_eq_u32_e32 13, v76
	s_cbranch_execz .LBB30_228
; %bb.225:
	v_cmp_ne_u32_e32 vcc_lo, 13, v34
	s_xor_b32 s3, s6, -1
	s_and_b32 s7, s3, vcc_lo
	s_and_saveexec_b32 s3, s7
	s_cbranch_execz .LBB30_227
; %bb.226:
	v_ashrrev_i32_e32 v35, 31, v34
	v_lshlrev_b64 v[35:36], 2, v[34:35]
	v_add_co_u32 v35, vcc_lo, v68, v35
	v_add_co_ci_u32_e64 v36, null, v69, v36, vcc_lo
	s_clause 0x1
	global_load_dword v37, v[35:36], off
	global_load_dword v38, v[68:69], off offset:52
	s_waitcnt vmcnt(1)
	global_store_dword v[68:69], v37, off offset:52
	s_waitcnt vmcnt(0)
	global_store_dword v[35:36], v38, off
.LBB30_227:
	s_or_b32 exec_lo, exec_lo, s3
	v_mov_b32_e32 v74, v34
	v_mov_b32_e32 v76, v34
.LBB30_228:
	s_or_b32 exec_lo, exec_lo, s1
.LBB30_229:
	s_andn2_saveexec_b32 s0, s0
	s_cbranch_execz .LBB30_231
; %bb.230:
	v_mov_b32_e32 v34, v30
	v_mov_b32_e32 v35, v31
	;; [unrolled: 1-line block ×5, first 2 shown]
	ds_write2_b64 v72, v[34:35], v[36:37] offset0:14 offset1:15
.LBB30_231:
	s_or_b32 exec_lo, exec_lo, s0
	s_mov_b32 s0, exec_lo
	s_waitcnt lgkmcnt(0)
	s_waitcnt_vscnt null, 0x0
	s_barrier
	buffer_gl0_inv
	v_cmpx_lt_i32_e32 13, v76
	s_cbranch_execz .LBB30_233
; %bb.232:
	v_mul_f64 v[0:1], v[28:29], v[0:1]
	ds_read2_b64 v[34:37], v72 offset0:14 offset1:15
	v_mov_b32_e32 v38, v30
	v_mov_b32_e32 v39, v31
	;; [unrolled: 1-line block ×4, first 2 shown]
	s_waitcnt lgkmcnt(0)
	v_fma_f64 v[30:31], -v[0:1], v[34:35], v[38:39]
	v_fma_f64 v[32:33], -v[0:1], v[36:37], v[40:41]
	v_mov_b32_e32 v28, v0
	v_mov_b32_e32 v29, v1
.LBB30_233:
	s_or_b32 exec_lo, exec_lo, s0
	v_lshl_add_u32 v0, v76, 3, v72
	s_barrier
	buffer_gl0_inv
	v_mov_b32_e32 v34, 14
	ds_write_b64 v0, v[30:31]
	s_waitcnt lgkmcnt(0)
	s_barrier
	buffer_gl0_inv
	ds_read_b64 v[0:1], v72 offset:112
	s_cmp_lt_i32 s2, 16
	s_cbranch_scc1 .LBB30_236
; %bb.234:
	v_add3_u32 v35, v73, 0, 0x78
	v_mov_b32_e32 v34, 14
	s_mov_b32 s0, 15
.LBB30_235:                             ; =>This Inner Loop Header: Depth=1
	ds_read_b64 v[36:37], v35
	v_add_nc_u32_e32 v35, 8, v35
	s_waitcnt lgkmcnt(0)
	v_cmp_lt_f64_e64 vcc_lo, |v[0:1]|, |v[36:37]|
	v_cndmask_b32_e32 v1, v1, v37, vcc_lo
	v_cndmask_b32_e32 v0, v0, v36, vcc_lo
	v_cndmask_b32_e64 v34, v34, s0, vcc_lo
	s_add_i32 s0, s0, 1
	s_cmp_lg_u32 s2, s0
	s_cbranch_scc1 .LBB30_235
.LBB30_236:
	s_mov_b32 s0, exec_lo
	s_waitcnt lgkmcnt(0)
	v_cmpx_eq_f64_e32 0, v[0:1]
	s_xor_b32 s0, exec_lo, s0
; %bb.237:
	v_cmp_ne_u32_e32 vcc_lo, 0, v75
	v_cndmask_b32_e32 v75, 15, v75, vcc_lo
; %bb.238:
	s_andn2_saveexec_b32 s0, s0
	s_cbranch_execz .LBB30_240
; %bb.239:
	v_div_scale_f64 v[35:36], null, v[0:1], v[0:1], 1.0
	v_rcp_f64_e32 v[37:38], v[35:36]
	v_fma_f64 v[39:40], -v[35:36], v[37:38], 1.0
	v_fma_f64 v[37:38], v[37:38], v[39:40], v[37:38]
	v_fma_f64 v[39:40], -v[35:36], v[37:38], 1.0
	v_fma_f64 v[37:38], v[37:38], v[39:40], v[37:38]
	v_div_scale_f64 v[39:40], vcc_lo, 1.0, v[0:1], 1.0
	v_mul_f64 v[41:42], v[39:40], v[37:38]
	v_fma_f64 v[35:36], -v[35:36], v[41:42], v[39:40]
	v_div_fmas_f64 v[35:36], v[35:36], v[37:38], v[41:42]
	v_div_fixup_f64 v[0:1], v[35:36], v[0:1], 1.0
.LBB30_240:
	s_or_b32 exec_lo, exec_lo, s0
	s_mov_b32 s0, exec_lo
	v_cmpx_ne_u32_e64 v76, v34
	s_xor_b32 s0, exec_lo, s0
	s_cbranch_execz .LBB30_246
; %bb.241:
	s_mov_b32 s1, exec_lo
	v_cmpx_eq_u32_e32 14, v76
	s_cbranch_execz .LBB30_245
; %bb.242:
	v_cmp_ne_u32_e32 vcc_lo, 14, v34
	s_xor_b32 s3, s6, -1
	s_and_b32 s7, s3, vcc_lo
	s_and_saveexec_b32 s3, s7
	s_cbranch_execz .LBB30_244
; %bb.243:
	v_ashrrev_i32_e32 v35, 31, v34
	v_lshlrev_b64 v[35:36], 2, v[34:35]
	v_add_co_u32 v35, vcc_lo, v68, v35
	v_add_co_ci_u32_e64 v36, null, v69, v36, vcc_lo
	s_clause 0x1
	global_load_dword v37, v[35:36], off
	global_load_dword v38, v[68:69], off offset:56
	s_waitcnt vmcnt(1)
	global_store_dword v[68:69], v37, off offset:56
	s_waitcnt vmcnt(0)
	global_store_dword v[35:36], v38, off
.LBB30_244:
	s_or_b32 exec_lo, exec_lo, s3
	v_mov_b32_e32 v74, v34
	v_mov_b32_e32 v76, v34
.LBB30_245:
	s_or_b32 exec_lo, exec_lo, s1
.LBB30_246:
	s_andn2_saveexec_b32 s0, s0
	s_cbranch_execz .LBB30_248
; %bb.247:
	v_mov_b32_e32 v34, v32
	v_mov_b32_e32 v35, v33
	;; [unrolled: 1-line block ×3, first 2 shown]
	ds_write_b64 v72, v[34:35] offset:120
.LBB30_248:
	s_or_b32 exec_lo, exec_lo, s0
	s_mov_b32 s0, exec_lo
	s_waitcnt lgkmcnt(0)
	s_waitcnt_vscnt null, 0x0
	s_barrier
	buffer_gl0_inv
	v_cmpx_lt_i32_e32 14, v76
	s_cbranch_execz .LBB30_250
; %bb.249:
	v_mul_f64 v[0:1], v[30:31], v[0:1]
	ds_read_b64 v[34:35], v72 offset:120
	v_mov_b32_e32 v36, v32
	v_mov_b32_e32 v37, v33
	s_waitcnt lgkmcnt(0)
	v_fma_f64 v[32:33], -v[0:1], v[34:35], v[36:37]
	v_mov_b32_e32 v30, v0
	v_mov_b32_e32 v31, v1
.LBB30_250:
	s_or_b32 exec_lo, exec_lo, s0
	v_lshl_add_u32 v0, v76, 3, v72
	s_barrier
	buffer_gl0_inv
	v_mov_b32_e32 v35, 15
	ds_write_b64 v0, v[32:33]
	s_waitcnt lgkmcnt(0)
	s_barrier
	buffer_gl0_inv
	ds_read_b64 v[0:1], v72 offset:120
	s_cmp_lt_i32 s2, 17
	s_cbranch_scc1 .LBB30_253
; %bb.251:
	v_add3_u32 v34, v73, 0, 0x80
	v_mov_b32_e32 v35, 15
	s_mov_b32 s0, 16
.LBB30_252:                             ; =>This Inner Loop Header: Depth=1
	ds_read_b64 v[36:37], v34
	v_add_nc_u32_e32 v34, 8, v34
	s_waitcnt lgkmcnt(0)
	v_cmp_lt_f64_e64 vcc_lo, |v[0:1]|, |v[36:37]|
	v_cndmask_b32_e32 v1, v1, v37, vcc_lo
	v_cndmask_b32_e32 v0, v0, v36, vcc_lo
	v_cndmask_b32_e64 v35, v35, s0, vcc_lo
	s_add_i32 s0, s0, 1
	s_cmp_lg_u32 s2, s0
	s_cbranch_scc1 .LBB30_252
.LBB30_253:
	s_mov_b32 s0, exec_lo
	s_waitcnt lgkmcnt(0)
	v_cmpx_eq_f64_e32 0, v[0:1]
	s_xor_b32 s0, exec_lo, s0
; %bb.254:
	v_cmp_ne_u32_e32 vcc_lo, 0, v75
	v_cndmask_b32_e32 v75, 16, v75, vcc_lo
; %bb.255:
	s_andn2_saveexec_b32 s0, s0
	s_cbranch_execz .LBB30_257
; %bb.256:
	v_div_scale_f64 v[36:37], null, v[0:1], v[0:1], 1.0
	v_rcp_f64_e32 v[38:39], v[36:37]
	v_fma_f64 v[40:41], -v[36:37], v[38:39], 1.0
	v_fma_f64 v[38:39], v[38:39], v[40:41], v[38:39]
	v_fma_f64 v[40:41], -v[36:37], v[38:39], 1.0
	v_fma_f64 v[38:39], v[38:39], v[40:41], v[38:39]
	v_div_scale_f64 v[40:41], vcc_lo, 1.0, v[0:1], 1.0
	v_mul_f64 v[42:43], v[40:41], v[38:39]
	v_fma_f64 v[36:37], -v[36:37], v[42:43], v[40:41]
	v_div_fmas_f64 v[36:37], v[36:37], v[38:39], v[42:43]
	v_div_fixup_f64 v[0:1], v[36:37], v[0:1], 1.0
.LBB30_257:
	s_or_b32 exec_lo, exec_lo, s0
	v_mov_b32_e32 v34, 15
	s_mov_b32 s0, exec_lo
	v_cmpx_ne_u32_e64 v76, v35
	s_cbranch_execz .LBB30_263
; %bb.258:
	s_mov_b32 s1, exec_lo
	v_cmpx_eq_u32_e32 15, v76
	s_cbranch_execz .LBB30_262
; %bb.259:
	v_cmp_ne_u32_e32 vcc_lo, 15, v35
	s_xor_b32 s2, s6, -1
	s_and_b32 s3, s2, vcc_lo
	s_and_saveexec_b32 s2, s3
	s_cbranch_execz .LBB30_261
; %bb.260:
	v_ashrrev_i32_e32 v36, 31, v35
	v_lshlrev_b64 v[36:37], 2, v[35:36]
	v_add_co_u32 v36, vcc_lo, v68, v36
	v_add_co_ci_u32_e64 v37, null, v69, v37, vcc_lo
	s_clause 0x1
	global_load_dword v34, v[36:37], off
	global_load_dword v38, v[68:69], off offset:60
	s_waitcnt vmcnt(1)
	global_store_dword v[68:69], v34, off offset:60
	s_waitcnt vmcnt(0)
	global_store_dword v[36:37], v38, off
.LBB30_261:
	s_or_b32 exec_lo, exec_lo, s2
	v_mov_b32_e32 v74, v35
	v_mov_b32_e32 v76, v35
.LBB30_262:
	s_or_b32 exec_lo, exec_lo, s1
	v_mov_b32_e32 v34, v76
.LBB30_263:
	s_or_b32 exec_lo, exec_lo, s0
	s_load_dwordx8 s[0:7], s[4:5], 0x28
	v_ashrrev_i32_e32 v35, 31, v34
	s_mov_b32 s9, exec_lo
	s_waitcnt lgkmcnt(0)
	s_waitcnt_vscnt null, 0x0
	s_barrier
	buffer_gl0_inv
	s_barrier
	buffer_gl0_inv
	v_cmpx_gt_i32_e32 16, v34
	s_cbranch_execz .LBB30_265
; %bb.264:
	v_mul_lo_u32 v38, s5, v66
	v_mul_lo_u32 v39, s4, v67
	v_mad_u64_u32 v[36:37], null, s4, v66, 0
	s_lshl_b64 s[2:3], s[2:3], 2
	v_add3_u32 v37, v37, v39, v38
	v_lshlrev_b64 v[36:37], 2, v[36:37]
	v_add_co_u32 v38, vcc_lo, s0, v36
	v_add_co_ci_u32_e64 v39, null, s1, v37, vcc_lo
	v_lshlrev_b64 v[36:37], 2, v[34:35]
	v_add_co_u32 v38, vcc_lo, v38, s2
	v_add_co_ci_u32_e64 v39, null, s3, v39, vcc_lo
	v_add_co_u32 v36, vcc_lo, v38, v36
	v_add_co_ci_u32_e64 v37, null, v39, v37, vcc_lo
	v_add3_u32 v38, v74, s13, 1
	global_store_dword v[36:37], v38, off
.LBB30_265:
	s_or_b32 exec_lo, exec_lo, s9
	s_mov_b32 s1, exec_lo
	v_cmpx_eq_u32_e32 0, v34
	s_cbranch_execz .LBB30_268
; %bb.266:
	v_lshlrev_b64 v[36:37], 2, v[66:67]
	v_cmp_ne_u32_e64 s0, 0, v75
	v_add_co_u32 v36, vcc_lo, s6, v36
	v_add_co_ci_u32_e64 v37, null, s7, v37, vcc_lo
	global_load_dword v38, v[36:37], off
	s_waitcnt vmcnt(0)
	v_cmp_eq_u32_e32 vcc_lo, 0, v38
	s_and_b32 s0, vcc_lo, s0
	s_and_b32 exec_lo, exec_lo, s0
	s_cbranch_execz .LBB30_268
; %bb.267:
	v_add_nc_u32_e32 v38, s13, v75
	global_store_dword v[36:37], v38, off
.LBB30_268:
	s_or_b32 exec_lo, exec_lo, s1
	v_mul_f64 v[0:1], v[32:33], v[0:1]
	v_add3_u32 v36, s8, s8, v34
	v_lshlrev_b64 v[38:39], 3, v[34:35]
	v_ashrrev_i32_e32 v37, 31, v36
	v_add_nc_u32_e32 v35, s8, v36
	v_add_co_u32 v38, vcc_lo, v70, v38
	v_add_co_ci_u32_e64 v39, null, v71, v39, vcc_lo
	v_lshlrev_b64 v[40:41], 3, v[36:37]
	v_ashrrev_i32_e32 v36, 31, v35
	v_cmp_lt_i32_e32 vcc_lo, 15, v34
	v_add_nc_u32_e32 v34, s8, v35
	flat_store_dwordx2 v[38:39], v[2:3]
	v_add_co_u32 v2, s0, v38, s10
	v_lshlrev_b64 v[36:37], 3, v[35:36]
	v_add_co_ci_u32_e64 v3, null, s11, v39, s0
	v_cndmask_b32_e32 v1, v33, v1, vcc_lo
	v_cndmask_b32_e32 v0, v32, v0, vcc_lo
	v_add_co_u32 v32, vcc_lo, v70, v40
	v_add_co_ci_u32_e64 v33, null, v71, v41, vcc_lo
	v_add_co_u32 v36, vcc_lo, v70, v36
	v_add_nc_u32_e32 v38, s8, v34
	v_add_co_ci_u32_e64 v37, null, v71, v37, vcc_lo
	v_ashrrev_i32_e32 v35, 31, v34
	flat_store_dwordx2 v[2:3], v[4:5]
	flat_store_dwordx2 v[32:33], v[6:7]
	;; [unrolled: 1-line block ×3, first 2 shown]
	v_add_nc_u32_e32 v6, s8, v38
	v_ashrrev_i32_e32 v39, 31, v38
	v_lshlrev_b64 v[2:3], 3, v[34:35]
	v_add_nc_u32_e32 v8, s8, v6
	v_lshlrev_b64 v[4:5], 3, v[38:39]
	v_ashrrev_i32_e32 v7, 31, v6
	v_add_co_u32 v2, vcc_lo, v70, v2
	v_add_nc_u32_e32 v32, s8, v8
	v_add_co_ci_u32_e64 v3, null, v71, v3, vcc_lo
	v_add_co_u32 v4, vcc_lo, v70, v4
	v_lshlrev_b64 v[6:7], 3, v[6:7]
	v_ashrrev_i32_e32 v9, 31, v8
	v_add_co_ci_u32_e64 v5, null, v71, v5, vcc_lo
	v_ashrrev_i32_e32 v33, 31, v32
	flat_store_dwordx2 v[2:3], v[10:11]
	flat_store_dwordx2 v[4:5], v[12:13]
	v_lshlrev_b64 v[2:3], 3, v[8:9]
	v_add_co_u32 v4, vcc_lo, v70, v6
	v_add_co_ci_u32_e64 v5, null, v71, v7, vcc_lo
	v_lshlrev_b64 v[6:7], 3, v[32:33]
	v_add_nc_u32_e32 v8, s8, v32
	v_add_co_u32 v2, vcc_lo, v70, v2
	v_add_co_ci_u32_e64 v3, null, v71, v3, vcc_lo
	v_add_co_u32 v6, vcc_lo, v70, v6
	v_add_nc_u32_e32 v10, s8, v8
	v_add_co_ci_u32_e64 v7, null, v71, v7, vcc_lo
	v_ashrrev_i32_e32 v9, 31, v8
	flat_store_dwordx2 v[4:5], v[14:15]
	flat_store_dwordx2 v[2:3], v[16:17]
	;; [unrolled: 1-line block ×3, first 2 shown]
	v_add_nc_u32_e32 v6, s8, v10
	v_ashrrev_i32_e32 v11, 31, v10
	v_lshlrev_b64 v[4:5], 3, v[8:9]
	v_add_nc_u32_e32 v8, s8, v6
	v_lshlrev_b64 v[2:3], 3, v[10:11]
	v_ashrrev_i32_e32 v7, 31, v6
	v_add_co_u32 v4, vcc_lo, v70, v4
	v_add_co_ci_u32_e64 v5, null, v71, v5, vcc_lo
	v_add_nc_u32_e32 v10, s8, v8
	v_add_co_u32 v2, vcc_lo, v70, v2
	v_add_co_ci_u32_e64 v3, null, v71, v3, vcc_lo
	v_ashrrev_i32_e32 v9, 31, v8
	flat_store_dwordx2 v[4:5], v[20:21]
	v_lshlrev_b64 v[4:5], 3, v[6:7]
	v_ashrrev_i32_e32 v11, 31, v10
	v_add_nc_u32_e32 v6, s8, v10
	flat_store_dwordx2 v[2:3], v[22:23]
	v_lshlrev_b64 v[2:3], 3, v[8:9]
	v_lshlrev_b64 v[8:9], 3, v[10:11]
	v_add_nc_u32_e32 v10, s8, v6
	v_ashrrev_i32_e32 v7, 31, v6
	v_add_co_u32 v4, vcc_lo, v70, v4
	v_add_co_ci_u32_e64 v5, null, v71, v5, vcc_lo
	v_ashrrev_i32_e32 v11, 31, v10
	v_lshlrev_b64 v[6:7], 3, v[6:7]
	v_add_co_u32 v2, vcc_lo, v70, v2
	v_add_co_ci_u32_e64 v3, null, v71, v3, vcc_lo
	v_lshlrev_b64 v[10:11], 3, v[10:11]
	v_add_co_u32 v8, vcc_lo, v70, v8
	v_add_co_ci_u32_e64 v9, null, v71, v9, vcc_lo
	v_add_co_u32 v6, vcc_lo, v70, v6
	v_add_co_ci_u32_e64 v7, null, v71, v7, vcc_lo
	;; [unrolled: 2-line block ×3, first 2 shown]
	flat_store_dwordx2 v[4:5], v[24:25]
	flat_store_dwordx2 v[2:3], v[26:27]
	;; [unrolled: 1-line block ×5, first 2 shown]
.LBB30_269:
	s_endpgm
	.section	.rodata,"a",@progbits
	.p2align	6, 0x0
	.amdhsa_kernel _ZN9rocsolver6v33100L18getf2_small_kernelILi16EdiiPKPdEEvT1_T3_lS5_lPS5_llPT2_S5_S5_S7_l
		.amdhsa_group_segment_fixed_size 0
		.amdhsa_private_segment_fixed_size 0
		.amdhsa_kernarg_size 352
		.amdhsa_user_sgpr_count 6
		.amdhsa_user_sgpr_private_segment_buffer 1
		.amdhsa_user_sgpr_dispatch_ptr 0
		.amdhsa_user_sgpr_queue_ptr 0
		.amdhsa_user_sgpr_kernarg_segment_ptr 1
		.amdhsa_user_sgpr_dispatch_id 0
		.amdhsa_user_sgpr_flat_scratch_init 0
		.amdhsa_user_sgpr_private_segment_size 0
		.amdhsa_wavefront_size32 1
		.amdhsa_uses_dynamic_stack 0
		.amdhsa_system_sgpr_private_segment_wavefront_offset 0
		.amdhsa_system_sgpr_workgroup_id_x 1
		.amdhsa_system_sgpr_workgroup_id_y 1
		.amdhsa_system_sgpr_workgroup_id_z 0
		.amdhsa_system_sgpr_workgroup_info 0
		.amdhsa_system_vgpr_workitem_id 1
		.amdhsa_next_free_vgpr 87
		.amdhsa_next_free_sgpr 14
		.amdhsa_reserve_vcc 1
		.amdhsa_reserve_flat_scratch 1
		.amdhsa_float_round_mode_32 0
		.amdhsa_float_round_mode_16_64 0
		.amdhsa_float_denorm_mode_32 3
		.amdhsa_float_denorm_mode_16_64 3
		.amdhsa_dx10_clamp 1
		.amdhsa_ieee_mode 1
		.amdhsa_fp16_overflow 0
		.amdhsa_workgroup_processor_mode 1
		.amdhsa_memory_ordered 1
		.amdhsa_forward_progress 1
		.amdhsa_shared_vgpr_count 0
		.amdhsa_exception_fp_ieee_invalid_op 0
		.amdhsa_exception_fp_denorm_src 0
		.amdhsa_exception_fp_ieee_div_zero 0
		.amdhsa_exception_fp_ieee_overflow 0
		.amdhsa_exception_fp_ieee_underflow 0
		.amdhsa_exception_fp_ieee_inexact 0
		.amdhsa_exception_int_div_zero 0
	.end_amdhsa_kernel
	.section	.text._ZN9rocsolver6v33100L18getf2_small_kernelILi16EdiiPKPdEEvT1_T3_lS5_lPS5_llPT2_S5_S5_S7_l,"axG",@progbits,_ZN9rocsolver6v33100L18getf2_small_kernelILi16EdiiPKPdEEvT1_T3_lS5_lPS5_llPT2_S5_S5_S7_l,comdat
.Lfunc_end30:
	.size	_ZN9rocsolver6v33100L18getf2_small_kernelILi16EdiiPKPdEEvT1_T3_lS5_lPS5_llPT2_S5_S5_S7_l, .Lfunc_end30-_ZN9rocsolver6v33100L18getf2_small_kernelILi16EdiiPKPdEEvT1_T3_lS5_lPS5_llPT2_S5_S5_S7_l
                                        ; -- End function
	.set _ZN9rocsolver6v33100L18getf2_small_kernelILi16EdiiPKPdEEvT1_T3_lS5_lPS5_llPT2_S5_S5_S7_l.num_vgpr, 87
	.set _ZN9rocsolver6v33100L18getf2_small_kernelILi16EdiiPKPdEEvT1_T3_lS5_lPS5_llPT2_S5_S5_S7_l.num_agpr, 0
	.set _ZN9rocsolver6v33100L18getf2_small_kernelILi16EdiiPKPdEEvT1_T3_lS5_lPS5_llPT2_S5_S5_S7_l.numbered_sgpr, 14
	.set _ZN9rocsolver6v33100L18getf2_small_kernelILi16EdiiPKPdEEvT1_T3_lS5_lPS5_llPT2_S5_S5_S7_l.num_named_barrier, 0
	.set _ZN9rocsolver6v33100L18getf2_small_kernelILi16EdiiPKPdEEvT1_T3_lS5_lPS5_llPT2_S5_S5_S7_l.private_seg_size, 0
	.set _ZN9rocsolver6v33100L18getf2_small_kernelILi16EdiiPKPdEEvT1_T3_lS5_lPS5_llPT2_S5_S5_S7_l.uses_vcc, 1
	.set _ZN9rocsolver6v33100L18getf2_small_kernelILi16EdiiPKPdEEvT1_T3_lS5_lPS5_llPT2_S5_S5_S7_l.uses_flat_scratch, 1
	.set _ZN9rocsolver6v33100L18getf2_small_kernelILi16EdiiPKPdEEvT1_T3_lS5_lPS5_llPT2_S5_S5_S7_l.has_dyn_sized_stack, 0
	.set _ZN9rocsolver6v33100L18getf2_small_kernelILi16EdiiPKPdEEvT1_T3_lS5_lPS5_llPT2_S5_S5_S7_l.has_recursion, 0
	.set _ZN9rocsolver6v33100L18getf2_small_kernelILi16EdiiPKPdEEvT1_T3_lS5_lPS5_llPT2_S5_S5_S7_l.has_indirect_call, 0
	.section	.AMDGPU.csdata,"",@progbits
; Kernel info:
; codeLenInByte = 12192
; TotalNumSgprs: 16
; NumVgprs: 87
; ScratchSize: 0
; MemoryBound: 0
; FloatMode: 240
; IeeeMode: 1
; LDSByteSize: 0 bytes/workgroup (compile time only)
; SGPRBlocks: 0
; VGPRBlocks: 10
; NumSGPRsForWavesPerEU: 16
; NumVGPRsForWavesPerEU: 87
; Occupancy: 10
; WaveLimiterHint : 1
; COMPUTE_PGM_RSRC2:SCRATCH_EN: 0
; COMPUTE_PGM_RSRC2:USER_SGPR: 6
; COMPUTE_PGM_RSRC2:TRAP_HANDLER: 0
; COMPUTE_PGM_RSRC2:TGID_X_EN: 1
; COMPUTE_PGM_RSRC2:TGID_Y_EN: 1
; COMPUTE_PGM_RSRC2:TGID_Z_EN: 0
; COMPUTE_PGM_RSRC2:TIDIG_COMP_CNT: 1
	.section	.text._ZN9rocsolver6v33100L23getf2_npvt_small_kernelILi16EdiiPKPdEEvT1_T3_lS5_lPT2_S5_S5_,"axG",@progbits,_ZN9rocsolver6v33100L23getf2_npvt_small_kernelILi16EdiiPKPdEEvT1_T3_lS5_lPT2_S5_S5_,comdat
	.globl	_ZN9rocsolver6v33100L23getf2_npvt_small_kernelILi16EdiiPKPdEEvT1_T3_lS5_lPT2_S5_S5_ ; -- Begin function _ZN9rocsolver6v33100L23getf2_npvt_small_kernelILi16EdiiPKPdEEvT1_T3_lS5_lPT2_S5_S5_
	.p2align	8
	.type	_ZN9rocsolver6v33100L23getf2_npvt_small_kernelILi16EdiiPKPdEEvT1_T3_lS5_lPT2_S5_S5_,@function
_ZN9rocsolver6v33100L23getf2_npvt_small_kernelILi16EdiiPKPdEEvT1_T3_lS5_lPT2_S5_S5_: ; @_ZN9rocsolver6v33100L23getf2_npvt_small_kernelILi16EdiiPKPdEEvT1_T3_lS5_lPT2_S5_S5_
; %bb.0:
	s_clause 0x1
	s_load_dword s0, s[4:5], 0x44
	s_load_dwordx2 s[8:9], s[4:5], 0x30
	s_waitcnt lgkmcnt(0)
	s_lshr_b32 s10, s0, 16
	s_mov_b32 s0, exec_lo
	v_mad_u64_u32 v[66:67], null, s7, s10, v[1:2]
	v_cmpx_gt_i32_e64 s8, v66
	s_cbranch_execz .LBB31_86
; %bb.1:
	s_clause 0x1
	s_load_dwordx4 s[0:3], s[4:5], 0x8
	s_load_dword s6, s[4:5], 0x18
	v_ashrrev_i32_e32 v67, 31, v66
	v_lshlrev_b32_e32 v32, 3, v0
	v_lshl_add_u32 v122, v1, 7, 0
	v_lshlrev_b64 v[2:3], 3, v[66:67]
	s_waitcnt lgkmcnt(0)
	v_add_co_u32 v2, vcc_lo, s0, v2
	v_add_co_ci_u32_e64 v3, null, s1, v3, vcc_lo
	v_add3_u32 v4, s6, s6, v0
	s_lshl_b64 s[0:1], s[2:3], 3
	s_ashr_i32 s7, s6, 31
	global_load_dwordx2 v[2:3], v[2:3], off
	s_lshl_b64 s[2:3], s[6:7], 3
	v_add_nc_u32_e32 v6, s6, v4
	v_ashrrev_i32_e32 v5, 31, v4
	v_add_nc_u32_e32 v8, s6, v6
	v_ashrrev_i32_e32 v7, 31, v6
	v_lshlrev_b64 v[4:5], 3, v[4:5]
	v_add_nc_u32_e32 v10, s6, v8
	v_ashrrev_i32_e32 v9, 31, v8
	v_lshlrev_b64 v[6:7], 3, v[6:7]
	;; [unrolled: 3-line block ×12, first 2 shown]
	v_ashrrev_i32_e32 v31, 31, v30
	v_lshlrev_b64 v[28:29], 3, v[28:29]
	s_waitcnt vmcnt(0)
	v_add_co_u32 v33, vcc_lo, v2, s0
	v_add_co_ci_u32_e64 v34, null, s1, v3, vcc_lo
	v_lshlrev_b64 v[2:3], 3, v[30:31]
	v_add_co_u32 v68, vcc_lo, v33, v32
	v_add_co_ci_u32_e64 v69, null, 0, v34, vcc_lo
	v_add_co_u32 v70, vcc_lo, v33, v4
	v_add_co_ci_u32_e64 v71, null, v34, v5, vcc_lo
	;; [unrolled: 2-line block ×16, first 2 shown]
	s_clause 0xf
	flat_load_dwordx2 v[10:11], v[74:75]
	flat_load_dwordx2 v[12:13], v[76:77]
	;; [unrolled: 1-line block ×16, first 2 shown]
	v_lshlrev_b32_e32 v34, 3, v1
	s_lshl_b32 s0, s10, 7
	v_cmp_ne_u32_e64 s1, 0, v0
	v_add3_u32 v1, 0, s0, v34
	v_cmp_eq_u32_e64 s0, 0, v0
	s_and_saveexec_b32 s2, s0
	s_cbranch_execz .LBB31_4
; %bb.2:
	s_waitcnt vmcnt(7) lgkmcnt(7)
	ds_write_b64 v1, v[2:3]
	s_waitcnt vmcnt(5) lgkmcnt(6)
	ds_write2_b64 v122, v[4:5], v[6:7] offset0:1 offset1:2
	s_waitcnt vmcnt(4) lgkmcnt(6)
	ds_write2_b64 v122, v[8:9], v[10:11] offset0:3 offset1:4
	ds_write2_b64 v122, v[12:13], v[14:15] offset0:5 offset1:6
	;; [unrolled: 1-line block ×4, first 2 shown]
	s_waitcnt vmcnt(3) lgkmcnt(9)
	ds_write2_b64 v122, v[24:25], v[26:27] offset0:11 offset1:12
	s_waitcnt vmcnt(1) lgkmcnt(8)
	ds_write2_b64 v122, v[28:29], v[30:31] offset0:13 offset1:14
	s_waitcnt vmcnt(0) lgkmcnt(8)
	ds_write_b64 v122, v[32:33] offset:120
	ds_read_b64 v[34:35], v1
	s_waitcnt lgkmcnt(0)
	v_cmp_neq_f64_e32 vcc_lo, 0, v[34:35]
	s_and_b32 exec_lo, exec_lo, vcc_lo
	s_cbranch_execz .LBB31_4
; %bb.3:
	v_div_scale_f64 v[36:37], null, v[34:35], v[34:35], 1.0
	v_rcp_f64_e32 v[38:39], v[36:37]
	v_fma_f64 v[40:41], -v[36:37], v[38:39], 1.0
	v_fma_f64 v[38:39], v[38:39], v[40:41], v[38:39]
	v_fma_f64 v[40:41], -v[36:37], v[38:39], 1.0
	v_fma_f64 v[38:39], v[38:39], v[40:41], v[38:39]
	v_div_scale_f64 v[40:41], vcc_lo, 1.0, v[34:35], 1.0
	v_mul_f64 v[42:43], v[40:41], v[38:39]
	v_fma_f64 v[36:37], -v[36:37], v[42:43], v[40:41]
	v_div_fmas_f64 v[36:37], v[36:37], v[38:39], v[42:43]
	v_div_fixup_f64 v[34:35], v[36:37], v[34:35], 1.0
	ds_write_b64 v1, v[34:35]
.LBB31_4:
	s_or_b32 exec_lo, exec_lo, s2
	s_waitcnt vmcnt(0) lgkmcnt(0)
	s_barrier
	buffer_gl0_inv
	ds_read_b64 v[100:101], v1
	s_and_saveexec_b32 s2, s1
	s_cbranch_execz .LBB31_6
; %bb.5:
	s_waitcnt lgkmcnt(0)
	v_mul_f64 v[2:3], v[2:3], v[100:101]
	ds_read2_b64 v[34:37], v122 offset0:1 offset1:2
	ds_read2_b64 v[38:41], v122 offset0:3 offset1:4
	;; [unrolled: 1-line block ×7, first 2 shown]
	ds_read_b64 v[62:63], v122 offset:120
	s_waitcnt lgkmcnt(7)
	v_fma_f64 v[4:5], -v[2:3], v[34:35], v[4:5]
	v_fma_f64 v[6:7], -v[2:3], v[36:37], v[6:7]
	s_waitcnt lgkmcnt(6)
	v_fma_f64 v[8:9], -v[2:3], v[38:39], v[8:9]
	v_fma_f64 v[10:11], -v[2:3], v[40:41], v[10:11]
	;; [unrolled: 3-line block ×7, first 2 shown]
	s_waitcnt lgkmcnt(0)
	v_fma_f64 v[32:33], -v[2:3], v[62:63], v[32:33]
.LBB31_6:
	s_or_b32 exec_lo, exec_lo, s2
	s_mov_b32 s1, exec_lo
	s_waitcnt lgkmcnt(0)
	s_barrier
	buffer_gl0_inv
	v_cmpx_eq_u32_e32 1, v0
	s_cbranch_execz .LBB31_9
; %bb.7:
	ds_write_b64 v1, v[4:5]
	ds_write2_b64 v122, v[6:7], v[8:9] offset0:2 offset1:3
	ds_write2_b64 v122, v[10:11], v[12:13] offset0:4 offset1:5
	;; [unrolled: 1-line block ×7, first 2 shown]
	ds_read_b64 v[34:35], v1
	s_waitcnt lgkmcnt(0)
	v_cmp_neq_f64_e32 vcc_lo, 0, v[34:35]
	s_and_b32 exec_lo, exec_lo, vcc_lo
	s_cbranch_execz .LBB31_9
; %bb.8:
	v_div_scale_f64 v[36:37], null, v[34:35], v[34:35], 1.0
	v_rcp_f64_e32 v[38:39], v[36:37]
	v_fma_f64 v[40:41], -v[36:37], v[38:39], 1.0
	v_fma_f64 v[38:39], v[38:39], v[40:41], v[38:39]
	v_fma_f64 v[40:41], -v[36:37], v[38:39], 1.0
	v_fma_f64 v[38:39], v[38:39], v[40:41], v[38:39]
	v_div_scale_f64 v[40:41], vcc_lo, 1.0, v[34:35], 1.0
	v_mul_f64 v[42:43], v[40:41], v[38:39]
	v_fma_f64 v[36:37], -v[36:37], v[42:43], v[40:41]
	v_div_fmas_f64 v[36:37], v[36:37], v[38:39], v[42:43]
	v_div_fixup_f64 v[34:35], v[36:37], v[34:35], 1.0
	ds_write_b64 v1, v[34:35]
.LBB31_9:
	s_or_b32 exec_lo, exec_lo, s1
	s_waitcnt lgkmcnt(0)
	s_barrier
	buffer_gl0_inv
	ds_read_b64 v[102:103], v1
	s_mov_b32 s1, exec_lo
	v_cmpx_lt_u32_e32 1, v0
	s_cbranch_execz .LBB31_11
; %bb.10:
	s_waitcnt lgkmcnt(0)
	v_mul_f64 v[4:5], v[4:5], v[102:103]
	ds_read2_b64 v[34:37], v122 offset0:2 offset1:3
	ds_read2_b64 v[38:41], v122 offset0:4 offset1:5
	;; [unrolled: 1-line block ×7, first 2 shown]
	s_waitcnt lgkmcnt(6)
	v_fma_f64 v[6:7], -v[4:5], v[34:35], v[6:7]
	v_fma_f64 v[8:9], -v[4:5], v[36:37], v[8:9]
	s_waitcnt lgkmcnt(5)
	v_fma_f64 v[10:11], -v[4:5], v[38:39], v[10:11]
	v_fma_f64 v[12:13], -v[4:5], v[40:41], v[12:13]
	;; [unrolled: 3-line block ×7, first 2 shown]
.LBB31_11:
	s_or_b32 exec_lo, exec_lo, s1
	s_mov_b32 s1, exec_lo
	s_waitcnt lgkmcnt(0)
	s_barrier
	buffer_gl0_inv
	v_cmpx_eq_u32_e32 2, v0
	s_cbranch_execz .LBB31_14
; %bb.12:
	ds_write_b64 v1, v[6:7]
	ds_write2_b64 v122, v[8:9], v[10:11] offset0:3 offset1:4
	ds_write2_b64 v122, v[12:13], v[14:15] offset0:5 offset1:6
	;; [unrolled: 1-line block ×6, first 2 shown]
	ds_write_b64 v122, v[32:33] offset:120
	ds_read_b64 v[34:35], v1
	s_waitcnt lgkmcnt(0)
	v_cmp_neq_f64_e32 vcc_lo, 0, v[34:35]
	s_and_b32 exec_lo, exec_lo, vcc_lo
	s_cbranch_execz .LBB31_14
; %bb.13:
	v_div_scale_f64 v[36:37], null, v[34:35], v[34:35], 1.0
	v_rcp_f64_e32 v[38:39], v[36:37]
	v_fma_f64 v[40:41], -v[36:37], v[38:39], 1.0
	v_fma_f64 v[38:39], v[38:39], v[40:41], v[38:39]
	v_fma_f64 v[40:41], -v[36:37], v[38:39], 1.0
	v_fma_f64 v[38:39], v[38:39], v[40:41], v[38:39]
	v_div_scale_f64 v[40:41], vcc_lo, 1.0, v[34:35], 1.0
	v_mul_f64 v[42:43], v[40:41], v[38:39]
	v_fma_f64 v[36:37], -v[36:37], v[42:43], v[40:41]
	v_div_fmas_f64 v[36:37], v[36:37], v[38:39], v[42:43]
	v_div_fixup_f64 v[34:35], v[36:37], v[34:35], 1.0
	ds_write_b64 v1, v[34:35]
.LBB31_14:
	s_or_b32 exec_lo, exec_lo, s1
	s_waitcnt lgkmcnt(0)
	s_barrier
	buffer_gl0_inv
	ds_read_b64 v[104:105], v1
	s_mov_b32 s1, exec_lo
	v_cmpx_lt_u32_e32 2, v0
	s_cbranch_execz .LBB31_16
; %bb.15:
	s_waitcnt lgkmcnt(0)
	v_mul_f64 v[6:7], v[6:7], v[104:105]
	ds_read2_b64 v[34:37], v122 offset0:3 offset1:4
	ds_read2_b64 v[38:41], v122 offset0:5 offset1:6
	;; [unrolled: 1-line block ×6, first 2 shown]
	ds_read_b64 v[58:59], v122 offset:120
	s_waitcnt lgkmcnt(6)
	v_fma_f64 v[8:9], -v[6:7], v[34:35], v[8:9]
	v_fma_f64 v[10:11], -v[6:7], v[36:37], v[10:11]
	s_waitcnt lgkmcnt(5)
	v_fma_f64 v[12:13], -v[6:7], v[38:39], v[12:13]
	v_fma_f64 v[14:15], -v[6:7], v[40:41], v[14:15]
	;; [unrolled: 3-line block ×6, first 2 shown]
	s_waitcnt lgkmcnt(0)
	v_fma_f64 v[32:33], -v[6:7], v[58:59], v[32:33]
.LBB31_16:
	s_or_b32 exec_lo, exec_lo, s1
	s_mov_b32 s1, exec_lo
	s_waitcnt lgkmcnt(0)
	s_barrier
	buffer_gl0_inv
	v_cmpx_eq_u32_e32 3, v0
	s_cbranch_execz .LBB31_19
; %bb.17:
	ds_write_b64 v1, v[8:9]
	ds_write2_b64 v122, v[10:11], v[12:13] offset0:4 offset1:5
	ds_write2_b64 v122, v[14:15], v[16:17] offset0:6 offset1:7
	;; [unrolled: 1-line block ×6, first 2 shown]
	ds_read_b64 v[34:35], v1
	s_waitcnt lgkmcnt(0)
	v_cmp_neq_f64_e32 vcc_lo, 0, v[34:35]
	s_and_b32 exec_lo, exec_lo, vcc_lo
	s_cbranch_execz .LBB31_19
; %bb.18:
	v_div_scale_f64 v[36:37], null, v[34:35], v[34:35], 1.0
	v_rcp_f64_e32 v[38:39], v[36:37]
	v_fma_f64 v[40:41], -v[36:37], v[38:39], 1.0
	v_fma_f64 v[38:39], v[38:39], v[40:41], v[38:39]
	v_fma_f64 v[40:41], -v[36:37], v[38:39], 1.0
	v_fma_f64 v[38:39], v[38:39], v[40:41], v[38:39]
	v_div_scale_f64 v[40:41], vcc_lo, 1.0, v[34:35], 1.0
	v_mul_f64 v[42:43], v[40:41], v[38:39]
	v_fma_f64 v[36:37], -v[36:37], v[42:43], v[40:41]
	v_div_fmas_f64 v[36:37], v[36:37], v[38:39], v[42:43]
	v_div_fixup_f64 v[34:35], v[36:37], v[34:35], 1.0
	ds_write_b64 v1, v[34:35]
.LBB31_19:
	s_or_b32 exec_lo, exec_lo, s1
	s_waitcnt lgkmcnt(0)
	s_barrier
	buffer_gl0_inv
	ds_read_b64 v[106:107], v1
	s_mov_b32 s1, exec_lo
	v_cmpx_lt_u32_e32 3, v0
	s_cbranch_execz .LBB31_21
; %bb.20:
	s_waitcnt lgkmcnt(0)
	v_mul_f64 v[8:9], v[8:9], v[106:107]
	ds_read2_b64 v[34:37], v122 offset0:4 offset1:5
	ds_read2_b64 v[38:41], v122 offset0:6 offset1:7
	;; [unrolled: 1-line block ×6, first 2 shown]
	s_waitcnt lgkmcnt(5)
	v_fma_f64 v[10:11], -v[8:9], v[34:35], v[10:11]
	v_fma_f64 v[12:13], -v[8:9], v[36:37], v[12:13]
	s_waitcnt lgkmcnt(4)
	v_fma_f64 v[14:15], -v[8:9], v[38:39], v[14:15]
	v_fma_f64 v[16:17], -v[8:9], v[40:41], v[16:17]
	;; [unrolled: 3-line block ×6, first 2 shown]
.LBB31_21:
	s_or_b32 exec_lo, exec_lo, s1
	s_mov_b32 s1, exec_lo
	s_waitcnt lgkmcnt(0)
	s_barrier
	buffer_gl0_inv
	v_cmpx_eq_u32_e32 4, v0
	s_cbranch_execz .LBB31_24
; %bb.22:
	ds_write_b64 v1, v[10:11]
	ds_write2_b64 v122, v[12:13], v[14:15] offset0:5 offset1:6
	ds_write2_b64 v122, v[16:17], v[18:19] offset0:7 offset1:8
	;; [unrolled: 1-line block ×5, first 2 shown]
	ds_write_b64 v122, v[32:33] offset:120
	ds_read_b64 v[34:35], v1
	s_waitcnt lgkmcnt(0)
	v_cmp_neq_f64_e32 vcc_lo, 0, v[34:35]
	s_and_b32 exec_lo, exec_lo, vcc_lo
	s_cbranch_execz .LBB31_24
; %bb.23:
	v_div_scale_f64 v[36:37], null, v[34:35], v[34:35], 1.0
	v_rcp_f64_e32 v[38:39], v[36:37]
	v_fma_f64 v[40:41], -v[36:37], v[38:39], 1.0
	v_fma_f64 v[38:39], v[38:39], v[40:41], v[38:39]
	v_fma_f64 v[40:41], -v[36:37], v[38:39], 1.0
	v_fma_f64 v[38:39], v[38:39], v[40:41], v[38:39]
	v_div_scale_f64 v[40:41], vcc_lo, 1.0, v[34:35], 1.0
	v_mul_f64 v[42:43], v[40:41], v[38:39]
	v_fma_f64 v[36:37], -v[36:37], v[42:43], v[40:41]
	v_div_fmas_f64 v[36:37], v[36:37], v[38:39], v[42:43]
	v_div_fixup_f64 v[34:35], v[36:37], v[34:35], 1.0
	ds_write_b64 v1, v[34:35]
.LBB31_24:
	s_or_b32 exec_lo, exec_lo, s1
	s_waitcnt lgkmcnt(0)
	s_barrier
	buffer_gl0_inv
	ds_read_b64 v[108:109], v1
	s_mov_b32 s1, exec_lo
	v_cmpx_lt_u32_e32 4, v0
	s_cbranch_execz .LBB31_26
; %bb.25:
	s_waitcnt lgkmcnt(0)
	v_mul_f64 v[10:11], v[10:11], v[108:109]
	ds_read2_b64 v[34:37], v122 offset0:5 offset1:6
	ds_read2_b64 v[38:41], v122 offset0:7 offset1:8
	;; [unrolled: 1-line block ×5, first 2 shown]
	ds_read_b64 v[54:55], v122 offset:120
	s_waitcnt lgkmcnt(5)
	v_fma_f64 v[12:13], -v[10:11], v[34:35], v[12:13]
	v_fma_f64 v[14:15], -v[10:11], v[36:37], v[14:15]
	s_waitcnt lgkmcnt(4)
	v_fma_f64 v[16:17], -v[10:11], v[38:39], v[16:17]
	v_fma_f64 v[18:19], -v[10:11], v[40:41], v[18:19]
	;; [unrolled: 3-line block ×5, first 2 shown]
	s_waitcnt lgkmcnt(0)
	v_fma_f64 v[32:33], -v[10:11], v[54:55], v[32:33]
.LBB31_26:
	s_or_b32 exec_lo, exec_lo, s1
	s_mov_b32 s1, exec_lo
	s_waitcnt lgkmcnt(0)
	s_barrier
	buffer_gl0_inv
	v_cmpx_eq_u32_e32 5, v0
	s_cbranch_execz .LBB31_29
; %bb.27:
	ds_write_b64 v1, v[12:13]
	ds_write2_b64 v122, v[14:15], v[16:17] offset0:6 offset1:7
	ds_write2_b64 v122, v[18:19], v[20:21] offset0:8 offset1:9
	;; [unrolled: 1-line block ×5, first 2 shown]
	ds_read_b64 v[34:35], v1
	s_waitcnt lgkmcnt(0)
	v_cmp_neq_f64_e32 vcc_lo, 0, v[34:35]
	s_and_b32 exec_lo, exec_lo, vcc_lo
	s_cbranch_execz .LBB31_29
; %bb.28:
	v_div_scale_f64 v[36:37], null, v[34:35], v[34:35], 1.0
	v_rcp_f64_e32 v[38:39], v[36:37]
	v_fma_f64 v[40:41], -v[36:37], v[38:39], 1.0
	v_fma_f64 v[38:39], v[38:39], v[40:41], v[38:39]
	v_fma_f64 v[40:41], -v[36:37], v[38:39], 1.0
	v_fma_f64 v[38:39], v[38:39], v[40:41], v[38:39]
	v_div_scale_f64 v[40:41], vcc_lo, 1.0, v[34:35], 1.0
	v_mul_f64 v[42:43], v[40:41], v[38:39]
	v_fma_f64 v[36:37], -v[36:37], v[42:43], v[40:41]
	v_div_fmas_f64 v[36:37], v[36:37], v[38:39], v[42:43]
	v_div_fixup_f64 v[34:35], v[36:37], v[34:35], 1.0
	ds_write_b64 v1, v[34:35]
.LBB31_29:
	s_or_b32 exec_lo, exec_lo, s1
	s_waitcnt lgkmcnt(0)
	s_barrier
	buffer_gl0_inv
	ds_read_b64 v[110:111], v1
	s_mov_b32 s1, exec_lo
	v_cmpx_lt_u32_e32 5, v0
	s_cbranch_execz .LBB31_31
; %bb.30:
	s_waitcnt lgkmcnt(0)
	v_mul_f64 v[12:13], v[12:13], v[110:111]
	ds_read2_b64 v[34:37], v122 offset0:6 offset1:7
	ds_read2_b64 v[38:41], v122 offset0:8 offset1:9
	;; [unrolled: 1-line block ×5, first 2 shown]
	s_waitcnt lgkmcnt(4)
	v_fma_f64 v[14:15], -v[12:13], v[34:35], v[14:15]
	v_fma_f64 v[16:17], -v[12:13], v[36:37], v[16:17]
	s_waitcnt lgkmcnt(3)
	v_fma_f64 v[18:19], -v[12:13], v[38:39], v[18:19]
	v_fma_f64 v[20:21], -v[12:13], v[40:41], v[20:21]
	;; [unrolled: 3-line block ×5, first 2 shown]
.LBB31_31:
	s_or_b32 exec_lo, exec_lo, s1
	s_mov_b32 s1, exec_lo
	s_waitcnt lgkmcnt(0)
	s_barrier
	buffer_gl0_inv
	v_cmpx_eq_u32_e32 6, v0
	s_cbranch_execz .LBB31_34
; %bb.32:
	ds_write_b64 v1, v[14:15]
	ds_write2_b64 v122, v[16:17], v[18:19] offset0:7 offset1:8
	ds_write2_b64 v122, v[20:21], v[22:23] offset0:9 offset1:10
	;; [unrolled: 1-line block ×4, first 2 shown]
	ds_write_b64 v122, v[32:33] offset:120
	ds_read_b64 v[34:35], v1
	s_waitcnt lgkmcnt(0)
	v_cmp_neq_f64_e32 vcc_lo, 0, v[34:35]
	s_and_b32 exec_lo, exec_lo, vcc_lo
	s_cbranch_execz .LBB31_34
; %bb.33:
	v_div_scale_f64 v[36:37], null, v[34:35], v[34:35], 1.0
	v_rcp_f64_e32 v[38:39], v[36:37]
	v_fma_f64 v[40:41], -v[36:37], v[38:39], 1.0
	v_fma_f64 v[38:39], v[38:39], v[40:41], v[38:39]
	v_fma_f64 v[40:41], -v[36:37], v[38:39], 1.0
	v_fma_f64 v[38:39], v[38:39], v[40:41], v[38:39]
	v_div_scale_f64 v[40:41], vcc_lo, 1.0, v[34:35], 1.0
	v_mul_f64 v[42:43], v[40:41], v[38:39]
	v_fma_f64 v[36:37], -v[36:37], v[42:43], v[40:41]
	v_div_fmas_f64 v[36:37], v[36:37], v[38:39], v[42:43]
	v_div_fixup_f64 v[34:35], v[36:37], v[34:35], 1.0
	ds_write_b64 v1, v[34:35]
.LBB31_34:
	s_or_b32 exec_lo, exec_lo, s1
	s_waitcnt lgkmcnt(0)
	s_barrier
	buffer_gl0_inv
	ds_read_b64 v[112:113], v1
	s_mov_b32 s1, exec_lo
	v_cmpx_lt_u32_e32 6, v0
	s_cbranch_execz .LBB31_36
; %bb.35:
	s_waitcnt lgkmcnt(0)
	v_mul_f64 v[14:15], v[14:15], v[112:113]
	ds_read2_b64 v[34:37], v122 offset0:7 offset1:8
	ds_read2_b64 v[38:41], v122 offset0:9 offset1:10
	;; [unrolled: 1-line block ×4, first 2 shown]
	ds_read_b64 v[50:51], v122 offset:120
	s_waitcnt lgkmcnt(4)
	v_fma_f64 v[16:17], -v[14:15], v[34:35], v[16:17]
	v_fma_f64 v[18:19], -v[14:15], v[36:37], v[18:19]
	s_waitcnt lgkmcnt(3)
	v_fma_f64 v[20:21], -v[14:15], v[38:39], v[20:21]
	v_fma_f64 v[22:23], -v[14:15], v[40:41], v[22:23]
	;; [unrolled: 3-line block ×4, first 2 shown]
	s_waitcnt lgkmcnt(0)
	v_fma_f64 v[32:33], -v[14:15], v[50:51], v[32:33]
.LBB31_36:
	s_or_b32 exec_lo, exec_lo, s1
	s_mov_b32 s1, exec_lo
	s_waitcnt lgkmcnt(0)
	s_barrier
	buffer_gl0_inv
	v_cmpx_eq_u32_e32 7, v0
	s_cbranch_execz .LBB31_39
; %bb.37:
	ds_write_b64 v1, v[16:17]
	ds_write2_b64 v122, v[18:19], v[20:21] offset0:8 offset1:9
	ds_write2_b64 v122, v[22:23], v[24:25] offset0:10 offset1:11
	;; [unrolled: 1-line block ×4, first 2 shown]
	ds_read_b64 v[34:35], v1
	s_waitcnt lgkmcnt(0)
	v_cmp_neq_f64_e32 vcc_lo, 0, v[34:35]
	s_and_b32 exec_lo, exec_lo, vcc_lo
	s_cbranch_execz .LBB31_39
; %bb.38:
	v_div_scale_f64 v[36:37], null, v[34:35], v[34:35], 1.0
	v_rcp_f64_e32 v[38:39], v[36:37]
	v_fma_f64 v[40:41], -v[36:37], v[38:39], 1.0
	v_fma_f64 v[38:39], v[38:39], v[40:41], v[38:39]
	v_fma_f64 v[40:41], -v[36:37], v[38:39], 1.0
	v_fma_f64 v[38:39], v[38:39], v[40:41], v[38:39]
	v_div_scale_f64 v[40:41], vcc_lo, 1.0, v[34:35], 1.0
	v_mul_f64 v[42:43], v[40:41], v[38:39]
	v_fma_f64 v[36:37], -v[36:37], v[42:43], v[40:41]
	v_div_fmas_f64 v[36:37], v[36:37], v[38:39], v[42:43]
	v_div_fixup_f64 v[34:35], v[36:37], v[34:35], 1.0
	ds_write_b64 v1, v[34:35]
.LBB31_39:
	s_or_b32 exec_lo, exec_lo, s1
	s_waitcnt lgkmcnt(0)
	s_barrier
	buffer_gl0_inv
	ds_read_b64 v[114:115], v1
	s_mov_b32 s1, exec_lo
	v_cmpx_lt_u32_e32 7, v0
	s_cbranch_execz .LBB31_41
; %bb.40:
	s_waitcnt lgkmcnt(0)
	v_mul_f64 v[16:17], v[16:17], v[114:115]
	ds_read2_b64 v[34:37], v122 offset0:8 offset1:9
	ds_read2_b64 v[38:41], v122 offset0:10 offset1:11
	;; [unrolled: 1-line block ×4, first 2 shown]
	s_waitcnt lgkmcnt(3)
	v_fma_f64 v[18:19], -v[16:17], v[34:35], v[18:19]
	v_fma_f64 v[20:21], -v[16:17], v[36:37], v[20:21]
	s_waitcnt lgkmcnt(2)
	v_fma_f64 v[22:23], -v[16:17], v[38:39], v[22:23]
	v_fma_f64 v[24:25], -v[16:17], v[40:41], v[24:25]
	;; [unrolled: 3-line block ×4, first 2 shown]
.LBB31_41:
	s_or_b32 exec_lo, exec_lo, s1
	s_mov_b32 s1, exec_lo
	s_waitcnt lgkmcnt(0)
	s_barrier
	buffer_gl0_inv
	v_cmpx_eq_u32_e32 8, v0
	s_cbranch_execz .LBB31_44
; %bb.42:
	ds_write_b64 v1, v[18:19]
	ds_write2_b64 v122, v[20:21], v[22:23] offset0:9 offset1:10
	ds_write2_b64 v122, v[24:25], v[26:27] offset0:11 offset1:12
	;; [unrolled: 1-line block ×3, first 2 shown]
	ds_write_b64 v122, v[32:33] offset:120
	ds_read_b64 v[34:35], v1
	s_waitcnt lgkmcnt(0)
	v_cmp_neq_f64_e32 vcc_lo, 0, v[34:35]
	s_and_b32 exec_lo, exec_lo, vcc_lo
	s_cbranch_execz .LBB31_44
; %bb.43:
	v_div_scale_f64 v[36:37], null, v[34:35], v[34:35], 1.0
	v_rcp_f64_e32 v[38:39], v[36:37]
	v_fma_f64 v[40:41], -v[36:37], v[38:39], 1.0
	v_fma_f64 v[38:39], v[38:39], v[40:41], v[38:39]
	v_fma_f64 v[40:41], -v[36:37], v[38:39], 1.0
	v_fma_f64 v[38:39], v[38:39], v[40:41], v[38:39]
	v_div_scale_f64 v[40:41], vcc_lo, 1.0, v[34:35], 1.0
	v_mul_f64 v[42:43], v[40:41], v[38:39]
	v_fma_f64 v[36:37], -v[36:37], v[42:43], v[40:41]
	v_div_fmas_f64 v[36:37], v[36:37], v[38:39], v[42:43]
	v_div_fixup_f64 v[34:35], v[36:37], v[34:35], 1.0
	ds_write_b64 v1, v[34:35]
.LBB31_44:
	s_or_b32 exec_lo, exec_lo, s1
	s_waitcnt lgkmcnt(0)
	s_barrier
	buffer_gl0_inv
	ds_read_b64 v[116:117], v1
	s_mov_b32 s1, exec_lo
	v_cmpx_lt_u32_e32 8, v0
	s_cbranch_execz .LBB31_46
; %bb.45:
	s_waitcnt lgkmcnt(0)
	v_mul_f64 v[18:19], v[18:19], v[116:117]
	ds_read2_b64 v[34:37], v122 offset0:9 offset1:10
	ds_read_b64 v[46:47], v122 offset:120
	ds_read2_b64 v[38:41], v122 offset0:11 offset1:12
	ds_read2_b64 v[42:45], v122 offset0:13 offset1:14
	s_waitcnt lgkmcnt(3)
	v_fma_f64 v[20:21], -v[18:19], v[34:35], v[20:21]
	s_waitcnt lgkmcnt(2)
	v_fma_f64 v[34:35], -v[18:19], v[46:47], v[32:33]
	v_fma_f64 v[22:23], -v[18:19], v[36:37], v[22:23]
	s_waitcnt lgkmcnt(1)
	v_fma_f64 v[24:25], -v[18:19], v[38:39], v[24:25]
	;; [unrolled: 3-line block ×3, first 2 shown]
	v_fma_f64 v[30:31], -v[18:19], v[44:45], v[30:31]
	v_mov_b32_e32 v32, v34
	v_mov_b32_e32 v33, v35
.LBB31_46:
	s_or_b32 exec_lo, exec_lo, s1
	s_mov_b32 s1, exec_lo
	s_waitcnt lgkmcnt(0)
	s_barrier
	buffer_gl0_inv
	v_cmpx_eq_u32_e32 9, v0
	s_cbranch_execz .LBB31_49
; %bb.47:
	ds_write_b64 v1, v[20:21]
	ds_write2_b64 v122, v[22:23], v[24:25] offset0:10 offset1:11
	ds_write2_b64 v122, v[26:27], v[28:29] offset0:12 offset1:13
	;; [unrolled: 1-line block ×3, first 2 shown]
	ds_read_b64 v[34:35], v1
	s_waitcnt lgkmcnt(0)
	v_cmp_neq_f64_e32 vcc_lo, 0, v[34:35]
	s_and_b32 exec_lo, exec_lo, vcc_lo
	s_cbranch_execz .LBB31_49
; %bb.48:
	v_div_scale_f64 v[36:37], null, v[34:35], v[34:35], 1.0
	v_rcp_f64_e32 v[38:39], v[36:37]
	v_fma_f64 v[40:41], -v[36:37], v[38:39], 1.0
	v_fma_f64 v[38:39], v[38:39], v[40:41], v[38:39]
	v_fma_f64 v[40:41], -v[36:37], v[38:39], 1.0
	v_fma_f64 v[38:39], v[38:39], v[40:41], v[38:39]
	v_div_scale_f64 v[40:41], vcc_lo, 1.0, v[34:35], 1.0
	v_mul_f64 v[42:43], v[40:41], v[38:39]
	v_fma_f64 v[36:37], -v[36:37], v[42:43], v[40:41]
	v_div_fmas_f64 v[36:37], v[36:37], v[38:39], v[42:43]
	v_div_fixup_f64 v[34:35], v[36:37], v[34:35], 1.0
	ds_write_b64 v1, v[34:35]
.LBB31_49:
	s_or_b32 exec_lo, exec_lo, s1
	s_waitcnt lgkmcnt(0)
	s_barrier
	buffer_gl0_inv
	ds_read_b64 v[118:119], v1
	s_mov_b32 s1, exec_lo
	v_cmpx_lt_u32_e32 9, v0
	s_cbranch_execz .LBB31_51
; %bb.50:
	v_mov_b32_e32 v34, v20
	v_mov_b32_e32 v35, v21
	ds_read2_b64 v[123:126], v122 offset0:10 offset1:11
	ds_read2_b64 v[127:130], v122 offset0:12 offset1:13
	ds_read2_b64 v[131:134], v122 offset0:14 offset1:15
	s_waitcnt lgkmcnt(3)
	v_mul_f64 v[120:121], v[34:35], v[118:119]
	v_mov_b32_e32 v65, v33
	v_mov_b32_e32 v64, v32
	;; [unrolled: 1-line block ×44, first 2 shown]
	s_waitcnt lgkmcnt(2)
	v_fma_f64 v[54:55], -v[120:121], v[123:124], v[2:3]
	v_fma_f64 v[56:57], -v[120:121], v[125:126], v[4:5]
	s_waitcnt lgkmcnt(1)
	v_fma_f64 v[58:59], -v[120:121], v[127:128], v[6:7]
	v_fma_f64 v[60:61], -v[120:121], v[129:130], v[8:9]
	;; [unrolled: 3-line block ×3, first 2 shown]
	v_mov_b32_e32 v52, v120
	v_mov_b32_e32 v53, v121
	;; [unrolled: 1-line block ×34, first 2 shown]
.LBB31_51:
	s_or_b32 exec_lo, exec_lo, s1
	s_mov_b32 s1, exec_lo
	s_waitcnt lgkmcnt(0)
	s_barrier
	buffer_gl0_inv
	v_cmpx_eq_u32_e32 10, v0
	s_cbranch_execz .LBB31_54
; %bb.52:
	ds_write_b64 v1, v[22:23]
	ds_write2_b64 v122, v[24:25], v[26:27] offset0:11 offset1:12
	ds_write2_b64 v122, v[28:29], v[30:31] offset0:13 offset1:14
	ds_write_b64 v122, v[32:33] offset:120
	ds_read_b64 v[34:35], v1
	s_waitcnt lgkmcnt(0)
	v_cmp_neq_f64_e32 vcc_lo, 0, v[34:35]
	s_and_b32 exec_lo, exec_lo, vcc_lo
	s_cbranch_execz .LBB31_54
; %bb.53:
	v_div_scale_f64 v[36:37], null, v[34:35], v[34:35], 1.0
	v_rcp_f64_e32 v[38:39], v[36:37]
	v_fma_f64 v[40:41], -v[36:37], v[38:39], 1.0
	v_fma_f64 v[38:39], v[38:39], v[40:41], v[38:39]
	v_fma_f64 v[40:41], -v[36:37], v[38:39], 1.0
	v_fma_f64 v[38:39], v[38:39], v[40:41], v[38:39]
	v_div_scale_f64 v[40:41], vcc_lo, 1.0, v[34:35], 1.0
	v_mul_f64 v[42:43], v[40:41], v[38:39]
	v_fma_f64 v[36:37], -v[36:37], v[42:43], v[40:41]
	v_div_fmas_f64 v[36:37], v[36:37], v[38:39], v[42:43]
	v_div_fixup_f64 v[34:35], v[36:37], v[34:35], 1.0
	ds_write_b64 v1, v[34:35]
.LBB31_54:
	s_or_b32 exec_lo, exec_lo, s1
	s_waitcnt lgkmcnt(0)
	s_barrier
	buffer_gl0_inv
	ds_read_b64 v[120:121], v1
	s_mov_b32 s1, exec_lo
	v_cmpx_lt_u32_e32 10, v0
	s_cbranch_execz .LBB31_56
; %bb.55:
	v_mov_b32_e32 v34, v22
	v_mov_b32_e32 v35, v23
	ds_read2_b64 v[123:126], v122 offset0:11 offset1:12
	ds_read2_b64 v[127:130], v122 offset0:13 offset1:14
	ds_read_b64 v[133:134], v122 offset:120
	s_waitcnt lgkmcnt(3)
	v_mul_f64 v[131:132], v[34:35], v[120:121]
	v_mov_b32_e32 v65, v33
	v_mov_b32_e32 v64, v32
	;; [unrolled: 1-line block ×42, first 2 shown]
	s_waitcnt lgkmcnt(2)
	v_fma_f64 v[56:57], -v[131:132], v[123:124], v[2:3]
	v_fma_f64 v[58:59], -v[131:132], v[125:126], v[4:5]
	s_waitcnt lgkmcnt(1)
	v_fma_f64 v[60:61], -v[131:132], v[127:128], v[6:7]
	v_fma_f64 v[62:63], -v[131:132], v[129:130], v[8:9]
	s_waitcnt lgkmcnt(0)
	v_fma_f64 v[64:65], -v[131:132], v[133:134], v[10:11]
	v_mov_b32_e32 v54, v131
	v_mov_b32_e32 v55, v132
	;; [unrolled: 1-line block ×34, first 2 shown]
.LBB31_56:
	s_or_b32 exec_lo, exec_lo, s1
	s_mov_b32 s1, exec_lo
	s_waitcnt lgkmcnt(0)
	s_barrier
	buffer_gl0_inv
	v_cmpx_eq_u32_e32 11, v0
	s_cbranch_execz .LBB31_59
; %bb.57:
	ds_write_b64 v1, v[24:25]
	ds_write2_b64 v122, v[26:27], v[28:29] offset0:12 offset1:13
	ds_write2_b64 v122, v[30:31], v[32:33] offset0:14 offset1:15
	ds_read_b64 v[34:35], v1
	s_waitcnt lgkmcnt(0)
	v_cmp_neq_f64_e32 vcc_lo, 0, v[34:35]
	s_and_b32 exec_lo, exec_lo, vcc_lo
	s_cbranch_execz .LBB31_59
; %bb.58:
	v_div_scale_f64 v[36:37], null, v[34:35], v[34:35], 1.0
	v_rcp_f64_e32 v[38:39], v[36:37]
	v_fma_f64 v[40:41], -v[36:37], v[38:39], 1.0
	v_fma_f64 v[38:39], v[38:39], v[40:41], v[38:39]
	v_fma_f64 v[40:41], -v[36:37], v[38:39], 1.0
	v_fma_f64 v[38:39], v[38:39], v[40:41], v[38:39]
	v_div_scale_f64 v[40:41], vcc_lo, 1.0, v[34:35], 1.0
	v_mul_f64 v[42:43], v[40:41], v[38:39]
	v_fma_f64 v[36:37], -v[36:37], v[42:43], v[40:41]
	v_div_fmas_f64 v[36:37], v[36:37], v[38:39], v[42:43]
	v_div_fixup_f64 v[34:35], v[36:37], v[34:35], 1.0
	ds_write_b64 v1, v[34:35]
.LBB31_59:
	s_or_b32 exec_lo, exec_lo, s1
	s_waitcnt lgkmcnt(0)
	s_barrier
	buffer_gl0_inv
	ds_read_b64 v[34:35], v1
	s_mov_b32 s1, exec_lo
	v_cmpx_lt_u32_e32 11, v0
	s_cbranch_execz .LBB31_61
; %bb.60:
	v_mov_b32_e32 v36, v24
	v_mov_b32_e32 v37, v25
	;; [unrolled: 1-line block ×6, first 2 shown]
	s_waitcnt lgkmcnt(0)
	v_mul_f64 v[44:45], v[36:37], v[34:35]
	ds_read2_b64 v[36:39], v122 offset0:12 offset1:13
	ds_read2_b64 v[40:43], v122 offset0:14 offset1:15
	v_mov_b32_e32 v50, v30
	v_mov_b32_e32 v51, v31
	;; [unrolled: 1-line block ×4, first 2 shown]
	s_waitcnt lgkmcnt(1)
	v_fma_f64 v[26:27], -v[44:45], v[36:37], v[46:47]
	v_fma_f64 v[28:29], -v[44:45], v[38:39], v[48:49]
	s_waitcnt lgkmcnt(0)
	v_fma_f64 v[30:31], -v[44:45], v[40:41], v[50:51]
	v_fma_f64 v[32:33], -v[44:45], v[42:43], v[52:53]
	v_mov_b32_e32 v24, v44
	v_mov_b32_e32 v25, v45
.LBB31_61:
	s_or_b32 exec_lo, exec_lo, s1
	s_mov_b32 s1, exec_lo
	s_waitcnt lgkmcnt(0)
	s_barrier
	buffer_gl0_inv
	v_cmpx_eq_u32_e32 12, v0
	s_cbranch_execz .LBB31_64
; %bb.62:
	ds_write_b64 v1, v[26:27]
	ds_write2_b64 v122, v[28:29], v[30:31] offset0:13 offset1:14
	ds_write_b64 v122, v[32:33] offset:120
	ds_read_b64 v[36:37], v1
	s_waitcnt lgkmcnt(0)
	v_cmp_neq_f64_e32 vcc_lo, 0, v[36:37]
	s_and_b32 exec_lo, exec_lo, vcc_lo
	s_cbranch_execz .LBB31_64
; %bb.63:
	v_div_scale_f64 v[38:39], null, v[36:37], v[36:37], 1.0
	v_rcp_f64_e32 v[40:41], v[38:39]
	v_fma_f64 v[42:43], -v[38:39], v[40:41], 1.0
	v_fma_f64 v[40:41], v[40:41], v[42:43], v[40:41]
	v_fma_f64 v[42:43], -v[38:39], v[40:41], 1.0
	v_fma_f64 v[40:41], v[40:41], v[42:43], v[40:41]
	v_div_scale_f64 v[42:43], vcc_lo, 1.0, v[36:37], 1.0
	v_mul_f64 v[44:45], v[42:43], v[40:41]
	v_fma_f64 v[38:39], -v[38:39], v[44:45], v[42:43]
	v_div_fmas_f64 v[38:39], v[38:39], v[40:41], v[44:45]
	v_div_fixup_f64 v[36:37], v[38:39], v[36:37], 1.0
	ds_write_b64 v1, v[36:37]
.LBB31_64:
	s_or_b32 exec_lo, exec_lo, s1
	s_waitcnt lgkmcnt(0)
	s_barrier
	buffer_gl0_inv
	ds_read_b64 v[36:37], v1
	s_mov_b32 s1, exec_lo
	v_cmpx_lt_u32_e32 12, v0
	s_cbranch_execz .LBB31_66
; %bb.65:
	v_mov_b32_e32 v38, v26
	v_mov_b32_e32 v39, v27
	;; [unrolled: 1-line block ×6, first 2 shown]
	s_waitcnt lgkmcnt(0)
	v_mul_f64 v[42:43], v[38:39], v[36:37]
	ds_read2_b64 v[38:41], v122 offset0:13 offset1:14
	ds_read_b64 v[44:45], v122 offset:120
	v_mov_b32_e32 v50, v32
	v_mov_b32_e32 v51, v33
	s_waitcnt lgkmcnt(1)
	v_fma_f64 v[28:29], -v[42:43], v[38:39], v[46:47]
	v_fma_f64 v[30:31], -v[42:43], v[40:41], v[48:49]
	s_waitcnt lgkmcnt(0)
	v_fma_f64 v[32:33], -v[42:43], v[44:45], v[50:51]
	v_mov_b32_e32 v26, v42
	v_mov_b32_e32 v27, v43
.LBB31_66:
	s_or_b32 exec_lo, exec_lo, s1
	s_mov_b32 s1, exec_lo
	s_waitcnt lgkmcnt(0)
	s_barrier
	buffer_gl0_inv
	v_cmpx_eq_u32_e32 13, v0
	s_cbranch_execz .LBB31_69
; %bb.67:
	ds_write_b64 v1, v[28:29]
	ds_write2_b64 v122, v[30:31], v[32:33] offset0:14 offset1:15
	ds_read_b64 v[38:39], v1
	s_waitcnt lgkmcnt(0)
	v_cmp_neq_f64_e32 vcc_lo, 0, v[38:39]
	s_and_b32 exec_lo, exec_lo, vcc_lo
	s_cbranch_execz .LBB31_69
; %bb.68:
	v_div_scale_f64 v[40:41], null, v[38:39], v[38:39], 1.0
	v_rcp_f64_e32 v[42:43], v[40:41]
	v_fma_f64 v[44:45], -v[40:41], v[42:43], 1.0
	v_fma_f64 v[42:43], v[42:43], v[44:45], v[42:43]
	v_fma_f64 v[44:45], -v[40:41], v[42:43], 1.0
	v_fma_f64 v[42:43], v[42:43], v[44:45], v[42:43]
	v_div_scale_f64 v[44:45], vcc_lo, 1.0, v[38:39], 1.0
	v_mul_f64 v[46:47], v[44:45], v[42:43]
	v_fma_f64 v[40:41], -v[40:41], v[46:47], v[44:45]
	v_div_fmas_f64 v[40:41], v[40:41], v[42:43], v[46:47]
	v_div_fixup_f64 v[38:39], v[40:41], v[38:39], 1.0
	ds_write_b64 v1, v[38:39]
.LBB31_69:
	s_or_b32 exec_lo, exec_lo, s1
	s_waitcnt lgkmcnt(0)
	s_barrier
	buffer_gl0_inv
	ds_read_b64 v[38:39], v1
	s_mov_b32 s1, exec_lo
	v_cmpx_lt_u32_e32 13, v0
	s_cbranch_execz .LBB31_71
; %bb.70:
	v_mov_b32_e32 v40, v28
	v_mov_b32_e32 v41, v29
	;; [unrolled: 1-line block ×6, first 2 shown]
	s_waitcnt lgkmcnt(0)
	v_mul_f64 v[44:45], v[40:41], v[38:39]
	ds_read2_b64 v[40:43], v122 offset0:14 offset1:15
	s_waitcnt lgkmcnt(0)
	v_fma_f64 v[30:31], -v[44:45], v[40:41], v[46:47]
	v_fma_f64 v[32:33], -v[44:45], v[42:43], v[48:49]
	v_mov_b32_e32 v28, v44
	v_mov_b32_e32 v29, v45
.LBB31_71:
	s_or_b32 exec_lo, exec_lo, s1
	s_mov_b32 s1, exec_lo
	s_waitcnt lgkmcnt(0)
	s_barrier
	buffer_gl0_inv
	v_cmpx_eq_u32_e32 14, v0
	s_cbranch_execz .LBB31_74
; %bb.72:
	ds_write_b64 v1, v[30:31]
	ds_write_b64 v122, v[32:33] offset:120
	ds_read_b64 v[40:41], v1
	s_waitcnt lgkmcnt(0)
	v_cmp_neq_f64_e32 vcc_lo, 0, v[40:41]
	s_and_b32 exec_lo, exec_lo, vcc_lo
	s_cbranch_execz .LBB31_74
; %bb.73:
	v_div_scale_f64 v[42:43], null, v[40:41], v[40:41], 1.0
	v_rcp_f64_e32 v[44:45], v[42:43]
	v_fma_f64 v[46:47], -v[42:43], v[44:45], 1.0
	v_fma_f64 v[44:45], v[44:45], v[46:47], v[44:45]
	v_fma_f64 v[46:47], -v[42:43], v[44:45], 1.0
	v_fma_f64 v[44:45], v[44:45], v[46:47], v[44:45]
	v_div_scale_f64 v[46:47], vcc_lo, 1.0, v[40:41], 1.0
	v_mul_f64 v[48:49], v[46:47], v[44:45]
	v_fma_f64 v[42:43], -v[42:43], v[48:49], v[46:47]
	v_div_fmas_f64 v[42:43], v[42:43], v[44:45], v[48:49]
	v_div_fixup_f64 v[40:41], v[42:43], v[40:41], 1.0
	ds_write_b64 v1, v[40:41]
.LBB31_74:
	s_or_b32 exec_lo, exec_lo, s1
	s_waitcnt lgkmcnt(0)
	s_barrier
	buffer_gl0_inv
	ds_read_b64 v[40:41], v1
	s_mov_b32 s1, exec_lo
	v_cmpx_lt_u32_e32 14, v0
	s_cbranch_execz .LBB31_76
; %bb.75:
	v_mov_b32_e32 v42, v30
	v_mov_b32_e32 v43, v31
	ds_read_b64 v[44:45], v122 offset:120
	v_mov_b32_e32 v46, v32
	v_mov_b32_e32 v47, v33
	s_waitcnt lgkmcnt(1)
	v_mul_f64 v[42:43], v[42:43], v[40:41]
	s_waitcnt lgkmcnt(0)
	v_fma_f64 v[32:33], -v[42:43], v[44:45], v[46:47]
	v_mov_b32_e32 v30, v42
	v_mov_b32_e32 v31, v43
.LBB31_76:
	s_or_b32 exec_lo, exec_lo, s1
	s_mov_b32 s1, exec_lo
	s_waitcnt lgkmcnt(0)
	s_barrier
	buffer_gl0_inv
                                        ; implicit-def: $vgpr42_vgpr43
	v_cmpx_ne_u32_e32 15, v0
	s_xor_b32 s1, exec_lo, s1
; %bb.77:
	v_mov_b32_e32 v42, v32
	v_mov_b32_e32 v43, v33
; %bb.78:
	s_andn2_saveexec_b32 s1, s1
	s_cbranch_execz .LBB31_82
; %bb.79:
	s_mov_b32 s2, exec_lo
	ds_write_b64 v1, v[32:33]
	v_cmpx_neq_f64_e32 0, v[32:33]
	s_cbranch_execz .LBB31_81
; %bb.80:
	v_div_scale_f64 v[42:43], null, v[32:33], v[32:33], 1.0
	v_rcp_f64_e32 v[44:45], v[42:43]
	v_fma_f64 v[46:47], -v[42:43], v[44:45], 1.0
	v_fma_f64 v[44:45], v[44:45], v[46:47], v[44:45]
	v_fma_f64 v[46:47], -v[42:43], v[44:45], 1.0
	v_fma_f64 v[44:45], v[44:45], v[46:47], v[44:45]
	v_div_scale_f64 v[46:47], vcc_lo, 1.0, v[32:33], 1.0
	v_mul_f64 v[48:49], v[46:47], v[44:45]
	v_fma_f64 v[42:43], -v[42:43], v[48:49], v[46:47]
	v_div_fmas_f64 v[42:43], v[42:43], v[44:45], v[48:49]
	v_div_fixup_f64 v[42:43], v[42:43], v[32:33], 1.0
	ds_write_b64 v1, v[42:43]
.LBB31_81:
	s_or_b32 exec_lo, exec_lo, s2
	v_mov_b32_e32 v43, v33
	v_mov_b32_e32 v42, v32
.LBB31_82:
	s_or_b32 exec_lo, exec_lo, s1
	s_waitcnt lgkmcnt(0)
	s_barrier
	buffer_gl0_inv
	ds_read_b64 v[44:45], v1
	s_waitcnt lgkmcnt(0)
	s_barrier
	buffer_gl0_inv
	s_and_saveexec_b32 s3, s0
	s_cbranch_execz .LBB31_85
; %bb.83:
	s_load_dwordx2 s[0:1], s[4:5], 0x28
	v_lshlrev_b64 v[46:47], 2, v[66:67]
	v_cmp_eq_f64_e64 s2, 0, v[106:107]
	s_waitcnt lgkmcnt(0)
	v_add_co_u32 v46, vcc_lo, s0, v46
	v_add_co_ci_u32_e64 v47, null, s1, v47, vcc_lo
	v_cmp_eq_f64_e32 vcc_lo, 0, v[100:101]
	v_cmp_neq_f64_e64 s0, 0, v[102:103]
	v_cmp_eq_f64_e64 s1, 0, v[104:105]
	global_load_dword v48, v[46:47], off
	v_cndmask_b32_e64 v1, 0, 1, vcc_lo
	s_or_b32 vcc_lo, s0, vcc_lo
	v_cmp_eq_f64_e64 s0, 0, v[108:109]
	v_cndmask_b32_e32 v1, 2, v1, vcc_lo
	v_cmp_eq_u32_e32 vcc_lo, 0, v1
	s_and_b32 s1, s1, vcc_lo
	v_cndmask_b32_e64 v1, v1, 3, s1
	v_cmp_eq_f64_e64 s1, 0, v[110:111]
	v_cmp_eq_u32_e32 vcc_lo, 0, v1
	s_and_b32 s2, s2, vcc_lo
	v_cndmask_b32_e64 v1, v1, 4, s2
	v_cmp_eq_f64_e64 s2, 0, v[112:113]
	;; [unrolled: 4-line block ×11, first 2 shown]
	v_cmp_eq_u32_e32 vcc_lo, 0, v1
	s_and_b32 s0, s0, vcc_lo
	v_cndmask_b32_e64 v1, v1, 14, s0
	v_cmp_eq_u32_e32 vcc_lo, 0, v1
	s_and_b32 s0, s1, vcc_lo
	v_cndmask_b32_e64 v1, v1, 15, s0
	;; [unrolled: 3-line block ×3, first 2 shown]
	v_cmp_ne_u32_e64 s0, 0, v1
	s_waitcnt vmcnt(0)
	v_cmp_eq_u32_e32 vcc_lo, 0, v48
	s_and_b32 s0, vcc_lo, s0
	s_and_b32 exec_lo, exec_lo, s0
	s_cbranch_execz .LBB31_85
; %bb.84:
	v_add_nc_u32_e32 v1, s9, v1
	global_store_dword v[46:47], v1, off
.LBB31_85:
	s_or_b32 exec_lo, exec_lo, s3
	v_mul_f64 v[34:35], v[42:43], v[44:45]
	v_cmp_lt_u32_e32 vcc_lo, 15, v0
	flat_store_dwordx2 v[68:69], v[2:3]
	flat_store_dwordx2 v[98:99], v[4:5]
	flat_store_dwordx2 v[70:71], v[6:7]
	flat_store_dwordx2 v[72:73], v[8:9]
	flat_store_dwordx2 v[74:75], v[10:11]
	flat_store_dwordx2 v[76:77], v[12:13]
	flat_store_dwordx2 v[78:79], v[14:15]
	flat_store_dwordx2 v[80:81], v[16:17]
	flat_store_dwordx2 v[82:83], v[18:19]
	flat_store_dwordx2 v[86:87], v[20:21]
	v_cndmask_b32_e32 v1, v33, v35, vcc_lo
	v_cndmask_b32_e32 v0, v32, v34, vcc_lo
	flat_store_dwordx2 v[84:85], v[22:23]
	flat_store_dwordx2 v[88:89], v[24:25]
	;; [unrolled: 1-line block ×6, first 2 shown]
.LBB31_86:
	s_endpgm
	.section	.rodata,"a",@progbits
	.p2align	6, 0x0
	.amdhsa_kernel _ZN9rocsolver6v33100L23getf2_npvt_small_kernelILi16EdiiPKPdEEvT1_T3_lS5_lPT2_S5_S5_
		.amdhsa_group_segment_fixed_size 0
		.amdhsa_private_segment_fixed_size 0
		.amdhsa_kernarg_size 312
		.amdhsa_user_sgpr_count 6
		.amdhsa_user_sgpr_private_segment_buffer 1
		.amdhsa_user_sgpr_dispatch_ptr 0
		.amdhsa_user_sgpr_queue_ptr 0
		.amdhsa_user_sgpr_kernarg_segment_ptr 1
		.amdhsa_user_sgpr_dispatch_id 0
		.amdhsa_user_sgpr_flat_scratch_init 0
		.amdhsa_user_sgpr_private_segment_size 0
		.amdhsa_wavefront_size32 1
		.amdhsa_uses_dynamic_stack 0
		.amdhsa_system_sgpr_private_segment_wavefront_offset 0
		.amdhsa_system_sgpr_workgroup_id_x 1
		.amdhsa_system_sgpr_workgroup_id_y 1
		.amdhsa_system_sgpr_workgroup_id_z 0
		.amdhsa_system_sgpr_workgroup_info 0
		.amdhsa_system_vgpr_workitem_id 1
		.amdhsa_next_free_vgpr 135
		.amdhsa_next_free_sgpr 11
		.amdhsa_reserve_vcc 1
		.amdhsa_reserve_flat_scratch 1
		.amdhsa_float_round_mode_32 0
		.amdhsa_float_round_mode_16_64 0
		.amdhsa_float_denorm_mode_32 3
		.amdhsa_float_denorm_mode_16_64 3
		.amdhsa_dx10_clamp 1
		.amdhsa_ieee_mode 1
		.amdhsa_fp16_overflow 0
		.amdhsa_workgroup_processor_mode 1
		.amdhsa_memory_ordered 1
		.amdhsa_forward_progress 1
		.amdhsa_shared_vgpr_count 0
		.amdhsa_exception_fp_ieee_invalid_op 0
		.amdhsa_exception_fp_denorm_src 0
		.amdhsa_exception_fp_ieee_div_zero 0
		.amdhsa_exception_fp_ieee_overflow 0
		.amdhsa_exception_fp_ieee_underflow 0
		.amdhsa_exception_fp_ieee_inexact 0
		.amdhsa_exception_int_div_zero 0
	.end_amdhsa_kernel
	.section	.text._ZN9rocsolver6v33100L23getf2_npvt_small_kernelILi16EdiiPKPdEEvT1_T3_lS5_lPT2_S5_S5_,"axG",@progbits,_ZN9rocsolver6v33100L23getf2_npvt_small_kernelILi16EdiiPKPdEEvT1_T3_lS5_lPT2_S5_S5_,comdat
.Lfunc_end31:
	.size	_ZN9rocsolver6v33100L23getf2_npvt_small_kernelILi16EdiiPKPdEEvT1_T3_lS5_lPT2_S5_S5_, .Lfunc_end31-_ZN9rocsolver6v33100L23getf2_npvt_small_kernelILi16EdiiPKPdEEvT1_T3_lS5_lPT2_S5_S5_
                                        ; -- End function
	.set _ZN9rocsolver6v33100L23getf2_npvt_small_kernelILi16EdiiPKPdEEvT1_T3_lS5_lPT2_S5_S5_.num_vgpr, 135
	.set _ZN9rocsolver6v33100L23getf2_npvt_small_kernelILi16EdiiPKPdEEvT1_T3_lS5_lPT2_S5_S5_.num_agpr, 0
	.set _ZN9rocsolver6v33100L23getf2_npvt_small_kernelILi16EdiiPKPdEEvT1_T3_lS5_lPT2_S5_S5_.numbered_sgpr, 11
	.set _ZN9rocsolver6v33100L23getf2_npvt_small_kernelILi16EdiiPKPdEEvT1_T3_lS5_lPT2_S5_S5_.num_named_barrier, 0
	.set _ZN9rocsolver6v33100L23getf2_npvt_small_kernelILi16EdiiPKPdEEvT1_T3_lS5_lPT2_S5_S5_.private_seg_size, 0
	.set _ZN9rocsolver6v33100L23getf2_npvt_small_kernelILi16EdiiPKPdEEvT1_T3_lS5_lPT2_S5_S5_.uses_vcc, 1
	.set _ZN9rocsolver6v33100L23getf2_npvt_small_kernelILi16EdiiPKPdEEvT1_T3_lS5_lPT2_S5_S5_.uses_flat_scratch, 1
	.set _ZN9rocsolver6v33100L23getf2_npvt_small_kernelILi16EdiiPKPdEEvT1_T3_lS5_lPT2_S5_S5_.has_dyn_sized_stack, 0
	.set _ZN9rocsolver6v33100L23getf2_npvt_small_kernelILi16EdiiPKPdEEvT1_T3_lS5_lPT2_S5_S5_.has_recursion, 0
	.set _ZN9rocsolver6v33100L23getf2_npvt_small_kernelILi16EdiiPKPdEEvT1_T3_lS5_lPT2_S5_S5_.has_indirect_call, 0
	.section	.AMDGPU.csdata,"",@progbits
; Kernel info:
; codeLenInByte = 7772
; TotalNumSgprs: 13
; NumVgprs: 135
; ScratchSize: 0
; MemoryBound: 0
; FloatMode: 240
; IeeeMode: 1
; LDSByteSize: 0 bytes/workgroup (compile time only)
; SGPRBlocks: 0
; VGPRBlocks: 16
; NumSGPRsForWavesPerEU: 13
; NumVGPRsForWavesPerEU: 135
; Occupancy: 7
; WaveLimiterHint : 1
; COMPUTE_PGM_RSRC2:SCRATCH_EN: 0
; COMPUTE_PGM_RSRC2:USER_SGPR: 6
; COMPUTE_PGM_RSRC2:TRAP_HANDLER: 0
; COMPUTE_PGM_RSRC2:TGID_X_EN: 1
; COMPUTE_PGM_RSRC2:TGID_Y_EN: 1
; COMPUTE_PGM_RSRC2:TGID_Z_EN: 0
; COMPUTE_PGM_RSRC2:TIDIG_COMP_CNT: 1
	.section	.text._ZN9rocsolver6v33100L18getf2_small_kernelILi17EdiiPKPdEEvT1_T3_lS5_lPS5_llPT2_S5_S5_S7_l,"axG",@progbits,_ZN9rocsolver6v33100L18getf2_small_kernelILi17EdiiPKPdEEvT1_T3_lS5_lPS5_llPT2_S5_S5_S7_l,comdat
	.globl	_ZN9rocsolver6v33100L18getf2_small_kernelILi17EdiiPKPdEEvT1_T3_lS5_lPS5_llPT2_S5_S5_S7_l ; -- Begin function _ZN9rocsolver6v33100L18getf2_small_kernelILi17EdiiPKPdEEvT1_T3_lS5_lPS5_llPT2_S5_S5_S7_l
	.p2align	8
	.type	_ZN9rocsolver6v33100L18getf2_small_kernelILi17EdiiPKPdEEvT1_T3_lS5_lPS5_llPT2_S5_S5_S7_l,@function
_ZN9rocsolver6v33100L18getf2_small_kernelILi17EdiiPKPdEEvT1_T3_lS5_lPS5_llPT2_S5_S5_S7_l: ; @_ZN9rocsolver6v33100L18getf2_small_kernelILi17EdiiPKPdEEvT1_T3_lS5_lPS5_llPT2_S5_S5_S7_l
; %bb.0:
	s_clause 0x1
	s_load_dword s0, s[4:5], 0x6c
	s_load_dwordx2 s[12:13], s[4:5], 0x48
	s_waitcnt lgkmcnt(0)
	s_lshr_b32 s0, s0, 16
	v_mad_u64_u32 v[2:3], null, s7, s0, v[1:2]
	s_mov_b32 s0, exec_lo
	v_cmpx_gt_i32_e64 s12, v2
	s_cbranch_execz .LBB32_286
; %bb.1:
	s_clause 0x1
	s_load_dwordx4 s[0:3], s[4:5], 0x8
	s_load_dwordx4 s[8:11], s[4:5], 0x50
	v_ashrrev_i32_e32 v3, 31, v2
	v_mov_b32_e32 v36, 0
	v_mov_b32_e32 v37, 0
	v_lshlrev_b64 v[4:5], 3, v[2:3]
	s_waitcnt lgkmcnt(0)
	v_add_co_u32 v4, vcc_lo, s0, v4
	v_add_co_ci_u32_e64 v5, null, s1, v5, vcc_lo
	s_cmp_eq_u64 s[8:9], 0
	s_cselect_b32 s6, -1, 0
	global_load_dwordx2 v[4:5], v[4:5], off
	s_and_b32 vcc_lo, exec_lo, s6
	s_cbranch_vccnz .LBB32_3
; %bb.2:
	v_mul_lo_u32 v8, s11, v2
	v_mul_lo_u32 v9, s10, v3
	v_mad_u64_u32 v[6:7], null, s10, v2, 0
	v_add3_u32 v7, v7, v9, v8
	v_lshlrev_b64 v[6:7], 2, v[6:7]
	v_add_co_u32 v36, vcc_lo, s8, v6
	v_add_co_ci_u32_e64 v37, null, s9, v7, vcc_lo
.LBB32_3:
	s_load_dword s8, s[4:5], 0x18
	s_lshl_b64 s[0:1], s[2:3], 3
	s_load_dword s2, s[4:5], 0x0
	s_waitcnt vmcnt(0)
	v_add_co_u32 v44, vcc_lo, v4, s0
	v_lshlrev_b32_e32 v47, 3, v0
	v_add_co_ci_u32_e64 v45, null, s1, v5, vcc_lo
	v_add_co_u32 v8, vcc_lo, v44, v47
	v_add_co_ci_u32_e64 v9, null, 0, v45, vcc_lo
	s_waitcnt lgkmcnt(0)
	v_add3_u32 v6, s8, s8, v0
	s_ashr_i32 s9, s8, 31
	s_max_i32 s0, s2, 17
	s_lshl_b64 s[10:11], s[8:9], 3
	v_mul_lo_u32 v1, s0, v1
	v_add_nc_u32_e32 v4, s8, v6
	v_ashrrev_i32_e32 v7, 31, v6
	v_add_co_u32 v12, vcc_lo, v8, s10
	v_add_co_ci_u32_e64 v13, null, s11, v9, vcc_lo
	v_add_nc_u32_e32 v10, s8, v4
	v_ashrrev_i32_e32 v5, 31, v4
	v_lshlrev_b64 v[6:7], 3, v[6:7]
	v_lshl_add_u32 v46, v1, 3, 0
	s_cmp_lt_i32 s2, 2
	v_add_nc_u32_e32 v14, s8, v10
	v_lshlrev_b64 v[4:5], 3, v[4:5]
	v_ashrrev_i32_e32 v11, 31, v10
	v_add_co_u32 v6, vcc_lo, v44, v6
	v_add_nc_u32_e32 v16, s8, v14
	v_ashrrev_i32_e32 v15, 31, v14
	v_add_co_ci_u32_e64 v7, null, v45, v7, vcc_lo
	v_add_co_u32 v4, vcc_lo, v44, v4
	v_add_nc_u32_e32 v22, s8, v16
	v_lshlrev_b64 v[10:11], 3, v[10:11]
	v_add_co_ci_u32_e64 v5, null, v45, v5, vcc_lo
	v_ashrrev_i32_e32 v17, 31, v16
	v_lshlrev_b64 v[14:15], 3, v[14:15]
	s_clause 0x3
	flat_load_dwordx2 v[32:33], v[8:9]
	flat_load_dwordx2 v[28:29], v[12:13]
	;; [unrolled: 1-line block ×4, first 2 shown]
	v_ashrrev_i32_e32 v23, 31, v22
	v_add_nc_u32_e32 v8, s8, v22
	v_add_co_u32 v4, vcc_lo, v44, v10
	v_lshlrev_b64 v[6:7], 3, v[16:17]
	v_add_co_ci_u32_e64 v5, null, v45, v11, vcc_lo
	v_add_co_u32 v10, vcc_lo, v44, v14
	v_lshlrev_b64 v[12:13], 3, v[22:23]
	v_add_nc_u32_e32 v14, s8, v8
	v_add_co_ci_u32_e64 v11, null, v45, v15, vcc_lo
	v_add_co_u32 v6, vcc_lo, v44, v6
	v_add_nc_u32_e32 v16, s8, v14
	v_add_co_ci_u32_e64 v7, null, v45, v7, vcc_lo
	v_add_co_u32 v12, vcc_lo, v44, v12
	v_add_co_ci_u32_e64 v13, null, v45, v13, vcc_lo
	s_clause 0x3
	flat_load_dwordx2 v[34:35], v[4:5]
	flat_load_dwordx2 v[22:23], v[10:11]
	;; [unrolled: 1-line block ×4, first 2 shown]
	v_add_nc_u32_e32 v10, s8, v16
	v_ashrrev_i32_e32 v9, 31, v8
	v_ashrrev_i32_e32 v15, 31, v14
	;; [unrolled: 1-line block ×4, first 2 shown]
	v_lshlrev_b64 v[8:9], 3, v[8:9]
	v_lshlrev_b64 v[6:7], 3, v[14:15]
	;; [unrolled: 1-line block ×4, first 2 shown]
	v_add_nc_u32_e32 v10, s8, v10
	v_add_co_u32 v8, vcc_lo, v44, v8
	v_add_co_ci_u32_e64 v9, null, v45, v9, vcc_lo
	v_add_nc_u32_e32 v38, s8, v10
	v_add_co_u32 v6, vcc_lo, v44, v6
	v_add_co_ci_u32_e64 v7, null, v45, v7, vcc_lo
	v_add_co_u32 v12, vcc_lo, v44, v12
	v_ashrrev_i32_e32 v11, 31, v10
	v_add_nc_u32_e32 v42, s8, v38
	v_add_co_ci_u32_e64 v13, null, v45, v13, vcc_lo
	v_add_co_u32 v14, vcc_lo, v44, v14
	v_add_co_ci_u32_e64 v15, null, v45, v15, vcc_lo
	v_lshlrev_b64 v[40:41], 3, v[10:11]
	v_ashrrev_i32_e32 v39, 31, v38
	s_clause 0x3
	flat_load_dwordx2 v[30:31], v[8:9]
	flat_load_dwordx2 v[26:27], v[6:7]
	;; [unrolled: 1-line block ×4, first 2 shown]
	v_add_nc_u32_e32 v8, s8, v42
	v_ashrrev_i32_e32 v43, 31, v42
	v_lshlrev_b64 v[6:7], 3, v[38:39]
	v_add_co_u32 v12, vcc_lo, v44, v40
	v_add_nc_u32_e32 v38, s8, v8
	v_lshlrev_b64 v[14:15], 3, v[42:43]
	v_ashrrev_i32_e32 v9, 31, v8
	v_add_co_ci_u32_e64 v13, null, v45, v41, vcc_lo
	v_ashrrev_i32_e32 v39, 31, v38
	v_add_co_u32 v6, vcc_lo, v44, v6
	v_add_co_ci_u32_e64 v7, null, v45, v7, vcc_lo
	v_lshlrev_b64 v[8:9], 3, v[8:9]
	v_add_co_u32 v40, vcc_lo, v44, v14
	v_add_co_ci_u32_e64 v41, null, v45, v15, vcc_lo
	v_lshlrev_b64 v[14:15], 3, v[38:39]
	v_add_co_u32 v38, vcc_lo, v44, v8
	v_add_co_ci_u32_e64 v39, null, v45, v9, vcc_lo
	v_add_co_u32 v42, vcc_lo, v44, v14
	v_add_co_ci_u32_e64 v43, null, v45, v15, vcc_lo
	s_clause 0x4
	flat_load_dwordx2 v[14:15], v[12:13]
	flat_load_dwordx2 v[8:9], v[6:7]
	;; [unrolled: 1-line block ×5, first 2 shown]
	v_add_nc_u32_e32 v40, v46, v47
	v_mov_b32_e32 v42, 0
	v_lshlrev_b32_e32 v47, 3, v1
	s_waitcnt vmcnt(16) lgkmcnt(16)
	ds_write_b64 v40, v[32:33]
	s_waitcnt vmcnt(0) lgkmcnt(0)
	s_barrier
	buffer_gl0_inv
	ds_read_b64 v[40:41], v46
	s_cbranch_scc1 .LBB32_6
; %bb.4:
	v_add3_u32 v1, v47, 0, 8
	v_mov_b32_e32 v42, 0
	s_mov_b32 s0, 1
.LBB32_5:                               ; =>This Inner Loop Header: Depth=1
	ds_read_b64 v[48:49], v1
	v_add_nc_u32_e32 v1, 8, v1
	s_waitcnt lgkmcnt(0)
	v_cmp_lt_f64_e64 vcc_lo, |v[40:41]|, |v[48:49]|
	v_cndmask_b32_e32 v41, v41, v49, vcc_lo
	v_cndmask_b32_e32 v40, v40, v48, vcc_lo
	v_cndmask_b32_e64 v42, v42, s0, vcc_lo
	s_add_i32 s0, s0, 1
	s_cmp_eq_u32 s2, s0
	s_cbranch_scc0 .LBB32_5
.LBB32_6:
	s_mov_b32 s0, exec_lo
                                        ; implicit-def: $vgpr49
	v_cmpx_ne_u32_e64 v0, v42
	s_xor_b32 s0, exec_lo, s0
	s_cbranch_execz .LBB32_12
; %bb.7:
	s_mov_b32 s1, exec_lo
	v_cmpx_eq_u32_e32 0, v0
	s_cbranch_execz .LBB32_11
; %bb.8:
	v_cmp_ne_u32_e32 vcc_lo, 0, v42
	s_xor_b32 s3, s6, -1
	s_and_b32 s7, s3, vcc_lo
	s_and_saveexec_b32 s3, s7
	s_cbranch_execz .LBB32_10
; %bb.9:
	v_ashrrev_i32_e32 v43, 31, v42
	v_lshlrev_b64 v[0:1], 2, v[42:43]
	v_add_co_u32 v0, vcc_lo, v36, v0
	v_add_co_ci_u32_e64 v1, null, v37, v1, vcc_lo
	s_clause 0x1
	global_load_dword v43, v[0:1], off
	global_load_dword v48, v[36:37], off
	s_waitcnt vmcnt(1)
	global_store_dword v[36:37], v43, off
	s_waitcnt vmcnt(0)
	global_store_dword v[0:1], v48, off
.LBB32_10:
	s_or_b32 exec_lo, exec_lo, s3
	v_mov_b32_e32 v0, v42
.LBB32_11:
	s_or_b32 exec_lo, exec_lo, s1
	v_mov_b32_e32 v49, v0
                                        ; implicit-def: $vgpr0
.LBB32_12:
	s_or_saveexec_b32 s0, s0
	v_mov_b32_e32 v43, v49
	s_xor_b32 exec_lo, exec_lo, s0
	s_cbranch_execz .LBB32_14
; %bb.13:
	v_mov_b32_e32 v49, 0
	v_mov_b32_e32 v43, v0
	ds_write2_b64 v46, v[28:29], v[20:21] offset0:1 offset1:2
	ds_write2_b64 v46, v[18:19], v[34:35] offset0:3 offset1:4
	;; [unrolled: 1-line block ×8, first 2 shown]
.LBB32_14:
	s_or_b32 exec_lo, exec_lo, s0
	s_waitcnt lgkmcnt(0)
	v_cmp_eq_f64_e64 s0, 0, v[40:41]
	s_mov_b32 s1, exec_lo
	s_waitcnt_vscnt null, 0x0
	s_barrier
	buffer_gl0_inv
	v_cmpx_lt_i32_e32 0, v49
	s_cbranch_execz .LBB32_16
; %bb.15:
	v_div_scale_f64 v[0:1], null, v[40:41], v[40:41], 1.0
	v_div_scale_f64 v[54:55], vcc_lo, 1.0, v[40:41], 1.0
	v_rcp_f64_e32 v[50:51], v[0:1]
	v_fma_f64 v[52:53], -v[0:1], v[50:51], 1.0
	v_fma_f64 v[50:51], v[50:51], v[52:53], v[50:51]
	v_fma_f64 v[52:53], -v[0:1], v[50:51], 1.0
	v_fma_f64 v[50:51], v[50:51], v[52:53], v[50:51]
	v_mul_f64 v[52:53], v[54:55], v[50:51]
	v_fma_f64 v[0:1], -v[0:1], v[52:53], v[54:55]
	v_div_fmas_f64 v[0:1], v[0:1], v[50:51], v[52:53]
	ds_read2_b64 v[50:53], v46 offset0:1 offset1:2
	ds_read2_b64 v[54:57], v46 offset0:3 offset1:4
	;; [unrolled: 1-line block ×8, first 2 shown]
	v_div_fixup_f64 v[0:1], v[0:1], v[40:41], 1.0
	v_cndmask_b32_e64 v1, v1, v41, s0
	v_cndmask_b32_e64 v0, v0, v40, s0
	v_mul_f64 v[32:33], v[0:1], v[32:33]
	s_waitcnt lgkmcnt(7)
	v_fma_f64 v[28:29], -v[32:33], v[50:51], v[28:29]
	v_fma_f64 v[20:21], -v[32:33], v[52:53], v[20:21]
	s_waitcnt lgkmcnt(6)
	v_fma_f64 v[18:19], -v[32:33], v[54:55], v[18:19]
	v_fma_f64 v[34:35], -v[32:33], v[56:57], v[34:35]
	;; [unrolled: 3-line block ×8, first 2 shown]
.LBB32_16:
	s_or_b32 exec_lo, exec_lo, s1
	v_lshl_add_u32 v0, v49, 3, v46
	s_barrier
	buffer_gl0_inv
	v_mov_b32_e32 v40, 1
	ds_write_b64 v0, v[28:29]
	s_waitcnt lgkmcnt(0)
	s_barrier
	buffer_gl0_inv
	ds_read_b64 v[0:1], v46 offset:8
	s_cmp_lt_i32 s2, 3
	s_cbranch_scc1 .LBB32_19
; %bb.17:
	v_add3_u32 v41, v47, 0, 16
	v_mov_b32_e32 v40, 1
	s_mov_b32 s1, 2
.LBB32_18:                              ; =>This Inner Loop Header: Depth=1
	ds_read_b64 v[50:51], v41
	v_add_nc_u32_e32 v41, 8, v41
	s_waitcnt lgkmcnt(0)
	v_cmp_lt_f64_e64 vcc_lo, |v[0:1]|, |v[50:51]|
	v_cndmask_b32_e32 v1, v1, v51, vcc_lo
	v_cndmask_b32_e32 v0, v0, v50, vcc_lo
	v_cndmask_b32_e64 v40, v40, s1, vcc_lo
	s_add_i32 s1, s1, 1
	s_cmp_lg_u32 s2, s1
	s_cbranch_scc1 .LBB32_18
.LBB32_19:
	s_mov_b32 s1, exec_lo
	v_cmpx_ne_u32_e64 v49, v40
	s_xor_b32 s1, exec_lo, s1
	s_cbranch_execz .LBB32_25
; %bb.20:
	s_mov_b32 s3, exec_lo
	v_cmpx_eq_u32_e32 1, v49
	s_cbranch_execz .LBB32_24
; %bb.21:
	v_cmp_ne_u32_e32 vcc_lo, 1, v40
	s_xor_b32 s7, s6, -1
	s_and_b32 s9, s7, vcc_lo
	s_and_saveexec_b32 s7, s9
	s_cbranch_execz .LBB32_23
; %bb.22:
	v_ashrrev_i32_e32 v41, 31, v40
	v_lshlrev_b64 v[41:42], 2, v[40:41]
	v_add_co_u32 v41, vcc_lo, v36, v41
	v_add_co_ci_u32_e64 v42, null, v37, v42, vcc_lo
	s_clause 0x1
	global_load_dword v43, v[41:42], off
	global_load_dword v48, v[36:37], off offset:4
	s_waitcnt vmcnt(1)
	global_store_dword v[36:37], v43, off offset:4
	s_waitcnt vmcnt(0)
	global_store_dword v[41:42], v48, off
.LBB32_23:
	s_or_b32 exec_lo, exec_lo, s7
	v_mov_b32_e32 v43, v40
	v_mov_b32_e32 v49, v40
.LBB32_24:
	s_or_b32 exec_lo, exec_lo, s3
.LBB32_25:
	s_andn2_saveexec_b32 s1, s1
	s_cbranch_execz .LBB32_27
; %bb.26:
	v_mov_b32_e32 v40, v20
	v_mov_b32_e32 v41, v21
	;; [unrolled: 1-line block ×12, first 2 shown]
	ds_write2_b64 v46, v[40:41], v[48:49] offset0:2 offset1:3
	ds_write2_b64 v46, v[50:51], v[52:53] offset0:4 offset1:5
	;; [unrolled: 1-line block ×3, first 2 shown]
	v_mov_b32_e32 v40, v30
	v_mov_b32_e32 v41, v31
	;; [unrolled: 1-line block ×8, first 2 shown]
	ds_write2_b64 v46, v[40:41], v[48:49] offset0:8 offset1:9
	v_mov_b32_e32 v49, 1
	v_mov_b32_e32 v54, v14
	;; [unrolled: 1-line block ×9, first 2 shown]
	ds_write2_b64 v46, v[50:51], v[52:53] offset0:10 offset1:11
	ds_write2_b64 v46, v[54:55], v[56:57] offset0:12 offset1:13
	;; [unrolled: 1-line block ×3, first 2 shown]
	ds_write_b64 v46, v[38:39] offset:128
.LBB32_27:
	s_or_b32 exec_lo, exec_lo, s1
	s_waitcnt lgkmcnt(0)
	v_cmp_neq_f64_e64 s1, 0, v[0:1]
	s_mov_b32 s3, exec_lo
	s_waitcnt_vscnt null, 0x0
	s_barrier
	buffer_gl0_inv
	v_cmpx_lt_i32_e32 1, v49
	s_cbranch_execz .LBB32_29
; %bb.28:
	v_div_scale_f64 v[40:41], null, v[0:1], v[0:1], 1.0
	v_div_scale_f64 v[54:55], vcc_lo, 1.0, v[0:1], 1.0
	v_rcp_f64_e32 v[50:51], v[40:41]
	v_fma_f64 v[52:53], -v[40:41], v[50:51], 1.0
	v_fma_f64 v[50:51], v[50:51], v[52:53], v[50:51]
	v_fma_f64 v[52:53], -v[40:41], v[50:51], 1.0
	v_fma_f64 v[50:51], v[50:51], v[52:53], v[50:51]
	v_mul_f64 v[52:53], v[54:55], v[50:51]
	v_fma_f64 v[40:41], -v[40:41], v[52:53], v[54:55]
	v_div_fmas_f64 v[40:41], v[40:41], v[50:51], v[52:53]
	v_div_fixup_f64 v[40:41], v[40:41], v[0:1], 1.0
	v_cndmask_b32_e64 v1, v1, v41, s1
	v_cndmask_b32_e64 v0, v0, v40, s1
	v_mul_f64 v[28:29], v[0:1], v[28:29]
	ds_read2_b64 v[50:53], v46 offset0:2 offset1:3
	ds_read2_b64 v[54:57], v46 offset0:4 offset1:5
	;; [unrolled: 1-line block ×7, first 2 shown]
	ds_read_b64 v[0:1], v46 offset:128
	s_waitcnt lgkmcnt(7)
	v_fma_f64 v[20:21], -v[28:29], v[50:51], v[20:21]
	v_fma_f64 v[18:19], -v[28:29], v[52:53], v[18:19]
	s_waitcnt lgkmcnt(6)
	v_fma_f64 v[34:35], -v[28:29], v[54:55], v[34:35]
	v_fma_f64 v[22:23], -v[28:29], v[56:57], v[22:23]
	;; [unrolled: 3-line block ×7, first 2 shown]
	s_waitcnt lgkmcnt(0)
	v_fma_f64 v[38:39], -v[28:29], v[0:1], v[38:39]
.LBB32_29:
	s_or_b32 exec_lo, exec_lo, s3
	v_lshl_add_u32 v0, v49, 3, v46
	s_barrier
	buffer_gl0_inv
	v_mov_b32_e32 v40, 2
	ds_write_b64 v0, v[20:21]
	s_waitcnt lgkmcnt(0)
	s_barrier
	buffer_gl0_inv
	ds_read_b64 v[0:1], v46 offset:16
	s_cmp_lt_i32 s2, 4
	s_mov_b32 s3, 3
	s_cbranch_scc1 .LBB32_32
; %bb.30:
	v_add3_u32 v41, v47, 0, 24
	v_mov_b32_e32 v40, 2
.LBB32_31:                              ; =>This Inner Loop Header: Depth=1
	ds_read_b64 v[50:51], v41
	v_add_nc_u32_e32 v41, 8, v41
	s_waitcnt lgkmcnt(0)
	v_cmp_lt_f64_e64 vcc_lo, |v[0:1]|, |v[50:51]|
	v_cndmask_b32_e32 v1, v1, v51, vcc_lo
	v_cndmask_b32_e32 v0, v0, v50, vcc_lo
	v_cndmask_b32_e64 v40, v40, s3, vcc_lo
	s_add_i32 s3, s3, 1
	s_cmp_lg_u32 s2, s3
	s_cbranch_scc1 .LBB32_31
.LBB32_32:
	v_cndmask_b32_e64 v41, 2, 1, s0
	v_cndmask_b32_e64 v42, 0, 1, s0
	s_mov_b32 s0, exec_lo
	v_cndmask_b32_e64 v48, v41, v42, s1
	s_waitcnt lgkmcnt(0)
	v_cmpx_eq_f64_e32 0, v[0:1]
	s_xor_b32 s0, exec_lo, s0
; %bb.33:
	v_cmp_ne_u32_e32 vcc_lo, 0, v48
	v_cndmask_b32_e32 v48, 3, v48, vcc_lo
; %bb.34:
	s_andn2_saveexec_b32 s0, s0
	s_cbranch_execz .LBB32_36
; %bb.35:
	v_div_scale_f64 v[41:42], null, v[0:1], v[0:1], 1.0
	v_rcp_f64_e32 v[50:51], v[41:42]
	v_fma_f64 v[52:53], -v[41:42], v[50:51], 1.0
	v_fma_f64 v[50:51], v[50:51], v[52:53], v[50:51]
	v_fma_f64 v[52:53], -v[41:42], v[50:51], 1.0
	v_fma_f64 v[50:51], v[50:51], v[52:53], v[50:51]
	v_div_scale_f64 v[52:53], vcc_lo, 1.0, v[0:1], 1.0
	v_mul_f64 v[54:55], v[52:53], v[50:51]
	v_fma_f64 v[41:42], -v[41:42], v[54:55], v[52:53]
	v_div_fmas_f64 v[41:42], v[41:42], v[50:51], v[54:55]
	v_div_fixup_f64 v[0:1], v[41:42], v[0:1], 1.0
.LBB32_36:
	s_or_b32 exec_lo, exec_lo, s0
	s_mov_b32 s0, exec_lo
	v_cmpx_ne_u32_e64 v49, v40
	s_xor_b32 s0, exec_lo, s0
	s_cbranch_execz .LBB32_42
; %bb.37:
	s_mov_b32 s1, exec_lo
	v_cmpx_eq_u32_e32 2, v49
	s_cbranch_execz .LBB32_41
; %bb.38:
	v_cmp_ne_u32_e32 vcc_lo, 2, v40
	s_xor_b32 s3, s6, -1
	s_and_b32 s7, s3, vcc_lo
	s_and_saveexec_b32 s3, s7
	s_cbranch_execz .LBB32_40
; %bb.39:
	v_ashrrev_i32_e32 v41, 31, v40
	v_lshlrev_b64 v[41:42], 2, v[40:41]
	v_add_co_u32 v41, vcc_lo, v36, v41
	v_add_co_ci_u32_e64 v42, null, v37, v42, vcc_lo
	s_clause 0x1
	global_load_dword v43, v[41:42], off
	global_load_dword v49, v[36:37], off offset:8
	s_waitcnt vmcnt(1)
	global_store_dword v[36:37], v43, off offset:8
	s_waitcnt vmcnt(0)
	global_store_dword v[41:42], v49, off
.LBB32_40:
	s_or_b32 exec_lo, exec_lo, s3
	v_mov_b32_e32 v43, v40
	v_mov_b32_e32 v49, v40
.LBB32_41:
	s_or_b32 exec_lo, exec_lo, s1
.LBB32_42:
	s_andn2_saveexec_b32 s0, s0
	s_cbranch_execz .LBB32_44
; %bb.43:
	v_mov_b32_e32 v49, 2
	ds_write2_b64 v46, v[18:19], v[34:35] offset0:3 offset1:4
	ds_write2_b64 v46, v[22:23], v[24:25] offset0:5 offset1:6
	;; [unrolled: 1-line block ×7, first 2 shown]
.LBB32_44:
	s_or_b32 exec_lo, exec_lo, s0
	s_mov_b32 s0, exec_lo
	s_waitcnt lgkmcnt(0)
	s_waitcnt_vscnt null, 0x0
	s_barrier
	buffer_gl0_inv
	v_cmpx_lt_i32_e32 2, v49
	s_cbranch_execz .LBB32_46
; %bb.45:
	v_mul_f64 v[20:21], v[0:1], v[20:21]
	ds_read2_b64 v[50:53], v46 offset0:3 offset1:4
	ds_read2_b64 v[54:57], v46 offset0:5 offset1:6
	;; [unrolled: 1-line block ×7, first 2 shown]
	s_waitcnt lgkmcnt(6)
	v_fma_f64 v[18:19], -v[20:21], v[50:51], v[18:19]
	v_fma_f64 v[34:35], -v[20:21], v[52:53], v[34:35]
	s_waitcnt lgkmcnt(5)
	v_fma_f64 v[22:23], -v[20:21], v[54:55], v[22:23]
	v_fma_f64 v[24:25], -v[20:21], v[56:57], v[24:25]
	s_waitcnt lgkmcnt(4)
	v_fma_f64 v[4:5], -v[20:21], v[58:59], v[4:5]
	v_fma_f64 v[30:31], -v[20:21], v[60:61], v[30:31]
	s_waitcnt lgkmcnt(3)
	v_fma_f64 v[26:27], -v[20:21], v[62:63], v[26:27]
	v_fma_f64 v[16:17], -v[20:21], v[64:65], v[16:17]
	s_waitcnt lgkmcnt(2)
	v_fma_f64 v[10:11], -v[20:21], v[66:67], v[10:11]
	v_fma_f64 v[14:15], -v[20:21], v[68:69], v[14:15]
	s_waitcnt lgkmcnt(1)
	v_fma_f64 v[8:9], -v[20:21], v[70:71], v[8:9]
	v_fma_f64 v[12:13], -v[20:21], v[72:73], v[12:13]
	s_waitcnt lgkmcnt(0)
	v_fma_f64 v[6:7], -v[20:21], v[74:75], v[6:7]
	v_fma_f64 v[38:39], -v[20:21], v[76:77], v[38:39]
.LBB32_46:
	s_or_b32 exec_lo, exec_lo, s0
	v_lshl_add_u32 v0, v49, 3, v46
	s_barrier
	buffer_gl0_inv
	v_mov_b32_e32 v40, 3
	ds_write_b64 v0, v[18:19]
	s_waitcnt lgkmcnt(0)
	s_barrier
	buffer_gl0_inv
	ds_read_b64 v[0:1], v46 offset:24
	s_cmp_lt_i32 s2, 5
	s_cbranch_scc1 .LBB32_49
; %bb.47:
	v_mov_b32_e32 v40, 3
	v_add3_u32 v41, v47, 0, 32
	s_mov_b32 s0, 4
.LBB32_48:                              ; =>This Inner Loop Header: Depth=1
	ds_read_b64 v[50:51], v41
	v_add_nc_u32_e32 v41, 8, v41
	s_waitcnt lgkmcnt(0)
	v_cmp_lt_f64_e64 vcc_lo, |v[0:1]|, |v[50:51]|
	v_cndmask_b32_e32 v1, v1, v51, vcc_lo
	v_cndmask_b32_e32 v0, v0, v50, vcc_lo
	v_cndmask_b32_e64 v40, v40, s0, vcc_lo
	s_add_i32 s0, s0, 1
	s_cmp_lg_u32 s2, s0
	s_cbranch_scc1 .LBB32_48
.LBB32_49:
	s_mov_b32 s0, exec_lo
	s_waitcnt lgkmcnt(0)
	v_cmpx_eq_f64_e32 0, v[0:1]
	s_xor_b32 s0, exec_lo, s0
; %bb.50:
	v_cmp_ne_u32_e32 vcc_lo, 0, v48
	v_cndmask_b32_e32 v48, 4, v48, vcc_lo
; %bb.51:
	s_andn2_saveexec_b32 s0, s0
	s_cbranch_execz .LBB32_53
; %bb.52:
	v_div_scale_f64 v[41:42], null, v[0:1], v[0:1], 1.0
	v_rcp_f64_e32 v[50:51], v[41:42]
	v_fma_f64 v[52:53], -v[41:42], v[50:51], 1.0
	v_fma_f64 v[50:51], v[50:51], v[52:53], v[50:51]
	v_fma_f64 v[52:53], -v[41:42], v[50:51], 1.0
	v_fma_f64 v[50:51], v[50:51], v[52:53], v[50:51]
	v_div_scale_f64 v[52:53], vcc_lo, 1.0, v[0:1], 1.0
	v_mul_f64 v[54:55], v[52:53], v[50:51]
	v_fma_f64 v[41:42], -v[41:42], v[54:55], v[52:53]
	v_div_fmas_f64 v[41:42], v[41:42], v[50:51], v[54:55]
	v_div_fixup_f64 v[0:1], v[41:42], v[0:1], 1.0
.LBB32_53:
	s_or_b32 exec_lo, exec_lo, s0
	s_mov_b32 s0, exec_lo
	v_cmpx_ne_u32_e64 v49, v40
	s_xor_b32 s0, exec_lo, s0
	s_cbranch_execz .LBB32_59
; %bb.54:
	s_mov_b32 s1, exec_lo
	v_cmpx_eq_u32_e32 3, v49
	s_cbranch_execz .LBB32_58
; %bb.55:
	v_cmp_ne_u32_e32 vcc_lo, 3, v40
	s_xor_b32 s3, s6, -1
	s_and_b32 s7, s3, vcc_lo
	s_and_saveexec_b32 s3, s7
	s_cbranch_execz .LBB32_57
; %bb.56:
	v_ashrrev_i32_e32 v41, 31, v40
	v_lshlrev_b64 v[41:42], 2, v[40:41]
	v_add_co_u32 v41, vcc_lo, v36, v41
	v_add_co_ci_u32_e64 v42, null, v37, v42, vcc_lo
	s_clause 0x1
	global_load_dword v43, v[41:42], off
	global_load_dword v49, v[36:37], off offset:12
	s_waitcnt vmcnt(1)
	global_store_dword v[36:37], v43, off offset:12
	s_waitcnt vmcnt(0)
	global_store_dword v[41:42], v49, off
.LBB32_57:
	s_or_b32 exec_lo, exec_lo, s3
	v_mov_b32_e32 v43, v40
	v_mov_b32_e32 v49, v40
.LBB32_58:
	s_or_b32 exec_lo, exec_lo, s1
.LBB32_59:
	s_andn2_saveexec_b32 s0, s0
	s_cbranch_execz .LBB32_61
; %bb.60:
	v_mov_b32_e32 v40, v34
	v_mov_b32_e32 v41, v35
	;; [unrolled: 1-line block ×8, first 2 shown]
	ds_write2_b64 v46, v[40:41], v[49:50] offset0:4 offset1:5
	ds_write2_b64 v46, v[51:52], v[53:54] offset0:6 offset1:7
	v_mov_b32_e32 v40, v30
	v_mov_b32_e32 v41, v31
	;; [unrolled: 1-line block ×8, first 2 shown]
	ds_write2_b64 v46, v[40:41], v[49:50] offset0:8 offset1:9
	v_mov_b32_e32 v49, 3
	v_mov_b32_e32 v55, v14
	;; [unrolled: 1-line block ×9, first 2 shown]
	ds_write2_b64 v46, v[51:52], v[53:54] offset0:10 offset1:11
	ds_write2_b64 v46, v[55:56], v[57:58] offset0:12 offset1:13
	;; [unrolled: 1-line block ×3, first 2 shown]
	ds_write_b64 v46, v[38:39] offset:128
.LBB32_61:
	s_or_b32 exec_lo, exec_lo, s0
	s_mov_b32 s0, exec_lo
	s_waitcnt lgkmcnt(0)
	s_waitcnt_vscnt null, 0x0
	s_barrier
	buffer_gl0_inv
	v_cmpx_lt_i32_e32 3, v49
	s_cbranch_execz .LBB32_63
; %bb.62:
	v_mul_f64 v[18:19], v[0:1], v[18:19]
	ds_read2_b64 v[50:53], v46 offset0:4 offset1:5
	ds_read2_b64 v[54:57], v46 offset0:6 offset1:7
	;; [unrolled: 1-line block ×6, first 2 shown]
	ds_read_b64 v[0:1], v46 offset:128
	s_waitcnt lgkmcnt(6)
	v_fma_f64 v[34:35], -v[18:19], v[50:51], v[34:35]
	v_fma_f64 v[22:23], -v[18:19], v[52:53], v[22:23]
	s_waitcnt lgkmcnt(5)
	v_fma_f64 v[24:25], -v[18:19], v[54:55], v[24:25]
	v_fma_f64 v[4:5], -v[18:19], v[56:57], v[4:5]
	;; [unrolled: 3-line block ×6, first 2 shown]
	s_waitcnt lgkmcnt(0)
	v_fma_f64 v[38:39], -v[18:19], v[0:1], v[38:39]
.LBB32_63:
	s_or_b32 exec_lo, exec_lo, s0
	v_lshl_add_u32 v0, v49, 3, v46
	s_barrier
	buffer_gl0_inv
	v_mov_b32_e32 v40, 4
	ds_write_b64 v0, v[34:35]
	s_waitcnt lgkmcnt(0)
	s_barrier
	buffer_gl0_inv
	ds_read_b64 v[0:1], v46 offset:32
	s_cmp_lt_i32 s2, 6
	s_cbranch_scc1 .LBB32_66
; %bb.64:
	v_add3_u32 v41, v47, 0, 40
	v_mov_b32_e32 v40, 4
	s_mov_b32 s0, 5
.LBB32_65:                              ; =>This Inner Loop Header: Depth=1
	ds_read_b64 v[50:51], v41
	v_add_nc_u32_e32 v41, 8, v41
	s_waitcnt lgkmcnt(0)
	v_cmp_lt_f64_e64 vcc_lo, |v[0:1]|, |v[50:51]|
	v_cndmask_b32_e32 v1, v1, v51, vcc_lo
	v_cndmask_b32_e32 v0, v0, v50, vcc_lo
	v_cndmask_b32_e64 v40, v40, s0, vcc_lo
	s_add_i32 s0, s0, 1
	s_cmp_lg_u32 s2, s0
	s_cbranch_scc1 .LBB32_65
.LBB32_66:
	s_mov_b32 s0, exec_lo
	s_waitcnt lgkmcnt(0)
	v_cmpx_eq_f64_e32 0, v[0:1]
	s_xor_b32 s0, exec_lo, s0
; %bb.67:
	v_cmp_ne_u32_e32 vcc_lo, 0, v48
	v_cndmask_b32_e32 v48, 5, v48, vcc_lo
; %bb.68:
	s_andn2_saveexec_b32 s0, s0
	s_cbranch_execz .LBB32_70
; %bb.69:
	v_div_scale_f64 v[41:42], null, v[0:1], v[0:1], 1.0
	v_rcp_f64_e32 v[50:51], v[41:42]
	v_fma_f64 v[52:53], -v[41:42], v[50:51], 1.0
	v_fma_f64 v[50:51], v[50:51], v[52:53], v[50:51]
	v_fma_f64 v[52:53], -v[41:42], v[50:51], 1.0
	v_fma_f64 v[50:51], v[50:51], v[52:53], v[50:51]
	v_div_scale_f64 v[52:53], vcc_lo, 1.0, v[0:1], 1.0
	v_mul_f64 v[54:55], v[52:53], v[50:51]
	v_fma_f64 v[41:42], -v[41:42], v[54:55], v[52:53]
	v_div_fmas_f64 v[41:42], v[41:42], v[50:51], v[54:55]
	v_div_fixup_f64 v[0:1], v[41:42], v[0:1], 1.0
.LBB32_70:
	s_or_b32 exec_lo, exec_lo, s0
	s_mov_b32 s0, exec_lo
	v_cmpx_ne_u32_e64 v49, v40
	s_xor_b32 s0, exec_lo, s0
	s_cbranch_execz .LBB32_76
; %bb.71:
	s_mov_b32 s1, exec_lo
	v_cmpx_eq_u32_e32 4, v49
	s_cbranch_execz .LBB32_75
; %bb.72:
	v_cmp_ne_u32_e32 vcc_lo, 4, v40
	s_xor_b32 s3, s6, -1
	s_and_b32 s7, s3, vcc_lo
	s_and_saveexec_b32 s3, s7
	s_cbranch_execz .LBB32_74
; %bb.73:
	v_ashrrev_i32_e32 v41, 31, v40
	v_lshlrev_b64 v[41:42], 2, v[40:41]
	v_add_co_u32 v41, vcc_lo, v36, v41
	v_add_co_ci_u32_e64 v42, null, v37, v42, vcc_lo
	s_clause 0x1
	global_load_dword v43, v[41:42], off
	global_load_dword v49, v[36:37], off offset:16
	s_waitcnt vmcnt(1)
	global_store_dword v[36:37], v43, off offset:16
	s_waitcnt vmcnt(0)
	global_store_dword v[41:42], v49, off
.LBB32_74:
	s_or_b32 exec_lo, exec_lo, s3
	v_mov_b32_e32 v43, v40
	v_mov_b32_e32 v49, v40
.LBB32_75:
	s_or_b32 exec_lo, exec_lo, s1
.LBB32_76:
	s_andn2_saveexec_b32 s0, s0
	s_cbranch_execz .LBB32_78
; %bb.77:
	v_mov_b32_e32 v49, 4
	ds_write2_b64 v46, v[22:23], v[24:25] offset0:5 offset1:6
	ds_write2_b64 v46, v[4:5], v[30:31] offset0:7 offset1:8
	;; [unrolled: 1-line block ×6, first 2 shown]
.LBB32_78:
	s_or_b32 exec_lo, exec_lo, s0
	s_mov_b32 s0, exec_lo
	s_waitcnt lgkmcnt(0)
	s_waitcnt_vscnt null, 0x0
	s_barrier
	buffer_gl0_inv
	v_cmpx_lt_i32_e32 4, v49
	s_cbranch_execz .LBB32_80
; %bb.79:
	v_mul_f64 v[34:35], v[0:1], v[34:35]
	ds_read2_b64 v[50:53], v46 offset0:5 offset1:6
	ds_read2_b64 v[54:57], v46 offset0:7 offset1:8
	;; [unrolled: 1-line block ×6, first 2 shown]
	s_waitcnt lgkmcnt(5)
	v_fma_f64 v[22:23], -v[34:35], v[50:51], v[22:23]
	v_fma_f64 v[24:25], -v[34:35], v[52:53], v[24:25]
	s_waitcnt lgkmcnt(4)
	v_fma_f64 v[4:5], -v[34:35], v[54:55], v[4:5]
	v_fma_f64 v[30:31], -v[34:35], v[56:57], v[30:31]
	;; [unrolled: 3-line block ×6, first 2 shown]
.LBB32_80:
	s_or_b32 exec_lo, exec_lo, s0
	v_lshl_add_u32 v0, v49, 3, v46
	s_barrier
	buffer_gl0_inv
	v_mov_b32_e32 v40, 5
	ds_write_b64 v0, v[22:23]
	s_waitcnt lgkmcnt(0)
	s_barrier
	buffer_gl0_inv
	ds_read_b64 v[0:1], v46 offset:40
	s_cmp_lt_i32 s2, 7
	s_cbranch_scc1 .LBB32_83
; %bb.81:
	v_add3_u32 v41, v47, 0, 48
	v_mov_b32_e32 v40, 5
	s_mov_b32 s0, 6
.LBB32_82:                              ; =>This Inner Loop Header: Depth=1
	ds_read_b64 v[50:51], v41
	v_add_nc_u32_e32 v41, 8, v41
	s_waitcnt lgkmcnt(0)
	v_cmp_lt_f64_e64 vcc_lo, |v[0:1]|, |v[50:51]|
	v_cndmask_b32_e32 v1, v1, v51, vcc_lo
	v_cndmask_b32_e32 v0, v0, v50, vcc_lo
	v_cndmask_b32_e64 v40, v40, s0, vcc_lo
	s_add_i32 s0, s0, 1
	s_cmp_lg_u32 s2, s0
	s_cbranch_scc1 .LBB32_82
.LBB32_83:
	s_mov_b32 s0, exec_lo
	s_waitcnt lgkmcnt(0)
	v_cmpx_eq_f64_e32 0, v[0:1]
	s_xor_b32 s0, exec_lo, s0
; %bb.84:
	v_cmp_ne_u32_e32 vcc_lo, 0, v48
	v_cndmask_b32_e32 v48, 6, v48, vcc_lo
; %bb.85:
	s_andn2_saveexec_b32 s0, s0
	s_cbranch_execz .LBB32_87
; %bb.86:
	v_div_scale_f64 v[41:42], null, v[0:1], v[0:1], 1.0
	v_rcp_f64_e32 v[50:51], v[41:42]
	v_fma_f64 v[52:53], -v[41:42], v[50:51], 1.0
	v_fma_f64 v[50:51], v[50:51], v[52:53], v[50:51]
	v_fma_f64 v[52:53], -v[41:42], v[50:51], 1.0
	v_fma_f64 v[50:51], v[50:51], v[52:53], v[50:51]
	v_div_scale_f64 v[52:53], vcc_lo, 1.0, v[0:1], 1.0
	v_mul_f64 v[54:55], v[52:53], v[50:51]
	v_fma_f64 v[41:42], -v[41:42], v[54:55], v[52:53]
	v_div_fmas_f64 v[41:42], v[41:42], v[50:51], v[54:55]
	v_div_fixup_f64 v[0:1], v[41:42], v[0:1], 1.0
.LBB32_87:
	s_or_b32 exec_lo, exec_lo, s0
	s_mov_b32 s0, exec_lo
	v_cmpx_ne_u32_e64 v49, v40
	s_xor_b32 s0, exec_lo, s0
	s_cbranch_execz .LBB32_93
; %bb.88:
	s_mov_b32 s1, exec_lo
	v_cmpx_eq_u32_e32 5, v49
	s_cbranch_execz .LBB32_92
; %bb.89:
	v_cmp_ne_u32_e32 vcc_lo, 5, v40
	s_xor_b32 s3, s6, -1
	s_and_b32 s7, s3, vcc_lo
	s_and_saveexec_b32 s3, s7
	s_cbranch_execz .LBB32_91
; %bb.90:
	v_ashrrev_i32_e32 v41, 31, v40
	v_lshlrev_b64 v[41:42], 2, v[40:41]
	v_add_co_u32 v41, vcc_lo, v36, v41
	v_add_co_ci_u32_e64 v42, null, v37, v42, vcc_lo
	s_clause 0x1
	global_load_dword v43, v[41:42], off
	global_load_dword v49, v[36:37], off offset:20
	s_waitcnt vmcnt(1)
	global_store_dword v[36:37], v43, off offset:20
	s_waitcnt vmcnt(0)
	global_store_dword v[41:42], v49, off
.LBB32_91:
	s_or_b32 exec_lo, exec_lo, s3
	v_mov_b32_e32 v43, v40
	v_mov_b32_e32 v49, v40
.LBB32_92:
	s_or_b32 exec_lo, exec_lo, s1
.LBB32_93:
	s_andn2_saveexec_b32 s0, s0
	s_cbranch_execz .LBB32_95
; %bb.94:
	v_mov_b32_e32 v40, v24
	v_mov_b32_e32 v41, v25
	;; [unrolled: 1-line block ×8, first 2 shown]
	ds_write2_b64 v46, v[40:41], v[49:50] offset0:6 offset1:7
	v_mov_b32_e32 v40, v26
	v_mov_b32_e32 v41, v27
	;; [unrolled: 1-line block ×13, first 2 shown]
	ds_write2_b64 v46, v[51:52], v[40:41] offset0:8 offset1:9
	ds_write2_b64 v46, v[53:54], v[55:56] offset0:10 offset1:11
	ds_write2_b64 v46, v[57:58], v[59:60] offset0:12 offset1:13
	ds_write2_b64 v46, v[61:62], v[63:64] offset0:14 offset1:15
	ds_write_b64 v46, v[38:39] offset:128
.LBB32_95:
	s_or_b32 exec_lo, exec_lo, s0
	s_mov_b32 s0, exec_lo
	s_waitcnt lgkmcnt(0)
	s_waitcnt_vscnt null, 0x0
	s_barrier
	buffer_gl0_inv
	v_cmpx_lt_i32_e32 5, v49
	s_cbranch_execz .LBB32_97
; %bb.96:
	v_mul_f64 v[22:23], v[0:1], v[22:23]
	ds_read2_b64 v[50:53], v46 offset0:6 offset1:7
	ds_read2_b64 v[54:57], v46 offset0:8 offset1:9
	;; [unrolled: 1-line block ×5, first 2 shown]
	ds_read_b64 v[0:1], v46 offset:128
	s_waitcnt lgkmcnt(5)
	v_fma_f64 v[24:25], -v[22:23], v[50:51], v[24:25]
	v_fma_f64 v[4:5], -v[22:23], v[52:53], v[4:5]
	s_waitcnt lgkmcnt(4)
	v_fma_f64 v[30:31], -v[22:23], v[54:55], v[30:31]
	v_fma_f64 v[26:27], -v[22:23], v[56:57], v[26:27]
	;; [unrolled: 3-line block ×5, first 2 shown]
	s_waitcnt lgkmcnt(0)
	v_fma_f64 v[38:39], -v[22:23], v[0:1], v[38:39]
.LBB32_97:
	s_or_b32 exec_lo, exec_lo, s0
	v_lshl_add_u32 v0, v49, 3, v46
	s_barrier
	buffer_gl0_inv
	v_mov_b32_e32 v40, 6
	ds_write_b64 v0, v[24:25]
	s_waitcnt lgkmcnt(0)
	s_barrier
	buffer_gl0_inv
	ds_read_b64 v[0:1], v46 offset:48
	s_cmp_lt_i32 s2, 8
	s_cbranch_scc1 .LBB32_100
; %bb.98:
	v_add3_u32 v41, v47, 0, 56
	v_mov_b32_e32 v40, 6
	s_mov_b32 s0, 7
.LBB32_99:                              ; =>This Inner Loop Header: Depth=1
	ds_read_b64 v[50:51], v41
	v_add_nc_u32_e32 v41, 8, v41
	s_waitcnt lgkmcnt(0)
	v_cmp_lt_f64_e64 vcc_lo, |v[0:1]|, |v[50:51]|
	v_cndmask_b32_e32 v1, v1, v51, vcc_lo
	v_cndmask_b32_e32 v0, v0, v50, vcc_lo
	v_cndmask_b32_e64 v40, v40, s0, vcc_lo
	s_add_i32 s0, s0, 1
	s_cmp_lg_u32 s2, s0
	s_cbranch_scc1 .LBB32_99
.LBB32_100:
	s_mov_b32 s0, exec_lo
	s_waitcnt lgkmcnt(0)
	v_cmpx_eq_f64_e32 0, v[0:1]
	s_xor_b32 s0, exec_lo, s0
; %bb.101:
	v_cmp_ne_u32_e32 vcc_lo, 0, v48
	v_cndmask_b32_e32 v48, 7, v48, vcc_lo
; %bb.102:
	s_andn2_saveexec_b32 s0, s0
	s_cbranch_execz .LBB32_104
; %bb.103:
	v_div_scale_f64 v[41:42], null, v[0:1], v[0:1], 1.0
	v_rcp_f64_e32 v[50:51], v[41:42]
	v_fma_f64 v[52:53], -v[41:42], v[50:51], 1.0
	v_fma_f64 v[50:51], v[50:51], v[52:53], v[50:51]
	v_fma_f64 v[52:53], -v[41:42], v[50:51], 1.0
	v_fma_f64 v[50:51], v[50:51], v[52:53], v[50:51]
	v_div_scale_f64 v[52:53], vcc_lo, 1.0, v[0:1], 1.0
	v_mul_f64 v[54:55], v[52:53], v[50:51]
	v_fma_f64 v[41:42], -v[41:42], v[54:55], v[52:53]
	v_div_fmas_f64 v[41:42], v[41:42], v[50:51], v[54:55]
	v_div_fixup_f64 v[0:1], v[41:42], v[0:1], 1.0
.LBB32_104:
	s_or_b32 exec_lo, exec_lo, s0
	s_mov_b32 s0, exec_lo
	v_cmpx_ne_u32_e64 v49, v40
	s_xor_b32 s0, exec_lo, s0
	s_cbranch_execz .LBB32_110
; %bb.105:
	s_mov_b32 s1, exec_lo
	v_cmpx_eq_u32_e32 6, v49
	s_cbranch_execz .LBB32_109
; %bb.106:
	v_cmp_ne_u32_e32 vcc_lo, 6, v40
	s_xor_b32 s3, s6, -1
	s_and_b32 s7, s3, vcc_lo
	s_and_saveexec_b32 s3, s7
	s_cbranch_execz .LBB32_108
; %bb.107:
	v_ashrrev_i32_e32 v41, 31, v40
	v_lshlrev_b64 v[41:42], 2, v[40:41]
	v_add_co_u32 v41, vcc_lo, v36, v41
	v_add_co_ci_u32_e64 v42, null, v37, v42, vcc_lo
	s_clause 0x1
	global_load_dword v43, v[41:42], off
	global_load_dword v49, v[36:37], off offset:24
	s_waitcnt vmcnt(1)
	global_store_dword v[36:37], v43, off offset:24
	s_waitcnt vmcnt(0)
	global_store_dword v[41:42], v49, off
.LBB32_108:
	s_or_b32 exec_lo, exec_lo, s3
	v_mov_b32_e32 v43, v40
	v_mov_b32_e32 v49, v40
.LBB32_109:
	s_or_b32 exec_lo, exec_lo, s1
.LBB32_110:
	s_andn2_saveexec_b32 s0, s0
	s_cbranch_execz .LBB32_112
; %bb.111:
	v_mov_b32_e32 v49, 6
	ds_write2_b64 v46, v[4:5], v[30:31] offset0:7 offset1:8
	ds_write2_b64 v46, v[26:27], v[16:17] offset0:9 offset1:10
	;; [unrolled: 1-line block ×5, first 2 shown]
.LBB32_112:
	s_or_b32 exec_lo, exec_lo, s0
	s_mov_b32 s0, exec_lo
	s_waitcnt lgkmcnt(0)
	s_waitcnt_vscnt null, 0x0
	s_barrier
	buffer_gl0_inv
	v_cmpx_lt_i32_e32 6, v49
	s_cbranch_execz .LBB32_114
; %bb.113:
	v_mul_f64 v[24:25], v[0:1], v[24:25]
	ds_read2_b64 v[50:53], v46 offset0:7 offset1:8
	ds_read2_b64 v[54:57], v46 offset0:9 offset1:10
	ds_read2_b64 v[58:61], v46 offset0:11 offset1:12
	ds_read2_b64 v[62:65], v46 offset0:13 offset1:14
	ds_read2_b64 v[66:69], v46 offset0:15 offset1:16
	s_waitcnt lgkmcnt(4)
	v_fma_f64 v[4:5], -v[24:25], v[50:51], v[4:5]
	v_fma_f64 v[30:31], -v[24:25], v[52:53], v[30:31]
	s_waitcnt lgkmcnt(3)
	v_fma_f64 v[26:27], -v[24:25], v[54:55], v[26:27]
	v_fma_f64 v[16:17], -v[24:25], v[56:57], v[16:17]
	;; [unrolled: 3-line block ×5, first 2 shown]
.LBB32_114:
	s_or_b32 exec_lo, exec_lo, s0
	v_lshl_add_u32 v0, v49, 3, v46
	s_barrier
	buffer_gl0_inv
	v_mov_b32_e32 v40, 7
	ds_write_b64 v0, v[4:5]
	s_waitcnt lgkmcnt(0)
	s_barrier
	buffer_gl0_inv
	ds_read_b64 v[0:1], v46 offset:56
	s_cmp_lt_i32 s2, 9
	s_cbranch_scc1 .LBB32_117
; %bb.115:
	v_add3_u32 v41, v47, 0, 64
	v_mov_b32_e32 v40, 7
	s_mov_b32 s0, 8
.LBB32_116:                             ; =>This Inner Loop Header: Depth=1
	ds_read_b64 v[50:51], v41
	v_add_nc_u32_e32 v41, 8, v41
	s_waitcnt lgkmcnt(0)
	v_cmp_lt_f64_e64 vcc_lo, |v[0:1]|, |v[50:51]|
	v_cndmask_b32_e32 v1, v1, v51, vcc_lo
	v_cndmask_b32_e32 v0, v0, v50, vcc_lo
	v_cndmask_b32_e64 v40, v40, s0, vcc_lo
	s_add_i32 s0, s0, 1
	s_cmp_lg_u32 s2, s0
	s_cbranch_scc1 .LBB32_116
.LBB32_117:
	s_mov_b32 s0, exec_lo
	s_waitcnt lgkmcnt(0)
	v_cmpx_eq_f64_e32 0, v[0:1]
	s_xor_b32 s0, exec_lo, s0
; %bb.118:
	v_cmp_ne_u32_e32 vcc_lo, 0, v48
	v_cndmask_b32_e32 v48, 8, v48, vcc_lo
; %bb.119:
	s_andn2_saveexec_b32 s0, s0
	s_cbranch_execz .LBB32_121
; %bb.120:
	v_div_scale_f64 v[41:42], null, v[0:1], v[0:1], 1.0
	v_rcp_f64_e32 v[50:51], v[41:42]
	v_fma_f64 v[52:53], -v[41:42], v[50:51], 1.0
	v_fma_f64 v[50:51], v[50:51], v[52:53], v[50:51]
	v_fma_f64 v[52:53], -v[41:42], v[50:51], 1.0
	v_fma_f64 v[50:51], v[50:51], v[52:53], v[50:51]
	v_div_scale_f64 v[52:53], vcc_lo, 1.0, v[0:1], 1.0
	v_mul_f64 v[54:55], v[52:53], v[50:51]
	v_fma_f64 v[41:42], -v[41:42], v[54:55], v[52:53]
	v_div_fmas_f64 v[41:42], v[41:42], v[50:51], v[54:55]
	v_div_fixup_f64 v[0:1], v[41:42], v[0:1], 1.0
.LBB32_121:
	s_or_b32 exec_lo, exec_lo, s0
	s_mov_b32 s0, exec_lo
	v_cmpx_ne_u32_e64 v49, v40
	s_xor_b32 s0, exec_lo, s0
	s_cbranch_execz .LBB32_127
; %bb.122:
	s_mov_b32 s1, exec_lo
	v_cmpx_eq_u32_e32 7, v49
	s_cbranch_execz .LBB32_126
; %bb.123:
	v_cmp_ne_u32_e32 vcc_lo, 7, v40
	s_xor_b32 s3, s6, -1
	s_and_b32 s7, s3, vcc_lo
	s_and_saveexec_b32 s3, s7
	s_cbranch_execz .LBB32_125
; %bb.124:
	v_ashrrev_i32_e32 v41, 31, v40
	v_lshlrev_b64 v[41:42], 2, v[40:41]
	v_add_co_u32 v41, vcc_lo, v36, v41
	v_add_co_ci_u32_e64 v42, null, v37, v42, vcc_lo
	s_clause 0x1
	global_load_dword v43, v[41:42], off
	global_load_dword v49, v[36:37], off offset:28
	s_waitcnt vmcnt(1)
	global_store_dword v[36:37], v43, off offset:28
	s_waitcnt vmcnt(0)
	global_store_dword v[41:42], v49, off
.LBB32_125:
	s_or_b32 exec_lo, exec_lo, s3
	v_mov_b32_e32 v43, v40
	v_mov_b32_e32 v49, v40
.LBB32_126:
	s_or_b32 exec_lo, exec_lo, s1
.LBB32_127:
	s_andn2_saveexec_b32 s0, s0
	s_cbranch_execz .LBB32_129
; %bb.128:
	v_mov_b32_e32 v40, v30
	v_mov_b32_e32 v41, v31
	;; [unrolled: 1-line block ×8, first 2 shown]
	ds_write2_b64 v46, v[40:41], v[49:50] offset0:8 offset1:9
	v_mov_b32_e32 v49, 7
	v_mov_b32_e32 v55, v14
	v_mov_b32_e32 v56, v15
	v_mov_b32_e32 v57, v8
	v_mov_b32_e32 v58, v9
	v_mov_b32_e32 v59, v12
	v_mov_b32_e32 v60, v13
	v_mov_b32_e32 v61, v6
	v_mov_b32_e32 v62, v7
	ds_write2_b64 v46, v[51:52], v[53:54] offset0:10 offset1:11
	ds_write2_b64 v46, v[55:56], v[57:58] offset0:12 offset1:13
	;; [unrolled: 1-line block ×3, first 2 shown]
	ds_write_b64 v46, v[38:39] offset:128
.LBB32_129:
	s_or_b32 exec_lo, exec_lo, s0
	s_mov_b32 s0, exec_lo
	s_waitcnt lgkmcnt(0)
	s_waitcnt_vscnt null, 0x0
	s_barrier
	buffer_gl0_inv
	v_cmpx_lt_i32_e32 7, v49
	s_cbranch_execz .LBB32_131
; %bb.130:
	v_mul_f64 v[4:5], v[0:1], v[4:5]
	ds_read2_b64 v[50:53], v46 offset0:8 offset1:9
	ds_read2_b64 v[54:57], v46 offset0:10 offset1:11
	;; [unrolled: 1-line block ×4, first 2 shown]
	ds_read_b64 v[0:1], v46 offset:128
	s_waitcnt lgkmcnt(4)
	v_fma_f64 v[30:31], -v[4:5], v[50:51], v[30:31]
	v_fma_f64 v[26:27], -v[4:5], v[52:53], v[26:27]
	s_waitcnt lgkmcnt(3)
	v_fma_f64 v[16:17], -v[4:5], v[54:55], v[16:17]
	v_fma_f64 v[10:11], -v[4:5], v[56:57], v[10:11]
	;; [unrolled: 3-line block ×4, first 2 shown]
	s_waitcnt lgkmcnt(0)
	v_fma_f64 v[38:39], -v[4:5], v[0:1], v[38:39]
.LBB32_131:
	s_or_b32 exec_lo, exec_lo, s0
	v_lshl_add_u32 v0, v49, 3, v46
	s_barrier
	buffer_gl0_inv
	v_mov_b32_e32 v40, 8
	ds_write_b64 v0, v[30:31]
	s_waitcnt lgkmcnt(0)
	s_barrier
	buffer_gl0_inv
	ds_read_b64 v[0:1], v46 offset:64
	s_cmp_lt_i32 s2, 10
	s_cbranch_scc1 .LBB32_134
; %bb.132:
	v_add3_u32 v41, v47, 0, 0x48
	v_mov_b32_e32 v40, 8
	s_mov_b32 s0, 9
.LBB32_133:                             ; =>This Inner Loop Header: Depth=1
	ds_read_b64 v[50:51], v41
	v_add_nc_u32_e32 v41, 8, v41
	s_waitcnt lgkmcnt(0)
	v_cmp_lt_f64_e64 vcc_lo, |v[0:1]|, |v[50:51]|
	v_cndmask_b32_e32 v1, v1, v51, vcc_lo
	v_cndmask_b32_e32 v0, v0, v50, vcc_lo
	v_cndmask_b32_e64 v40, v40, s0, vcc_lo
	s_add_i32 s0, s0, 1
	s_cmp_lg_u32 s2, s0
	s_cbranch_scc1 .LBB32_133
.LBB32_134:
	s_mov_b32 s0, exec_lo
	s_waitcnt lgkmcnt(0)
	v_cmpx_eq_f64_e32 0, v[0:1]
	s_xor_b32 s0, exec_lo, s0
; %bb.135:
	v_cmp_ne_u32_e32 vcc_lo, 0, v48
	v_cndmask_b32_e32 v48, 9, v48, vcc_lo
; %bb.136:
	s_andn2_saveexec_b32 s0, s0
	s_cbranch_execz .LBB32_138
; %bb.137:
	v_div_scale_f64 v[41:42], null, v[0:1], v[0:1], 1.0
	v_rcp_f64_e32 v[50:51], v[41:42]
	v_fma_f64 v[52:53], -v[41:42], v[50:51], 1.0
	v_fma_f64 v[50:51], v[50:51], v[52:53], v[50:51]
	v_fma_f64 v[52:53], -v[41:42], v[50:51], 1.0
	v_fma_f64 v[50:51], v[50:51], v[52:53], v[50:51]
	v_div_scale_f64 v[52:53], vcc_lo, 1.0, v[0:1], 1.0
	v_mul_f64 v[54:55], v[52:53], v[50:51]
	v_fma_f64 v[41:42], -v[41:42], v[54:55], v[52:53]
	v_div_fmas_f64 v[41:42], v[41:42], v[50:51], v[54:55]
	v_div_fixup_f64 v[0:1], v[41:42], v[0:1], 1.0
.LBB32_138:
	s_or_b32 exec_lo, exec_lo, s0
	s_mov_b32 s0, exec_lo
	v_cmpx_ne_u32_e64 v49, v40
	s_xor_b32 s0, exec_lo, s0
	s_cbranch_execz .LBB32_144
; %bb.139:
	s_mov_b32 s1, exec_lo
	v_cmpx_eq_u32_e32 8, v49
	s_cbranch_execz .LBB32_143
; %bb.140:
	v_cmp_ne_u32_e32 vcc_lo, 8, v40
	s_xor_b32 s3, s6, -1
	s_and_b32 s7, s3, vcc_lo
	s_and_saveexec_b32 s3, s7
	s_cbranch_execz .LBB32_142
; %bb.141:
	v_ashrrev_i32_e32 v41, 31, v40
	v_lshlrev_b64 v[41:42], 2, v[40:41]
	v_add_co_u32 v41, vcc_lo, v36, v41
	v_add_co_ci_u32_e64 v42, null, v37, v42, vcc_lo
	s_clause 0x1
	global_load_dword v43, v[41:42], off
	global_load_dword v49, v[36:37], off offset:32
	s_waitcnt vmcnt(1)
	global_store_dword v[36:37], v43, off offset:32
	s_waitcnt vmcnt(0)
	global_store_dword v[41:42], v49, off
.LBB32_142:
	s_or_b32 exec_lo, exec_lo, s3
	v_mov_b32_e32 v43, v40
	v_mov_b32_e32 v49, v40
.LBB32_143:
	s_or_b32 exec_lo, exec_lo, s1
.LBB32_144:
	s_andn2_saveexec_b32 s0, s0
	s_cbranch_execz .LBB32_146
; %bb.145:
	v_mov_b32_e32 v49, 8
	ds_write2_b64 v46, v[26:27], v[16:17] offset0:9 offset1:10
	ds_write2_b64 v46, v[10:11], v[14:15] offset0:11 offset1:12
	;; [unrolled: 1-line block ×4, first 2 shown]
.LBB32_146:
	s_or_b32 exec_lo, exec_lo, s0
	s_mov_b32 s0, exec_lo
	s_waitcnt lgkmcnt(0)
	s_waitcnt_vscnt null, 0x0
	s_barrier
	buffer_gl0_inv
	v_cmpx_lt_i32_e32 8, v49
	s_cbranch_execz .LBB32_148
; %bb.147:
	v_mul_f64 v[30:31], v[0:1], v[30:31]
	ds_read2_b64 v[50:53], v46 offset0:9 offset1:10
	ds_read2_b64 v[54:57], v46 offset0:11 offset1:12
	;; [unrolled: 1-line block ×4, first 2 shown]
	s_waitcnt lgkmcnt(3)
	v_fma_f64 v[26:27], -v[30:31], v[50:51], v[26:27]
	v_fma_f64 v[16:17], -v[30:31], v[52:53], v[16:17]
	s_waitcnt lgkmcnt(2)
	v_fma_f64 v[10:11], -v[30:31], v[54:55], v[10:11]
	v_fma_f64 v[14:15], -v[30:31], v[56:57], v[14:15]
	;; [unrolled: 3-line block ×4, first 2 shown]
.LBB32_148:
	s_or_b32 exec_lo, exec_lo, s0
	v_lshl_add_u32 v0, v49, 3, v46
	s_barrier
	buffer_gl0_inv
	v_mov_b32_e32 v40, 9
	ds_write_b64 v0, v[26:27]
	s_waitcnt lgkmcnt(0)
	s_barrier
	buffer_gl0_inv
	ds_read_b64 v[0:1], v46 offset:72
	s_cmp_lt_i32 s2, 11
	s_cbranch_scc1 .LBB32_151
; %bb.149:
	v_add3_u32 v41, v47, 0, 0x50
	v_mov_b32_e32 v40, 9
	s_mov_b32 s0, 10
.LBB32_150:                             ; =>This Inner Loop Header: Depth=1
	ds_read_b64 v[50:51], v41
	v_add_nc_u32_e32 v41, 8, v41
	s_waitcnt lgkmcnt(0)
	v_cmp_lt_f64_e64 vcc_lo, |v[0:1]|, |v[50:51]|
	v_cndmask_b32_e32 v1, v1, v51, vcc_lo
	v_cndmask_b32_e32 v0, v0, v50, vcc_lo
	v_cndmask_b32_e64 v40, v40, s0, vcc_lo
	s_add_i32 s0, s0, 1
	s_cmp_lg_u32 s2, s0
	s_cbranch_scc1 .LBB32_150
.LBB32_151:
	s_mov_b32 s0, exec_lo
	s_waitcnt lgkmcnt(0)
	v_cmpx_eq_f64_e32 0, v[0:1]
	s_xor_b32 s0, exec_lo, s0
; %bb.152:
	v_cmp_ne_u32_e32 vcc_lo, 0, v48
	v_cndmask_b32_e32 v48, 10, v48, vcc_lo
; %bb.153:
	s_andn2_saveexec_b32 s0, s0
	s_cbranch_execz .LBB32_155
; %bb.154:
	v_div_scale_f64 v[41:42], null, v[0:1], v[0:1], 1.0
	v_rcp_f64_e32 v[50:51], v[41:42]
	v_fma_f64 v[52:53], -v[41:42], v[50:51], 1.0
	v_fma_f64 v[50:51], v[50:51], v[52:53], v[50:51]
	v_fma_f64 v[52:53], -v[41:42], v[50:51], 1.0
	v_fma_f64 v[50:51], v[50:51], v[52:53], v[50:51]
	v_div_scale_f64 v[52:53], vcc_lo, 1.0, v[0:1], 1.0
	v_mul_f64 v[54:55], v[52:53], v[50:51]
	v_fma_f64 v[41:42], -v[41:42], v[54:55], v[52:53]
	v_div_fmas_f64 v[41:42], v[41:42], v[50:51], v[54:55]
	v_div_fixup_f64 v[0:1], v[41:42], v[0:1], 1.0
.LBB32_155:
	s_or_b32 exec_lo, exec_lo, s0
	s_mov_b32 s0, exec_lo
	v_cmpx_ne_u32_e64 v49, v40
	s_xor_b32 s0, exec_lo, s0
	s_cbranch_execz .LBB32_161
; %bb.156:
	s_mov_b32 s1, exec_lo
	v_cmpx_eq_u32_e32 9, v49
	s_cbranch_execz .LBB32_160
; %bb.157:
	v_cmp_ne_u32_e32 vcc_lo, 9, v40
	s_xor_b32 s3, s6, -1
	s_and_b32 s7, s3, vcc_lo
	s_and_saveexec_b32 s3, s7
	s_cbranch_execz .LBB32_159
; %bb.158:
	v_ashrrev_i32_e32 v41, 31, v40
	v_lshlrev_b64 v[41:42], 2, v[40:41]
	v_add_co_u32 v41, vcc_lo, v36, v41
	v_add_co_ci_u32_e64 v42, null, v37, v42, vcc_lo
	s_clause 0x1
	global_load_dword v43, v[41:42], off
	global_load_dword v49, v[36:37], off offset:36
	s_waitcnt vmcnt(1)
	global_store_dword v[36:37], v43, off offset:36
	s_waitcnt vmcnt(0)
	global_store_dword v[41:42], v49, off
.LBB32_159:
	s_or_b32 exec_lo, exec_lo, s3
	v_mov_b32_e32 v43, v40
	v_mov_b32_e32 v49, v40
.LBB32_160:
	s_or_b32 exec_lo, exec_lo, s1
.LBB32_161:
	s_andn2_saveexec_b32 s0, s0
	s_cbranch_execz .LBB32_163
; %bb.162:
	v_mov_b32_e32 v40, v16
	v_mov_b32_e32 v41, v17
	;; [unrolled: 1-line block ×13, first 2 shown]
	ds_write2_b64 v46, v[40:41], v[50:51] offset0:10 offset1:11
	ds_write2_b64 v46, v[52:53], v[54:55] offset0:12 offset1:13
	;; [unrolled: 1-line block ×3, first 2 shown]
	ds_write_b64 v46, v[38:39] offset:128
.LBB32_163:
	s_or_b32 exec_lo, exec_lo, s0
	s_mov_b32 s0, exec_lo
	s_waitcnt lgkmcnt(0)
	s_waitcnt_vscnt null, 0x0
	s_barrier
	buffer_gl0_inv
	v_cmpx_lt_i32_e32 9, v49
	s_cbranch_execz .LBB32_165
; %bb.164:
	v_mul_f64 v[26:27], v[0:1], v[26:27]
	ds_read2_b64 v[50:53], v46 offset0:10 offset1:11
	ds_read2_b64 v[54:57], v46 offset0:12 offset1:13
	;; [unrolled: 1-line block ×3, first 2 shown]
	ds_read_b64 v[0:1], v46 offset:128
	s_waitcnt lgkmcnt(3)
	v_fma_f64 v[16:17], -v[26:27], v[50:51], v[16:17]
	v_fma_f64 v[10:11], -v[26:27], v[52:53], v[10:11]
	s_waitcnt lgkmcnt(2)
	v_fma_f64 v[14:15], -v[26:27], v[54:55], v[14:15]
	v_fma_f64 v[8:9], -v[26:27], v[56:57], v[8:9]
	;; [unrolled: 3-line block ×3, first 2 shown]
	s_waitcnt lgkmcnt(0)
	v_fma_f64 v[38:39], -v[26:27], v[0:1], v[38:39]
.LBB32_165:
	s_or_b32 exec_lo, exec_lo, s0
	v_lshl_add_u32 v0, v49, 3, v46
	s_barrier
	buffer_gl0_inv
	v_mov_b32_e32 v40, 10
	ds_write_b64 v0, v[16:17]
	s_waitcnt lgkmcnt(0)
	s_barrier
	buffer_gl0_inv
	ds_read_b64 v[0:1], v46 offset:80
	s_cmp_lt_i32 s2, 12
	s_cbranch_scc1 .LBB32_168
; %bb.166:
	v_add3_u32 v41, v47, 0, 0x58
	v_mov_b32_e32 v40, 10
	s_mov_b32 s0, 11
.LBB32_167:                             ; =>This Inner Loop Header: Depth=1
	ds_read_b64 v[50:51], v41
	v_add_nc_u32_e32 v41, 8, v41
	s_waitcnt lgkmcnt(0)
	v_cmp_lt_f64_e64 vcc_lo, |v[0:1]|, |v[50:51]|
	v_cndmask_b32_e32 v1, v1, v51, vcc_lo
	v_cndmask_b32_e32 v0, v0, v50, vcc_lo
	v_cndmask_b32_e64 v40, v40, s0, vcc_lo
	s_add_i32 s0, s0, 1
	s_cmp_lg_u32 s2, s0
	s_cbranch_scc1 .LBB32_167
.LBB32_168:
	s_mov_b32 s0, exec_lo
	s_waitcnt lgkmcnt(0)
	v_cmpx_eq_f64_e32 0, v[0:1]
	s_xor_b32 s0, exec_lo, s0
; %bb.169:
	v_cmp_ne_u32_e32 vcc_lo, 0, v48
	v_cndmask_b32_e32 v48, 11, v48, vcc_lo
; %bb.170:
	s_andn2_saveexec_b32 s0, s0
	s_cbranch_execz .LBB32_172
; %bb.171:
	v_div_scale_f64 v[41:42], null, v[0:1], v[0:1], 1.0
	v_rcp_f64_e32 v[50:51], v[41:42]
	v_fma_f64 v[52:53], -v[41:42], v[50:51], 1.0
	v_fma_f64 v[50:51], v[50:51], v[52:53], v[50:51]
	v_fma_f64 v[52:53], -v[41:42], v[50:51], 1.0
	v_fma_f64 v[50:51], v[50:51], v[52:53], v[50:51]
	v_div_scale_f64 v[52:53], vcc_lo, 1.0, v[0:1], 1.0
	v_mul_f64 v[54:55], v[52:53], v[50:51]
	v_fma_f64 v[41:42], -v[41:42], v[54:55], v[52:53]
	v_div_fmas_f64 v[41:42], v[41:42], v[50:51], v[54:55]
	v_div_fixup_f64 v[0:1], v[41:42], v[0:1], 1.0
.LBB32_172:
	s_or_b32 exec_lo, exec_lo, s0
	s_mov_b32 s0, exec_lo
	v_cmpx_ne_u32_e64 v49, v40
	s_xor_b32 s0, exec_lo, s0
	s_cbranch_execz .LBB32_178
; %bb.173:
	s_mov_b32 s1, exec_lo
	v_cmpx_eq_u32_e32 10, v49
	s_cbranch_execz .LBB32_177
; %bb.174:
	v_cmp_ne_u32_e32 vcc_lo, 10, v40
	s_xor_b32 s3, s6, -1
	s_and_b32 s7, s3, vcc_lo
	s_and_saveexec_b32 s3, s7
	s_cbranch_execz .LBB32_176
; %bb.175:
	v_ashrrev_i32_e32 v41, 31, v40
	v_lshlrev_b64 v[41:42], 2, v[40:41]
	v_add_co_u32 v41, vcc_lo, v36, v41
	v_add_co_ci_u32_e64 v42, null, v37, v42, vcc_lo
	s_clause 0x1
	global_load_dword v43, v[41:42], off
	global_load_dword v49, v[36:37], off offset:40
	s_waitcnt vmcnt(1)
	global_store_dword v[36:37], v43, off offset:40
	s_waitcnt vmcnt(0)
	global_store_dword v[41:42], v49, off
.LBB32_176:
	s_or_b32 exec_lo, exec_lo, s3
	v_mov_b32_e32 v43, v40
	v_mov_b32_e32 v49, v40
.LBB32_177:
	s_or_b32 exec_lo, exec_lo, s1
.LBB32_178:
	s_andn2_saveexec_b32 s0, s0
	s_cbranch_execz .LBB32_180
; %bb.179:
	v_mov_b32_e32 v49, 10
	ds_write2_b64 v46, v[10:11], v[14:15] offset0:11 offset1:12
	ds_write2_b64 v46, v[8:9], v[12:13] offset0:13 offset1:14
	;; [unrolled: 1-line block ×3, first 2 shown]
.LBB32_180:
	s_or_b32 exec_lo, exec_lo, s0
	s_mov_b32 s0, exec_lo
	s_waitcnt lgkmcnt(0)
	s_waitcnt_vscnt null, 0x0
	s_barrier
	buffer_gl0_inv
	v_cmpx_lt_i32_e32 10, v49
	s_cbranch_execz .LBB32_182
; %bb.181:
	v_mul_f64 v[16:17], v[0:1], v[16:17]
	ds_read2_b64 v[50:53], v46 offset0:11 offset1:12
	ds_read2_b64 v[54:57], v46 offset0:13 offset1:14
	;; [unrolled: 1-line block ×3, first 2 shown]
	s_waitcnt lgkmcnt(2)
	v_fma_f64 v[10:11], -v[16:17], v[50:51], v[10:11]
	v_fma_f64 v[14:15], -v[16:17], v[52:53], v[14:15]
	s_waitcnt lgkmcnt(1)
	v_fma_f64 v[8:9], -v[16:17], v[54:55], v[8:9]
	v_fma_f64 v[12:13], -v[16:17], v[56:57], v[12:13]
	;; [unrolled: 3-line block ×3, first 2 shown]
.LBB32_182:
	s_or_b32 exec_lo, exec_lo, s0
	v_lshl_add_u32 v0, v49, 3, v46
	s_barrier
	buffer_gl0_inv
	v_mov_b32_e32 v40, 11
	ds_write_b64 v0, v[10:11]
	s_waitcnt lgkmcnt(0)
	s_barrier
	buffer_gl0_inv
	ds_read_b64 v[0:1], v46 offset:88
	s_cmp_lt_i32 s2, 13
	s_cbranch_scc1 .LBB32_185
; %bb.183:
	v_add3_u32 v41, v47, 0, 0x60
	v_mov_b32_e32 v40, 11
	s_mov_b32 s0, 12
.LBB32_184:                             ; =>This Inner Loop Header: Depth=1
	ds_read_b64 v[50:51], v41
	v_add_nc_u32_e32 v41, 8, v41
	s_waitcnt lgkmcnt(0)
	v_cmp_lt_f64_e64 vcc_lo, |v[0:1]|, |v[50:51]|
	v_cndmask_b32_e32 v1, v1, v51, vcc_lo
	v_cndmask_b32_e32 v0, v0, v50, vcc_lo
	v_cndmask_b32_e64 v40, v40, s0, vcc_lo
	s_add_i32 s0, s0, 1
	s_cmp_lg_u32 s2, s0
	s_cbranch_scc1 .LBB32_184
.LBB32_185:
	s_mov_b32 s0, exec_lo
	s_waitcnt lgkmcnt(0)
	v_cmpx_eq_f64_e32 0, v[0:1]
	s_xor_b32 s0, exec_lo, s0
; %bb.186:
	v_cmp_ne_u32_e32 vcc_lo, 0, v48
	v_cndmask_b32_e32 v48, 12, v48, vcc_lo
; %bb.187:
	s_andn2_saveexec_b32 s0, s0
	s_cbranch_execz .LBB32_189
; %bb.188:
	v_div_scale_f64 v[41:42], null, v[0:1], v[0:1], 1.0
	v_rcp_f64_e32 v[50:51], v[41:42]
	v_fma_f64 v[52:53], -v[41:42], v[50:51], 1.0
	v_fma_f64 v[50:51], v[50:51], v[52:53], v[50:51]
	v_fma_f64 v[52:53], -v[41:42], v[50:51], 1.0
	v_fma_f64 v[50:51], v[50:51], v[52:53], v[50:51]
	v_div_scale_f64 v[52:53], vcc_lo, 1.0, v[0:1], 1.0
	v_mul_f64 v[54:55], v[52:53], v[50:51]
	v_fma_f64 v[41:42], -v[41:42], v[54:55], v[52:53]
	v_div_fmas_f64 v[41:42], v[41:42], v[50:51], v[54:55]
	v_div_fixup_f64 v[0:1], v[41:42], v[0:1], 1.0
.LBB32_189:
	s_or_b32 exec_lo, exec_lo, s0
	s_mov_b32 s0, exec_lo
	v_cmpx_ne_u32_e64 v49, v40
	s_xor_b32 s0, exec_lo, s0
	s_cbranch_execz .LBB32_195
; %bb.190:
	s_mov_b32 s1, exec_lo
	v_cmpx_eq_u32_e32 11, v49
	s_cbranch_execz .LBB32_194
; %bb.191:
	v_cmp_ne_u32_e32 vcc_lo, 11, v40
	s_xor_b32 s3, s6, -1
	s_and_b32 s7, s3, vcc_lo
	s_and_saveexec_b32 s3, s7
	s_cbranch_execz .LBB32_193
; %bb.192:
	v_ashrrev_i32_e32 v41, 31, v40
	v_lshlrev_b64 v[41:42], 2, v[40:41]
	v_add_co_u32 v41, vcc_lo, v36, v41
	v_add_co_ci_u32_e64 v42, null, v37, v42, vcc_lo
	s_clause 0x1
	global_load_dword v43, v[41:42], off
	global_load_dword v49, v[36:37], off offset:44
	s_waitcnt vmcnt(1)
	global_store_dword v[36:37], v43, off offset:44
	s_waitcnt vmcnt(0)
	global_store_dword v[41:42], v49, off
.LBB32_193:
	s_or_b32 exec_lo, exec_lo, s3
	v_mov_b32_e32 v43, v40
	v_mov_b32_e32 v49, v40
.LBB32_194:
	s_or_b32 exec_lo, exec_lo, s1
.LBB32_195:
	s_andn2_saveexec_b32 s0, s0
	s_cbranch_execz .LBB32_197
; %bb.196:
	v_mov_b32_e32 v40, v14
	v_mov_b32_e32 v41, v15
	;; [unrolled: 1-line block ×9, first 2 shown]
	ds_write2_b64 v46, v[40:41], v[50:51] offset0:12 offset1:13
	ds_write2_b64 v46, v[52:53], v[54:55] offset0:14 offset1:15
	ds_write_b64 v46, v[38:39] offset:128
.LBB32_197:
	s_or_b32 exec_lo, exec_lo, s0
	s_mov_b32 s0, exec_lo
	s_waitcnt lgkmcnt(0)
	s_waitcnt_vscnt null, 0x0
	s_barrier
	buffer_gl0_inv
	v_cmpx_lt_i32_e32 11, v49
	s_cbranch_execz .LBB32_199
; %bb.198:
	v_mul_f64 v[10:11], v[0:1], v[10:11]
	ds_read2_b64 v[50:53], v46 offset0:12 offset1:13
	ds_read2_b64 v[54:57], v46 offset0:14 offset1:15
	ds_read_b64 v[0:1], v46 offset:128
	s_waitcnt lgkmcnt(2)
	v_fma_f64 v[14:15], -v[10:11], v[50:51], v[14:15]
	v_fma_f64 v[8:9], -v[10:11], v[52:53], v[8:9]
	s_waitcnt lgkmcnt(1)
	v_fma_f64 v[12:13], -v[10:11], v[54:55], v[12:13]
	v_fma_f64 v[6:7], -v[10:11], v[56:57], v[6:7]
	s_waitcnt lgkmcnt(0)
	v_fma_f64 v[38:39], -v[10:11], v[0:1], v[38:39]
.LBB32_199:
	s_or_b32 exec_lo, exec_lo, s0
	v_lshl_add_u32 v0, v49, 3, v46
	s_barrier
	buffer_gl0_inv
	v_mov_b32_e32 v40, 12
	ds_write_b64 v0, v[14:15]
	s_waitcnt lgkmcnt(0)
	s_barrier
	buffer_gl0_inv
	ds_read_b64 v[0:1], v46 offset:96
	s_cmp_lt_i32 s2, 14
	s_cbranch_scc1 .LBB32_202
; %bb.200:
	v_add3_u32 v41, v47, 0, 0x68
	v_mov_b32_e32 v40, 12
	s_mov_b32 s0, 13
.LBB32_201:                             ; =>This Inner Loop Header: Depth=1
	ds_read_b64 v[50:51], v41
	v_add_nc_u32_e32 v41, 8, v41
	s_waitcnt lgkmcnt(0)
	v_cmp_lt_f64_e64 vcc_lo, |v[0:1]|, |v[50:51]|
	v_cndmask_b32_e32 v1, v1, v51, vcc_lo
	v_cndmask_b32_e32 v0, v0, v50, vcc_lo
	v_cndmask_b32_e64 v40, v40, s0, vcc_lo
	s_add_i32 s0, s0, 1
	s_cmp_lg_u32 s2, s0
	s_cbranch_scc1 .LBB32_201
.LBB32_202:
	s_mov_b32 s0, exec_lo
	s_waitcnt lgkmcnt(0)
	v_cmpx_eq_f64_e32 0, v[0:1]
	s_xor_b32 s0, exec_lo, s0
; %bb.203:
	v_cmp_ne_u32_e32 vcc_lo, 0, v48
	v_cndmask_b32_e32 v48, 13, v48, vcc_lo
; %bb.204:
	s_andn2_saveexec_b32 s0, s0
	s_cbranch_execz .LBB32_206
; %bb.205:
	v_div_scale_f64 v[41:42], null, v[0:1], v[0:1], 1.0
	v_rcp_f64_e32 v[50:51], v[41:42]
	v_fma_f64 v[52:53], -v[41:42], v[50:51], 1.0
	v_fma_f64 v[50:51], v[50:51], v[52:53], v[50:51]
	v_fma_f64 v[52:53], -v[41:42], v[50:51], 1.0
	v_fma_f64 v[50:51], v[50:51], v[52:53], v[50:51]
	v_div_scale_f64 v[52:53], vcc_lo, 1.0, v[0:1], 1.0
	v_mul_f64 v[54:55], v[52:53], v[50:51]
	v_fma_f64 v[41:42], -v[41:42], v[54:55], v[52:53]
	v_div_fmas_f64 v[41:42], v[41:42], v[50:51], v[54:55]
	v_div_fixup_f64 v[0:1], v[41:42], v[0:1], 1.0
.LBB32_206:
	s_or_b32 exec_lo, exec_lo, s0
	s_mov_b32 s0, exec_lo
	v_cmpx_ne_u32_e64 v49, v40
	s_xor_b32 s0, exec_lo, s0
	s_cbranch_execz .LBB32_212
; %bb.207:
	s_mov_b32 s1, exec_lo
	v_cmpx_eq_u32_e32 12, v49
	s_cbranch_execz .LBB32_211
; %bb.208:
	v_cmp_ne_u32_e32 vcc_lo, 12, v40
	s_xor_b32 s3, s6, -1
	s_and_b32 s7, s3, vcc_lo
	s_and_saveexec_b32 s3, s7
	s_cbranch_execz .LBB32_210
; %bb.209:
	v_ashrrev_i32_e32 v41, 31, v40
	v_lshlrev_b64 v[41:42], 2, v[40:41]
	v_add_co_u32 v41, vcc_lo, v36, v41
	v_add_co_ci_u32_e64 v42, null, v37, v42, vcc_lo
	s_clause 0x1
	global_load_dword v43, v[41:42], off
	global_load_dword v49, v[36:37], off offset:48
	s_waitcnt vmcnt(1)
	global_store_dword v[36:37], v43, off offset:48
	s_waitcnt vmcnt(0)
	global_store_dword v[41:42], v49, off
.LBB32_210:
	s_or_b32 exec_lo, exec_lo, s3
	v_mov_b32_e32 v43, v40
	v_mov_b32_e32 v49, v40
.LBB32_211:
	s_or_b32 exec_lo, exec_lo, s1
.LBB32_212:
	s_andn2_saveexec_b32 s0, s0
	s_cbranch_execz .LBB32_214
; %bb.213:
	v_mov_b32_e32 v49, 12
	ds_write2_b64 v46, v[8:9], v[12:13] offset0:13 offset1:14
	ds_write2_b64 v46, v[6:7], v[38:39] offset0:15 offset1:16
.LBB32_214:
	s_or_b32 exec_lo, exec_lo, s0
	s_mov_b32 s0, exec_lo
	s_waitcnt lgkmcnt(0)
	s_waitcnt_vscnt null, 0x0
	s_barrier
	buffer_gl0_inv
	v_cmpx_lt_i32_e32 12, v49
	s_cbranch_execz .LBB32_216
; %bb.215:
	v_mul_f64 v[14:15], v[0:1], v[14:15]
	ds_read2_b64 v[50:53], v46 offset0:13 offset1:14
	ds_read2_b64 v[54:57], v46 offset0:15 offset1:16
	s_waitcnt lgkmcnt(1)
	v_fma_f64 v[8:9], -v[14:15], v[50:51], v[8:9]
	v_fma_f64 v[12:13], -v[14:15], v[52:53], v[12:13]
	s_waitcnt lgkmcnt(0)
	v_fma_f64 v[6:7], -v[14:15], v[54:55], v[6:7]
	v_fma_f64 v[38:39], -v[14:15], v[56:57], v[38:39]
.LBB32_216:
	s_or_b32 exec_lo, exec_lo, s0
	v_lshl_add_u32 v0, v49, 3, v46
	s_barrier
	buffer_gl0_inv
	v_mov_b32_e32 v40, 13
	ds_write_b64 v0, v[8:9]
	s_waitcnt lgkmcnt(0)
	s_barrier
	buffer_gl0_inv
	ds_read_b64 v[0:1], v46 offset:104
	s_cmp_lt_i32 s2, 15
	s_cbranch_scc1 .LBB32_219
; %bb.217:
	v_add3_u32 v41, v47, 0, 0x70
	v_mov_b32_e32 v40, 13
	s_mov_b32 s0, 14
.LBB32_218:                             ; =>This Inner Loop Header: Depth=1
	ds_read_b64 v[50:51], v41
	v_add_nc_u32_e32 v41, 8, v41
	s_waitcnt lgkmcnt(0)
	v_cmp_lt_f64_e64 vcc_lo, |v[0:1]|, |v[50:51]|
	v_cndmask_b32_e32 v1, v1, v51, vcc_lo
	v_cndmask_b32_e32 v0, v0, v50, vcc_lo
	v_cndmask_b32_e64 v40, v40, s0, vcc_lo
	s_add_i32 s0, s0, 1
	s_cmp_lg_u32 s2, s0
	s_cbranch_scc1 .LBB32_218
.LBB32_219:
	s_mov_b32 s0, exec_lo
	s_waitcnt lgkmcnt(0)
	v_cmpx_eq_f64_e32 0, v[0:1]
	s_xor_b32 s0, exec_lo, s0
; %bb.220:
	v_cmp_ne_u32_e32 vcc_lo, 0, v48
	v_cndmask_b32_e32 v48, 14, v48, vcc_lo
; %bb.221:
	s_andn2_saveexec_b32 s0, s0
	s_cbranch_execz .LBB32_223
; %bb.222:
	v_div_scale_f64 v[41:42], null, v[0:1], v[0:1], 1.0
	v_rcp_f64_e32 v[50:51], v[41:42]
	v_fma_f64 v[52:53], -v[41:42], v[50:51], 1.0
	v_fma_f64 v[50:51], v[50:51], v[52:53], v[50:51]
	v_fma_f64 v[52:53], -v[41:42], v[50:51], 1.0
	v_fma_f64 v[50:51], v[50:51], v[52:53], v[50:51]
	v_div_scale_f64 v[52:53], vcc_lo, 1.0, v[0:1], 1.0
	v_mul_f64 v[54:55], v[52:53], v[50:51]
	v_fma_f64 v[41:42], -v[41:42], v[54:55], v[52:53]
	v_div_fmas_f64 v[41:42], v[41:42], v[50:51], v[54:55]
	v_div_fixup_f64 v[0:1], v[41:42], v[0:1], 1.0
.LBB32_223:
	s_or_b32 exec_lo, exec_lo, s0
	s_mov_b32 s0, exec_lo
	v_cmpx_ne_u32_e64 v49, v40
	s_xor_b32 s0, exec_lo, s0
	s_cbranch_execz .LBB32_229
; %bb.224:
	s_mov_b32 s1, exec_lo
	v_cmpx_eq_u32_e32 13, v49
	s_cbranch_execz .LBB32_228
; %bb.225:
	v_cmp_ne_u32_e32 vcc_lo, 13, v40
	s_xor_b32 s3, s6, -1
	s_and_b32 s7, s3, vcc_lo
	s_and_saveexec_b32 s3, s7
	s_cbranch_execz .LBB32_227
; %bb.226:
	v_ashrrev_i32_e32 v41, 31, v40
	v_lshlrev_b64 v[41:42], 2, v[40:41]
	v_add_co_u32 v41, vcc_lo, v36, v41
	v_add_co_ci_u32_e64 v42, null, v37, v42, vcc_lo
	s_clause 0x1
	global_load_dword v43, v[41:42], off
	global_load_dword v49, v[36:37], off offset:52
	s_waitcnt vmcnt(1)
	global_store_dword v[36:37], v43, off offset:52
	s_waitcnt vmcnt(0)
	global_store_dword v[41:42], v49, off
.LBB32_227:
	s_or_b32 exec_lo, exec_lo, s3
	v_mov_b32_e32 v43, v40
	v_mov_b32_e32 v49, v40
.LBB32_228:
	s_or_b32 exec_lo, exec_lo, s1
.LBB32_229:
	s_andn2_saveexec_b32 s0, s0
	s_cbranch_execz .LBB32_231
; %bb.230:
	v_mov_b32_e32 v40, v12
	v_mov_b32_e32 v41, v13
	;; [unrolled: 1-line block ×5, first 2 shown]
	ds_write2_b64 v46, v[40:41], v[50:51] offset0:14 offset1:15
	ds_write_b64 v46, v[38:39] offset:128
.LBB32_231:
	s_or_b32 exec_lo, exec_lo, s0
	s_mov_b32 s0, exec_lo
	s_waitcnt lgkmcnt(0)
	s_waitcnt_vscnt null, 0x0
	s_barrier
	buffer_gl0_inv
	v_cmpx_lt_i32_e32 13, v49
	s_cbranch_execz .LBB32_233
; %bb.232:
	v_mul_f64 v[8:9], v[0:1], v[8:9]
	ds_read2_b64 v[50:53], v46 offset0:14 offset1:15
	ds_read_b64 v[0:1], v46 offset:128
	s_waitcnt lgkmcnt(1)
	v_fma_f64 v[12:13], -v[8:9], v[50:51], v[12:13]
	v_fma_f64 v[6:7], -v[8:9], v[52:53], v[6:7]
	s_waitcnt lgkmcnt(0)
	v_fma_f64 v[38:39], -v[8:9], v[0:1], v[38:39]
.LBB32_233:
	s_or_b32 exec_lo, exec_lo, s0
	v_lshl_add_u32 v0, v49, 3, v46
	s_barrier
	buffer_gl0_inv
	v_mov_b32_e32 v40, 14
	ds_write_b64 v0, v[12:13]
	s_waitcnt lgkmcnt(0)
	s_barrier
	buffer_gl0_inv
	ds_read_b64 v[0:1], v46 offset:112
	s_cmp_lt_i32 s2, 16
	s_cbranch_scc1 .LBB32_236
; %bb.234:
	v_add3_u32 v41, v47, 0, 0x78
	v_mov_b32_e32 v40, 14
	s_mov_b32 s0, 15
.LBB32_235:                             ; =>This Inner Loop Header: Depth=1
	ds_read_b64 v[50:51], v41
	v_add_nc_u32_e32 v41, 8, v41
	s_waitcnt lgkmcnt(0)
	v_cmp_lt_f64_e64 vcc_lo, |v[0:1]|, |v[50:51]|
	v_cndmask_b32_e32 v1, v1, v51, vcc_lo
	v_cndmask_b32_e32 v0, v0, v50, vcc_lo
	v_cndmask_b32_e64 v40, v40, s0, vcc_lo
	s_add_i32 s0, s0, 1
	s_cmp_lg_u32 s2, s0
	s_cbranch_scc1 .LBB32_235
.LBB32_236:
	s_mov_b32 s0, exec_lo
	s_waitcnt lgkmcnt(0)
	v_cmpx_eq_f64_e32 0, v[0:1]
	s_xor_b32 s0, exec_lo, s0
; %bb.237:
	v_cmp_ne_u32_e32 vcc_lo, 0, v48
	v_cndmask_b32_e32 v48, 15, v48, vcc_lo
; %bb.238:
	s_andn2_saveexec_b32 s0, s0
	s_cbranch_execz .LBB32_240
; %bb.239:
	v_div_scale_f64 v[41:42], null, v[0:1], v[0:1], 1.0
	v_rcp_f64_e32 v[50:51], v[41:42]
	v_fma_f64 v[52:53], -v[41:42], v[50:51], 1.0
	v_fma_f64 v[50:51], v[50:51], v[52:53], v[50:51]
	v_fma_f64 v[52:53], -v[41:42], v[50:51], 1.0
	v_fma_f64 v[50:51], v[50:51], v[52:53], v[50:51]
	v_div_scale_f64 v[52:53], vcc_lo, 1.0, v[0:1], 1.0
	v_mul_f64 v[54:55], v[52:53], v[50:51]
	v_fma_f64 v[41:42], -v[41:42], v[54:55], v[52:53]
	v_div_fmas_f64 v[41:42], v[41:42], v[50:51], v[54:55]
	v_div_fixup_f64 v[0:1], v[41:42], v[0:1], 1.0
.LBB32_240:
	s_or_b32 exec_lo, exec_lo, s0
	s_mov_b32 s0, exec_lo
	v_cmpx_ne_u32_e64 v49, v40
	s_xor_b32 s0, exec_lo, s0
	s_cbranch_execz .LBB32_246
; %bb.241:
	s_mov_b32 s1, exec_lo
	v_cmpx_eq_u32_e32 14, v49
	s_cbranch_execz .LBB32_245
; %bb.242:
	v_cmp_ne_u32_e32 vcc_lo, 14, v40
	s_xor_b32 s3, s6, -1
	s_and_b32 s7, s3, vcc_lo
	s_and_saveexec_b32 s3, s7
	s_cbranch_execz .LBB32_244
; %bb.243:
	v_ashrrev_i32_e32 v41, 31, v40
	v_lshlrev_b64 v[41:42], 2, v[40:41]
	v_add_co_u32 v41, vcc_lo, v36, v41
	v_add_co_ci_u32_e64 v42, null, v37, v42, vcc_lo
	s_clause 0x1
	global_load_dword v43, v[41:42], off
	global_load_dword v49, v[36:37], off offset:56
	s_waitcnt vmcnt(1)
	global_store_dword v[36:37], v43, off offset:56
	s_waitcnt vmcnt(0)
	global_store_dword v[41:42], v49, off
.LBB32_244:
	s_or_b32 exec_lo, exec_lo, s3
	v_mov_b32_e32 v43, v40
	v_mov_b32_e32 v49, v40
.LBB32_245:
	s_or_b32 exec_lo, exec_lo, s1
.LBB32_246:
	s_andn2_saveexec_b32 s0, s0
; %bb.247:
	v_mov_b32_e32 v49, 14
	ds_write2_b64 v46, v[6:7], v[38:39] offset0:15 offset1:16
; %bb.248:
	s_or_b32 exec_lo, exec_lo, s0
	s_mov_b32 s0, exec_lo
	s_waitcnt lgkmcnt(0)
	s_waitcnt_vscnt null, 0x0
	s_barrier
	buffer_gl0_inv
	v_cmpx_lt_i32_e32 14, v49
	s_cbranch_execz .LBB32_250
; %bb.249:
	v_mul_f64 v[12:13], v[0:1], v[12:13]
	ds_read2_b64 v[50:53], v46 offset0:15 offset1:16
	s_waitcnt lgkmcnt(0)
	v_fma_f64 v[6:7], -v[12:13], v[50:51], v[6:7]
	v_fma_f64 v[38:39], -v[12:13], v[52:53], v[38:39]
.LBB32_250:
	s_or_b32 exec_lo, exec_lo, s0
	v_lshl_add_u32 v0, v49, 3, v46
	s_barrier
	buffer_gl0_inv
	v_mov_b32_e32 v40, 15
	ds_write_b64 v0, v[6:7]
	s_waitcnt lgkmcnt(0)
	s_barrier
	buffer_gl0_inv
	ds_read_b64 v[0:1], v46 offset:120
	s_cmp_lt_i32 s2, 17
	s_cbranch_scc1 .LBB32_253
; %bb.251:
	v_add3_u32 v41, v47, 0, 0x80
	v_mov_b32_e32 v40, 15
	s_mov_b32 s0, 16
.LBB32_252:                             ; =>This Inner Loop Header: Depth=1
	ds_read_b64 v[50:51], v41
	v_add_nc_u32_e32 v41, 8, v41
	s_waitcnt lgkmcnt(0)
	v_cmp_lt_f64_e64 vcc_lo, |v[0:1]|, |v[50:51]|
	v_cndmask_b32_e32 v1, v1, v51, vcc_lo
	v_cndmask_b32_e32 v0, v0, v50, vcc_lo
	v_cndmask_b32_e64 v40, v40, s0, vcc_lo
	s_add_i32 s0, s0, 1
	s_cmp_lg_u32 s2, s0
	s_cbranch_scc1 .LBB32_252
.LBB32_253:
	s_mov_b32 s0, exec_lo
	s_waitcnt lgkmcnt(0)
	v_cmpx_eq_f64_e32 0, v[0:1]
	s_xor_b32 s0, exec_lo, s0
; %bb.254:
	v_cmp_ne_u32_e32 vcc_lo, 0, v48
	v_cndmask_b32_e32 v48, 16, v48, vcc_lo
; %bb.255:
	s_andn2_saveexec_b32 s0, s0
	s_cbranch_execz .LBB32_257
; %bb.256:
	v_div_scale_f64 v[41:42], null, v[0:1], v[0:1], 1.0
	v_rcp_f64_e32 v[50:51], v[41:42]
	v_fma_f64 v[52:53], -v[41:42], v[50:51], 1.0
	v_fma_f64 v[50:51], v[50:51], v[52:53], v[50:51]
	v_fma_f64 v[52:53], -v[41:42], v[50:51], 1.0
	v_fma_f64 v[50:51], v[50:51], v[52:53], v[50:51]
	v_div_scale_f64 v[52:53], vcc_lo, 1.0, v[0:1], 1.0
	v_mul_f64 v[54:55], v[52:53], v[50:51]
	v_fma_f64 v[41:42], -v[41:42], v[54:55], v[52:53]
	v_div_fmas_f64 v[41:42], v[41:42], v[50:51], v[54:55]
	v_div_fixup_f64 v[0:1], v[41:42], v[0:1], 1.0
.LBB32_257:
	s_or_b32 exec_lo, exec_lo, s0
	s_mov_b32 s0, exec_lo
	v_cmpx_ne_u32_e64 v49, v40
	s_xor_b32 s0, exec_lo, s0
	s_cbranch_execz .LBB32_263
; %bb.258:
	s_mov_b32 s1, exec_lo
	v_cmpx_eq_u32_e32 15, v49
	s_cbranch_execz .LBB32_262
; %bb.259:
	v_cmp_ne_u32_e32 vcc_lo, 15, v40
	s_xor_b32 s3, s6, -1
	s_and_b32 s7, s3, vcc_lo
	s_and_saveexec_b32 s3, s7
	s_cbranch_execz .LBB32_261
; %bb.260:
	v_ashrrev_i32_e32 v41, 31, v40
	v_lshlrev_b64 v[41:42], 2, v[40:41]
	v_add_co_u32 v41, vcc_lo, v36, v41
	v_add_co_ci_u32_e64 v42, null, v37, v42, vcc_lo
	s_clause 0x1
	global_load_dword v43, v[41:42], off
	global_load_dword v49, v[36:37], off offset:60
	s_waitcnt vmcnt(1)
	global_store_dword v[36:37], v43, off offset:60
	s_waitcnt vmcnt(0)
	global_store_dword v[41:42], v49, off
.LBB32_261:
	s_or_b32 exec_lo, exec_lo, s3
	v_mov_b32_e32 v43, v40
	v_mov_b32_e32 v49, v40
.LBB32_262:
	s_or_b32 exec_lo, exec_lo, s1
.LBB32_263:
	s_andn2_saveexec_b32 s0, s0
; %bb.264:
	v_mov_b32_e32 v49, 15
	ds_write_b64 v46, v[38:39] offset:128
; %bb.265:
	s_or_b32 exec_lo, exec_lo, s0
	s_mov_b32 s0, exec_lo
	s_waitcnt lgkmcnt(0)
	s_waitcnt_vscnt null, 0x0
	s_barrier
	buffer_gl0_inv
	v_cmpx_lt_i32_e32 15, v49
	s_cbranch_execz .LBB32_267
; %bb.266:
	v_mul_f64 v[6:7], v[0:1], v[6:7]
	ds_read_b64 v[0:1], v46 offset:128
	s_waitcnt lgkmcnt(0)
	v_fma_f64 v[38:39], -v[6:7], v[0:1], v[38:39]
.LBB32_267:
	s_or_b32 exec_lo, exec_lo, s0
	v_lshl_add_u32 v0, v49, 3, v46
	s_barrier
	buffer_gl0_inv
	v_mov_b32_e32 v40, 16
	ds_write_b64 v0, v[38:39]
	s_waitcnt lgkmcnt(0)
	s_barrier
	buffer_gl0_inv
	ds_read_b64 v[0:1], v46 offset:128
	s_cmp_lt_i32 s2, 18
	s_cbranch_scc1 .LBB32_270
; %bb.268:
	v_add3_u32 v41, v47, 0, 0x88
	v_mov_b32_e32 v40, 16
	s_mov_b32 s0, 17
.LBB32_269:                             ; =>This Inner Loop Header: Depth=1
	ds_read_b64 v[46:47], v41
	v_add_nc_u32_e32 v41, 8, v41
	s_waitcnt lgkmcnt(0)
	v_cmp_lt_f64_e64 vcc_lo, |v[0:1]|, |v[46:47]|
	v_cndmask_b32_e32 v1, v1, v47, vcc_lo
	v_cndmask_b32_e32 v0, v0, v46, vcc_lo
	v_cndmask_b32_e64 v40, v40, s0, vcc_lo
	s_add_i32 s0, s0, 1
	s_cmp_lg_u32 s2, s0
	s_cbranch_scc1 .LBB32_269
.LBB32_270:
	s_mov_b32 s0, exec_lo
	s_waitcnt lgkmcnt(0)
	v_cmpx_eq_f64_e32 0, v[0:1]
	s_xor_b32 s0, exec_lo, s0
; %bb.271:
	v_cmp_ne_u32_e32 vcc_lo, 0, v48
	v_cndmask_b32_e32 v48, 17, v48, vcc_lo
; %bb.272:
	s_andn2_saveexec_b32 s0, s0
	s_cbranch_execz .LBB32_274
; %bb.273:
	v_div_scale_f64 v[41:42], null, v[0:1], v[0:1], 1.0
	v_rcp_f64_e32 v[46:47], v[41:42]
	v_fma_f64 v[50:51], -v[41:42], v[46:47], 1.0
	v_fma_f64 v[46:47], v[46:47], v[50:51], v[46:47]
	v_fma_f64 v[50:51], -v[41:42], v[46:47], 1.0
	v_fma_f64 v[46:47], v[46:47], v[50:51], v[46:47]
	v_div_scale_f64 v[50:51], vcc_lo, 1.0, v[0:1], 1.0
	v_mul_f64 v[52:53], v[50:51], v[46:47]
	v_fma_f64 v[41:42], -v[41:42], v[52:53], v[50:51]
	v_div_fmas_f64 v[41:42], v[41:42], v[46:47], v[52:53]
	v_div_fixup_f64 v[0:1], v[41:42], v[0:1], 1.0
.LBB32_274:
	s_or_b32 exec_lo, exec_lo, s0
	v_mov_b32_e32 v41, 16
	s_mov_b32 s0, exec_lo
	v_cmpx_ne_u32_e64 v49, v40
	s_cbranch_execz .LBB32_280
; %bb.275:
	s_mov_b32 s1, exec_lo
	v_cmpx_eq_u32_e32 16, v49
	s_cbranch_execz .LBB32_279
; %bb.276:
	v_cmp_ne_u32_e32 vcc_lo, 16, v40
	s_xor_b32 s2, s6, -1
	s_and_b32 s3, s2, vcc_lo
	s_and_saveexec_b32 s2, s3
	s_cbranch_execz .LBB32_278
; %bb.277:
	v_ashrrev_i32_e32 v41, 31, v40
	v_lshlrev_b64 v[41:42], 2, v[40:41]
	v_add_co_u32 v41, vcc_lo, v36, v41
	v_add_co_ci_u32_e64 v42, null, v37, v42, vcc_lo
	s_clause 0x1
	global_load_dword v43, v[41:42], off
	global_load_dword v46, v[36:37], off offset:64
	s_waitcnt vmcnt(1)
	global_store_dword v[36:37], v43, off offset:64
	s_waitcnt vmcnt(0)
	global_store_dword v[41:42], v46, off
.LBB32_278:
	s_or_b32 exec_lo, exec_lo, s2
	v_mov_b32_e32 v43, v40
	v_mov_b32_e32 v49, v40
.LBB32_279:
	s_or_b32 exec_lo, exec_lo, s1
	v_mov_b32_e32 v41, v49
.LBB32_280:
	s_or_b32 exec_lo, exec_lo, s0
	s_load_dwordx8 s[0:7], s[4:5], 0x28
	v_ashrrev_i32_e32 v42, 31, v41
	s_mov_b32 s9, exec_lo
	s_waitcnt lgkmcnt(0)
	s_waitcnt_vscnt null, 0x0
	s_barrier
	buffer_gl0_inv
	s_barrier
	buffer_gl0_inv
	v_cmpx_gt_i32_e32 17, v41
	s_cbranch_execz .LBB32_282
; %bb.281:
	v_mul_lo_u32 v40, s5, v2
	v_mul_lo_u32 v46, s4, v3
	v_mad_u64_u32 v[36:37], null, s4, v2, 0
	s_lshl_b64 s[2:3], s[2:3], 2
	v_add3_u32 v37, v37, v46, v40
	v_lshlrev_b64 v[36:37], 2, v[36:37]
	v_add_co_u32 v40, vcc_lo, s0, v36
	v_add_co_ci_u32_e64 v46, null, s1, v37, vcc_lo
	v_lshlrev_b64 v[36:37], 2, v[41:42]
	v_add_co_u32 v40, vcc_lo, v40, s2
	v_add_co_ci_u32_e64 v46, null, s3, v46, vcc_lo
	v_add_co_u32 v36, vcc_lo, v40, v36
	v_add_co_ci_u32_e64 v37, null, v46, v37, vcc_lo
	v_add3_u32 v40, v43, s13, 1
	global_store_dword v[36:37], v40, off
.LBB32_282:
	s_or_b32 exec_lo, exec_lo, s9
	s_mov_b32 s1, exec_lo
	v_cmpx_eq_u32_e32 0, v41
	s_cbranch_execz .LBB32_285
; %bb.283:
	v_lshlrev_b64 v[2:3], 2, v[2:3]
	v_cmp_ne_u32_e64 s0, 0, v48
	v_add_co_u32 v2, vcc_lo, s6, v2
	v_add_co_ci_u32_e64 v3, null, s7, v3, vcc_lo
	global_load_dword v36, v[2:3], off
	s_waitcnt vmcnt(0)
	v_cmp_eq_u32_e32 vcc_lo, 0, v36
	s_and_b32 s0, vcc_lo, s0
	s_and_b32 exec_lo, exec_lo, s0
	s_cbranch_execz .LBB32_285
; %bb.284:
	v_add_nc_u32_e32 v36, s13, v48
	global_store_dword v[2:3], v36, off
.LBB32_285:
	s_or_b32 exec_lo, exec_lo, s1
	v_mul_f64 v[0:1], v[0:1], v[38:39]
	v_add3_u32 v2, s8, s8, v41
	v_lshlrev_b64 v[36:37], 3, v[41:42]
	v_cmp_lt_i32_e32 vcc_lo, 16, v41
	v_add_nc_u32_e32 v40, s8, v2
	v_ashrrev_i32_e32 v3, 31, v2
	v_add_co_u32 v36, s0, v44, v36
	v_add_co_ci_u32_e64 v37, null, v45, v37, s0
	v_add_nc_u32_e32 v42, s8, v40
	v_ashrrev_i32_e32 v41, 31, v40
	v_add_co_u32 v46, s0, v36, s10
	v_lshlrev_b64 v[2:3], 3, v[2:3]
	v_add_co_ci_u32_e64 v47, null, s11, v37, s0
	v_ashrrev_i32_e32 v43, 31, v42
	flat_store_dwordx2 v[36:37], v[32:33]
	v_add_nc_u32_e32 v36, s8, v42
	v_lshlrev_b64 v[32:33], 3, v[40:41]
	flat_store_dwordx2 v[46:47], v[28:29]
	v_cndmask_b32_e32 v1, v39, v1, vcc_lo
	v_cndmask_b32_e32 v0, v38, v0, vcc_lo
	v_add_co_u32 v2, vcc_lo, v44, v2
	v_lshlrev_b64 v[28:29], 3, v[42:43]
	v_add_co_ci_u32_e64 v3, null, v45, v3, vcc_lo
	v_add_nc_u32_e32 v38, s8, v36
	v_add_co_u32 v32, vcc_lo, v44, v32
	v_ashrrev_i32_e32 v37, 31, v36
	v_add_co_ci_u32_e64 v33, null, v45, v33, vcc_lo
	v_add_co_u32 v28, vcc_lo, v44, v28
	v_ashrrev_i32_e32 v39, 31, v38
	flat_store_dwordx2 v[2:3], v[20:21]
	v_add_nc_u32_e32 v20, s8, v38
	v_add_co_ci_u32_e64 v29, null, v45, v29, vcc_lo
	v_lshlrev_b64 v[2:3], 3, v[36:37]
	flat_store_dwordx2 v[32:33], v[18:19]
	flat_store_dwordx2 v[28:29], v[34:35]
	v_lshlrev_b64 v[18:19], 3, v[38:39]
	v_add_nc_u32_e32 v28, s8, v20
	v_ashrrev_i32_e32 v21, 31, v20
	v_add_co_u32 v2, vcc_lo, v44, v2
	v_add_co_ci_u32_e64 v3, null, v45, v3, vcc_lo
	v_add_nc_u32_e32 v32, s8, v28
	v_add_co_u32 v18, vcc_lo, v44, v18
	v_lshlrev_b64 v[20:21], 3, v[20:21]
	v_add_co_ci_u32_e64 v19, null, v45, v19, vcc_lo
	v_ashrrev_i32_e32 v29, 31, v28
	v_ashrrev_i32_e32 v33, 31, v32
	flat_store_dwordx2 v[2:3], v[22:23]
	flat_store_dwordx2 v[18:19], v[24:25]
	v_add_nc_u32_e32 v22, s8, v32
	v_add_co_u32 v18, vcc_lo, v44, v20
	v_lshlrev_b64 v[2:3], 3, v[28:29]
	v_add_co_ci_u32_e64 v19, null, v45, v21, vcc_lo
	v_lshlrev_b64 v[20:21], 3, v[32:33]
	v_add_nc_u32_e32 v24, s8, v22
	v_ashrrev_i32_e32 v23, 31, v22
	v_add_co_u32 v2, vcc_lo, v44, v2
	v_add_co_ci_u32_e64 v3, null, v45, v3, vcc_lo
	v_add_co_u32 v20, vcc_lo, v44, v20
	v_ashrrev_i32_e32 v25, 31, v24
	v_add_co_ci_u32_e64 v21, null, v45, v21, vcc_lo
	flat_store_dwordx2 v[18:19], v[4:5]
	v_lshlrev_b64 v[4:5], 3, v[22:23]
	v_add_nc_u32_e32 v18, s8, v24
	flat_store_dwordx2 v[2:3], v[30:31]
	flat_store_dwordx2 v[20:21], v[26:27]
	v_lshlrev_b64 v[2:3], 3, v[24:25]
	v_add_nc_u32_e32 v20, s8, v18
	v_add_co_u32 v4, vcc_lo, v44, v4
	v_add_co_ci_u32_e64 v5, null, v45, v5, vcc_lo
	v_add_co_u32 v2, vcc_lo, v44, v2
	v_add_co_ci_u32_e64 v3, null, v45, v3, vcc_lo
	v_add_nc_u32_e32 v22, s8, v20
	v_ashrrev_i32_e32 v19, 31, v18
	flat_store_dwordx2 v[4:5], v[16:17]
	flat_store_dwordx2 v[2:3], v[10:11]
	v_ashrrev_i32_e32 v21, 31, v20
	v_add_nc_u32_e32 v10, s8, v22
	v_lshlrev_b64 v[4:5], 3, v[18:19]
	v_ashrrev_i32_e32 v23, 31, v22
	v_lshlrev_b64 v[2:3], 3, v[20:21]
	v_add_nc_u32_e32 v18, s8, v10
	v_ashrrev_i32_e32 v11, 31, v10
	v_lshlrev_b64 v[16:17], 3, v[22:23]
	v_add_co_u32 v4, vcc_lo, v44, v4
	v_ashrrev_i32_e32 v19, 31, v18
	v_lshlrev_b64 v[10:11], 3, v[10:11]
	v_add_co_ci_u32_e64 v5, null, v45, v5, vcc_lo
	v_add_co_u32 v2, vcc_lo, v44, v2
	v_lshlrev_b64 v[18:19], 3, v[18:19]
	v_add_co_ci_u32_e64 v3, null, v45, v3, vcc_lo
	v_add_co_u32 v16, vcc_lo, v44, v16
	v_add_co_ci_u32_e64 v17, null, v45, v17, vcc_lo
	v_add_co_u32 v10, vcc_lo, v44, v10
	;; [unrolled: 2-line block ×3, first 2 shown]
	v_add_co_ci_u32_e64 v19, null, v45, v19, vcc_lo
	flat_store_dwordx2 v[4:5], v[14:15]
	flat_store_dwordx2 v[2:3], v[8:9]
	;; [unrolled: 1-line block ×5, first 2 shown]
.LBB32_286:
	s_endpgm
	.section	.rodata,"a",@progbits
	.p2align	6, 0x0
	.amdhsa_kernel _ZN9rocsolver6v33100L18getf2_small_kernelILi17EdiiPKPdEEvT1_T3_lS5_lPS5_llPT2_S5_S5_S7_l
		.amdhsa_group_segment_fixed_size 0
		.amdhsa_private_segment_fixed_size 0
		.amdhsa_kernarg_size 352
		.amdhsa_user_sgpr_count 6
		.amdhsa_user_sgpr_private_segment_buffer 1
		.amdhsa_user_sgpr_dispatch_ptr 0
		.amdhsa_user_sgpr_queue_ptr 0
		.amdhsa_user_sgpr_kernarg_segment_ptr 1
		.amdhsa_user_sgpr_dispatch_id 0
		.amdhsa_user_sgpr_flat_scratch_init 0
		.amdhsa_user_sgpr_private_segment_size 0
		.amdhsa_wavefront_size32 1
		.amdhsa_uses_dynamic_stack 0
		.amdhsa_system_sgpr_private_segment_wavefront_offset 0
		.amdhsa_system_sgpr_workgroup_id_x 1
		.amdhsa_system_sgpr_workgroup_id_y 1
		.amdhsa_system_sgpr_workgroup_id_z 0
		.amdhsa_system_sgpr_workgroup_info 0
		.amdhsa_system_vgpr_workitem_id 1
		.amdhsa_next_free_vgpr 82
		.amdhsa_next_free_sgpr 14
		.amdhsa_reserve_vcc 1
		.amdhsa_reserve_flat_scratch 1
		.amdhsa_float_round_mode_32 0
		.amdhsa_float_round_mode_16_64 0
		.amdhsa_float_denorm_mode_32 3
		.amdhsa_float_denorm_mode_16_64 3
		.amdhsa_dx10_clamp 1
		.amdhsa_ieee_mode 1
		.amdhsa_fp16_overflow 0
		.amdhsa_workgroup_processor_mode 1
		.amdhsa_memory_ordered 1
		.amdhsa_forward_progress 1
		.amdhsa_shared_vgpr_count 0
		.amdhsa_exception_fp_ieee_invalid_op 0
		.amdhsa_exception_fp_denorm_src 0
		.amdhsa_exception_fp_ieee_div_zero 0
		.amdhsa_exception_fp_ieee_overflow 0
		.amdhsa_exception_fp_ieee_underflow 0
		.amdhsa_exception_fp_ieee_inexact 0
		.amdhsa_exception_int_div_zero 0
	.end_amdhsa_kernel
	.section	.text._ZN9rocsolver6v33100L18getf2_small_kernelILi17EdiiPKPdEEvT1_T3_lS5_lPS5_llPT2_S5_S5_S7_l,"axG",@progbits,_ZN9rocsolver6v33100L18getf2_small_kernelILi17EdiiPKPdEEvT1_T3_lS5_lPS5_llPT2_S5_S5_S7_l,comdat
.Lfunc_end32:
	.size	_ZN9rocsolver6v33100L18getf2_small_kernelILi17EdiiPKPdEEvT1_T3_lS5_lPS5_llPT2_S5_S5_S7_l, .Lfunc_end32-_ZN9rocsolver6v33100L18getf2_small_kernelILi17EdiiPKPdEEvT1_T3_lS5_lPS5_llPT2_S5_S5_S7_l
                                        ; -- End function
	.set _ZN9rocsolver6v33100L18getf2_small_kernelILi17EdiiPKPdEEvT1_T3_lS5_lPS5_llPT2_S5_S5_S7_l.num_vgpr, 82
	.set _ZN9rocsolver6v33100L18getf2_small_kernelILi17EdiiPKPdEEvT1_T3_lS5_lPS5_llPT2_S5_S5_S7_l.num_agpr, 0
	.set _ZN9rocsolver6v33100L18getf2_small_kernelILi17EdiiPKPdEEvT1_T3_lS5_lPS5_llPT2_S5_S5_S7_l.numbered_sgpr, 14
	.set _ZN9rocsolver6v33100L18getf2_small_kernelILi17EdiiPKPdEEvT1_T3_lS5_lPS5_llPT2_S5_S5_S7_l.num_named_barrier, 0
	.set _ZN9rocsolver6v33100L18getf2_small_kernelILi17EdiiPKPdEEvT1_T3_lS5_lPS5_llPT2_S5_S5_S7_l.private_seg_size, 0
	.set _ZN9rocsolver6v33100L18getf2_small_kernelILi17EdiiPKPdEEvT1_T3_lS5_lPS5_llPT2_S5_S5_S7_l.uses_vcc, 1
	.set _ZN9rocsolver6v33100L18getf2_small_kernelILi17EdiiPKPdEEvT1_T3_lS5_lPS5_llPT2_S5_S5_S7_l.uses_flat_scratch, 1
	.set _ZN9rocsolver6v33100L18getf2_small_kernelILi17EdiiPKPdEEvT1_T3_lS5_lPS5_llPT2_S5_S5_S7_l.has_dyn_sized_stack, 0
	.set _ZN9rocsolver6v33100L18getf2_small_kernelILi17EdiiPKPdEEvT1_T3_lS5_lPS5_llPT2_S5_S5_S7_l.has_recursion, 0
	.set _ZN9rocsolver6v33100L18getf2_small_kernelILi17EdiiPKPdEEvT1_T3_lS5_lPS5_llPT2_S5_S5_S7_l.has_indirect_call, 0
	.section	.AMDGPU.csdata,"",@progbits
; Kernel info:
; codeLenInByte = 12524
; TotalNumSgprs: 16
; NumVgprs: 82
; ScratchSize: 0
; MemoryBound: 0
; FloatMode: 240
; IeeeMode: 1
; LDSByteSize: 0 bytes/workgroup (compile time only)
; SGPRBlocks: 0
; VGPRBlocks: 10
; NumSGPRsForWavesPerEU: 16
; NumVGPRsForWavesPerEU: 82
; Occupancy: 10
; WaveLimiterHint : 1
; COMPUTE_PGM_RSRC2:SCRATCH_EN: 0
; COMPUTE_PGM_RSRC2:USER_SGPR: 6
; COMPUTE_PGM_RSRC2:TRAP_HANDLER: 0
; COMPUTE_PGM_RSRC2:TGID_X_EN: 1
; COMPUTE_PGM_RSRC2:TGID_Y_EN: 1
; COMPUTE_PGM_RSRC2:TGID_Z_EN: 0
; COMPUTE_PGM_RSRC2:TIDIG_COMP_CNT: 1
	.section	.text._ZN9rocsolver6v33100L23getf2_npvt_small_kernelILi17EdiiPKPdEEvT1_T3_lS5_lPT2_S5_S5_,"axG",@progbits,_ZN9rocsolver6v33100L23getf2_npvt_small_kernelILi17EdiiPKPdEEvT1_T3_lS5_lPT2_S5_S5_,comdat
	.globl	_ZN9rocsolver6v33100L23getf2_npvt_small_kernelILi17EdiiPKPdEEvT1_T3_lS5_lPT2_S5_S5_ ; -- Begin function _ZN9rocsolver6v33100L23getf2_npvt_small_kernelILi17EdiiPKPdEEvT1_T3_lS5_lPT2_S5_S5_
	.p2align	8
	.type	_ZN9rocsolver6v33100L23getf2_npvt_small_kernelILi17EdiiPKPdEEvT1_T3_lS5_lPT2_S5_S5_,@function
_ZN9rocsolver6v33100L23getf2_npvt_small_kernelILi17EdiiPKPdEEvT1_T3_lS5_lPT2_S5_S5_: ; @_ZN9rocsolver6v33100L23getf2_npvt_small_kernelILi17EdiiPKPdEEvT1_T3_lS5_lPT2_S5_S5_
; %bb.0:
	s_clause 0x1
	s_load_dword s0, s[4:5], 0x44
	s_load_dwordx2 s[8:9], s[4:5], 0x30
	s_waitcnt lgkmcnt(0)
	s_lshr_b32 s10, s0, 16
	s_mov_b32 s0, exec_lo
	v_mad_u64_u32 v[2:3], null, s7, s10, v[1:2]
	v_cmpx_gt_i32_e64 s8, v2
	s_cbranch_execz .LBB33_88
; %bb.1:
	s_clause 0x1
	s_load_dwordx4 s[0:3], s[4:5], 0x8
	s_load_dword s6, s[4:5], 0x18
	v_ashrrev_i32_e32 v3, 31, v2
	v_lshlrev_b32_e32 v38, 3, v0
	v_lshlrev_b32_e32 v72, 3, v1
	s_mulk_i32 s10, 0x88
	v_mad_u32_u24 v104, 0x88, v1, 0
	v_lshlrev_b64 v[4:5], 3, v[2:3]
	v_add3_u32 v1, 0, s10, v72
	s_waitcnt lgkmcnt(0)
	v_add_co_u32 v4, vcc_lo, s0, v4
	v_add_co_ci_u32_e64 v5, null, s1, v5, vcc_lo
	v_add3_u32 v6, s6, s6, v0
	s_lshl_b64 s[0:1], s[2:3], 3
	s_ashr_i32 s7, s6, 31
	global_load_dwordx2 v[4:5], v[4:5], off
	s_lshl_b64 s[2:3], s[6:7], 3
	v_add_nc_u32_e32 v8, s6, v6
	v_ashrrev_i32_e32 v7, 31, v6
	v_add_nc_u32_e32 v10, s6, v8
	v_ashrrev_i32_e32 v9, 31, v8
	v_lshlrev_b64 v[6:7], 3, v[6:7]
	v_add_nc_u32_e32 v12, s6, v10
	v_ashrrev_i32_e32 v11, 31, v10
	v_lshlrev_b64 v[8:9], 3, v[8:9]
	;; [unrolled: 3-line block ×9, first 2 shown]
	v_add_nc_u32_e32 v28, s6, v26
	v_lshlrev_b64 v[34:35], 3, v[24:25]
	v_ashrrev_i32_e32 v27, 31, v26
	v_add_nc_u32_e32 v30, s6, v28
	v_ashrrev_i32_e32 v29, 31, v28
	v_lshlrev_b64 v[26:27], 3, v[26:27]
	v_add_nc_u32_e32 v32, s6, v30
	v_ashrrev_i32_e32 v31, 31, v30
	v_lshlrev_b64 v[28:29], 3, v[28:29]
	;; [unrolled: 3-line block ×3, first 2 shown]
	v_ashrrev_i32_e32 v25, 31, v24
	v_lshlrev_b64 v[32:33], 3, v[32:33]
	v_lshlrev_b64 v[36:37], 3, v[24:25]
	s_waitcnt vmcnt(0)
	v_add_co_u32 v39, vcc_lo, v4, s0
	v_add_co_ci_u32_e64 v40, null, s1, v5, vcc_lo
	v_cmp_ne_u32_e64 s1, 0, v0
	v_add_co_u32 v4, vcc_lo, v39, v38
	v_add_co_ci_u32_e64 v5, null, 0, v40, vcc_lo
	v_add_co_u32 v6, vcc_lo, v39, v6
	v_add_co_ci_u32_e64 v7, null, v40, v7, vcc_lo
	;; [unrolled: 2-line block ×17, first 2 shown]
	s_clause 0x10
	flat_load_dwordx2 v[58:59], v[10:11]
	flat_load_dwordx2 v[50:51], v[12:13]
	flat_load_dwordx2 v[56:57], v[14:15]
	flat_load_dwordx2 v[48:49], v[16:17]
	flat_load_dwordx2 v[54:55], v[18:19]
	flat_load_dwordx2 v[46:47], v[20:21]
	flat_load_dwordx2 v[52:53], v[24:25]
	flat_load_dwordx2 v[40:41], v[22:23]
	flat_load_dwordx2 v[44:45], v[26:27]
	flat_load_dwordx2 v[38:39], v[28:29]
	flat_load_dwordx2 v[42:43], v[30:31]
	flat_load_dwordx2 v[36:37], v[32:33]
	flat_load_dwordx2 v[64:65], v[4:5]
	flat_load_dwordx2 v[68:69], v[60:61]
	flat_load_dwordx2 v[70:71], v[6:7]
	flat_load_dwordx2 v[66:67], v[8:9]
	flat_load_dwordx2 v[62:63], v[34:35]
	v_cmp_eq_u32_e64 s0, 0, v0
	s_and_saveexec_b32 s2, s0
	s_cbranch_execz .LBB33_4
; %bb.2:
	s_waitcnt vmcnt(4) lgkmcnt(4)
	ds_write_b64 v1, v[64:65]
	s_waitcnt vmcnt(2) lgkmcnt(3)
	ds_write2_b64 v104, v[68:69], v[70:71] offset0:1 offset1:2
	s_waitcnt vmcnt(1) lgkmcnt(3)
	ds_write2_b64 v104, v[66:67], v[58:59] offset0:3 offset1:4
	ds_write2_b64 v104, v[50:51], v[56:57] offset0:5 offset1:6
	;; [unrolled: 1-line block ×6, first 2 shown]
	s_waitcnt vmcnt(0) lgkmcnt(8)
	ds_write2_b64 v104, v[36:37], v[62:63] offset0:15 offset1:16
	ds_read_b64 v[72:73], v1
	s_waitcnt lgkmcnt(0)
	v_cmp_neq_f64_e32 vcc_lo, 0, v[72:73]
	s_and_b32 exec_lo, exec_lo, vcc_lo
	s_cbranch_execz .LBB33_4
; %bb.3:
	v_div_scale_f64 v[74:75], null, v[72:73], v[72:73], 1.0
	v_rcp_f64_e32 v[76:77], v[74:75]
	v_fma_f64 v[78:79], -v[74:75], v[76:77], 1.0
	v_fma_f64 v[76:77], v[76:77], v[78:79], v[76:77]
	v_fma_f64 v[78:79], -v[74:75], v[76:77], 1.0
	v_fma_f64 v[76:77], v[76:77], v[78:79], v[76:77]
	v_div_scale_f64 v[78:79], vcc_lo, 1.0, v[72:73], 1.0
	v_mul_f64 v[80:81], v[78:79], v[76:77]
	v_fma_f64 v[74:75], -v[74:75], v[80:81], v[78:79]
	v_div_fmas_f64 v[74:75], v[74:75], v[76:77], v[80:81]
	v_div_fixup_f64 v[72:73], v[74:75], v[72:73], 1.0
	ds_write_b64 v1, v[72:73]
.LBB33_4:
	s_or_b32 exec_lo, exec_lo, s2
	s_waitcnt vmcnt(0) lgkmcnt(0)
	s_barrier
	buffer_gl0_inv
	ds_read_b64 v[72:73], v1
	s_and_saveexec_b32 s2, s1
	s_cbranch_execz .LBB33_6
; %bb.5:
	s_waitcnt lgkmcnt(0)
	v_mul_f64 v[64:65], v[72:73], v[64:65]
	ds_read2_b64 v[74:77], v104 offset0:1 offset1:2
	ds_read2_b64 v[78:81], v104 offset0:3 offset1:4
	;; [unrolled: 1-line block ×8, first 2 shown]
	s_waitcnt lgkmcnt(7)
	v_fma_f64 v[68:69], -v[64:65], v[74:75], v[68:69]
	v_fma_f64 v[70:71], -v[64:65], v[76:77], v[70:71]
	s_waitcnt lgkmcnt(6)
	v_fma_f64 v[66:67], -v[64:65], v[78:79], v[66:67]
	v_fma_f64 v[58:59], -v[64:65], v[80:81], v[58:59]
	;; [unrolled: 3-line block ×8, first 2 shown]
.LBB33_6:
	s_or_b32 exec_lo, exec_lo, s2
	s_mov_b32 s1, exec_lo
	s_waitcnt lgkmcnt(0)
	s_barrier
	buffer_gl0_inv
	v_cmpx_eq_u32_e32 1, v0
	s_cbranch_execz .LBB33_9
; %bb.7:
	v_mov_b32_e32 v74, v70
	v_mov_b32_e32 v75, v71
	;; [unrolled: 1-line block ×8, first 2 shown]
	ds_write_b64 v1, v[68:69]
	ds_write2_b64 v104, v[74:75], v[76:77] offset0:2 offset1:3
	ds_write2_b64 v104, v[78:79], v[80:81] offset0:4 offset1:5
	v_mov_b32_e32 v74, v56
	v_mov_b32_e32 v75, v57
	;; [unrolled: 1-line block ×20, first 2 shown]
	ds_write2_b64 v104, v[74:75], v[76:77] offset0:6 offset1:7
	ds_write2_b64 v104, v[78:79], v[80:81] offset0:8 offset1:9
	;; [unrolled: 1-line block ×5, first 2 shown]
	ds_write_b64 v104, v[62:63] offset:128
	ds_read_b64 v[74:75], v1
	s_waitcnt lgkmcnt(0)
	v_cmp_neq_f64_e32 vcc_lo, 0, v[74:75]
	s_and_b32 exec_lo, exec_lo, vcc_lo
	s_cbranch_execz .LBB33_9
; %bb.8:
	v_div_scale_f64 v[76:77], null, v[74:75], v[74:75], 1.0
	v_rcp_f64_e32 v[78:79], v[76:77]
	v_fma_f64 v[80:81], -v[76:77], v[78:79], 1.0
	v_fma_f64 v[78:79], v[78:79], v[80:81], v[78:79]
	v_fma_f64 v[80:81], -v[76:77], v[78:79], 1.0
	v_fma_f64 v[78:79], v[78:79], v[80:81], v[78:79]
	v_div_scale_f64 v[80:81], vcc_lo, 1.0, v[74:75], 1.0
	v_mul_f64 v[82:83], v[80:81], v[78:79]
	v_fma_f64 v[76:77], -v[76:77], v[82:83], v[80:81]
	v_div_fmas_f64 v[76:77], v[76:77], v[78:79], v[82:83]
	v_div_fixup_f64 v[74:75], v[76:77], v[74:75], 1.0
	ds_write_b64 v1, v[74:75]
.LBB33_9:
	s_or_b32 exec_lo, exec_lo, s1
	s_waitcnt lgkmcnt(0)
	s_barrier
	buffer_gl0_inv
	ds_read_b64 v[74:75], v1
	s_mov_b32 s1, exec_lo
	v_cmpx_lt_u32_e32 1, v0
	s_cbranch_execz .LBB33_11
; %bb.10:
	s_waitcnt lgkmcnt(0)
	v_mul_f64 v[68:69], v[74:75], v[68:69]
	ds_read2_b64 v[76:79], v104 offset0:2 offset1:3
	ds_read2_b64 v[80:83], v104 offset0:4 offset1:5
	;; [unrolled: 1-line block ×7, first 2 shown]
	ds_read_b64 v[105:106], v104 offset:128
	s_waitcnt lgkmcnt(7)
	v_fma_f64 v[70:71], -v[68:69], v[76:77], v[70:71]
	v_fma_f64 v[66:67], -v[68:69], v[78:79], v[66:67]
	s_waitcnt lgkmcnt(6)
	v_fma_f64 v[58:59], -v[68:69], v[80:81], v[58:59]
	v_fma_f64 v[50:51], -v[68:69], v[82:83], v[50:51]
	;; [unrolled: 3-line block ×7, first 2 shown]
	s_waitcnt lgkmcnt(0)
	v_fma_f64 v[62:63], -v[68:69], v[105:106], v[62:63]
.LBB33_11:
	s_or_b32 exec_lo, exec_lo, s1
	s_mov_b32 s1, exec_lo
	s_waitcnt lgkmcnt(0)
	s_barrier
	buffer_gl0_inv
	v_cmpx_eq_u32_e32 2, v0
	s_cbranch_execz .LBB33_14
; %bb.12:
	ds_write_b64 v1, v[70:71]
	ds_write2_b64 v104, v[66:67], v[58:59] offset0:3 offset1:4
	ds_write2_b64 v104, v[50:51], v[56:57] offset0:5 offset1:6
	;; [unrolled: 1-line block ×7, first 2 shown]
	ds_read_b64 v[76:77], v1
	s_waitcnt lgkmcnt(0)
	v_cmp_neq_f64_e32 vcc_lo, 0, v[76:77]
	s_and_b32 exec_lo, exec_lo, vcc_lo
	s_cbranch_execz .LBB33_14
; %bb.13:
	v_div_scale_f64 v[78:79], null, v[76:77], v[76:77], 1.0
	v_rcp_f64_e32 v[80:81], v[78:79]
	v_fma_f64 v[82:83], -v[78:79], v[80:81], 1.0
	v_fma_f64 v[80:81], v[80:81], v[82:83], v[80:81]
	v_fma_f64 v[82:83], -v[78:79], v[80:81], 1.0
	v_fma_f64 v[80:81], v[80:81], v[82:83], v[80:81]
	v_div_scale_f64 v[82:83], vcc_lo, 1.0, v[76:77], 1.0
	v_mul_f64 v[84:85], v[82:83], v[80:81]
	v_fma_f64 v[78:79], -v[78:79], v[84:85], v[82:83]
	v_div_fmas_f64 v[78:79], v[78:79], v[80:81], v[84:85]
	v_div_fixup_f64 v[76:77], v[78:79], v[76:77], 1.0
	ds_write_b64 v1, v[76:77]
.LBB33_14:
	s_or_b32 exec_lo, exec_lo, s1
	s_waitcnt lgkmcnt(0)
	s_barrier
	buffer_gl0_inv
	ds_read_b64 v[76:77], v1
	s_mov_b32 s1, exec_lo
	v_cmpx_lt_u32_e32 2, v0
	s_cbranch_execz .LBB33_16
; %bb.15:
	s_waitcnt lgkmcnt(0)
	v_mul_f64 v[70:71], v[76:77], v[70:71]
	ds_read2_b64 v[78:81], v104 offset0:3 offset1:4
	ds_read2_b64 v[82:85], v104 offset0:5 offset1:6
	ds_read2_b64 v[86:89], v104 offset0:7 offset1:8
	ds_read2_b64 v[90:93], v104 offset0:9 offset1:10
	ds_read2_b64 v[94:97], v104 offset0:11 offset1:12
	ds_read2_b64 v[98:101], v104 offset0:13 offset1:14
	ds_read2_b64 v[105:108], v104 offset0:15 offset1:16
	s_waitcnt lgkmcnt(6)
	v_fma_f64 v[66:67], -v[70:71], v[78:79], v[66:67]
	v_fma_f64 v[58:59], -v[70:71], v[80:81], v[58:59]
	s_waitcnt lgkmcnt(5)
	v_fma_f64 v[50:51], -v[70:71], v[82:83], v[50:51]
	v_fma_f64 v[56:57], -v[70:71], v[84:85], v[56:57]
	;; [unrolled: 3-line block ×7, first 2 shown]
.LBB33_16:
	s_or_b32 exec_lo, exec_lo, s1
	s_mov_b32 s1, exec_lo
	s_waitcnt lgkmcnt(0)
	s_barrier
	buffer_gl0_inv
	v_cmpx_eq_u32_e32 3, v0
	s_cbranch_execz .LBB33_19
; %bb.17:
	v_mov_b32_e32 v78, v58
	v_mov_b32_e32 v79, v59
	;; [unrolled: 1-line block ×4, first 2 shown]
	ds_write_b64 v1, v[66:67]
	ds_write2_b64 v104, v[78:79], v[80:81] offset0:4 offset1:5
	v_mov_b32_e32 v78, v56
	v_mov_b32_e32 v79, v57
	;; [unrolled: 1-line block ×20, first 2 shown]
	ds_write2_b64 v104, v[78:79], v[80:81] offset0:6 offset1:7
	ds_write2_b64 v104, v[82:83], v[84:85] offset0:8 offset1:9
	;; [unrolled: 1-line block ×5, first 2 shown]
	ds_write_b64 v104, v[62:63] offset:128
	ds_read_b64 v[78:79], v1
	s_waitcnt lgkmcnt(0)
	v_cmp_neq_f64_e32 vcc_lo, 0, v[78:79]
	s_and_b32 exec_lo, exec_lo, vcc_lo
	s_cbranch_execz .LBB33_19
; %bb.18:
	v_div_scale_f64 v[80:81], null, v[78:79], v[78:79], 1.0
	v_rcp_f64_e32 v[82:83], v[80:81]
	v_fma_f64 v[84:85], -v[80:81], v[82:83], 1.0
	v_fma_f64 v[82:83], v[82:83], v[84:85], v[82:83]
	v_fma_f64 v[84:85], -v[80:81], v[82:83], 1.0
	v_fma_f64 v[82:83], v[82:83], v[84:85], v[82:83]
	v_div_scale_f64 v[84:85], vcc_lo, 1.0, v[78:79], 1.0
	v_mul_f64 v[86:87], v[84:85], v[82:83]
	v_fma_f64 v[80:81], -v[80:81], v[86:87], v[84:85]
	v_div_fmas_f64 v[80:81], v[80:81], v[82:83], v[86:87]
	v_div_fixup_f64 v[78:79], v[80:81], v[78:79], 1.0
	ds_write_b64 v1, v[78:79]
.LBB33_19:
	s_or_b32 exec_lo, exec_lo, s1
	s_waitcnt lgkmcnt(0)
	s_barrier
	buffer_gl0_inv
	ds_read_b64 v[78:79], v1
	s_mov_b32 s1, exec_lo
	v_cmpx_lt_u32_e32 3, v0
	s_cbranch_execz .LBB33_21
; %bb.20:
	s_waitcnt lgkmcnt(0)
	v_mul_f64 v[66:67], v[78:79], v[66:67]
	ds_read2_b64 v[80:83], v104 offset0:4 offset1:5
	ds_read2_b64 v[84:87], v104 offset0:6 offset1:7
	;; [unrolled: 1-line block ×6, first 2 shown]
	ds_read_b64 v[105:106], v104 offset:128
	s_waitcnt lgkmcnt(6)
	v_fma_f64 v[58:59], -v[66:67], v[80:81], v[58:59]
	v_fma_f64 v[50:51], -v[66:67], v[82:83], v[50:51]
	s_waitcnt lgkmcnt(5)
	v_fma_f64 v[56:57], -v[66:67], v[84:85], v[56:57]
	v_fma_f64 v[48:49], -v[66:67], v[86:87], v[48:49]
	;; [unrolled: 3-line block ×6, first 2 shown]
	s_waitcnt lgkmcnt(0)
	v_fma_f64 v[62:63], -v[66:67], v[105:106], v[62:63]
.LBB33_21:
	s_or_b32 exec_lo, exec_lo, s1
	s_mov_b32 s1, exec_lo
	s_waitcnt lgkmcnt(0)
	s_barrier
	buffer_gl0_inv
	v_cmpx_eq_u32_e32 4, v0
	s_cbranch_execz .LBB33_24
; %bb.22:
	ds_write_b64 v1, v[58:59]
	ds_write2_b64 v104, v[50:51], v[56:57] offset0:5 offset1:6
	ds_write2_b64 v104, v[48:49], v[54:55] offset0:7 offset1:8
	;; [unrolled: 1-line block ×6, first 2 shown]
	ds_read_b64 v[80:81], v1
	s_waitcnt lgkmcnt(0)
	v_cmp_neq_f64_e32 vcc_lo, 0, v[80:81]
	s_and_b32 exec_lo, exec_lo, vcc_lo
	s_cbranch_execz .LBB33_24
; %bb.23:
	v_div_scale_f64 v[82:83], null, v[80:81], v[80:81], 1.0
	v_rcp_f64_e32 v[84:85], v[82:83]
	v_fma_f64 v[86:87], -v[82:83], v[84:85], 1.0
	v_fma_f64 v[84:85], v[84:85], v[86:87], v[84:85]
	v_fma_f64 v[86:87], -v[82:83], v[84:85], 1.0
	v_fma_f64 v[84:85], v[84:85], v[86:87], v[84:85]
	v_div_scale_f64 v[86:87], vcc_lo, 1.0, v[80:81], 1.0
	v_mul_f64 v[88:89], v[86:87], v[84:85]
	v_fma_f64 v[82:83], -v[82:83], v[88:89], v[86:87]
	v_div_fmas_f64 v[82:83], v[82:83], v[84:85], v[88:89]
	v_div_fixup_f64 v[80:81], v[82:83], v[80:81], 1.0
	ds_write_b64 v1, v[80:81]
.LBB33_24:
	s_or_b32 exec_lo, exec_lo, s1
	s_waitcnt lgkmcnt(0)
	s_barrier
	buffer_gl0_inv
	ds_read_b64 v[80:81], v1
	s_mov_b32 s1, exec_lo
	v_cmpx_lt_u32_e32 4, v0
	s_cbranch_execz .LBB33_26
; %bb.25:
	s_waitcnt lgkmcnt(0)
	v_mul_f64 v[58:59], v[80:81], v[58:59]
	ds_read2_b64 v[82:85], v104 offset0:5 offset1:6
	ds_read2_b64 v[86:89], v104 offset0:7 offset1:8
	;; [unrolled: 1-line block ×6, first 2 shown]
	s_waitcnt lgkmcnt(5)
	v_fma_f64 v[50:51], -v[58:59], v[82:83], v[50:51]
	v_fma_f64 v[56:57], -v[58:59], v[84:85], v[56:57]
	s_waitcnt lgkmcnt(4)
	v_fma_f64 v[48:49], -v[58:59], v[86:87], v[48:49]
	v_fma_f64 v[54:55], -v[58:59], v[88:89], v[54:55]
	;; [unrolled: 3-line block ×6, first 2 shown]
.LBB33_26:
	s_or_b32 exec_lo, exec_lo, s1
	s_mov_b32 s1, exec_lo
	s_waitcnt lgkmcnt(0)
	s_barrier
	buffer_gl0_inv
	v_cmpx_eq_u32_e32 5, v0
	s_cbranch_execz .LBB33_29
; %bb.27:
	v_mov_b32_e32 v82, v56
	v_mov_b32_e32 v83, v57
	;; [unrolled: 1-line block ×20, first 2 shown]
	ds_write_b64 v1, v[50:51]
	ds_write2_b64 v104, v[82:83], v[84:85] offset0:6 offset1:7
	ds_write2_b64 v104, v[86:87], v[88:89] offset0:8 offset1:9
	;; [unrolled: 1-line block ×5, first 2 shown]
	ds_write_b64 v104, v[62:63] offset:128
	ds_read_b64 v[82:83], v1
	s_waitcnt lgkmcnt(0)
	v_cmp_neq_f64_e32 vcc_lo, 0, v[82:83]
	s_and_b32 exec_lo, exec_lo, vcc_lo
	s_cbranch_execz .LBB33_29
; %bb.28:
	v_div_scale_f64 v[84:85], null, v[82:83], v[82:83], 1.0
	v_rcp_f64_e32 v[86:87], v[84:85]
	v_fma_f64 v[88:89], -v[84:85], v[86:87], 1.0
	v_fma_f64 v[86:87], v[86:87], v[88:89], v[86:87]
	v_fma_f64 v[88:89], -v[84:85], v[86:87], 1.0
	v_fma_f64 v[86:87], v[86:87], v[88:89], v[86:87]
	v_div_scale_f64 v[88:89], vcc_lo, 1.0, v[82:83], 1.0
	v_mul_f64 v[90:91], v[88:89], v[86:87]
	v_fma_f64 v[84:85], -v[84:85], v[90:91], v[88:89]
	v_div_fmas_f64 v[84:85], v[84:85], v[86:87], v[90:91]
	v_div_fixup_f64 v[82:83], v[84:85], v[82:83], 1.0
	ds_write_b64 v1, v[82:83]
.LBB33_29:
	s_or_b32 exec_lo, exec_lo, s1
	s_waitcnt lgkmcnt(0)
	s_barrier
	buffer_gl0_inv
	ds_read_b64 v[82:83], v1
	s_mov_b32 s1, exec_lo
	v_cmpx_lt_u32_e32 5, v0
	s_cbranch_execz .LBB33_31
; %bb.30:
	s_waitcnt lgkmcnt(0)
	v_mul_f64 v[50:51], v[82:83], v[50:51]
	ds_read2_b64 v[84:87], v104 offset0:6 offset1:7
	ds_read2_b64 v[88:91], v104 offset0:8 offset1:9
	;; [unrolled: 1-line block ×5, first 2 shown]
	ds_read_b64 v[105:106], v104 offset:128
	s_waitcnt lgkmcnt(5)
	v_fma_f64 v[56:57], -v[50:51], v[84:85], v[56:57]
	v_fma_f64 v[48:49], -v[50:51], v[86:87], v[48:49]
	s_waitcnt lgkmcnt(4)
	v_fma_f64 v[54:55], -v[50:51], v[88:89], v[54:55]
	v_fma_f64 v[46:47], -v[50:51], v[90:91], v[46:47]
	;; [unrolled: 3-line block ×5, first 2 shown]
	s_waitcnt lgkmcnt(0)
	v_fma_f64 v[62:63], -v[50:51], v[105:106], v[62:63]
.LBB33_31:
	s_or_b32 exec_lo, exec_lo, s1
	s_mov_b32 s1, exec_lo
	s_waitcnt lgkmcnt(0)
	s_barrier
	buffer_gl0_inv
	v_cmpx_eq_u32_e32 6, v0
	s_cbranch_execz .LBB33_34
; %bb.32:
	ds_write_b64 v1, v[56:57]
	ds_write2_b64 v104, v[48:49], v[54:55] offset0:7 offset1:8
	ds_write2_b64 v104, v[46:47], v[52:53] offset0:9 offset1:10
	;; [unrolled: 1-line block ×5, first 2 shown]
	ds_read_b64 v[84:85], v1
	s_waitcnt lgkmcnt(0)
	v_cmp_neq_f64_e32 vcc_lo, 0, v[84:85]
	s_and_b32 exec_lo, exec_lo, vcc_lo
	s_cbranch_execz .LBB33_34
; %bb.33:
	v_div_scale_f64 v[86:87], null, v[84:85], v[84:85], 1.0
	v_rcp_f64_e32 v[88:89], v[86:87]
	v_fma_f64 v[90:91], -v[86:87], v[88:89], 1.0
	v_fma_f64 v[88:89], v[88:89], v[90:91], v[88:89]
	v_fma_f64 v[90:91], -v[86:87], v[88:89], 1.0
	v_fma_f64 v[88:89], v[88:89], v[90:91], v[88:89]
	v_div_scale_f64 v[90:91], vcc_lo, 1.0, v[84:85], 1.0
	v_mul_f64 v[92:93], v[90:91], v[88:89]
	v_fma_f64 v[86:87], -v[86:87], v[92:93], v[90:91]
	v_div_fmas_f64 v[86:87], v[86:87], v[88:89], v[92:93]
	v_div_fixup_f64 v[84:85], v[86:87], v[84:85], 1.0
	ds_write_b64 v1, v[84:85]
.LBB33_34:
	s_or_b32 exec_lo, exec_lo, s1
	s_waitcnt lgkmcnt(0)
	s_barrier
	buffer_gl0_inv
	ds_read_b64 v[84:85], v1
	s_mov_b32 s1, exec_lo
	v_cmpx_lt_u32_e32 6, v0
	s_cbranch_execz .LBB33_36
; %bb.35:
	s_waitcnt lgkmcnt(0)
	v_mul_f64 v[56:57], v[84:85], v[56:57]
	ds_read2_b64 v[86:89], v104 offset0:7 offset1:8
	ds_read2_b64 v[90:93], v104 offset0:9 offset1:10
	ds_read2_b64 v[94:97], v104 offset0:11 offset1:12
	ds_read2_b64 v[98:101], v104 offset0:13 offset1:14
	ds_read2_b64 v[105:108], v104 offset0:15 offset1:16
	s_waitcnt lgkmcnt(4)
	v_fma_f64 v[48:49], -v[56:57], v[86:87], v[48:49]
	v_fma_f64 v[54:55], -v[56:57], v[88:89], v[54:55]
	s_waitcnt lgkmcnt(3)
	v_fma_f64 v[46:47], -v[56:57], v[90:91], v[46:47]
	v_fma_f64 v[52:53], -v[56:57], v[92:93], v[52:53]
	;; [unrolled: 3-line block ×5, first 2 shown]
.LBB33_36:
	s_or_b32 exec_lo, exec_lo, s1
	s_mov_b32 s1, exec_lo
	s_waitcnt lgkmcnt(0)
	s_barrier
	buffer_gl0_inv
	v_cmpx_eq_u32_e32 7, v0
	s_cbranch_execz .LBB33_39
; %bb.37:
	v_mov_b32_e32 v86, v54
	v_mov_b32_e32 v87, v55
	;; [unrolled: 1-line block ×16, first 2 shown]
	ds_write_b64 v1, v[48:49]
	ds_write2_b64 v104, v[86:87], v[88:89] offset0:8 offset1:9
	ds_write2_b64 v104, v[90:91], v[92:93] offset0:10 offset1:11
	;; [unrolled: 1-line block ×4, first 2 shown]
	ds_write_b64 v104, v[62:63] offset:128
	ds_read_b64 v[86:87], v1
	s_waitcnt lgkmcnt(0)
	v_cmp_neq_f64_e32 vcc_lo, 0, v[86:87]
	s_and_b32 exec_lo, exec_lo, vcc_lo
	s_cbranch_execz .LBB33_39
; %bb.38:
	v_div_scale_f64 v[88:89], null, v[86:87], v[86:87], 1.0
	v_rcp_f64_e32 v[90:91], v[88:89]
	v_fma_f64 v[92:93], -v[88:89], v[90:91], 1.0
	v_fma_f64 v[90:91], v[90:91], v[92:93], v[90:91]
	v_fma_f64 v[92:93], -v[88:89], v[90:91], 1.0
	v_fma_f64 v[90:91], v[90:91], v[92:93], v[90:91]
	v_div_scale_f64 v[92:93], vcc_lo, 1.0, v[86:87], 1.0
	v_mul_f64 v[94:95], v[92:93], v[90:91]
	v_fma_f64 v[88:89], -v[88:89], v[94:95], v[92:93]
	v_div_fmas_f64 v[88:89], v[88:89], v[90:91], v[94:95]
	v_div_fixup_f64 v[86:87], v[88:89], v[86:87], 1.0
	ds_write_b64 v1, v[86:87]
.LBB33_39:
	s_or_b32 exec_lo, exec_lo, s1
	s_waitcnt lgkmcnt(0)
	s_barrier
	buffer_gl0_inv
	ds_read_b64 v[86:87], v1
	s_mov_b32 s1, exec_lo
	v_cmpx_lt_u32_e32 7, v0
	s_cbranch_execz .LBB33_41
; %bb.40:
	s_waitcnt lgkmcnt(0)
	v_mul_f64 v[48:49], v[86:87], v[48:49]
	ds_read2_b64 v[88:91], v104 offset0:8 offset1:9
	ds_read2_b64 v[92:95], v104 offset0:10 offset1:11
	;; [unrolled: 1-line block ×4, first 2 shown]
	ds_read_b64 v[105:106], v104 offset:128
	s_waitcnt lgkmcnt(4)
	v_fma_f64 v[54:55], -v[48:49], v[88:89], v[54:55]
	v_fma_f64 v[46:47], -v[48:49], v[90:91], v[46:47]
	s_waitcnt lgkmcnt(3)
	v_fma_f64 v[52:53], -v[48:49], v[92:93], v[52:53]
	v_fma_f64 v[40:41], -v[48:49], v[94:95], v[40:41]
	;; [unrolled: 3-line block ×4, first 2 shown]
	s_waitcnt lgkmcnt(0)
	v_fma_f64 v[62:63], -v[48:49], v[105:106], v[62:63]
.LBB33_41:
	s_or_b32 exec_lo, exec_lo, s1
	s_mov_b32 s1, exec_lo
	s_waitcnt lgkmcnt(0)
	s_barrier
	buffer_gl0_inv
	v_cmpx_eq_u32_e32 8, v0
	s_cbranch_execz .LBB33_44
; %bb.42:
	ds_write_b64 v1, v[54:55]
	ds_write2_b64 v104, v[46:47], v[52:53] offset0:9 offset1:10
	ds_write2_b64 v104, v[40:41], v[44:45] offset0:11 offset1:12
	;; [unrolled: 1-line block ×4, first 2 shown]
	ds_read_b64 v[88:89], v1
	s_waitcnt lgkmcnt(0)
	v_cmp_neq_f64_e32 vcc_lo, 0, v[88:89]
	s_and_b32 exec_lo, exec_lo, vcc_lo
	s_cbranch_execz .LBB33_44
; %bb.43:
	v_div_scale_f64 v[90:91], null, v[88:89], v[88:89], 1.0
	v_rcp_f64_e32 v[92:93], v[90:91]
	v_fma_f64 v[94:95], -v[90:91], v[92:93], 1.0
	v_fma_f64 v[92:93], v[92:93], v[94:95], v[92:93]
	v_fma_f64 v[94:95], -v[90:91], v[92:93], 1.0
	v_fma_f64 v[92:93], v[92:93], v[94:95], v[92:93]
	v_div_scale_f64 v[94:95], vcc_lo, 1.0, v[88:89], 1.0
	v_mul_f64 v[96:97], v[94:95], v[92:93]
	v_fma_f64 v[90:91], -v[90:91], v[96:97], v[94:95]
	v_div_fmas_f64 v[90:91], v[90:91], v[92:93], v[96:97]
	v_div_fixup_f64 v[88:89], v[90:91], v[88:89], 1.0
	ds_write_b64 v1, v[88:89]
.LBB33_44:
	s_or_b32 exec_lo, exec_lo, s1
	s_waitcnt lgkmcnt(0)
	s_barrier
	buffer_gl0_inv
	ds_read_b64 v[88:89], v1
	s_mov_b32 s1, exec_lo
	v_cmpx_lt_u32_e32 8, v0
	s_cbranch_execz .LBB33_46
; %bb.45:
	s_waitcnt lgkmcnt(0)
	v_mul_f64 v[54:55], v[88:89], v[54:55]
	ds_read2_b64 v[90:93], v104 offset0:9 offset1:10
	ds_read2_b64 v[94:97], v104 offset0:11 offset1:12
	;; [unrolled: 1-line block ×4, first 2 shown]
	s_waitcnt lgkmcnt(3)
	v_fma_f64 v[46:47], -v[54:55], v[90:91], v[46:47]
	v_fma_f64 v[52:53], -v[54:55], v[92:93], v[52:53]
	s_waitcnt lgkmcnt(2)
	v_fma_f64 v[40:41], -v[54:55], v[94:95], v[40:41]
	v_fma_f64 v[44:45], -v[54:55], v[96:97], v[44:45]
	;; [unrolled: 3-line block ×4, first 2 shown]
.LBB33_46:
	s_or_b32 exec_lo, exec_lo, s1
	s_mov_b32 s1, exec_lo
	s_waitcnt lgkmcnt(0)
	s_barrier
	buffer_gl0_inv
	v_cmpx_eq_u32_e32 9, v0
	s_cbranch_execz .LBB33_49
; %bb.47:
	v_mov_b32_e32 v90, v52
	v_mov_b32_e32 v91, v53
	;; [unrolled: 1-line block ×12, first 2 shown]
	ds_write_b64 v1, v[46:47]
	ds_write2_b64 v104, v[90:91], v[92:93] offset0:10 offset1:11
	ds_write2_b64 v104, v[94:95], v[96:97] offset0:12 offset1:13
	;; [unrolled: 1-line block ×3, first 2 shown]
	ds_write_b64 v104, v[62:63] offset:128
	ds_read_b64 v[90:91], v1
	s_waitcnt lgkmcnt(0)
	v_cmp_neq_f64_e32 vcc_lo, 0, v[90:91]
	s_and_b32 exec_lo, exec_lo, vcc_lo
	s_cbranch_execz .LBB33_49
; %bb.48:
	v_div_scale_f64 v[92:93], null, v[90:91], v[90:91], 1.0
	v_rcp_f64_e32 v[94:95], v[92:93]
	v_fma_f64 v[96:97], -v[92:93], v[94:95], 1.0
	v_fma_f64 v[94:95], v[94:95], v[96:97], v[94:95]
	v_fma_f64 v[96:97], -v[92:93], v[94:95], 1.0
	v_fma_f64 v[94:95], v[94:95], v[96:97], v[94:95]
	v_div_scale_f64 v[96:97], vcc_lo, 1.0, v[90:91], 1.0
	v_mul_f64 v[98:99], v[96:97], v[94:95]
	v_fma_f64 v[92:93], -v[92:93], v[98:99], v[96:97]
	v_div_fmas_f64 v[92:93], v[92:93], v[94:95], v[98:99]
	v_div_fixup_f64 v[90:91], v[92:93], v[90:91], 1.0
	ds_write_b64 v1, v[90:91]
.LBB33_49:
	s_or_b32 exec_lo, exec_lo, s1
	s_waitcnt lgkmcnt(0)
	s_barrier
	buffer_gl0_inv
	ds_read_b64 v[90:91], v1
	s_mov_b32 s1, exec_lo
	v_cmpx_lt_u32_e32 9, v0
	s_cbranch_execz .LBB33_51
; %bb.50:
	s_waitcnt lgkmcnt(0)
	v_mul_f64 v[46:47], v[90:91], v[46:47]
	ds_read2_b64 v[92:95], v104 offset0:10 offset1:11
	ds_read2_b64 v[96:99], v104 offset0:12 offset1:13
	ds_read2_b64 v[100:103], v104 offset0:14 offset1:15
	ds_read_b64 v[105:106], v104 offset:128
	s_waitcnt lgkmcnt(3)
	v_fma_f64 v[52:53], -v[46:47], v[92:93], v[52:53]
	v_fma_f64 v[40:41], -v[46:47], v[94:95], v[40:41]
	s_waitcnt lgkmcnt(2)
	v_fma_f64 v[44:45], -v[46:47], v[96:97], v[44:45]
	v_fma_f64 v[38:39], -v[46:47], v[98:99], v[38:39]
	;; [unrolled: 3-line block ×3, first 2 shown]
	s_waitcnt lgkmcnt(0)
	v_fma_f64 v[62:63], -v[46:47], v[105:106], v[62:63]
.LBB33_51:
	s_or_b32 exec_lo, exec_lo, s1
	s_mov_b32 s1, exec_lo
	s_waitcnt lgkmcnt(0)
	s_barrier
	buffer_gl0_inv
	v_cmpx_eq_u32_e32 10, v0
	s_cbranch_execz .LBB33_54
; %bb.52:
	ds_write_b64 v1, v[52:53]
	ds_write2_b64 v104, v[40:41], v[44:45] offset0:11 offset1:12
	ds_write2_b64 v104, v[38:39], v[42:43] offset0:13 offset1:14
	;; [unrolled: 1-line block ×3, first 2 shown]
	ds_read_b64 v[92:93], v1
	s_waitcnt lgkmcnt(0)
	v_cmp_neq_f64_e32 vcc_lo, 0, v[92:93]
	s_and_b32 exec_lo, exec_lo, vcc_lo
	s_cbranch_execz .LBB33_54
; %bb.53:
	v_div_scale_f64 v[94:95], null, v[92:93], v[92:93], 1.0
	v_rcp_f64_e32 v[96:97], v[94:95]
	v_fma_f64 v[98:99], -v[94:95], v[96:97], 1.0
	v_fma_f64 v[96:97], v[96:97], v[98:99], v[96:97]
	v_fma_f64 v[98:99], -v[94:95], v[96:97], 1.0
	v_fma_f64 v[96:97], v[96:97], v[98:99], v[96:97]
	v_div_scale_f64 v[98:99], vcc_lo, 1.0, v[92:93], 1.0
	v_mul_f64 v[100:101], v[98:99], v[96:97]
	v_fma_f64 v[94:95], -v[94:95], v[100:101], v[98:99]
	v_div_fmas_f64 v[94:95], v[94:95], v[96:97], v[100:101]
	v_div_fixup_f64 v[92:93], v[94:95], v[92:93], 1.0
	ds_write_b64 v1, v[92:93]
.LBB33_54:
	s_or_b32 exec_lo, exec_lo, s1
	s_waitcnt lgkmcnt(0)
	s_barrier
	buffer_gl0_inv
	ds_read_b64 v[92:93], v1
	s_mov_b32 s1, exec_lo
	v_cmpx_lt_u32_e32 10, v0
	s_cbranch_execz .LBB33_56
; %bb.55:
	s_waitcnt lgkmcnt(0)
	v_mul_f64 v[52:53], v[92:93], v[52:53]
	ds_read2_b64 v[94:97], v104 offset0:11 offset1:12
	ds_read2_b64 v[98:101], v104 offset0:13 offset1:14
	;; [unrolled: 1-line block ×3, first 2 shown]
	s_waitcnt lgkmcnt(2)
	v_fma_f64 v[40:41], -v[52:53], v[94:95], v[40:41]
	v_fma_f64 v[44:45], -v[52:53], v[96:97], v[44:45]
	s_waitcnt lgkmcnt(1)
	v_fma_f64 v[38:39], -v[52:53], v[98:99], v[38:39]
	v_fma_f64 v[42:43], -v[52:53], v[100:101], v[42:43]
	;; [unrolled: 3-line block ×3, first 2 shown]
.LBB33_56:
	s_or_b32 exec_lo, exec_lo, s1
	s_mov_b32 s1, exec_lo
	s_waitcnt lgkmcnt(0)
	s_barrier
	buffer_gl0_inv
	v_cmpx_eq_u32_e32 11, v0
	s_cbranch_execz .LBB33_59
; %bb.57:
	v_mov_b32_e32 v94, v44
	v_mov_b32_e32 v95, v45
	;; [unrolled: 1-line block ×8, first 2 shown]
	ds_write_b64 v1, v[40:41]
	ds_write2_b64 v104, v[94:95], v[96:97] offset0:12 offset1:13
	ds_write2_b64 v104, v[98:99], v[100:101] offset0:14 offset1:15
	ds_write_b64 v104, v[62:63] offset:128
	ds_read_b64 v[94:95], v1
	s_waitcnt lgkmcnt(0)
	v_cmp_neq_f64_e32 vcc_lo, 0, v[94:95]
	s_and_b32 exec_lo, exec_lo, vcc_lo
	s_cbranch_execz .LBB33_59
; %bb.58:
	v_div_scale_f64 v[96:97], null, v[94:95], v[94:95], 1.0
	v_rcp_f64_e32 v[98:99], v[96:97]
	v_fma_f64 v[100:101], -v[96:97], v[98:99], 1.0
	v_fma_f64 v[98:99], v[98:99], v[100:101], v[98:99]
	v_fma_f64 v[100:101], -v[96:97], v[98:99], 1.0
	v_fma_f64 v[98:99], v[98:99], v[100:101], v[98:99]
	v_div_scale_f64 v[100:101], vcc_lo, 1.0, v[94:95], 1.0
	v_mul_f64 v[102:103], v[100:101], v[98:99]
	v_fma_f64 v[96:97], -v[96:97], v[102:103], v[100:101]
	v_div_fmas_f64 v[96:97], v[96:97], v[98:99], v[102:103]
	v_div_fixup_f64 v[94:95], v[96:97], v[94:95], 1.0
	ds_write_b64 v1, v[94:95]
.LBB33_59:
	s_or_b32 exec_lo, exec_lo, s1
	s_waitcnt lgkmcnt(0)
	s_barrier
	buffer_gl0_inv
	ds_read_b64 v[94:95], v1
	s_mov_b32 s1, exec_lo
	v_cmpx_lt_u32_e32 11, v0
	s_cbranch_execz .LBB33_61
; %bb.60:
	s_waitcnt lgkmcnt(0)
	v_mul_f64 v[40:41], v[94:95], v[40:41]
	ds_read2_b64 v[96:99], v104 offset0:12 offset1:13
	ds_read2_b64 v[100:103], v104 offset0:14 offset1:15
	ds_read_b64 v[105:106], v104 offset:128
	s_waitcnt lgkmcnt(2)
	v_fma_f64 v[44:45], -v[40:41], v[96:97], v[44:45]
	v_fma_f64 v[38:39], -v[40:41], v[98:99], v[38:39]
	s_waitcnt lgkmcnt(1)
	v_fma_f64 v[42:43], -v[40:41], v[100:101], v[42:43]
	v_fma_f64 v[36:37], -v[40:41], v[102:103], v[36:37]
	s_waitcnt lgkmcnt(0)
	v_fma_f64 v[62:63], -v[40:41], v[105:106], v[62:63]
.LBB33_61:
	s_or_b32 exec_lo, exec_lo, s1
	s_mov_b32 s1, exec_lo
	s_waitcnt lgkmcnt(0)
	s_barrier
	buffer_gl0_inv
	v_cmpx_eq_u32_e32 12, v0
	s_cbranch_execz .LBB33_64
; %bb.62:
	ds_write_b64 v1, v[44:45]
	ds_write2_b64 v104, v[38:39], v[42:43] offset0:13 offset1:14
	ds_write2_b64 v104, v[36:37], v[62:63] offset0:15 offset1:16
	ds_read_b64 v[96:97], v1
	s_waitcnt lgkmcnt(0)
	v_cmp_neq_f64_e32 vcc_lo, 0, v[96:97]
	s_and_b32 exec_lo, exec_lo, vcc_lo
	s_cbranch_execz .LBB33_64
; %bb.63:
	v_div_scale_f64 v[98:99], null, v[96:97], v[96:97], 1.0
	v_rcp_f64_e32 v[100:101], v[98:99]
	v_fma_f64 v[102:103], -v[98:99], v[100:101], 1.0
	v_fma_f64 v[100:101], v[100:101], v[102:103], v[100:101]
	v_fma_f64 v[102:103], -v[98:99], v[100:101], 1.0
	v_fma_f64 v[100:101], v[100:101], v[102:103], v[100:101]
	v_div_scale_f64 v[102:103], vcc_lo, 1.0, v[96:97], 1.0
	v_mul_f64 v[105:106], v[102:103], v[100:101]
	v_fma_f64 v[98:99], -v[98:99], v[105:106], v[102:103]
	v_div_fmas_f64 v[98:99], v[98:99], v[100:101], v[105:106]
	v_div_fixup_f64 v[96:97], v[98:99], v[96:97], 1.0
	ds_write_b64 v1, v[96:97]
.LBB33_64:
	s_or_b32 exec_lo, exec_lo, s1
	s_waitcnt lgkmcnt(0)
	s_barrier
	buffer_gl0_inv
	ds_read_b64 v[96:97], v1
	s_mov_b32 s1, exec_lo
	v_cmpx_lt_u32_e32 12, v0
	s_cbranch_execz .LBB33_66
; %bb.65:
	s_waitcnt lgkmcnt(0)
	v_mul_f64 v[44:45], v[96:97], v[44:45]
	ds_read2_b64 v[98:101], v104 offset0:13 offset1:14
	ds_read2_b64 v[105:108], v104 offset0:15 offset1:16
	s_waitcnt lgkmcnt(1)
	v_fma_f64 v[38:39], -v[44:45], v[98:99], v[38:39]
	v_fma_f64 v[42:43], -v[44:45], v[100:101], v[42:43]
	s_waitcnt lgkmcnt(0)
	v_fma_f64 v[36:37], -v[44:45], v[105:106], v[36:37]
	v_fma_f64 v[62:63], -v[44:45], v[107:108], v[62:63]
.LBB33_66:
	s_or_b32 exec_lo, exec_lo, s1
	s_mov_b32 s1, exec_lo
	s_waitcnt lgkmcnt(0)
	s_barrier
	buffer_gl0_inv
	v_cmpx_eq_u32_e32 13, v0
	s_cbranch_execz .LBB33_69
; %bb.67:
	v_mov_b32_e32 v98, v42
	v_mov_b32_e32 v99, v43
	;; [unrolled: 1-line block ×4, first 2 shown]
	ds_write_b64 v1, v[38:39]
	ds_write2_b64 v104, v[98:99], v[100:101] offset0:14 offset1:15
	ds_write_b64 v104, v[62:63] offset:128
	ds_read_b64 v[98:99], v1
	s_waitcnt lgkmcnt(0)
	v_cmp_neq_f64_e32 vcc_lo, 0, v[98:99]
	s_and_b32 exec_lo, exec_lo, vcc_lo
	s_cbranch_execz .LBB33_69
; %bb.68:
	v_div_scale_f64 v[100:101], null, v[98:99], v[98:99], 1.0
	v_rcp_f64_e32 v[102:103], v[100:101]
	v_fma_f64 v[105:106], -v[100:101], v[102:103], 1.0
	v_fma_f64 v[102:103], v[102:103], v[105:106], v[102:103]
	v_fma_f64 v[105:106], -v[100:101], v[102:103], 1.0
	v_fma_f64 v[102:103], v[102:103], v[105:106], v[102:103]
	v_div_scale_f64 v[105:106], vcc_lo, 1.0, v[98:99], 1.0
	v_mul_f64 v[107:108], v[105:106], v[102:103]
	v_fma_f64 v[100:101], -v[100:101], v[107:108], v[105:106]
	v_div_fmas_f64 v[100:101], v[100:101], v[102:103], v[107:108]
	v_div_fixup_f64 v[98:99], v[100:101], v[98:99], 1.0
	ds_write_b64 v1, v[98:99]
.LBB33_69:
	s_or_b32 exec_lo, exec_lo, s1
	s_waitcnt lgkmcnt(0)
	s_barrier
	buffer_gl0_inv
	ds_read_b64 v[98:99], v1
	s_mov_b32 s1, exec_lo
	v_cmpx_lt_u32_e32 13, v0
	s_cbranch_execz .LBB33_71
; %bb.70:
	s_waitcnt lgkmcnt(0)
	v_mul_f64 v[38:39], v[98:99], v[38:39]
	ds_read2_b64 v[100:103], v104 offset0:14 offset1:15
	ds_read_b64 v[105:106], v104 offset:128
	s_waitcnt lgkmcnt(1)
	v_fma_f64 v[42:43], -v[38:39], v[100:101], v[42:43]
	v_fma_f64 v[36:37], -v[38:39], v[102:103], v[36:37]
	s_waitcnt lgkmcnt(0)
	v_fma_f64 v[62:63], -v[38:39], v[105:106], v[62:63]
.LBB33_71:
	s_or_b32 exec_lo, exec_lo, s1
	s_mov_b32 s1, exec_lo
	s_waitcnt lgkmcnt(0)
	s_barrier
	buffer_gl0_inv
	v_cmpx_eq_u32_e32 14, v0
	s_cbranch_execz .LBB33_74
; %bb.72:
	ds_write_b64 v1, v[42:43]
	ds_write2_b64 v104, v[36:37], v[62:63] offset0:15 offset1:16
	ds_read_b64 v[100:101], v1
	s_waitcnt lgkmcnt(0)
	v_cmp_neq_f64_e32 vcc_lo, 0, v[100:101]
	s_and_b32 exec_lo, exec_lo, vcc_lo
	s_cbranch_execz .LBB33_74
; %bb.73:
	v_div_scale_f64 v[102:103], null, v[100:101], v[100:101], 1.0
	v_rcp_f64_e32 v[105:106], v[102:103]
	v_fma_f64 v[107:108], -v[102:103], v[105:106], 1.0
	v_fma_f64 v[105:106], v[105:106], v[107:108], v[105:106]
	v_fma_f64 v[107:108], -v[102:103], v[105:106], 1.0
	v_fma_f64 v[105:106], v[105:106], v[107:108], v[105:106]
	v_div_scale_f64 v[107:108], vcc_lo, 1.0, v[100:101], 1.0
	v_mul_f64 v[109:110], v[107:108], v[105:106]
	v_fma_f64 v[102:103], -v[102:103], v[109:110], v[107:108]
	v_div_fmas_f64 v[102:103], v[102:103], v[105:106], v[109:110]
	v_div_fixup_f64 v[100:101], v[102:103], v[100:101], 1.0
	ds_write_b64 v1, v[100:101]
.LBB33_74:
	s_or_b32 exec_lo, exec_lo, s1
	s_waitcnt lgkmcnt(0)
	s_barrier
	buffer_gl0_inv
	ds_read_b64 v[100:101], v1
	s_mov_b32 s1, exec_lo
	v_cmpx_lt_u32_e32 14, v0
	s_cbranch_execz .LBB33_76
; %bb.75:
	s_waitcnt lgkmcnt(0)
	v_mul_f64 v[42:43], v[100:101], v[42:43]
	ds_read2_b64 v[105:108], v104 offset0:15 offset1:16
	s_waitcnt lgkmcnt(0)
	v_fma_f64 v[36:37], -v[42:43], v[105:106], v[36:37]
	v_fma_f64 v[62:63], -v[42:43], v[107:108], v[62:63]
.LBB33_76:
	s_or_b32 exec_lo, exec_lo, s1
	s_mov_b32 s1, exec_lo
	s_waitcnt lgkmcnt(0)
	s_barrier
	buffer_gl0_inv
	v_cmpx_eq_u32_e32 15, v0
	s_cbranch_execz .LBB33_79
; %bb.77:
	ds_write_b64 v1, v[36:37]
	ds_write_b64 v104, v[62:63] offset:128
	ds_read_b64 v[102:103], v1
	s_waitcnt lgkmcnt(0)
	v_cmp_neq_f64_e32 vcc_lo, 0, v[102:103]
	s_and_b32 exec_lo, exec_lo, vcc_lo
	s_cbranch_execz .LBB33_79
; %bb.78:
	v_div_scale_f64 v[105:106], null, v[102:103], v[102:103], 1.0
	v_rcp_f64_e32 v[107:108], v[105:106]
	v_fma_f64 v[109:110], -v[105:106], v[107:108], 1.0
	v_fma_f64 v[107:108], v[107:108], v[109:110], v[107:108]
	v_fma_f64 v[109:110], -v[105:106], v[107:108], 1.0
	v_fma_f64 v[107:108], v[107:108], v[109:110], v[107:108]
	v_div_scale_f64 v[109:110], vcc_lo, 1.0, v[102:103], 1.0
	v_mul_f64 v[111:112], v[109:110], v[107:108]
	v_fma_f64 v[105:106], -v[105:106], v[111:112], v[109:110]
	v_div_fmas_f64 v[105:106], v[105:106], v[107:108], v[111:112]
	v_div_fixup_f64 v[102:103], v[105:106], v[102:103], 1.0
	ds_write_b64 v1, v[102:103]
.LBB33_79:
	s_or_b32 exec_lo, exec_lo, s1
	s_waitcnt lgkmcnt(0)
	s_barrier
	buffer_gl0_inv
	ds_read_b64 v[102:103], v1
	s_mov_b32 s1, exec_lo
	v_cmpx_lt_u32_e32 15, v0
	s_cbranch_execz .LBB33_81
; %bb.80:
	s_waitcnt lgkmcnt(0)
	v_mul_f64 v[36:37], v[102:103], v[36:37]
	ds_read_b64 v[104:105], v104 offset:128
	s_waitcnt lgkmcnt(0)
	v_fma_f64 v[62:63], -v[36:37], v[104:105], v[62:63]
.LBB33_81:
	s_or_b32 exec_lo, exec_lo, s1
	s_mov_b32 s1, exec_lo
	s_waitcnt lgkmcnt(0)
	s_barrier
	buffer_gl0_inv
	v_cmpx_eq_u32_e32 16, v0
	s_cbranch_execz .LBB33_84
; %bb.82:
	v_cmp_neq_f64_e32 vcc_lo, 0, v[62:63]
	ds_write_b64 v1, v[62:63]
	s_and_b32 exec_lo, exec_lo, vcc_lo
	s_cbranch_execz .LBB33_84
; %bb.83:
	v_div_scale_f64 v[104:105], null, v[62:63], v[62:63], 1.0
	v_rcp_f64_e32 v[106:107], v[104:105]
	v_fma_f64 v[108:109], -v[104:105], v[106:107], 1.0
	v_fma_f64 v[106:107], v[106:107], v[108:109], v[106:107]
	v_fma_f64 v[108:109], -v[104:105], v[106:107], 1.0
	v_fma_f64 v[106:107], v[106:107], v[108:109], v[106:107]
	v_div_scale_f64 v[108:109], vcc_lo, 1.0, v[62:63], 1.0
	v_mul_f64 v[110:111], v[108:109], v[106:107]
	v_fma_f64 v[104:105], -v[104:105], v[110:111], v[108:109]
	v_div_fmas_f64 v[104:105], v[104:105], v[106:107], v[110:111]
	v_div_fixup_f64 v[104:105], v[104:105], v[62:63], 1.0
	ds_write_b64 v1, v[104:105]
.LBB33_84:
	s_or_b32 exec_lo, exec_lo, s1
	s_waitcnt lgkmcnt(0)
	s_barrier
	buffer_gl0_inv
	ds_read_b64 v[104:105], v1
	s_waitcnt lgkmcnt(0)
	s_barrier
	buffer_gl0_inv
	s_and_saveexec_b32 s3, s0
	s_cbranch_execz .LBB33_87
; %bb.85:
	s_load_dwordx2 s[0:1], s[4:5], 0x28
	v_lshlrev_b64 v[1:2], 2, v[2:3]
	v_cmp_eq_f64_e64 s2, 0, v[78:79]
	s_waitcnt lgkmcnt(0)
	v_add_co_u32 v1, vcc_lo, s0, v1
	v_add_co_ci_u32_e64 v2, null, s1, v2, vcc_lo
	v_cmp_eq_f64_e32 vcc_lo, 0, v[72:73]
	v_cmp_neq_f64_e64 s0, 0, v[74:75]
	v_cmp_eq_f64_e64 s1, 0, v[76:77]
	global_load_dword v106, v[1:2], off
	v_cndmask_b32_e64 v3, 0, 1, vcc_lo
	s_or_b32 vcc_lo, s0, vcc_lo
	v_cmp_eq_f64_e64 s0, 0, v[80:81]
	v_cndmask_b32_e32 v3, 2, v3, vcc_lo
	v_cmp_eq_u32_e32 vcc_lo, 0, v3
	s_and_b32 s1, s1, vcc_lo
	v_cndmask_b32_e64 v3, v3, 3, s1
	v_cmp_eq_f64_e64 s1, 0, v[82:83]
	v_cmp_eq_u32_e32 vcc_lo, 0, v3
	s_and_b32 s2, s2, vcc_lo
	v_cndmask_b32_e64 v3, v3, 4, s2
	v_cmp_eq_f64_e64 s2, 0, v[84:85]
	;; [unrolled: 4-line block ×12, first 2 shown]
	v_cmp_eq_u32_e32 vcc_lo, 0, v3
	s_and_b32 s1, s1, vcc_lo
	v_cndmask_b32_e64 v3, v3, 15, s1
	v_cmp_eq_u32_e32 vcc_lo, 0, v3
	s_and_b32 s1, s2, vcc_lo
	v_cndmask_b32_e64 v3, v3, 16, s1
	;; [unrolled: 3-line block ×3, first 2 shown]
	v_cmp_ne_u32_e64 s0, 0, v3
	s_waitcnt vmcnt(0)
	v_cmp_eq_u32_e32 vcc_lo, 0, v106
	s_and_b32 s0, vcc_lo, s0
	s_and_b32 exec_lo, exec_lo, s0
	s_cbranch_execz .LBB33_87
; %bb.86:
	v_add_nc_u32_e32 v3, s9, v3
	global_store_dword v[1:2], v3, off
.LBB33_87:
	s_or_b32 exec_lo, exec_lo, s3
	v_mul_f64 v[1:2], v[104:105], v[62:63]
	v_cmp_lt_u32_e32 vcc_lo, 16, v0
	flat_store_dwordx2 v[4:5], v[64:65]
	flat_store_dwordx2 v[60:61], v[68:69]
	;; [unrolled: 1-line block ×11, first 2 shown]
	v_cndmask_b32_e32 v2, v63, v2, vcc_lo
	v_cndmask_b32_e32 v1, v62, v1, vcc_lo
	flat_store_dwordx2 v[22:23], v[40:41]
	flat_store_dwordx2 v[26:27], v[44:45]
	;; [unrolled: 1-line block ×6, first 2 shown]
.LBB33_88:
	s_endpgm
	.section	.rodata,"a",@progbits
	.p2align	6, 0x0
	.amdhsa_kernel _ZN9rocsolver6v33100L23getf2_npvt_small_kernelILi17EdiiPKPdEEvT1_T3_lS5_lPT2_S5_S5_
		.amdhsa_group_segment_fixed_size 0
		.amdhsa_private_segment_fixed_size 0
		.amdhsa_kernarg_size 312
		.amdhsa_user_sgpr_count 6
		.amdhsa_user_sgpr_private_segment_buffer 1
		.amdhsa_user_sgpr_dispatch_ptr 0
		.amdhsa_user_sgpr_queue_ptr 0
		.amdhsa_user_sgpr_kernarg_segment_ptr 1
		.amdhsa_user_sgpr_dispatch_id 0
		.amdhsa_user_sgpr_flat_scratch_init 0
		.amdhsa_user_sgpr_private_segment_size 0
		.amdhsa_wavefront_size32 1
		.amdhsa_uses_dynamic_stack 0
		.amdhsa_system_sgpr_private_segment_wavefront_offset 0
		.amdhsa_system_sgpr_workgroup_id_x 1
		.amdhsa_system_sgpr_workgroup_id_y 1
		.amdhsa_system_sgpr_workgroup_id_z 0
		.amdhsa_system_sgpr_workgroup_info 0
		.amdhsa_system_vgpr_workitem_id 1
		.amdhsa_next_free_vgpr 113
		.amdhsa_next_free_sgpr 11
		.amdhsa_reserve_vcc 1
		.amdhsa_reserve_flat_scratch 1
		.amdhsa_float_round_mode_32 0
		.amdhsa_float_round_mode_16_64 0
		.amdhsa_float_denorm_mode_32 3
		.amdhsa_float_denorm_mode_16_64 3
		.amdhsa_dx10_clamp 1
		.amdhsa_ieee_mode 1
		.amdhsa_fp16_overflow 0
		.amdhsa_workgroup_processor_mode 1
		.amdhsa_memory_ordered 1
		.amdhsa_forward_progress 1
		.amdhsa_shared_vgpr_count 0
		.amdhsa_exception_fp_ieee_invalid_op 0
		.amdhsa_exception_fp_denorm_src 0
		.amdhsa_exception_fp_ieee_div_zero 0
		.amdhsa_exception_fp_ieee_overflow 0
		.amdhsa_exception_fp_ieee_underflow 0
		.amdhsa_exception_fp_ieee_inexact 0
		.amdhsa_exception_int_div_zero 0
	.end_amdhsa_kernel
	.section	.text._ZN9rocsolver6v33100L23getf2_npvt_small_kernelILi17EdiiPKPdEEvT1_T3_lS5_lPT2_S5_S5_,"axG",@progbits,_ZN9rocsolver6v33100L23getf2_npvt_small_kernelILi17EdiiPKPdEEvT1_T3_lS5_lPT2_S5_S5_,comdat
.Lfunc_end33:
	.size	_ZN9rocsolver6v33100L23getf2_npvt_small_kernelILi17EdiiPKPdEEvT1_T3_lS5_lPT2_S5_S5_, .Lfunc_end33-_ZN9rocsolver6v33100L23getf2_npvt_small_kernelILi17EdiiPKPdEEvT1_T3_lS5_lPT2_S5_S5_
                                        ; -- End function
	.set _ZN9rocsolver6v33100L23getf2_npvt_small_kernelILi17EdiiPKPdEEvT1_T3_lS5_lPT2_S5_S5_.num_vgpr, 113
	.set _ZN9rocsolver6v33100L23getf2_npvt_small_kernelILi17EdiiPKPdEEvT1_T3_lS5_lPT2_S5_S5_.num_agpr, 0
	.set _ZN9rocsolver6v33100L23getf2_npvt_small_kernelILi17EdiiPKPdEEvT1_T3_lS5_lPT2_S5_S5_.numbered_sgpr, 11
	.set _ZN9rocsolver6v33100L23getf2_npvt_small_kernelILi17EdiiPKPdEEvT1_T3_lS5_lPT2_S5_S5_.num_named_barrier, 0
	.set _ZN9rocsolver6v33100L23getf2_npvt_small_kernelILi17EdiiPKPdEEvT1_T3_lS5_lPT2_S5_S5_.private_seg_size, 0
	.set _ZN9rocsolver6v33100L23getf2_npvt_small_kernelILi17EdiiPKPdEEvT1_T3_lS5_lPT2_S5_S5_.uses_vcc, 1
	.set _ZN9rocsolver6v33100L23getf2_npvt_small_kernelILi17EdiiPKPdEEvT1_T3_lS5_lPT2_S5_S5_.uses_flat_scratch, 1
	.set _ZN9rocsolver6v33100L23getf2_npvt_small_kernelILi17EdiiPKPdEEvT1_T3_lS5_lPT2_S5_S5_.has_dyn_sized_stack, 0
	.set _ZN9rocsolver6v33100L23getf2_npvt_small_kernelILi17EdiiPKPdEEvT1_T3_lS5_lPT2_S5_S5_.has_recursion, 0
	.set _ZN9rocsolver6v33100L23getf2_npvt_small_kernelILi17EdiiPKPdEEvT1_T3_lS5_lPT2_S5_S5_.has_indirect_call, 0
	.section	.AMDGPU.csdata,"",@progbits
; Kernel info:
; codeLenInByte = 7972
; TotalNumSgprs: 13
; NumVgprs: 113
; ScratchSize: 0
; MemoryBound: 0
; FloatMode: 240
; IeeeMode: 1
; LDSByteSize: 0 bytes/workgroup (compile time only)
; SGPRBlocks: 0
; VGPRBlocks: 14
; NumSGPRsForWavesPerEU: 13
; NumVGPRsForWavesPerEU: 113
; Occupancy: 8
; WaveLimiterHint : 1
; COMPUTE_PGM_RSRC2:SCRATCH_EN: 0
; COMPUTE_PGM_RSRC2:USER_SGPR: 6
; COMPUTE_PGM_RSRC2:TRAP_HANDLER: 0
; COMPUTE_PGM_RSRC2:TGID_X_EN: 1
; COMPUTE_PGM_RSRC2:TGID_Y_EN: 1
; COMPUTE_PGM_RSRC2:TGID_Z_EN: 0
; COMPUTE_PGM_RSRC2:TIDIG_COMP_CNT: 1
	.section	.text._ZN9rocsolver6v33100L18getf2_small_kernelILi18EdiiPKPdEEvT1_T3_lS5_lPS5_llPT2_S5_S5_S7_l,"axG",@progbits,_ZN9rocsolver6v33100L18getf2_small_kernelILi18EdiiPKPdEEvT1_T3_lS5_lPS5_llPT2_S5_S5_S7_l,comdat
	.globl	_ZN9rocsolver6v33100L18getf2_small_kernelILi18EdiiPKPdEEvT1_T3_lS5_lPS5_llPT2_S5_S5_S7_l ; -- Begin function _ZN9rocsolver6v33100L18getf2_small_kernelILi18EdiiPKPdEEvT1_T3_lS5_lPS5_llPT2_S5_S5_S7_l
	.p2align	8
	.type	_ZN9rocsolver6v33100L18getf2_small_kernelILi18EdiiPKPdEEvT1_T3_lS5_lPS5_llPT2_S5_S5_S7_l,@function
_ZN9rocsolver6v33100L18getf2_small_kernelILi18EdiiPKPdEEvT1_T3_lS5_lPS5_llPT2_S5_S5_S7_l: ; @_ZN9rocsolver6v33100L18getf2_small_kernelILi18EdiiPKPdEEvT1_T3_lS5_lPS5_llPT2_S5_S5_S7_l
; %bb.0:
	s_clause 0x1
	s_load_dword s0, s[4:5], 0x6c
	s_load_dwordx2 s[12:13], s[4:5], 0x48
	s_waitcnt lgkmcnt(0)
	s_lshr_b32 s0, s0, 16
	v_mad_u64_u32 v[2:3], null, s7, s0, v[1:2]
	s_mov_b32 s0, exec_lo
	v_cmpx_gt_i32_e64 s12, v2
	s_cbranch_execz .LBB34_303
; %bb.1:
	s_clause 0x1
	s_load_dwordx4 s[0:3], s[4:5], 0x8
	s_load_dwordx4 s[8:11], s[4:5], 0x50
	v_ashrrev_i32_e32 v3, 31, v2
	v_mov_b32_e32 v38, 0
	v_mov_b32_e32 v39, 0
	v_lshlrev_b64 v[4:5], 3, v[2:3]
	s_waitcnt lgkmcnt(0)
	v_add_co_u32 v4, vcc_lo, s0, v4
	v_add_co_ci_u32_e64 v5, null, s1, v5, vcc_lo
	s_cmp_eq_u64 s[8:9], 0
	s_cselect_b32 s6, -1, 0
	global_load_dwordx2 v[4:5], v[4:5], off
	s_and_b32 vcc_lo, exec_lo, s6
	s_cbranch_vccnz .LBB34_3
; %bb.2:
	v_mul_lo_u32 v8, s11, v2
	v_mul_lo_u32 v9, s10, v3
	v_mad_u64_u32 v[6:7], null, s10, v2, 0
	v_add3_u32 v7, v7, v9, v8
	v_lshlrev_b64 v[6:7], 2, v[6:7]
	v_add_co_u32 v38, vcc_lo, s8, v6
	v_add_co_ci_u32_e64 v39, null, s9, v7, vcc_lo
.LBB34_3:
	s_load_dword s8, s[4:5], 0x18
	s_lshl_b64 s[0:1], s[2:3], 3
	s_load_dword s2, s[4:5], 0x0
	s_waitcnt vmcnt(0)
	v_add_co_u32 v46, vcc_lo, v4, s0
	v_lshlrev_b32_e32 v44, 3, v0
	v_add_co_ci_u32_e64 v47, null, s1, v5, vcc_lo
	v_add_co_u32 v8, vcc_lo, v46, v44
	v_add_co_ci_u32_e64 v9, null, 0, v47, vcc_lo
	s_waitcnt lgkmcnt(0)
	v_add3_u32 v6, s8, s8, v0
	s_ashr_i32 s9, s8, 31
	s_max_i32 s0, s2, 18
	s_lshl_b64 s[10:11], s[8:9], 3
	v_mul_lo_u32 v1, s0, v1
	v_add_nc_u32_e32 v4, s8, v6
	v_ashrrev_i32_e32 v7, 31, v6
	v_add_co_u32 v12, vcc_lo, v8, s10
	v_add_co_ci_u32_e64 v13, null, s11, v9, vcc_lo
	v_add_nc_u32_e32 v10, s8, v4
	v_ashrrev_i32_e32 v5, 31, v4
	v_lshlrev_b64 v[6:7], 3, v[6:7]
	v_lshl_add_u32 v48, v1, 3, 0
	v_lshlrev_b32_e32 v49, 3, v1
	v_add_nc_u32_e32 v14, s8, v10
	v_ashrrev_i32_e32 v11, 31, v10
	v_lshlrev_b64 v[4:5], 3, v[4:5]
	v_add_co_u32 v6, vcc_lo, v46, v6
	v_add_nc_u32_e32 v16, s8, v14
	v_ashrrev_i32_e32 v15, 31, v14
	v_lshlrev_b64 v[10:11], 3, v[10:11]
	v_add_co_ci_u32_e64 v7, null, v47, v7, vcc_lo
	v_add_nc_u32_e32 v18, s8, v16
	v_add_co_u32 v4, vcc_lo, v46, v4
	v_lshlrev_b64 v[14:15], 3, v[14:15]
	v_add_co_ci_u32_e64 v5, null, v47, v5, vcc_lo
	v_ashrrev_i32_e32 v17, 31, v16
	s_clause 0x3
	flat_load_dwordx2 v[36:37], v[8:9]
	flat_load_dwordx2 v[22:23], v[12:13]
	;; [unrolled: 1-line block ×4, first 2 shown]
	v_add_co_u32 v4, vcc_lo, v46, v10
	v_ashrrev_i32_e32 v19, 31, v18
	v_add_nc_u32_e32 v10, s8, v18
	v_add_co_ci_u32_e64 v5, null, v47, v11, vcc_lo
	v_lshlrev_b64 v[8:9], 3, v[16:17]
	v_add_co_u32 v12, vcc_lo, v46, v14
	v_add_co_ci_u32_e64 v13, null, v47, v15, vcc_lo
	v_lshlrev_b64 v[14:15], 3, v[18:19]
	v_add_nc_u32_e32 v16, s8, v10
	v_add_co_u32 v8, vcc_lo, v46, v8
	v_ashrrev_i32_e32 v11, 31, v10
	v_add_co_ci_u32_e64 v9, null, v47, v9, vcc_lo
	v_add_nc_u32_e32 v20, s8, v16
	v_add_co_u32 v14, vcc_lo, v46, v14
	v_add_co_ci_u32_e64 v15, null, v47, v15, vcc_lo
	v_lshlrev_b64 v[18:19], 3, v[10:11]
	s_clause 0x3
	flat_load_dwordx2 v[32:33], v[4:5]
	flat_load_dwordx2 v[30:31], v[12:13]
	;; [unrolled: 1-line block ×4, first 2 shown]
	v_add_nc_u32_e32 v12, s8, v20
	v_ashrrev_i32_e32 v17, 31, v16
	v_ashrrev_i32_e32 v21, 31, v20
	s_cmp_lt_i32 s2, 2
	v_add_co_u32 v14, vcc_lo, v46, v18
	v_ashrrev_i32_e32 v13, 31, v12
	v_add_co_ci_u32_e64 v15, null, v47, v19, vcc_lo
	v_lshlrev_b64 v[4:5], 3, v[16:17]
	v_lshlrev_b64 v[16:17], 3, v[20:21]
	;; [unrolled: 1-line block ×3, first 2 shown]
	v_add_nc_u32_e32 v12, s8, v12
	v_add_co_u32 v4, vcc_lo, v46, v4
	v_add_nc_u32_e32 v34, s8, v12
	v_add_co_ci_u32_e64 v5, null, v47, v5, vcc_lo
	v_add_co_u32 v16, vcc_lo, v46, v16
	v_add_nc_u32_e32 v40, s8, v34
	v_add_co_ci_u32_e64 v17, null, v47, v17, vcc_lo
	v_add_co_u32 v18, vcc_lo, v46, v18
	v_add_co_ci_u32_e64 v19, null, v47, v19, vcc_lo
	v_ashrrev_i32_e32 v35, 31, v34
	s_clause 0x3
	flat_load_dwordx2 v[28:29], v[14:15]
	flat_load_dwordx2 v[20:21], v[4:5]
	;; [unrolled: 1-line block ×4, first 2 shown]
	v_add_nc_u32_e32 v16, s8, v40
	v_ashrrev_i32_e32 v13, 31, v12
	v_ashrrev_i32_e32 v41, 31, v40
	v_lshlrev_b64 v[14:15], 3, v[34:35]
	v_add_nc_u32_e32 v34, s8, v16
	v_lshlrev_b64 v[12:13], 3, v[12:13]
	v_lshlrev_b64 v[18:19], 3, v[40:41]
	v_ashrrev_i32_e32 v17, 31, v16
	v_add_nc_u32_e32 v40, s8, v34
	v_ashrrev_i32_e32 v35, 31, v34
	v_add_co_u32 v12, vcc_lo, v46, v12
	v_lshlrev_b64 v[16:17], 3, v[16:17]
	v_ashrrev_i32_e32 v41, 31, v40
	v_add_co_ci_u32_e64 v13, null, v47, v13, vcc_lo
	v_add_co_u32 v14, vcc_lo, v46, v14
	v_lshlrev_b64 v[34:35], 3, v[34:35]
	v_add_co_ci_u32_e64 v15, null, v47, v15, vcc_lo
	v_add_co_u32 v18, vcc_lo, v46, v18
	v_lshlrev_b64 v[40:41], 3, v[40:41]
	v_add_co_ci_u32_e64 v19, null, v47, v19, vcc_lo
	v_add_co_u32 v16, vcc_lo, v46, v16
	v_add_co_ci_u32_e64 v17, null, v47, v17, vcc_lo
	v_add_co_u32 v42, vcc_lo, v46, v34
	v_add_co_ci_u32_e64 v43, null, v47, v35, vcc_lo
	v_add_co_u32 v40, vcc_lo, v46, v40
	v_add_co_ci_u32_e64 v41, null, v47, v41, vcc_lo
	s_clause 0x5
	flat_load_dwordx2 v[34:35], v[12:13]
	flat_load_dwordx2 v[14:15], v[14:15]
	;; [unrolled: 1-line block ×6, first 2 shown]
	v_add_nc_u32_e32 v42, v48, v44
	v_mov_b32_e32 v44, 0
	s_waitcnt vmcnt(17) lgkmcnt(17)
	ds_write_b64 v42, v[36:37]
	s_waitcnt vmcnt(0) lgkmcnt(0)
	s_barrier
	buffer_gl0_inv
	ds_read_b64 v[42:43], v48
	s_cbranch_scc1 .LBB34_6
; %bb.4:
	v_add3_u32 v1, v49, 0, 8
	v_mov_b32_e32 v44, 0
	s_mov_b32 s0, 1
.LBB34_5:                               ; =>This Inner Loop Header: Depth=1
	ds_read_b64 v[50:51], v1
	v_add_nc_u32_e32 v1, 8, v1
	s_waitcnt lgkmcnt(0)
	v_cmp_lt_f64_e64 vcc_lo, |v[42:43]|, |v[50:51]|
	v_cndmask_b32_e32 v43, v43, v51, vcc_lo
	v_cndmask_b32_e32 v42, v42, v50, vcc_lo
	v_cndmask_b32_e64 v44, v44, s0, vcc_lo
	s_add_i32 s0, s0, 1
	s_cmp_eq_u32 s2, s0
	s_cbranch_scc0 .LBB34_5
.LBB34_6:
	s_mov_b32 s0, exec_lo
                                        ; implicit-def: $vgpr51
	v_cmpx_ne_u32_e64 v0, v44
	s_xor_b32 s0, exec_lo, s0
	s_cbranch_execz .LBB34_12
; %bb.7:
	s_mov_b32 s1, exec_lo
	v_cmpx_eq_u32_e32 0, v0
	s_cbranch_execz .LBB34_11
; %bb.8:
	v_cmp_ne_u32_e32 vcc_lo, 0, v44
	s_xor_b32 s3, s6, -1
	s_and_b32 s7, s3, vcc_lo
	s_and_saveexec_b32 s3, s7
	s_cbranch_execz .LBB34_10
; %bb.9:
	v_ashrrev_i32_e32 v45, 31, v44
	v_lshlrev_b64 v[0:1], 2, v[44:45]
	v_add_co_u32 v0, vcc_lo, v38, v0
	v_add_co_ci_u32_e64 v1, null, v39, v1, vcc_lo
	s_clause 0x1
	global_load_dword v45, v[0:1], off
	global_load_dword v50, v[38:39], off
	s_waitcnt vmcnt(1)
	global_store_dword v[38:39], v45, off
	s_waitcnt vmcnt(0)
	global_store_dword v[0:1], v50, off
.LBB34_10:
	s_or_b32 exec_lo, exec_lo, s3
	v_mov_b32_e32 v0, v44
.LBB34_11:
	s_or_b32 exec_lo, exec_lo, s1
	v_mov_b32_e32 v51, v0
                                        ; implicit-def: $vgpr0
.LBB34_12:
	s_or_saveexec_b32 s0, s0
	v_mov_b32_e32 v45, v51
	s_xor_b32 exec_lo, exec_lo, s0
	s_cbranch_execz .LBB34_14
; %bb.13:
	v_mov_b32_e32 v51, 0
	v_mov_b32_e32 v45, v0
	ds_write2_b64 v48, v[22:23], v[26:27] offset0:1 offset1:2
	ds_write2_b64 v48, v[6:7], v[32:33] offset0:3 offset1:4
	;; [unrolled: 1-line block ×8, first 2 shown]
	ds_write_b64 v48, v[40:41] offset:136
.LBB34_14:
	s_or_b32 exec_lo, exec_lo, s0
	s_waitcnt lgkmcnt(0)
	v_cmp_eq_f64_e64 s0, 0, v[42:43]
	s_mov_b32 s1, exec_lo
	s_waitcnt_vscnt null, 0x0
	s_barrier
	buffer_gl0_inv
	v_cmpx_lt_i32_e32 0, v51
	s_cbranch_execz .LBB34_16
; %bb.15:
	v_div_scale_f64 v[0:1], null, v[42:43], v[42:43], 1.0
	v_div_scale_f64 v[56:57], vcc_lo, 1.0, v[42:43], 1.0
	v_rcp_f64_e32 v[52:53], v[0:1]
	v_fma_f64 v[54:55], -v[0:1], v[52:53], 1.0
	v_fma_f64 v[52:53], v[52:53], v[54:55], v[52:53]
	v_fma_f64 v[54:55], -v[0:1], v[52:53], 1.0
	v_fma_f64 v[52:53], v[52:53], v[54:55], v[52:53]
	v_mul_f64 v[54:55], v[56:57], v[52:53]
	v_fma_f64 v[0:1], -v[0:1], v[54:55], v[56:57]
	v_div_fmas_f64 v[0:1], v[0:1], v[52:53], v[54:55]
	v_div_fixup_f64 v[0:1], v[0:1], v[42:43], 1.0
	v_cndmask_b32_e64 v1, v1, v43, s0
	v_cndmask_b32_e64 v0, v0, v42, s0
	v_mul_f64 v[36:37], v[0:1], v[36:37]
	ds_read2_b64 v[52:55], v48 offset0:1 offset1:2
	ds_read2_b64 v[56:59], v48 offset0:3 offset1:4
	;; [unrolled: 1-line block ×8, first 2 shown]
	ds_read_b64 v[0:1], v48 offset:136
	s_waitcnt lgkmcnt(8)
	v_fma_f64 v[22:23], -v[36:37], v[52:53], v[22:23]
	v_fma_f64 v[26:27], -v[36:37], v[54:55], v[26:27]
	s_waitcnt lgkmcnt(7)
	v_fma_f64 v[6:7], -v[36:37], v[56:57], v[6:7]
	v_fma_f64 v[32:33], -v[36:37], v[58:59], v[32:33]
	;; [unrolled: 3-line block ×8, first 2 shown]
	s_waitcnt lgkmcnt(0)
	v_fma_f64 v[40:41], -v[36:37], v[0:1], v[40:41]
.LBB34_16:
	s_or_b32 exec_lo, exec_lo, s1
	v_lshl_add_u32 v0, v51, 3, v48
	s_barrier
	buffer_gl0_inv
	v_mov_b32_e32 v42, 1
	ds_write_b64 v0, v[22:23]
	s_waitcnt lgkmcnt(0)
	s_barrier
	buffer_gl0_inv
	ds_read_b64 v[0:1], v48 offset:8
	s_cmp_lt_i32 s2, 3
	s_cbranch_scc1 .LBB34_19
; %bb.17:
	v_add3_u32 v43, v49, 0, 16
	v_mov_b32_e32 v42, 1
	s_mov_b32 s1, 2
.LBB34_18:                              ; =>This Inner Loop Header: Depth=1
	ds_read_b64 v[52:53], v43
	v_add_nc_u32_e32 v43, 8, v43
	s_waitcnt lgkmcnt(0)
	v_cmp_lt_f64_e64 vcc_lo, |v[0:1]|, |v[52:53]|
	v_cndmask_b32_e32 v1, v1, v53, vcc_lo
	v_cndmask_b32_e32 v0, v0, v52, vcc_lo
	v_cndmask_b32_e64 v42, v42, s1, vcc_lo
	s_add_i32 s1, s1, 1
	s_cmp_lg_u32 s2, s1
	s_cbranch_scc1 .LBB34_18
.LBB34_19:
	s_mov_b32 s1, exec_lo
	v_cmpx_ne_u32_e64 v51, v42
	s_xor_b32 s1, exec_lo, s1
	s_cbranch_execz .LBB34_25
; %bb.20:
	s_mov_b32 s3, exec_lo
	v_cmpx_eq_u32_e32 1, v51
	s_cbranch_execz .LBB34_24
; %bb.21:
	v_cmp_ne_u32_e32 vcc_lo, 1, v42
	s_xor_b32 s7, s6, -1
	s_and_b32 s9, s7, vcc_lo
	s_and_saveexec_b32 s7, s9
	s_cbranch_execz .LBB34_23
; %bb.22:
	v_ashrrev_i32_e32 v43, 31, v42
	v_lshlrev_b64 v[43:44], 2, v[42:43]
	v_add_co_u32 v43, vcc_lo, v38, v43
	v_add_co_ci_u32_e64 v44, null, v39, v44, vcc_lo
	s_clause 0x1
	global_load_dword v45, v[43:44], off
	global_load_dword v50, v[38:39], off offset:4
	s_waitcnt vmcnt(1)
	global_store_dword v[38:39], v45, off offset:4
	s_waitcnt vmcnt(0)
	global_store_dword v[43:44], v50, off
.LBB34_23:
	s_or_b32 exec_lo, exec_lo, s7
	v_mov_b32_e32 v45, v42
	v_mov_b32_e32 v51, v42
.LBB34_24:
	s_or_b32 exec_lo, exec_lo, s3
.LBB34_25:
	s_andn2_saveexec_b32 s1, s1
	s_cbranch_execz .LBB34_27
; %bb.26:
	v_mov_b32_e32 v42, v26
	v_mov_b32_e32 v43, v27
	;; [unrolled: 1-line block ×16, first 2 shown]
	ds_write2_b64 v48, v[42:43], v[50:51] offset0:2 offset1:3
	ds_write2_b64 v48, v[52:53], v[54:55] offset0:4 offset1:5
	;; [unrolled: 1-line block ×4, first 2 shown]
	v_mov_b32_e32 v42, v24
	v_mov_b32_e32 v43, v25
	;; [unrolled: 1-line block ×15, first 2 shown]
	ds_write2_b64 v48, v[42:43], v[52:53] offset0:10 offset1:11
	ds_write2_b64 v48, v[54:55], v[56:57] offset0:12 offset1:13
	;; [unrolled: 1-line block ×4, first 2 shown]
.LBB34_27:
	s_or_b32 exec_lo, exec_lo, s1
	s_waitcnt lgkmcnt(0)
	v_cmp_neq_f64_e64 s1, 0, v[0:1]
	s_mov_b32 s3, exec_lo
	s_waitcnt_vscnt null, 0x0
	s_barrier
	buffer_gl0_inv
	v_cmpx_lt_i32_e32 1, v51
	s_cbranch_execz .LBB34_29
; %bb.28:
	v_div_scale_f64 v[42:43], null, v[0:1], v[0:1], 1.0
	v_div_scale_f64 v[56:57], vcc_lo, 1.0, v[0:1], 1.0
	v_rcp_f64_e32 v[52:53], v[42:43]
	v_fma_f64 v[54:55], -v[42:43], v[52:53], 1.0
	v_fma_f64 v[52:53], v[52:53], v[54:55], v[52:53]
	v_fma_f64 v[54:55], -v[42:43], v[52:53], 1.0
	v_fma_f64 v[52:53], v[52:53], v[54:55], v[52:53]
	v_mul_f64 v[54:55], v[56:57], v[52:53]
	v_fma_f64 v[42:43], -v[42:43], v[54:55], v[56:57]
	v_div_fmas_f64 v[42:43], v[42:43], v[52:53], v[54:55]
	ds_read2_b64 v[52:55], v48 offset0:2 offset1:3
	ds_read2_b64 v[56:59], v48 offset0:4 offset1:5
	;; [unrolled: 1-line block ×8, first 2 shown]
	v_div_fixup_f64 v[42:43], v[42:43], v[0:1], 1.0
	v_cndmask_b32_e64 v1, v1, v43, s1
	v_cndmask_b32_e64 v0, v0, v42, s1
	v_mul_f64 v[22:23], v[0:1], v[22:23]
	s_waitcnt lgkmcnt(7)
	v_fma_f64 v[26:27], -v[22:23], v[52:53], v[26:27]
	v_fma_f64 v[6:7], -v[22:23], v[54:55], v[6:7]
	s_waitcnt lgkmcnt(6)
	v_fma_f64 v[32:33], -v[22:23], v[56:57], v[32:33]
	v_fma_f64 v[30:31], -v[22:23], v[58:59], v[30:31]
	;; [unrolled: 3-line block ×8, first 2 shown]
.LBB34_29:
	s_or_b32 exec_lo, exec_lo, s3
	v_lshl_add_u32 v0, v51, 3, v48
	s_barrier
	buffer_gl0_inv
	v_mov_b32_e32 v42, 2
	ds_write_b64 v0, v[26:27]
	s_waitcnt lgkmcnt(0)
	s_barrier
	buffer_gl0_inv
	ds_read_b64 v[0:1], v48 offset:16
	s_cmp_lt_i32 s2, 4
	s_mov_b32 s3, 3
	s_cbranch_scc1 .LBB34_32
; %bb.30:
	v_add3_u32 v43, v49, 0, 24
	v_mov_b32_e32 v42, 2
.LBB34_31:                              ; =>This Inner Loop Header: Depth=1
	ds_read_b64 v[52:53], v43
	v_add_nc_u32_e32 v43, 8, v43
	s_waitcnt lgkmcnt(0)
	v_cmp_lt_f64_e64 vcc_lo, |v[0:1]|, |v[52:53]|
	v_cndmask_b32_e32 v1, v1, v53, vcc_lo
	v_cndmask_b32_e32 v0, v0, v52, vcc_lo
	v_cndmask_b32_e64 v42, v42, s3, vcc_lo
	s_add_i32 s3, s3, 1
	s_cmp_lg_u32 s2, s3
	s_cbranch_scc1 .LBB34_31
.LBB34_32:
	v_cndmask_b32_e64 v43, 2, 1, s0
	v_cndmask_b32_e64 v44, 0, 1, s0
	s_mov_b32 s0, exec_lo
	v_cndmask_b32_e64 v50, v43, v44, s1
	s_waitcnt lgkmcnt(0)
	v_cmpx_eq_f64_e32 0, v[0:1]
	s_xor_b32 s0, exec_lo, s0
; %bb.33:
	v_cmp_ne_u32_e32 vcc_lo, 0, v50
	v_cndmask_b32_e32 v50, 3, v50, vcc_lo
; %bb.34:
	s_andn2_saveexec_b32 s0, s0
	s_cbranch_execz .LBB34_36
; %bb.35:
	v_div_scale_f64 v[43:44], null, v[0:1], v[0:1], 1.0
	v_rcp_f64_e32 v[52:53], v[43:44]
	v_fma_f64 v[54:55], -v[43:44], v[52:53], 1.0
	v_fma_f64 v[52:53], v[52:53], v[54:55], v[52:53]
	v_fma_f64 v[54:55], -v[43:44], v[52:53], 1.0
	v_fma_f64 v[52:53], v[52:53], v[54:55], v[52:53]
	v_div_scale_f64 v[54:55], vcc_lo, 1.0, v[0:1], 1.0
	v_mul_f64 v[56:57], v[54:55], v[52:53]
	v_fma_f64 v[43:44], -v[43:44], v[56:57], v[54:55]
	v_div_fmas_f64 v[43:44], v[43:44], v[52:53], v[56:57]
	v_div_fixup_f64 v[0:1], v[43:44], v[0:1], 1.0
.LBB34_36:
	s_or_b32 exec_lo, exec_lo, s0
	s_mov_b32 s0, exec_lo
	v_cmpx_ne_u32_e64 v51, v42
	s_xor_b32 s0, exec_lo, s0
	s_cbranch_execz .LBB34_42
; %bb.37:
	s_mov_b32 s1, exec_lo
	v_cmpx_eq_u32_e32 2, v51
	s_cbranch_execz .LBB34_41
; %bb.38:
	v_cmp_ne_u32_e32 vcc_lo, 2, v42
	s_xor_b32 s3, s6, -1
	s_and_b32 s7, s3, vcc_lo
	s_and_saveexec_b32 s3, s7
	s_cbranch_execz .LBB34_40
; %bb.39:
	v_ashrrev_i32_e32 v43, 31, v42
	v_lshlrev_b64 v[43:44], 2, v[42:43]
	v_add_co_u32 v43, vcc_lo, v38, v43
	v_add_co_ci_u32_e64 v44, null, v39, v44, vcc_lo
	s_clause 0x1
	global_load_dword v45, v[43:44], off
	global_load_dword v51, v[38:39], off offset:8
	s_waitcnt vmcnt(1)
	global_store_dword v[38:39], v45, off offset:8
	s_waitcnt vmcnt(0)
	global_store_dword v[43:44], v51, off
.LBB34_40:
	s_or_b32 exec_lo, exec_lo, s3
	v_mov_b32_e32 v45, v42
	v_mov_b32_e32 v51, v42
.LBB34_41:
	s_or_b32 exec_lo, exec_lo, s1
.LBB34_42:
	s_andn2_saveexec_b32 s0, s0
	s_cbranch_execz .LBB34_44
; %bb.43:
	v_mov_b32_e32 v51, 2
	ds_write2_b64 v48, v[6:7], v[32:33] offset0:3 offset1:4
	ds_write2_b64 v48, v[30:31], v[10:11] offset0:5 offset1:6
	;; [unrolled: 1-line block ×7, first 2 shown]
	ds_write_b64 v48, v[40:41] offset:136
.LBB34_44:
	s_or_b32 exec_lo, exec_lo, s0
	s_mov_b32 s0, exec_lo
	s_waitcnt lgkmcnt(0)
	s_waitcnt_vscnt null, 0x0
	s_barrier
	buffer_gl0_inv
	v_cmpx_lt_i32_e32 2, v51
	s_cbranch_execz .LBB34_46
; %bb.45:
	v_mul_f64 v[26:27], v[0:1], v[26:27]
	ds_read2_b64 v[52:55], v48 offset0:3 offset1:4
	ds_read2_b64 v[56:59], v48 offset0:5 offset1:6
	;; [unrolled: 1-line block ×7, first 2 shown]
	ds_read_b64 v[0:1], v48 offset:136
	s_waitcnt lgkmcnt(7)
	v_fma_f64 v[6:7], -v[26:27], v[52:53], v[6:7]
	v_fma_f64 v[32:33], -v[26:27], v[54:55], v[32:33]
	s_waitcnt lgkmcnt(6)
	v_fma_f64 v[30:31], -v[26:27], v[56:57], v[30:31]
	v_fma_f64 v[10:11], -v[26:27], v[58:59], v[10:11]
	s_waitcnt lgkmcnt(5)
	v_fma_f64 v[8:9], -v[26:27], v[60:61], v[8:9]
	v_fma_f64 v[28:29], -v[26:27], v[62:63], v[28:29]
	s_waitcnt lgkmcnt(4)
	v_fma_f64 v[20:21], -v[26:27], v[64:65], v[20:21]
	v_fma_f64 v[24:25], -v[26:27], v[66:67], v[24:25]
	s_waitcnt lgkmcnt(3)
	v_fma_f64 v[4:5], -v[26:27], v[68:69], v[4:5]
	v_fma_f64 v[34:35], -v[26:27], v[70:71], v[34:35]
	s_waitcnt lgkmcnt(2)
	v_fma_f64 v[14:15], -v[26:27], v[72:73], v[14:15]
	v_fma_f64 v[18:19], -v[26:27], v[74:75], v[18:19]
	s_waitcnt lgkmcnt(1)
	v_fma_f64 v[12:13], -v[26:27], v[76:77], v[12:13]
	v_fma_f64 v[16:17], -v[26:27], v[78:79], v[16:17]
	s_waitcnt lgkmcnt(0)
	v_fma_f64 v[40:41], -v[26:27], v[0:1], v[40:41]
.LBB34_46:
	s_or_b32 exec_lo, exec_lo, s0
	v_lshl_add_u32 v0, v51, 3, v48
	s_barrier
	buffer_gl0_inv
	v_mov_b32_e32 v42, 3
	ds_write_b64 v0, v[6:7]
	s_waitcnt lgkmcnt(0)
	s_barrier
	buffer_gl0_inv
	ds_read_b64 v[0:1], v48 offset:24
	s_cmp_lt_i32 s2, 5
	s_cbranch_scc1 .LBB34_49
; %bb.47:
	v_mov_b32_e32 v42, 3
	v_add3_u32 v43, v49, 0, 32
	s_mov_b32 s0, 4
.LBB34_48:                              ; =>This Inner Loop Header: Depth=1
	ds_read_b64 v[52:53], v43
	v_add_nc_u32_e32 v43, 8, v43
	s_waitcnt lgkmcnt(0)
	v_cmp_lt_f64_e64 vcc_lo, |v[0:1]|, |v[52:53]|
	v_cndmask_b32_e32 v1, v1, v53, vcc_lo
	v_cndmask_b32_e32 v0, v0, v52, vcc_lo
	v_cndmask_b32_e64 v42, v42, s0, vcc_lo
	s_add_i32 s0, s0, 1
	s_cmp_lg_u32 s2, s0
	s_cbranch_scc1 .LBB34_48
.LBB34_49:
	s_mov_b32 s0, exec_lo
	s_waitcnt lgkmcnt(0)
	v_cmpx_eq_f64_e32 0, v[0:1]
	s_xor_b32 s0, exec_lo, s0
; %bb.50:
	v_cmp_ne_u32_e32 vcc_lo, 0, v50
	v_cndmask_b32_e32 v50, 4, v50, vcc_lo
; %bb.51:
	s_andn2_saveexec_b32 s0, s0
	s_cbranch_execz .LBB34_53
; %bb.52:
	v_div_scale_f64 v[43:44], null, v[0:1], v[0:1], 1.0
	v_rcp_f64_e32 v[52:53], v[43:44]
	v_fma_f64 v[54:55], -v[43:44], v[52:53], 1.0
	v_fma_f64 v[52:53], v[52:53], v[54:55], v[52:53]
	v_fma_f64 v[54:55], -v[43:44], v[52:53], 1.0
	v_fma_f64 v[52:53], v[52:53], v[54:55], v[52:53]
	v_div_scale_f64 v[54:55], vcc_lo, 1.0, v[0:1], 1.0
	v_mul_f64 v[56:57], v[54:55], v[52:53]
	v_fma_f64 v[43:44], -v[43:44], v[56:57], v[54:55]
	v_div_fmas_f64 v[43:44], v[43:44], v[52:53], v[56:57]
	v_div_fixup_f64 v[0:1], v[43:44], v[0:1], 1.0
.LBB34_53:
	s_or_b32 exec_lo, exec_lo, s0
	s_mov_b32 s0, exec_lo
	v_cmpx_ne_u32_e64 v51, v42
	s_xor_b32 s0, exec_lo, s0
	s_cbranch_execz .LBB34_59
; %bb.54:
	s_mov_b32 s1, exec_lo
	v_cmpx_eq_u32_e32 3, v51
	s_cbranch_execz .LBB34_58
; %bb.55:
	v_cmp_ne_u32_e32 vcc_lo, 3, v42
	s_xor_b32 s3, s6, -1
	s_and_b32 s7, s3, vcc_lo
	s_and_saveexec_b32 s3, s7
	s_cbranch_execz .LBB34_57
; %bb.56:
	v_ashrrev_i32_e32 v43, 31, v42
	v_lshlrev_b64 v[43:44], 2, v[42:43]
	v_add_co_u32 v43, vcc_lo, v38, v43
	v_add_co_ci_u32_e64 v44, null, v39, v44, vcc_lo
	s_clause 0x1
	global_load_dword v45, v[43:44], off
	global_load_dword v51, v[38:39], off offset:12
	s_waitcnt vmcnt(1)
	global_store_dword v[38:39], v45, off offset:12
	s_waitcnt vmcnt(0)
	global_store_dword v[43:44], v51, off
.LBB34_57:
	s_or_b32 exec_lo, exec_lo, s3
	v_mov_b32_e32 v45, v42
	v_mov_b32_e32 v51, v42
.LBB34_58:
	s_or_b32 exec_lo, exec_lo, s1
.LBB34_59:
	s_andn2_saveexec_b32 s0, s0
	s_cbranch_execz .LBB34_61
; %bb.60:
	v_mov_b32_e32 v42, v32
	v_mov_b32_e32 v43, v33
	;; [unrolled: 1-line block ×12, first 2 shown]
	ds_write2_b64 v48, v[42:43], v[51:52] offset0:4 offset1:5
	ds_write2_b64 v48, v[53:54], v[55:56] offset0:6 offset1:7
	ds_write2_b64 v48, v[57:58], v[59:60] offset0:8 offset1:9
	v_mov_b32_e32 v42, v24
	v_mov_b32_e32 v43, v25
	;; [unrolled: 1-line block ×15, first 2 shown]
	ds_write2_b64 v48, v[42:43], v[52:53] offset0:10 offset1:11
	ds_write2_b64 v48, v[54:55], v[56:57] offset0:12 offset1:13
	;; [unrolled: 1-line block ×4, first 2 shown]
.LBB34_61:
	s_or_b32 exec_lo, exec_lo, s0
	s_mov_b32 s0, exec_lo
	s_waitcnt lgkmcnt(0)
	s_waitcnt_vscnt null, 0x0
	s_barrier
	buffer_gl0_inv
	v_cmpx_lt_i32_e32 3, v51
	s_cbranch_execz .LBB34_63
; %bb.62:
	v_mul_f64 v[6:7], v[0:1], v[6:7]
	ds_read2_b64 v[52:55], v48 offset0:4 offset1:5
	ds_read2_b64 v[56:59], v48 offset0:6 offset1:7
	;; [unrolled: 1-line block ×7, first 2 shown]
	s_waitcnt lgkmcnt(6)
	v_fma_f64 v[32:33], -v[6:7], v[52:53], v[32:33]
	v_fma_f64 v[30:31], -v[6:7], v[54:55], v[30:31]
	s_waitcnt lgkmcnt(5)
	v_fma_f64 v[10:11], -v[6:7], v[56:57], v[10:11]
	v_fma_f64 v[8:9], -v[6:7], v[58:59], v[8:9]
	;; [unrolled: 3-line block ×7, first 2 shown]
.LBB34_63:
	s_or_b32 exec_lo, exec_lo, s0
	v_lshl_add_u32 v0, v51, 3, v48
	s_barrier
	buffer_gl0_inv
	v_mov_b32_e32 v42, 4
	ds_write_b64 v0, v[32:33]
	s_waitcnt lgkmcnt(0)
	s_barrier
	buffer_gl0_inv
	ds_read_b64 v[0:1], v48 offset:32
	s_cmp_lt_i32 s2, 6
	s_cbranch_scc1 .LBB34_66
; %bb.64:
	v_add3_u32 v43, v49, 0, 40
	v_mov_b32_e32 v42, 4
	s_mov_b32 s0, 5
.LBB34_65:                              ; =>This Inner Loop Header: Depth=1
	ds_read_b64 v[52:53], v43
	v_add_nc_u32_e32 v43, 8, v43
	s_waitcnt lgkmcnt(0)
	v_cmp_lt_f64_e64 vcc_lo, |v[0:1]|, |v[52:53]|
	v_cndmask_b32_e32 v1, v1, v53, vcc_lo
	v_cndmask_b32_e32 v0, v0, v52, vcc_lo
	v_cndmask_b32_e64 v42, v42, s0, vcc_lo
	s_add_i32 s0, s0, 1
	s_cmp_lg_u32 s2, s0
	s_cbranch_scc1 .LBB34_65
.LBB34_66:
	s_mov_b32 s0, exec_lo
	s_waitcnt lgkmcnt(0)
	v_cmpx_eq_f64_e32 0, v[0:1]
	s_xor_b32 s0, exec_lo, s0
; %bb.67:
	v_cmp_ne_u32_e32 vcc_lo, 0, v50
	v_cndmask_b32_e32 v50, 5, v50, vcc_lo
; %bb.68:
	s_andn2_saveexec_b32 s0, s0
	s_cbranch_execz .LBB34_70
; %bb.69:
	v_div_scale_f64 v[43:44], null, v[0:1], v[0:1], 1.0
	v_rcp_f64_e32 v[52:53], v[43:44]
	v_fma_f64 v[54:55], -v[43:44], v[52:53], 1.0
	v_fma_f64 v[52:53], v[52:53], v[54:55], v[52:53]
	v_fma_f64 v[54:55], -v[43:44], v[52:53], 1.0
	v_fma_f64 v[52:53], v[52:53], v[54:55], v[52:53]
	v_div_scale_f64 v[54:55], vcc_lo, 1.0, v[0:1], 1.0
	v_mul_f64 v[56:57], v[54:55], v[52:53]
	v_fma_f64 v[43:44], -v[43:44], v[56:57], v[54:55]
	v_div_fmas_f64 v[43:44], v[43:44], v[52:53], v[56:57]
	v_div_fixup_f64 v[0:1], v[43:44], v[0:1], 1.0
.LBB34_70:
	s_or_b32 exec_lo, exec_lo, s0
	s_mov_b32 s0, exec_lo
	v_cmpx_ne_u32_e64 v51, v42
	s_xor_b32 s0, exec_lo, s0
	s_cbranch_execz .LBB34_76
; %bb.71:
	s_mov_b32 s1, exec_lo
	v_cmpx_eq_u32_e32 4, v51
	s_cbranch_execz .LBB34_75
; %bb.72:
	v_cmp_ne_u32_e32 vcc_lo, 4, v42
	s_xor_b32 s3, s6, -1
	s_and_b32 s7, s3, vcc_lo
	s_and_saveexec_b32 s3, s7
	s_cbranch_execz .LBB34_74
; %bb.73:
	v_ashrrev_i32_e32 v43, 31, v42
	v_lshlrev_b64 v[43:44], 2, v[42:43]
	v_add_co_u32 v43, vcc_lo, v38, v43
	v_add_co_ci_u32_e64 v44, null, v39, v44, vcc_lo
	s_clause 0x1
	global_load_dword v45, v[43:44], off
	global_load_dword v51, v[38:39], off offset:16
	s_waitcnt vmcnt(1)
	global_store_dword v[38:39], v45, off offset:16
	s_waitcnt vmcnt(0)
	global_store_dword v[43:44], v51, off
.LBB34_74:
	s_or_b32 exec_lo, exec_lo, s3
	v_mov_b32_e32 v45, v42
	v_mov_b32_e32 v51, v42
.LBB34_75:
	s_or_b32 exec_lo, exec_lo, s1
.LBB34_76:
	s_andn2_saveexec_b32 s0, s0
	s_cbranch_execz .LBB34_78
; %bb.77:
	v_mov_b32_e32 v51, 4
	ds_write2_b64 v48, v[30:31], v[10:11] offset0:5 offset1:6
	ds_write2_b64 v48, v[8:9], v[28:29] offset0:7 offset1:8
	ds_write2_b64 v48, v[20:21], v[24:25] offset0:9 offset1:10
	ds_write2_b64 v48, v[4:5], v[34:35] offset0:11 offset1:12
	ds_write2_b64 v48, v[14:15], v[18:19] offset0:13 offset1:14
	ds_write2_b64 v48, v[12:13], v[16:17] offset0:15 offset1:16
	ds_write_b64 v48, v[40:41] offset:136
.LBB34_78:
	s_or_b32 exec_lo, exec_lo, s0
	s_mov_b32 s0, exec_lo
	s_waitcnt lgkmcnt(0)
	s_waitcnt_vscnt null, 0x0
	s_barrier
	buffer_gl0_inv
	v_cmpx_lt_i32_e32 4, v51
	s_cbranch_execz .LBB34_80
; %bb.79:
	v_mul_f64 v[32:33], v[0:1], v[32:33]
	ds_read2_b64 v[52:55], v48 offset0:5 offset1:6
	ds_read2_b64 v[56:59], v48 offset0:7 offset1:8
	;; [unrolled: 1-line block ×6, first 2 shown]
	ds_read_b64 v[0:1], v48 offset:136
	s_waitcnt lgkmcnt(6)
	v_fma_f64 v[30:31], -v[32:33], v[52:53], v[30:31]
	v_fma_f64 v[10:11], -v[32:33], v[54:55], v[10:11]
	s_waitcnt lgkmcnt(5)
	v_fma_f64 v[8:9], -v[32:33], v[56:57], v[8:9]
	v_fma_f64 v[28:29], -v[32:33], v[58:59], v[28:29]
	;; [unrolled: 3-line block ×6, first 2 shown]
	s_waitcnt lgkmcnt(0)
	v_fma_f64 v[40:41], -v[32:33], v[0:1], v[40:41]
.LBB34_80:
	s_or_b32 exec_lo, exec_lo, s0
	v_lshl_add_u32 v0, v51, 3, v48
	s_barrier
	buffer_gl0_inv
	v_mov_b32_e32 v42, 5
	ds_write_b64 v0, v[30:31]
	s_waitcnt lgkmcnt(0)
	s_barrier
	buffer_gl0_inv
	ds_read_b64 v[0:1], v48 offset:40
	s_cmp_lt_i32 s2, 7
	s_cbranch_scc1 .LBB34_83
; %bb.81:
	v_add3_u32 v43, v49, 0, 48
	v_mov_b32_e32 v42, 5
	s_mov_b32 s0, 6
.LBB34_82:                              ; =>This Inner Loop Header: Depth=1
	ds_read_b64 v[52:53], v43
	v_add_nc_u32_e32 v43, 8, v43
	s_waitcnt lgkmcnt(0)
	v_cmp_lt_f64_e64 vcc_lo, |v[0:1]|, |v[52:53]|
	v_cndmask_b32_e32 v1, v1, v53, vcc_lo
	v_cndmask_b32_e32 v0, v0, v52, vcc_lo
	v_cndmask_b32_e64 v42, v42, s0, vcc_lo
	s_add_i32 s0, s0, 1
	s_cmp_lg_u32 s2, s0
	s_cbranch_scc1 .LBB34_82
.LBB34_83:
	s_mov_b32 s0, exec_lo
	s_waitcnt lgkmcnt(0)
	v_cmpx_eq_f64_e32 0, v[0:1]
	s_xor_b32 s0, exec_lo, s0
; %bb.84:
	v_cmp_ne_u32_e32 vcc_lo, 0, v50
	v_cndmask_b32_e32 v50, 6, v50, vcc_lo
; %bb.85:
	s_andn2_saveexec_b32 s0, s0
	s_cbranch_execz .LBB34_87
; %bb.86:
	v_div_scale_f64 v[43:44], null, v[0:1], v[0:1], 1.0
	v_rcp_f64_e32 v[52:53], v[43:44]
	v_fma_f64 v[54:55], -v[43:44], v[52:53], 1.0
	v_fma_f64 v[52:53], v[52:53], v[54:55], v[52:53]
	v_fma_f64 v[54:55], -v[43:44], v[52:53], 1.0
	v_fma_f64 v[52:53], v[52:53], v[54:55], v[52:53]
	v_div_scale_f64 v[54:55], vcc_lo, 1.0, v[0:1], 1.0
	v_mul_f64 v[56:57], v[54:55], v[52:53]
	v_fma_f64 v[43:44], -v[43:44], v[56:57], v[54:55]
	v_div_fmas_f64 v[43:44], v[43:44], v[52:53], v[56:57]
	v_div_fixup_f64 v[0:1], v[43:44], v[0:1], 1.0
.LBB34_87:
	s_or_b32 exec_lo, exec_lo, s0
	s_mov_b32 s0, exec_lo
	v_cmpx_ne_u32_e64 v51, v42
	s_xor_b32 s0, exec_lo, s0
	s_cbranch_execz .LBB34_93
; %bb.88:
	s_mov_b32 s1, exec_lo
	v_cmpx_eq_u32_e32 5, v51
	s_cbranch_execz .LBB34_92
; %bb.89:
	v_cmp_ne_u32_e32 vcc_lo, 5, v42
	s_xor_b32 s3, s6, -1
	s_and_b32 s7, s3, vcc_lo
	s_and_saveexec_b32 s3, s7
	s_cbranch_execz .LBB34_91
; %bb.90:
	v_ashrrev_i32_e32 v43, 31, v42
	v_lshlrev_b64 v[43:44], 2, v[42:43]
	v_add_co_u32 v43, vcc_lo, v38, v43
	v_add_co_ci_u32_e64 v44, null, v39, v44, vcc_lo
	s_clause 0x1
	global_load_dword v45, v[43:44], off
	global_load_dword v51, v[38:39], off offset:20
	s_waitcnt vmcnt(1)
	global_store_dword v[38:39], v45, off offset:20
	s_waitcnt vmcnt(0)
	global_store_dword v[43:44], v51, off
.LBB34_91:
	s_or_b32 exec_lo, exec_lo, s3
	v_mov_b32_e32 v45, v42
	v_mov_b32_e32 v51, v42
.LBB34_92:
	s_or_b32 exec_lo, exec_lo, s1
.LBB34_93:
	s_andn2_saveexec_b32 s0, s0
	s_cbranch_execz .LBB34_95
; %bb.94:
	v_mov_b32_e32 v42, v10
	v_mov_b32_e32 v43, v11
	;; [unrolled: 1-line block ×8, first 2 shown]
	ds_write2_b64 v48, v[42:43], v[51:52] offset0:6 offset1:7
	ds_write2_b64 v48, v[53:54], v[55:56] offset0:8 offset1:9
	v_mov_b32_e32 v42, v24
	v_mov_b32_e32 v43, v25
	;; [unrolled: 1-line block ×15, first 2 shown]
	ds_write2_b64 v48, v[42:43], v[52:53] offset0:10 offset1:11
	ds_write2_b64 v48, v[54:55], v[56:57] offset0:12 offset1:13
	;; [unrolled: 1-line block ×4, first 2 shown]
.LBB34_95:
	s_or_b32 exec_lo, exec_lo, s0
	s_mov_b32 s0, exec_lo
	s_waitcnt lgkmcnt(0)
	s_waitcnt_vscnt null, 0x0
	s_barrier
	buffer_gl0_inv
	v_cmpx_lt_i32_e32 5, v51
	s_cbranch_execz .LBB34_97
; %bb.96:
	v_mul_f64 v[30:31], v[0:1], v[30:31]
	ds_read2_b64 v[52:55], v48 offset0:6 offset1:7
	ds_read2_b64 v[56:59], v48 offset0:8 offset1:9
	;; [unrolled: 1-line block ×6, first 2 shown]
	s_waitcnt lgkmcnt(5)
	v_fma_f64 v[10:11], -v[30:31], v[52:53], v[10:11]
	v_fma_f64 v[8:9], -v[30:31], v[54:55], v[8:9]
	s_waitcnt lgkmcnt(4)
	v_fma_f64 v[28:29], -v[30:31], v[56:57], v[28:29]
	v_fma_f64 v[20:21], -v[30:31], v[58:59], v[20:21]
	;; [unrolled: 3-line block ×6, first 2 shown]
.LBB34_97:
	s_or_b32 exec_lo, exec_lo, s0
	v_lshl_add_u32 v0, v51, 3, v48
	s_barrier
	buffer_gl0_inv
	v_mov_b32_e32 v42, 6
	ds_write_b64 v0, v[10:11]
	s_waitcnt lgkmcnt(0)
	s_barrier
	buffer_gl0_inv
	ds_read_b64 v[0:1], v48 offset:48
	s_cmp_lt_i32 s2, 8
	s_cbranch_scc1 .LBB34_100
; %bb.98:
	v_add3_u32 v43, v49, 0, 56
	v_mov_b32_e32 v42, 6
	s_mov_b32 s0, 7
.LBB34_99:                              ; =>This Inner Loop Header: Depth=1
	ds_read_b64 v[52:53], v43
	v_add_nc_u32_e32 v43, 8, v43
	s_waitcnt lgkmcnt(0)
	v_cmp_lt_f64_e64 vcc_lo, |v[0:1]|, |v[52:53]|
	v_cndmask_b32_e32 v1, v1, v53, vcc_lo
	v_cndmask_b32_e32 v0, v0, v52, vcc_lo
	v_cndmask_b32_e64 v42, v42, s0, vcc_lo
	s_add_i32 s0, s0, 1
	s_cmp_lg_u32 s2, s0
	s_cbranch_scc1 .LBB34_99
.LBB34_100:
	s_mov_b32 s0, exec_lo
	s_waitcnt lgkmcnt(0)
	v_cmpx_eq_f64_e32 0, v[0:1]
	s_xor_b32 s0, exec_lo, s0
; %bb.101:
	v_cmp_ne_u32_e32 vcc_lo, 0, v50
	v_cndmask_b32_e32 v50, 7, v50, vcc_lo
; %bb.102:
	s_andn2_saveexec_b32 s0, s0
	s_cbranch_execz .LBB34_104
; %bb.103:
	v_div_scale_f64 v[43:44], null, v[0:1], v[0:1], 1.0
	v_rcp_f64_e32 v[52:53], v[43:44]
	v_fma_f64 v[54:55], -v[43:44], v[52:53], 1.0
	v_fma_f64 v[52:53], v[52:53], v[54:55], v[52:53]
	v_fma_f64 v[54:55], -v[43:44], v[52:53], 1.0
	v_fma_f64 v[52:53], v[52:53], v[54:55], v[52:53]
	v_div_scale_f64 v[54:55], vcc_lo, 1.0, v[0:1], 1.0
	v_mul_f64 v[56:57], v[54:55], v[52:53]
	v_fma_f64 v[43:44], -v[43:44], v[56:57], v[54:55]
	v_div_fmas_f64 v[43:44], v[43:44], v[52:53], v[56:57]
	v_div_fixup_f64 v[0:1], v[43:44], v[0:1], 1.0
.LBB34_104:
	s_or_b32 exec_lo, exec_lo, s0
	s_mov_b32 s0, exec_lo
	v_cmpx_ne_u32_e64 v51, v42
	s_xor_b32 s0, exec_lo, s0
	s_cbranch_execz .LBB34_110
; %bb.105:
	s_mov_b32 s1, exec_lo
	v_cmpx_eq_u32_e32 6, v51
	s_cbranch_execz .LBB34_109
; %bb.106:
	v_cmp_ne_u32_e32 vcc_lo, 6, v42
	s_xor_b32 s3, s6, -1
	s_and_b32 s7, s3, vcc_lo
	s_and_saveexec_b32 s3, s7
	s_cbranch_execz .LBB34_108
; %bb.107:
	v_ashrrev_i32_e32 v43, 31, v42
	v_lshlrev_b64 v[43:44], 2, v[42:43]
	v_add_co_u32 v43, vcc_lo, v38, v43
	v_add_co_ci_u32_e64 v44, null, v39, v44, vcc_lo
	s_clause 0x1
	global_load_dword v45, v[43:44], off
	global_load_dword v51, v[38:39], off offset:24
	s_waitcnt vmcnt(1)
	global_store_dword v[38:39], v45, off offset:24
	s_waitcnt vmcnt(0)
	global_store_dword v[43:44], v51, off
.LBB34_108:
	s_or_b32 exec_lo, exec_lo, s3
	v_mov_b32_e32 v45, v42
	v_mov_b32_e32 v51, v42
.LBB34_109:
	s_or_b32 exec_lo, exec_lo, s1
.LBB34_110:
	s_andn2_saveexec_b32 s0, s0
	s_cbranch_execz .LBB34_112
; %bb.111:
	v_mov_b32_e32 v51, 6
	ds_write2_b64 v48, v[8:9], v[28:29] offset0:7 offset1:8
	ds_write2_b64 v48, v[20:21], v[24:25] offset0:9 offset1:10
	;; [unrolled: 1-line block ×5, first 2 shown]
	ds_write_b64 v48, v[40:41] offset:136
.LBB34_112:
	s_or_b32 exec_lo, exec_lo, s0
	s_mov_b32 s0, exec_lo
	s_waitcnt lgkmcnt(0)
	s_waitcnt_vscnt null, 0x0
	s_barrier
	buffer_gl0_inv
	v_cmpx_lt_i32_e32 6, v51
	s_cbranch_execz .LBB34_114
; %bb.113:
	v_mul_f64 v[10:11], v[0:1], v[10:11]
	ds_read2_b64 v[52:55], v48 offset0:7 offset1:8
	ds_read2_b64 v[56:59], v48 offset0:9 offset1:10
	ds_read2_b64 v[60:63], v48 offset0:11 offset1:12
	ds_read2_b64 v[64:67], v48 offset0:13 offset1:14
	ds_read2_b64 v[68:71], v48 offset0:15 offset1:16
	ds_read_b64 v[0:1], v48 offset:136
	s_waitcnt lgkmcnt(5)
	v_fma_f64 v[8:9], -v[10:11], v[52:53], v[8:9]
	v_fma_f64 v[28:29], -v[10:11], v[54:55], v[28:29]
	s_waitcnt lgkmcnt(4)
	v_fma_f64 v[20:21], -v[10:11], v[56:57], v[20:21]
	v_fma_f64 v[24:25], -v[10:11], v[58:59], v[24:25]
	;; [unrolled: 3-line block ×5, first 2 shown]
	s_waitcnt lgkmcnt(0)
	v_fma_f64 v[40:41], -v[10:11], v[0:1], v[40:41]
.LBB34_114:
	s_or_b32 exec_lo, exec_lo, s0
	v_lshl_add_u32 v0, v51, 3, v48
	s_barrier
	buffer_gl0_inv
	v_mov_b32_e32 v42, 7
	ds_write_b64 v0, v[8:9]
	s_waitcnt lgkmcnt(0)
	s_barrier
	buffer_gl0_inv
	ds_read_b64 v[0:1], v48 offset:56
	s_cmp_lt_i32 s2, 9
	s_cbranch_scc1 .LBB34_117
; %bb.115:
	v_add3_u32 v43, v49, 0, 64
	v_mov_b32_e32 v42, 7
	s_mov_b32 s0, 8
.LBB34_116:                             ; =>This Inner Loop Header: Depth=1
	ds_read_b64 v[52:53], v43
	v_add_nc_u32_e32 v43, 8, v43
	s_waitcnt lgkmcnt(0)
	v_cmp_lt_f64_e64 vcc_lo, |v[0:1]|, |v[52:53]|
	v_cndmask_b32_e32 v1, v1, v53, vcc_lo
	v_cndmask_b32_e32 v0, v0, v52, vcc_lo
	v_cndmask_b32_e64 v42, v42, s0, vcc_lo
	s_add_i32 s0, s0, 1
	s_cmp_lg_u32 s2, s0
	s_cbranch_scc1 .LBB34_116
.LBB34_117:
	s_mov_b32 s0, exec_lo
	s_waitcnt lgkmcnt(0)
	v_cmpx_eq_f64_e32 0, v[0:1]
	s_xor_b32 s0, exec_lo, s0
; %bb.118:
	v_cmp_ne_u32_e32 vcc_lo, 0, v50
	v_cndmask_b32_e32 v50, 8, v50, vcc_lo
; %bb.119:
	s_andn2_saveexec_b32 s0, s0
	s_cbranch_execz .LBB34_121
; %bb.120:
	v_div_scale_f64 v[43:44], null, v[0:1], v[0:1], 1.0
	v_rcp_f64_e32 v[52:53], v[43:44]
	v_fma_f64 v[54:55], -v[43:44], v[52:53], 1.0
	v_fma_f64 v[52:53], v[52:53], v[54:55], v[52:53]
	v_fma_f64 v[54:55], -v[43:44], v[52:53], 1.0
	v_fma_f64 v[52:53], v[52:53], v[54:55], v[52:53]
	v_div_scale_f64 v[54:55], vcc_lo, 1.0, v[0:1], 1.0
	v_mul_f64 v[56:57], v[54:55], v[52:53]
	v_fma_f64 v[43:44], -v[43:44], v[56:57], v[54:55]
	v_div_fmas_f64 v[43:44], v[43:44], v[52:53], v[56:57]
	v_div_fixup_f64 v[0:1], v[43:44], v[0:1], 1.0
.LBB34_121:
	s_or_b32 exec_lo, exec_lo, s0
	s_mov_b32 s0, exec_lo
	v_cmpx_ne_u32_e64 v51, v42
	s_xor_b32 s0, exec_lo, s0
	s_cbranch_execz .LBB34_127
; %bb.122:
	s_mov_b32 s1, exec_lo
	v_cmpx_eq_u32_e32 7, v51
	s_cbranch_execz .LBB34_126
; %bb.123:
	v_cmp_ne_u32_e32 vcc_lo, 7, v42
	s_xor_b32 s3, s6, -1
	s_and_b32 s7, s3, vcc_lo
	s_and_saveexec_b32 s3, s7
	s_cbranch_execz .LBB34_125
; %bb.124:
	v_ashrrev_i32_e32 v43, 31, v42
	v_lshlrev_b64 v[43:44], 2, v[42:43]
	v_add_co_u32 v43, vcc_lo, v38, v43
	v_add_co_ci_u32_e64 v44, null, v39, v44, vcc_lo
	s_clause 0x1
	global_load_dword v45, v[43:44], off
	global_load_dword v51, v[38:39], off offset:28
	s_waitcnt vmcnt(1)
	global_store_dword v[38:39], v45, off offset:28
	s_waitcnt vmcnt(0)
	global_store_dword v[43:44], v51, off
.LBB34_125:
	s_or_b32 exec_lo, exec_lo, s3
	v_mov_b32_e32 v45, v42
	v_mov_b32_e32 v51, v42
.LBB34_126:
	s_or_b32 exec_lo, exec_lo, s1
.LBB34_127:
	s_andn2_saveexec_b32 s0, s0
	s_cbranch_execz .LBB34_129
; %bb.128:
	v_mov_b32_e32 v42, v28
	v_mov_b32_e32 v43, v29
	;; [unrolled: 1-line block ×8, first 2 shown]
	ds_write2_b64 v48, v[42:43], v[51:52] offset0:8 offset1:9
	v_mov_b32_e32 v42, v4
	v_mov_b32_e32 v43, v5
	;; [unrolled: 1-line block ×11, first 2 shown]
	ds_write2_b64 v48, v[53:54], v[42:43] offset0:10 offset1:11
	ds_write2_b64 v48, v[55:56], v[57:58] offset0:12 offset1:13
	;; [unrolled: 1-line block ×4, first 2 shown]
.LBB34_129:
	s_or_b32 exec_lo, exec_lo, s0
	s_mov_b32 s0, exec_lo
	s_waitcnt lgkmcnt(0)
	s_waitcnt_vscnt null, 0x0
	s_barrier
	buffer_gl0_inv
	v_cmpx_lt_i32_e32 7, v51
	s_cbranch_execz .LBB34_131
; %bb.130:
	v_mul_f64 v[8:9], v[0:1], v[8:9]
	ds_read2_b64 v[52:55], v48 offset0:8 offset1:9
	ds_read2_b64 v[56:59], v48 offset0:10 offset1:11
	ds_read2_b64 v[60:63], v48 offset0:12 offset1:13
	ds_read2_b64 v[64:67], v48 offset0:14 offset1:15
	ds_read2_b64 v[68:71], v48 offset0:16 offset1:17
	s_waitcnt lgkmcnt(4)
	v_fma_f64 v[28:29], -v[8:9], v[52:53], v[28:29]
	v_fma_f64 v[20:21], -v[8:9], v[54:55], v[20:21]
	s_waitcnt lgkmcnt(3)
	v_fma_f64 v[24:25], -v[8:9], v[56:57], v[24:25]
	v_fma_f64 v[4:5], -v[8:9], v[58:59], v[4:5]
	;; [unrolled: 3-line block ×5, first 2 shown]
.LBB34_131:
	s_or_b32 exec_lo, exec_lo, s0
	v_lshl_add_u32 v0, v51, 3, v48
	s_barrier
	buffer_gl0_inv
	v_mov_b32_e32 v42, 8
	ds_write_b64 v0, v[28:29]
	s_waitcnt lgkmcnt(0)
	s_barrier
	buffer_gl0_inv
	ds_read_b64 v[0:1], v48 offset:64
	s_cmp_lt_i32 s2, 10
	s_cbranch_scc1 .LBB34_134
; %bb.132:
	v_add3_u32 v43, v49, 0, 0x48
	v_mov_b32_e32 v42, 8
	s_mov_b32 s0, 9
.LBB34_133:                             ; =>This Inner Loop Header: Depth=1
	ds_read_b64 v[52:53], v43
	v_add_nc_u32_e32 v43, 8, v43
	s_waitcnt lgkmcnt(0)
	v_cmp_lt_f64_e64 vcc_lo, |v[0:1]|, |v[52:53]|
	v_cndmask_b32_e32 v1, v1, v53, vcc_lo
	v_cndmask_b32_e32 v0, v0, v52, vcc_lo
	v_cndmask_b32_e64 v42, v42, s0, vcc_lo
	s_add_i32 s0, s0, 1
	s_cmp_lg_u32 s2, s0
	s_cbranch_scc1 .LBB34_133
.LBB34_134:
	s_mov_b32 s0, exec_lo
	s_waitcnt lgkmcnt(0)
	v_cmpx_eq_f64_e32 0, v[0:1]
	s_xor_b32 s0, exec_lo, s0
; %bb.135:
	v_cmp_ne_u32_e32 vcc_lo, 0, v50
	v_cndmask_b32_e32 v50, 9, v50, vcc_lo
; %bb.136:
	s_andn2_saveexec_b32 s0, s0
	s_cbranch_execz .LBB34_138
; %bb.137:
	v_div_scale_f64 v[43:44], null, v[0:1], v[0:1], 1.0
	v_rcp_f64_e32 v[52:53], v[43:44]
	v_fma_f64 v[54:55], -v[43:44], v[52:53], 1.0
	v_fma_f64 v[52:53], v[52:53], v[54:55], v[52:53]
	v_fma_f64 v[54:55], -v[43:44], v[52:53], 1.0
	v_fma_f64 v[52:53], v[52:53], v[54:55], v[52:53]
	v_div_scale_f64 v[54:55], vcc_lo, 1.0, v[0:1], 1.0
	v_mul_f64 v[56:57], v[54:55], v[52:53]
	v_fma_f64 v[43:44], -v[43:44], v[56:57], v[54:55]
	v_div_fmas_f64 v[43:44], v[43:44], v[52:53], v[56:57]
	v_div_fixup_f64 v[0:1], v[43:44], v[0:1], 1.0
.LBB34_138:
	s_or_b32 exec_lo, exec_lo, s0
	s_mov_b32 s0, exec_lo
	v_cmpx_ne_u32_e64 v51, v42
	s_xor_b32 s0, exec_lo, s0
	s_cbranch_execz .LBB34_144
; %bb.139:
	s_mov_b32 s1, exec_lo
	v_cmpx_eq_u32_e32 8, v51
	s_cbranch_execz .LBB34_143
; %bb.140:
	v_cmp_ne_u32_e32 vcc_lo, 8, v42
	s_xor_b32 s3, s6, -1
	s_and_b32 s7, s3, vcc_lo
	s_and_saveexec_b32 s3, s7
	s_cbranch_execz .LBB34_142
; %bb.141:
	v_ashrrev_i32_e32 v43, 31, v42
	v_lshlrev_b64 v[43:44], 2, v[42:43]
	v_add_co_u32 v43, vcc_lo, v38, v43
	v_add_co_ci_u32_e64 v44, null, v39, v44, vcc_lo
	s_clause 0x1
	global_load_dword v45, v[43:44], off
	global_load_dword v51, v[38:39], off offset:32
	s_waitcnt vmcnt(1)
	global_store_dword v[38:39], v45, off offset:32
	s_waitcnt vmcnt(0)
	global_store_dword v[43:44], v51, off
.LBB34_142:
	s_or_b32 exec_lo, exec_lo, s3
	v_mov_b32_e32 v45, v42
	v_mov_b32_e32 v51, v42
.LBB34_143:
	s_or_b32 exec_lo, exec_lo, s1
.LBB34_144:
	s_andn2_saveexec_b32 s0, s0
	s_cbranch_execz .LBB34_146
; %bb.145:
	v_mov_b32_e32 v51, 8
	ds_write2_b64 v48, v[20:21], v[24:25] offset0:9 offset1:10
	ds_write2_b64 v48, v[4:5], v[34:35] offset0:11 offset1:12
	;; [unrolled: 1-line block ×4, first 2 shown]
	ds_write_b64 v48, v[40:41] offset:136
.LBB34_146:
	s_or_b32 exec_lo, exec_lo, s0
	s_mov_b32 s0, exec_lo
	s_waitcnt lgkmcnt(0)
	s_waitcnt_vscnt null, 0x0
	s_barrier
	buffer_gl0_inv
	v_cmpx_lt_i32_e32 8, v51
	s_cbranch_execz .LBB34_148
; %bb.147:
	v_mul_f64 v[28:29], v[0:1], v[28:29]
	ds_read2_b64 v[52:55], v48 offset0:9 offset1:10
	ds_read2_b64 v[56:59], v48 offset0:11 offset1:12
	;; [unrolled: 1-line block ×4, first 2 shown]
	ds_read_b64 v[0:1], v48 offset:136
	s_waitcnt lgkmcnt(4)
	v_fma_f64 v[20:21], -v[28:29], v[52:53], v[20:21]
	v_fma_f64 v[24:25], -v[28:29], v[54:55], v[24:25]
	s_waitcnt lgkmcnt(3)
	v_fma_f64 v[4:5], -v[28:29], v[56:57], v[4:5]
	v_fma_f64 v[34:35], -v[28:29], v[58:59], v[34:35]
	;; [unrolled: 3-line block ×4, first 2 shown]
	s_waitcnt lgkmcnt(0)
	v_fma_f64 v[40:41], -v[28:29], v[0:1], v[40:41]
.LBB34_148:
	s_or_b32 exec_lo, exec_lo, s0
	v_lshl_add_u32 v0, v51, 3, v48
	s_barrier
	buffer_gl0_inv
	v_mov_b32_e32 v42, 9
	ds_write_b64 v0, v[20:21]
	s_waitcnt lgkmcnt(0)
	s_barrier
	buffer_gl0_inv
	ds_read_b64 v[0:1], v48 offset:72
	s_cmp_lt_i32 s2, 11
	s_cbranch_scc1 .LBB34_151
; %bb.149:
	v_add3_u32 v43, v49, 0, 0x50
	v_mov_b32_e32 v42, 9
	s_mov_b32 s0, 10
.LBB34_150:                             ; =>This Inner Loop Header: Depth=1
	ds_read_b64 v[52:53], v43
	v_add_nc_u32_e32 v43, 8, v43
	s_waitcnt lgkmcnt(0)
	v_cmp_lt_f64_e64 vcc_lo, |v[0:1]|, |v[52:53]|
	v_cndmask_b32_e32 v1, v1, v53, vcc_lo
	v_cndmask_b32_e32 v0, v0, v52, vcc_lo
	v_cndmask_b32_e64 v42, v42, s0, vcc_lo
	s_add_i32 s0, s0, 1
	s_cmp_lg_u32 s2, s0
	s_cbranch_scc1 .LBB34_150
.LBB34_151:
	s_mov_b32 s0, exec_lo
	s_waitcnt lgkmcnt(0)
	v_cmpx_eq_f64_e32 0, v[0:1]
	s_xor_b32 s0, exec_lo, s0
; %bb.152:
	v_cmp_ne_u32_e32 vcc_lo, 0, v50
	v_cndmask_b32_e32 v50, 10, v50, vcc_lo
; %bb.153:
	s_andn2_saveexec_b32 s0, s0
	s_cbranch_execz .LBB34_155
; %bb.154:
	v_div_scale_f64 v[43:44], null, v[0:1], v[0:1], 1.0
	v_rcp_f64_e32 v[52:53], v[43:44]
	v_fma_f64 v[54:55], -v[43:44], v[52:53], 1.0
	v_fma_f64 v[52:53], v[52:53], v[54:55], v[52:53]
	v_fma_f64 v[54:55], -v[43:44], v[52:53], 1.0
	v_fma_f64 v[52:53], v[52:53], v[54:55], v[52:53]
	v_div_scale_f64 v[54:55], vcc_lo, 1.0, v[0:1], 1.0
	v_mul_f64 v[56:57], v[54:55], v[52:53]
	v_fma_f64 v[43:44], -v[43:44], v[56:57], v[54:55]
	v_div_fmas_f64 v[43:44], v[43:44], v[52:53], v[56:57]
	v_div_fixup_f64 v[0:1], v[43:44], v[0:1], 1.0
.LBB34_155:
	s_or_b32 exec_lo, exec_lo, s0
	s_mov_b32 s0, exec_lo
	v_cmpx_ne_u32_e64 v51, v42
	s_xor_b32 s0, exec_lo, s0
	s_cbranch_execz .LBB34_161
; %bb.156:
	s_mov_b32 s1, exec_lo
	v_cmpx_eq_u32_e32 9, v51
	s_cbranch_execz .LBB34_160
; %bb.157:
	v_cmp_ne_u32_e32 vcc_lo, 9, v42
	s_xor_b32 s3, s6, -1
	s_and_b32 s7, s3, vcc_lo
	s_and_saveexec_b32 s3, s7
	s_cbranch_execz .LBB34_159
; %bb.158:
	v_ashrrev_i32_e32 v43, 31, v42
	v_lshlrev_b64 v[43:44], 2, v[42:43]
	v_add_co_u32 v43, vcc_lo, v38, v43
	v_add_co_ci_u32_e64 v44, null, v39, v44, vcc_lo
	s_clause 0x1
	global_load_dword v45, v[43:44], off
	global_load_dword v51, v[38:39], off offset:36
	s_waitcnt vmcnt(1)
	global_store_dword v[38:39], v45, off offset:36
	s_waitcnt vmcnt(0)
	global_store_dword v[43:44], v51, off
.LBB34_159:
	s_or_b32 exec_lo, exec_lo, s3
	v_mov_b32_e32 v45, v42
	v_mov_b32_e32 v51, v42
.LBB34_160:
	s_or_b32 exec_lo, exec_lo, s1
.LBB34_161:
	s_andn2_saveexec_b32 s0, s0
	s_cbranch_execz .LBB34_163
; %bb.162:
	v_mov_b32_e32 v42, v24
	v_mov_b32_e32 v43, v25
	;; [unrolled: 1-line block ×15, first 2 shown]
	ds_write2_b64 v48, v[42:43], v[52:53] offset0:10 offset1:11
	ds_write2_b64 v48, v[54:55], v[56:57] offset0:12 offset1:13
	;; [unrolled: 1-line block ×4, first 2 shown]
.LBB34_163:
	s_or_b32 exec_lo, exec_lo, s0
	s_mov_b32 s0, exec_lo
	s_waitcnt lgkmcnt(0)
	s_waitcnt_vscnt null, 0x0
	s_barrier
	buffer_gl0_inv
	v_cmpx_lt_i32_e32 9, v51
	s_cbranch_execz .LBB34_165
; %bb.164:
	v_mul_f64 v[20:21], v[0:1], v[20:21]
	ds_read2_b64 v[52:55], v48 offset0:10 offset1:11
	ds_read2_b64 v[56:59], v48 offset0:12 offset1:13
	;; [unrolled: 1-line block ×4, first 2 shown]
	s_waitcnt lgkmcnt(3)
	v_fma_f64 v[24:25], -v[20:21], v[52:53], v[24:25]
	v_fma_f64 v[4:5], -v[20:21], v[54:55], v[4:5]
	s_waitcnt lgkmcnt(2)
	v_fma_f64 v[34:35], -v[20:21], v[56:57], v[34:35]
	v_fma_f64 v[14:15], -v[20:21], v[58:59], v[14:15]
	;; [unrolled: 3-line block ×4, first 2 shown]
.LBB34_165:
	s_or_b32 exec_lo, exec_lo, s0
	v_lshl_add_u32 v0, v51, 3, v48
	s_barrier
	buffer_gl0_inv
	v_mov_b32_e32 v42, 10
	ds_write_b64 v0, v[24:25]
	s_waitcnt lgkmcnt(0)
	s_barrier
	buffer_gl0_inv
	ds_read_b64 v[0:1], v48 offset:80
	s_cmp_lt_i32 s2, 12
	s_cbranch_scc1 .LBB34_168
; %bb.166:
	v_add3_u32 v43, v49, 0, 0x58
	v_mov_b32_e32 v42, 10
	s_mov_b32 s0, 11
.LBB34_167:                             ; =>This Inner Loop Header: Depth=1
	ds_read_b64 v[52:53], v43
	v_add_nc_u32_e32 v43, 8, v43
	s_waitcnt lgkmcnt(0)
	v_cmp_lt_f64_e64 vcc_lo, |v[0:1]|, |v[52:53]|
	v_cndmask_b32_e32 v1, v1, v53, vcc_lo
	v_cndmask_b32_e32 v0, v0, v52, vcc_lo
	v_cndmask_b32_e64 v42, v42, s0, vcc_lo
	s_add_i32 s0, s0, 1
	s_cmp_lg_u32 s2, s0
	s_cbranch_scc1 .LBB34_167
.LBB34_168:
	s_mov_b32 s0, exec_lo
	s_waitcnt lgkmcnt(0)
	v_cmpx_eq_f64_e32 0, v[0:1]
	s_xor_b32 s0, exec_lo, s0
; %bb.169:
	v_cmp_ne_u32_e32 vcc_lo, 0, v50
	v_cndmask_b32_e32 v50, 11, v50, vcc_lo
; %bb.170:
	s_andn2_saveexec_b32 s0, s0
	s_cbranch_execz .LBB34_172
; %bb.171:
	v_div_scale_f64 v[43:44], null, v[0:1], v[0:1], 1.0
	v_rcp_f64_e32 v[52:53], v[43:44]
	v_fma_f64 v[54:55], -v[43:44], v[52:53], 1.0
	v_fma_f64 v[52:53], v[52:53], v[54:55], v[52:53]
	v_fma_f64 v[54:55], -v[43:44], v[52:53], 1.0
	v_fma_f64 v[52:53], v[52:53], v[54:55], v[52:53]
	v_div_scale_f64 v[54:55], vcc_lo, 1.0, v[0:1], 1.0
	v_mul_f64 v[56:57], v[54:55], v[52:53]
	v_fma_f64 v[43:44], -v[43:44], v[56:57], v[54:55]
	v_div_fmas_f64 v[43:44], v[43:44], v[52:53], v[56:57]
	v_div_fixup_f64 v[0:1], v[43:44], v[0:1], 1.0
.LBB34_172:
	s_or_b32 exec_lo, exec_lo, s0
	s_mov_b32 s0, exec_lo
	v_cmpx_ne_u32_e64 v51, v42
	s_xor_b32 s0, exec_lo, s0
	s_cbranch_execz .LBB34_178
; %bb.173:
	s_mov_b32 s1, exec_lo
	v_cmpx_eq_u32_e32 10, v51
	s_cbranch_execz .LBB34_177
; %bb.174:
	v_cmp_ne_u32_e32 vcc_lo, 10, v42
	s_xor_b32 s3, s6, -1
	s_and_b32 s7, s3, vcc_lo
	s_and_saveexec_b32 s3, s7
	s_cbranch_execz .LBB34_176
; %bb.175:
	v_ashrrev_i32_e32 v43, 31, v42
	v_lshlrev_b64 v[43:44], 2, v[42:43]
	v_add_co_u32 v43, vcc_lo, v38, v43
	v_add_co_ci_u32_e64 v44, null, v39, v44, vcc_lo
	s_clause 0x1
	global_load_dword v45, v[43:44], off
	global_load_dword v51, v[38:39], off offset:40
	s_waitcnt vmcnt(1)
	global_store_dword v[38:39], v45, off offset:40
	s_waitcnt vmcnt(0)
	global_store_dword v[43:44], v51, off
.LBB34_176:
	s_or_b32 exec_lo, exec_lo, s3
	v_mov_b32_e32 v45, v42
	v_mov_b32_e32 v51, v42
.LBB34_177:
	s_or_b32 exec_lo, exec_lo, s1
.LBB34_178:
	s_andn2_saveexec_b32 s0, s0
	s_cbranch_execz .LBB34_180
; %bb.179:
	v_mov_b32_e32 v51, 10
	ds_write2_b64 v48, v[4:5], v[34:35] offset0:11 offset1:12
	ds_write2_b64 v48, v[14:15], v[18:19] offset0:13 offset1:14
	;; [unrolled: 1-line block ×3, first 2 shown]
	ds_write_b64 v48, v[40:41] offset:136
.LBB34_180:
	s_or_b32 exec_lo, exec_lo, s0
	s_mov_b32 s0, exec_lo
	s_waitcnt lgkmcnt(0)
	s_waitcnt_vscnt null, 0x0
	s_barrier
	buffer_gl0_inv
	v_cmpx_lt_i32_e32 10, v51
	s_cbranch_execz .LBB34_182
; %bb.181:
	v_mul_f64 v[24:25], v[0:1], v[24:25]
	ds_read2_b64 v[52:55], v48 offset0:11 offset1:12
	ds_read2_b64 v[56:59], v48 offset0:13 offset1:14
	;; [unrolled: 1-line block ×3, first 2 shown]
	ds_read_b64 v[0:1], v48 offset:136
	s_waitcnt lgkmcnt(3)
	v_fma_f64 v[4:5], -v[24:25], v[52:53], v[4:5]
	v_fma_f64 v[34:35], -v[24:25], v[54:55], v[34:35]
	s_waitcnt lgkmcnt(2)
	v_fma_f64 v[14:15], -v[24:25], v[56:57], v[14:15]
	v_fma_f64 v[18:19], -v[24:25], v[58:59], v[18:19]
	;; [unrolled: 3-line block ×3, first 2 shown]
	s_waitcnt lgkmcnt(0)
	v_fma_f64 v[40:41], -v[24:25], v[0:1], v[40:41]
.LBB34_182:
	s_or_b32 exec_lo, exec_lo, s0
	v_lshl_add_u32 v0, v51, 3, v48
	s_barrier
	buffer_gl0_inv
	v_mov_b32_e32 v42, 11
	ds_write_b64 v0, v[4:5]
	s_waitcnt lgkmcnt(0)
	s_barrier
	buffer_gl0_inv
	ds_read_b64 v[0:1], v48 offset:88
	s_cmp_lt_i32 s2, 13
	s_cbranch_scc1 .LBB34_185
; %bb.183:
	v_add3_u32 v43, v49, 0, 0x60
	v_mov_b32_e32 v42, 11
	s_mov_b32 s0, 12
.LBB34_184:                             ; =>This Inner Loop Header: Depth=1
	ds_read_b64 v[52:53], v43
	v_add_nc_u32_e32 v43, 8, v43
	s_waitcnt lgkmcnt(0)
	v_cmp_lt_f64_e64 vcc_lo, |v[0:1]|, |v[52:53]|
	v_cndmask_b32_e32 v1, v1, v53, vcc_lo
	v_cndmask_b32_e32 v0, v0, v52, vcc_lo
	v_cndmask_b32_e64 v42, v42, s0, vcc_lo
	s_add_i32 s0, s0, 1
	s_cmp_lg_u32 s2, s0
	s_cbranch_scc1 .LBB34_184
.LBB34_185:
	s_mov_b32 s0, exec_lo
	s_waitcnt lgkmcnt(0)
	v_cmpx_eq_f64_e32 0, v[0:1]
	s_xor_b32 s0, exec_lo, s0
; %bb.186:
	v_cmp_ne_u32_e32 vcc_lo, 0, v50
	v_cndmask_b32_e32 v50, 12, v50, vcc_lo
; %bb.187:
	s_andn2_saveexec_b32 s0, s0
	s_cbranch_execz .LBB34_189
; %bb.188:
	v_div_scale_f64 v[43:44], null, v[0:1], v[0:1], 1.0
	v_rcp_f64_e32 v[52:53], v[43:44]
	v_fma_f64 v[54:55], -v[43:44], v[52:53], 1.0
	v_fma_f64 v[52:53], v[52:53], v[54:55], v[52:53]
	v_fma_f64 v[54:55], -v[43:44], v[52:53], 1.0
	v_fma_f64 v[52:53], v[52:53], v[54:55], v[52:53]
	v_div_scale_f64 v[54:55], vcc_lo, 1.0, v[0:1], 1.0
	v_mul_f64 v[56:57], v[54:55], v[52:53]
	v_fma_f64 v[43:44], -v[43:44], v[56:57], v[54:55]
	v_div_fmas_f64 v[43:44], v[43:44], v[52:53], v[56:57]
	v_div_fixup_f64 v[0:1], v[43:44], v[0:1], 1.0
.LBB34_189:
	s_or_b32 exec_lo, exec_lo, s0
	s_mov_b32 s0, exec_lo
	v_cmpx_ne_u32_e64 v51, v42
	s_xor_b32 s0, exec_lo, s0
	s_cbranch_execz .LBB34_195
; %bb.190:
	s_mov_b32 s1, exec_lo
	v_cmpx_eq_u32_e32 11, v51
	s_cbranch_execz .LBB34_194
; %bb.191:
	v_cmp_ne_u32_e32 vcc_lo, 11, v42
	s_xor_b32 s3, s6, -1
	s_and_b32 s7, s3, vcc_lo
	s_and_saveexec_b32 s3, s7
	s_cbranch_execz .LBB34_193
; %bb.192:
	v_ashrrev_i32_e32 v43, 31, v42
	v_lshlrev_b64 v[43:44], 2, v[42:43]
	v_add_co_u32 v43, vcc_lo, v38, v43
	v_add_co_ci_u32_e64 v44, null, v39, v44, vcc_lo
	s_clause 0x1
	global_load_dword v45, v[43:44], off
	global_load_dword v51, v[38:39], off offset:44
	s_waitcnt vmcnt(1)
	global_store_dword v[38:39], v45, off offset:44
	s_waitcnt vmcnt(0)
	global_store_dword v[43:44], v51, off
.LBB34_193:
	s_or_b32 exec_lo, exec_lo, s3
	v_mov_b32_e32 v45, v42
	v_mov_b32_e32 v51, v42
.LBB34_194:
	s_or_b32 exec_lo, exec_lo, s1
.LBB34_195:
	s_andn2_saveexec_b32 s0, s0
	s_cbranch_execz .LBB34_197
; %bb.196:
	v_mov_b32_e32 v42, v34
	v_mov_b32_e32 v43, v35
	;; [unrolled: 1-line block ×11, first 2 shown]
	ds_write2_b64 v48, v[42:43], v[52:53] offset0:12 offset1:13
	ds_write2_b64 v48, v[54:55], v[56:57] offset0:14 offset1:15
	;; [unrolled: 1-line block ×3, first 2 shown]
.LBB34_197:
	s_or_b32 exec_lo, exec_lo, s0
	s_mov_b32 s0, exec_lo
	s_waitcnt lgkmcnt(0)
	s_waitcnt_vscnt null, 0x0
	s_barrier
	buffer_gl0_inv
	v_cmpx_lt_i32_e32 11, v51
	s_cbranch_execz .LBB34_199
; %bb.198:
	v_mul_f64 v[4:5], v[0:1], v[4:5]
	ds_read2_b64 v[52:55], v48 offset0:12 offset1:13
	ds_read2_b64 v[56:59], v48 offset0:14 offset1:15
	;; [unrolled: 1-line block ×3, first 2 shown]
	s_waitcnt lgkmcnt(2)
	v_fma_f64 v[34:35], -v[4:5], v[52:53], v[34:35]
	v_fma_f64 v[14:15], -v[4:5], v[54:55], v[14:15]
	s_waitcnt lgkmcnt(1)
	v_fma_f64 v[18:19], -v[4:5], v[56:57], v[18:19]
	v_fma_f64 v[12:13], -v[4:5], v[58:59], v[12:13]
	;; [unrolled: 3-line block ×3, first 2 shown]
.LBB34_199:
	s_or_b32 exec_lo, exec_lo, s0
	v_lshl_add_u32 v0, v51, 3, v48
	s_barrier
	buffer_gl0_inv
	v_mov_b32_e32 v42, 12
	ds_write_b64 v0, v[34:35]
	s_waitcnt lgkmcnt(0)
	s_barrier
	buffer_gl0_inv
	ds_read_b64 v[0:1], v48 offset:96
	s_cmp_lt_i32 s2, 14
	s_cbranch_scc1 .LBB34_202
; %bb.200:
	v_add3_u32 v43, v49, 0, 0x68
	v_mov_b32_e32 v42, 12
	s_mov_b32 s0, 13
.LBB34_201:                             ; =>This Inner Loop Header: Depth=1
	ds_read_b64 v[52:53], v43
	v_add_nc_u32_e32 v43, 8, v43
	s_waitcnt lgkmcnt(0)
	v_cmp_lt_f64_e64 vcc_lo, |v[0:1]|, |v[52:53]|
	v_cndmask_b32_e32 v1, v1, v53, vcc_lo
	v_cndmask_b32_e32 v0, v0, v52, vcc_lo
	v_cndmask_b32_e64 v42, v42, s0, vcc_lo
	s_add_i32 s0, s0, 1
	s_cmp_lg_u32 s2, s0
	s_cbranch_scc1 .LBB34_201
.LBB34_202:
	s_mov_b32 s0, exec_lo
	s_waitcnt lgkmcnt(0)
	v_cmpx_eq_f64_e32 0, v[0:1]
	s_xor_b32 s0, exec_lo, s0
; %bb.203:
	v_cmp_ne_u32_e32 vcc_lo, 0, v50
	v_cndmask_b32_e32 v50, 13, v50, vcc_lo
; %bb.204:
	s_andn2_saveexec_b32 s0, s0
	s_cbranch_execz .LBB34_206
; %bb.205:
	v_div_scale_f64 v[43:44], null, v[0:1], v[0:1], 1.0
	v_rcp_f64_e32 v[52:53], v[43:44]
	v_fma_f64 v[54:55], -v[43:44], v[52:53], 1.0
	v_fma_f64 v[52:53], v[52:53], v[54:55], v[52:53]
	v_fma_f64 v[54:55], -v[43:44], v[52:53], 1.0
	v_fma_f64 v[52:53], v[52:53], v[54:55], v[52:53]
	v_div_scale_f64 v[54:55], vcc_lo, 1.0, v[0:1], 1.0
	v_mul_f64 v[56:57], v[54:55], v[52:53]
	v_fma_f64 v[43:44], -v[43:44], v[56:57], v[54:55]
	v_div_fmas_f64 v[43:44], v[43:44], v[52:53], v[56:57]
	v_div_fixup_f64 v[0:1], v[43:44], v[0:1], 1.0
.LBB34_206:
	s_or_b32 exec_lo, exec_lo, s0
	s_mov_b32 s0, exec_lo
	v_cmpx_ne_u32_e64 v51, v42
	s_xor_b32 s0, exec_lo, s0
	s_cbranch_execz .LBB34_212
; %bb.207:
	s_mov_b32 s1, exec_lo
	v_cmpx_eq_u32_e32 12, v51
	s_cbranch_execz .LBB34_211
; %bb.208:
	v_cmp_ne_u32_e32 vcc_lo, 12, v42
	s_xor_b32 s3, s6, -1
	s_and_b32 s7, s3, vcc_lo
	s_and_saveexec_b32 s3, s7
	s_cbranch_execz .LBB34_210
; %bb.209:
	v_ashrrev_i32_e32 v43, 31, v42
	v_lshlrev_b64 v[43:44], 2, v[42:43]
	v_add_co_u32 v43, vcc_lo, v38, v43
	v_add_co_ci_u32_e64 v44, null, v39, v44, vcc_lo
	s_clause 0x1
	global_load_dword v45, v[43:44], off
	global_load_dword v51, v[38:39], off offset:48
	s_waitcnt vmcnt(1)
	global_store_dword v[38:39], v45, off offset:48
	s_waitcnt vmcnt(0)
	global_store_dword v[43:44], v51, off
.LBB34_210:
	s_or_b32 exec_lo, exec_lo, s3
	v_mov_b32_e32 v45, v42
	v_mov_b32_e32 v51, v42
.LBB34_211:
	s_or_b32 exec_lo, exec_lo, s1
.LBB34_212:
	s_andn2_saveexec_b32 s0, s0
	s_cbranch_execz .LBB34_214
; %bb.213:
	v_mov_b32_e32 v51, 12
	ds_write2_b64 v48, v[14:15], v[18:19] offset0:13 offset1:14
	ds_write2_b64 v48, v[12:13], v[16:17] offset0:15 offset1:16
	ds_write_b64 v48, v[40:41] offset:136
.LBB34_214:
	s_or_b32 exec_lo, exec_lo, s0
	s_mov_b32 s0, exec_lo
	s_waitcnt lgkmcnt(0)
	s_waitcnt_vscnt null, 0x0
	s_barrier
	buffer_gl0_inv
	v_cmpx_lt_i32_e32 12, v51
	s_cbranch_execz .LBB34_216
; %bb.215:
	v_mul_f64 v[34:35], v[0:1], v[34:35]
	ds_read2_b64 v[52:55], v48 offset0:13 offset1:14
	ds_read2_b64 v[56:59], v48 offset0:15 offset1:16
	ds_read_b64 v[0:1], v48 offset:136
	s_waitcnt lgkmcnt(2)
	v_fma_f64 v[14:15], -v[34:35], v[52:53], v[14:15]
	v_fma_f64 v[18:19], -v[34:35], v[54:55], v[18:19]
	s_waitcnt lgkmcnt(1)
	v_fma_f64 v[12:13], -v[34:35], v[56:57], v[12:13]
	v_fma_f64 v[16:17], -v[34:35], v[58:59], v[16:17]
	s_waitcnt lgkmcnt(0)
	v_fma_f64 v[40:41], -v[34:35], v[0:1], v[40:41]
.LBB34_216:
	s_or_b32 exec_lo, exec_lo, s0
	v_lshl_add_u32 v0, v51, 3, v48
	s_barrier
	buffer_gl0_inv
	v_mov_b32_e32 v42, 13
	ds_write_b64 v0, v[14:15]
	s_waitcnt lgkmcnt(0)
	s_barrier
	buffer_gl0_inv
	ds_read_b64 v[0:1], v48 offset:104
	s_cmp_lt_i32 s2, 15
	s_cbranch_scc1 .LBB34_219
; %bb.217:
	v_add3_u32 v43, v49, 0, 0x70
	v_mov_b32_e32 v42, 13
	s_mov_b32 s0, 14
.LBB34_218:                             ; =>This Inner Loop Header: Depth=1
	ds_read_b64 v[52:53], v43
	v_add_nc_u32_e32 v43, 8, v43
	s_waitcnt lgkmcnt(0)
	v_cmp_lt_f64_e64 vcc_lo, |v[0:1]|, |v[52:53]|
	v_cndmask_b32_e32 v1, v1, v53, vcc_lo
	v_cndmask_b32_e32 v0, v0, v52, vcc_lo
	v_cndmask_b32_e64 v42, v42, s0, vcc_lo
	s_add_i32 s0, s0, 1
	s_cmp_lg_u32 s2, s0
	s_cbranch_scc1 .LBB34_218
.LBB34_219:
	s_mov_b32 s0, exec_lo
	s_waitcnt lgkmcnt(0)
	v_cmpx_eq_f64_e32 0, v[0:1]
	s_xor_b32 s0, exec_lo, s0
; %bb.220:
	v_cmp_ne_u32_e32 vcc_lo, 0, v50
	v_cndmask_b32_e32 v50, 14, v50, vcc_lo
; %bb.221:
	s_andn2_saveexec_b32 s0, s0
	s_cbranch_execz .LBB34_223
; %bb.222:
	v_div_scale_f64 v[43:44], null, v[0:1], v[0:1], 1.0
	v_rcp_f64_e32 v[52:53], v[43:44]
	v_fma_f64 v[54:55], -v[43:44], v[52:53], 1.0
	v_fma_f64 v[52:53], v[52:53], v[54:55], v[52:53]
	v_fma_f64 v[54:55], -v[43:44], v[52:53], 1.0
	v_fma_f64 v[52:53], v[52:53], v[54:55], v[52:53]
	v_div_scale_f64 v[54:55], vcc_lo, 1.0, v[0:1], 1.0
	v_mul_f64 v[56:57], v[54:55], v[52:53]
	v_fma_f64 v[43:44], -v[43:44], v[56:57], v[54:55]
	v_div_fmas_f64 v[43:44], v[43:44], v[52:53], v[56:57]
	v_div_fixup_f64 v[0:1], v[43:44], v[0:1], 1.0
.LBB34_223:
	s_or_b32 exec_lo, exec_lo, s0
	s_mov_b32 s0, exec_lo
	v_cmpx_ne_u32_e64 v51, v42
	s_xor_b32 s0, exec_lo, s0
	s_cbranch_execz .LBB34_229
; %bb.224:
	s_mov_b32 s1, exec_lo
	v_cmpx_eq_u32_e32 13, v51
	s_cbranch_execz .LBB34_228
; %bb.225:
	v_cmp_ne_u32_e32 vcc_lo, 13, v42
	s_xor_b32 s3, s6, -1
	s_and_b32 s7, s3, vcc_lo
	s_and_saveexec_b32 s3, s7
	s_cbranch_execz .LBB34_227
; %bb.226:
	v_ashrrev_i32_e32 v43, 31, v42
	v_lshlrev_b64 v[43:44], 2, v[42:43]
	v_add_co_u32 v43, vcc_lo, v38, v43
	v_add_co_ci_u32_e64 v44, null, v39, v44, vcc_lo
	s_clause 0x1
	global_load_dword v45, v[43:44], off
	global_load_dword v51, v[38:39], off offset:52
	s_waitcnt vmcnt(1)
	global_store_dword v[38:39], v45, off offset:52
	s_waitcnt vmcnt(0)
	global_store_dword v[43:44], v51, off
.LBB34_227:
	s_or_b32 exec_lo, exec_lo, s3
	v_mov_b32_e32 v45, v42
	v_mov_b32_e32 v51, v42
.LBB34_228:
	s_or_b32 exec_lo, exec_lo, s1
.LBB34_229:
	s_andn2_saveexec_b32 s0, s0
	s_cbranch_execz .LBB34_231
; %bb.230:
	v_mov_b32_e32 v42, v18
	v_mov_b32_e32 v43, v19
	;; [unrolled: 1-line block ×7, first 2 shown]
	ds_write2_b64 v48, v[42:43], v[52:53] offset0:14 offset1:15
	ds_write2_b64 v48, v[54:55], v[40:41] offset0:16 offset1:17
.LBB34_231:
	s_or_b32 exec_lo, exec_lo, s0
	s_mov_b32 s0, exec_lo
	s_waitcnt lgkmcnt(0)
	s_waitcnt_vscnt null, 0x0
	s_barrier
	buffer_gl0_inv
	v_cmpx_lt_i32_e32 13, v51
	s_cbranch_execz .LBB34_233
; %bb.232:
	v_mul_f64 v[14:15], v[0:1], v[14:15]
	ds_read2_b64 v[52:55], v48 offset0:14 offset1:15
	ds_read2_b64 v[56:59], v48 offset0:16 offset1:17
	s_waitcnt lgkmcnt(1)
	v_fma_f64 v[18:19], -v[14:15], v[52:53], v[18:19]
	v_fma_f64 v[12:13], -v[14:15], v[54:55], v[12:13]
	s_waitcnt lgkmcnt(0)
	v_fma_f64 v[16:17], -v[14:15], v[56:57], v[16:17]
	v_fma_f64 v[40:41], -v[14:15], v[58:59], v[40:41]
.LBB34_233:
	s_or_b32 exec_lo, exec_lo, s0
	v_lshl_add_u32 v0, v51, 3, v48
	s_barrier
	buffer_gl0_inv
	v_mov_b32_e32 v42, 14
	ds_write_b64 v0, v[18:19]
	s_waitcnt lgkmcnt(0)
	s_barrier
	buffer_gl0_inv
	ds_read_b64 v[0:1], v48 offset:112
	s_cmp_lt_i32 s2, 16
	s_cbranch_scc1 .LBB34_236
; %bb.234:
	v_add3_u32 v43, v49, 0, 0x78
	v_mov_b32_e32 v42, 14
	s_mov_b32 s0, 15
.LBB34_235:                             ; =>This Inner Loop Header: Depth=1
	ds_read_b64 v[52:53], v43
	v_add_nc_u32_e32 v43, 8, v43
	s_waitcnt lgkmcnt(0)
	v_cmp_lt_f64_e64 vcc_lo, |v[0:1]|, |v[52:53]|
	v_cndmask_b32_e32 v1, v1, v53, vcc_lo
	v_cndmask_b32_e32 v0, v0, v52, vcc_lo
	v_cndmask_b32_e64 v42, v42, s0, vcc_lo
	s_add_i32 s0, s0, 1
	s_cmp_lg_u32 s2, s0
	s_cbranch_scc1 .LBB34_235
.LBB34_236:
	s_mov_b32 s0, exec_lo
	s_waitcnt lgkmcnt(0)
	v_cmpx_eq_f64_e32 0, v[0:1]
	s_xor_b32 s0, exec_lo, s0
; %bb.237:
	v_cmp_ne_u32_e32 vcc_lo, 0, v50
	v_cndmask_b32_e32 v50, 15, v50, vcc_lo
; %bb.238:
	s_andn2_saveexec_b32 s0, s0
	s_cbranch_execz .LBB34_240
; %bb.239:
	v_div_scale_f64 v[43:44], null, v[0:1], v[0:1], 1.0
	v_rcp_f64_e32 v[52:53], v[43:44]
	v_fma_f64 v[54:55], -v[43:44], v[52:53], 1.0
	v_fma_f64 v[52:53], v[52:53], v[54:55], v[52:53]
	v_fma_f64 v[54:55], -v[43:44], v[52:53], 1.0
	v_fma_f64 v[52:53], v[52:53], v[54:55], v[52:53]
	v_div_scale_f64 v[54:55], vcc_lo, 1.0, v[0:1], 1.0
	v_mul_f64 v[56:57], v[54:55], v[52:53]
	v_fma_f64 v[43:44], -v[43:44], v[56:57], v[54:55]
	v_div_fmas_f64 v[43:44], v[43:44], v[52:53], v[56:57]
	v_div_fixup_f64 v[0:1], v[43:44], v[0:1], 1.0
.LBB34_240:
	s_or_b32 exec_lo, exec_lo, s0
	s_mov_b32 s0, exec_lo
	v_cmpx_ne_u32_e64 v51, v42
	s_xor_b32 s0, exec_lo, s0
	s_cbranch_execz .LBB34_246
; %bb.241:
	s_mov_b32 s1, exec_lo
	v_cmpx_eq_u32_e32 14, v51
	s_cbranch_execz .LBB34_245
; %bb.242:
	v_cmp_ne_u32_e32 vcc_lo, 14, v42
	s_xor_b32 s3, s6, -1
	s_and_b32 s7, s3, vcc_lo
	s_and_saveexec_b32 s3, s7
	s_cbranch_execz .LBB34_244
; %bb.243:
	v_ashrrev_i32_e32 v43, 31, v42
	v_lshlrev_b64 v[43:44], 2, v[42:43]
	v_add_co_u32 v43, vcc_lo, v38, v43
	v_add_co_ci_u32_e64 v44, null, v39, v44, vcc_lo
	s_clause 0x1
	global_load_dword v45, v[43:44], off
	global_load_dword v51, v[38:39], off offset:56
	s_waitcnt vmcnt(1)
	global_store_dword v[38:39], v45, off offset:56
	s_waitcnt vmcnt(0)
	global_store_dword v[43:44], v51, off
.LBB34_244:
	s_or_b32 exec_lo, exec_lo, s3
	v_mov_b32_e32 v45, v42
	v_mov_b32_e32 v51, v42
.LBB34_245:
	s_or_b32 exec_lo, exec_lo, s1
.LBB34_246:
	s_andn2_saveexec_b32 s0, s0
	s_cbranch_execz .LBB34_248
; %bb.247:
	v_mov_b32_e32 v51, 14
	ds_write2_b64 v48, v[12:13], v[16:17] offset0:15 offset1:16
	ds_write_b64 v48, v[40:41] offset:136
.LBB34_248:
	s_or_b32 exec_lo, exec_lo, s0
	s_mov_b32 s0, exec_lo
	s_waitcnt lgkmcnt(0)
	s_waitcnt_vscnt null, 0x0
	s_barrier
	buffer_gl0_inv
	v_cmpx_lt_i32_e32 14, v51
	s_cbranch_execz .LBB34_250
; %bb.249:
	v_mul_f64 v[18:19], v[0:1], v[18:19]
	ds_read2_b64 v[52:55], v48 offset0:15 offset1:16
	ds_read_b64 v[0:1], v48 offset:136
	s_waitcnt lgkmcnt(1)
	v_fma_f64 v[12:13], -v[18:19], v[52:53], v[12:13]
	v_fma_f64 v[16:17], -v[18:19], v[54:55], v[16:17]
	s_waitcnt lgkmcnt(0)
	v_fma_f64 v[40:41], -v[18:19], v[0:1], v[40:41]
.LBB34_250:
	s_or_b32 exec_lo, exec_lo, s0
	v_lshl_add_u32 v0, v51, 3, v48
	s_barrier
	buffer_gl0_inv
	v_mov_b32_e32 v42, 15
	ds_write_b64 v0, v[12:13]
	s_waitcnt lgkmcnt(0)
	s_barrier
	buffer_gl0_inv
	ds_read_b64 v[0:1], v48 offset:120
	s_cmp_lt_i32 s2, 17
	s_cbranch_scc1 .LBB34_253
; %bb.251:
	v_add3_u32 v43, v49, 0, 0x80
	v_mov_b32_e32 v42, 15
	s_mov_b32 s0, 16
.LBB34_252:                             ; =>This Inner Loop Header: Depth=1
	ds_read_b64 v[52:53], v43
	v_add_nc_u32_e32 v43, 8, v43
	s_waitcnt lgkmcnt(0)
	v_cmp_lt_f64_e64 vcc_lo, |v[0:1]|, |v[52:53]|
	v_cndmask_b32_e32 v1, v1, v53, vcc_lo
	v_cndmask_b32_e32 v0, v0, v52, vcc_lo
	v_cndmask_b32_e64 v42, v42, s0, vcc_lo
	s_add_i32 s0, s0, 1
	s_cmp_lg_u32 s2, s0
	s_cbranch_scc1 .LBB34_252
.LBB34_253:
	s_mov_b32 s0, exec_lo
	s_waitcnt lgkmcnt(0)
	v_cmpx_eq_f64_e32 0, v[0:1]
	s_xor_b32 s0, exec_lo, s0
; %bb.254:
	v_cmp_ne_u32_e32 vcc_lo, 0, v50
	v_cndmask_b32_e32 v50, 16, v50, vcc_lo
; %bb.255:
	s_andn2_saveexec_b32 s0, s0
	s_cbranch_execz .LBB34_257
; %bb.256:
	v_div_scale_f64 v[43:44], null, v[0:1], v[0:1], 1.0
	v_rcp_f64_e32 v[52:53], v[43:44]
	v_fma_f64 v[54:55], -v[43:44], v[52:53], 1.0
	v_fma_f64 v[52:53], v[52:53], v[54:55], v[52:53]
	v_fma_f64 v[54:55], -v[43:44], v[52:53], 1.0
	v_fma_f64 v[52:53], v[52:53], v[54:55], v[52:53]
	v_div_scale_f64 v[54:55], vcc_lo, 1.0, v[0:1], 1.0
	v_mul_f64 v[56:57], v[54:55], v[52:53]
	v_fma_f64 v[43:44], -v[43:44], v[56:57], v[54:55]
	v_div_fmas_f64 v[43:44], v[43:44], v[52:53], v[56:57]
	v_div_fixup_f64 v[0:1], v[43:44], v[0:1], 1.0
.LBB34_257:
	s_or_b32 exec_lo, exec_lo, s0
	s_mov_b32 s0, exec_lo
	v_cmpx_ne_u32_e64 v51, v42
	s_xor_b32 s0, exec_lo, s0
	s_cbranch_execz .LBB34_263
; %bb.258:
	s_mov_b32 s1, exec_lo
	v_cmpx_eq_u32_e32 15, v51
	s_cbranch_execz .LBB34_262
; %bb.259:
	v_cmp_ne_u32_e32 vcc_lo, 15, v42
	s_xor_b32 s3, s6, -1
	s_and_b32 s7, s3, vcc_lo
	s_and_saveexec_b32 s3, s7
	s_cbranch_execz .LBB34_261
; %bb.260:
	v_ashrrev_i32_e32 v43, 31, v42
	v_lshlrev_b64 v[43:44], 2, v[42:43]
	v_add_co_u32 v43, vcc_lo, v38, v43
	v_add_co_ci_u32_e64 v44, null, v39, v44, vcc_lo
	s_clause 0x1
	global_load_dword v45, v[43:44], off
	global_load_dword v51, v[38:39], off offset:60
	s_waitcnt vmcnt(1)
	global_store_dword v[38:39], v45, off offset:60
	s_waitcnt vmcnt(0)
	global_store_dword v[43:44], v51, off
.LBB34_261:
	s_or_b32 exec_lo, exec_lo, s3
	v_mov_b32_e32 v45, v42
	v_mov_b32_e32 v51, v42
.LBB34_262:
	s_or_b32 exec_lo, exec_lo, s1
.LBB34_263:
	s_andn2_saveexec_b32 s0, s0
	s_cbranch_execz .LBB34_265
; %bb.264:
	v_mov_b32_e32 v42, v16
	v_mov_b32_e32 v43, v17
	;; [unrolled: 1-line block ×3, first 2 shown]
	ds_write2_b64 v48, v[42:43], v[40:41] offset0:16 offset1:17
.LBB34_265:
	s_or_b32 exec_lo, exec_lo, s0
	s_mov_b32 s0, exec_lo
	s_waitcnt lgkmcnt(0)
	s_waitcnt_vscnt null, 0x0
	s_barrier
	buffer_gl0_inv
	v_cmpx_lt_i32_e32 15, v51
	s_cbranch_execz .LBB34_267
; %bb.266:
	v_mul_f64 v[12:13], v[0:1], v[12:13]
	ds_read2_b64 v[52:55], v48 offset0:16 offset1:17
	s_waitcnt lgkmcnt(0)
	v_fma_f64 v[16:17], -v[12:13], v[52:53], v[16:17]
	v_fma_f64 v[40:41], -v[12:13], v[54:55], v[40:41]
.LBB34_267:
	s_or_b32 exec_lo, exec_lo, s0
	v_lshl_add_u32 v0, v51, 3, v48
	s_barrier
	buffer_gl0_inv
	v_mov_b32_e32 v42, 16
	ds_write_b64 v0, v[16:17]
	s_waitcnt lgkmcnt(0)
	s_barrier
	buffer_gl0_inv
	ds_read_b64 v[0:1], v48 offset:128
	s_cmp_lt_i32 s2, 18
	s_cbranch_scc1 .LBB34_270
; %bb.268:
	v_add3_u32 v43, v49, 0, 0x88
	v_mov_b32_e32 v42, 16
	s_mov_b32 s0, 17
.LBB34_269:                             ; =>This Inner Loop Header: Depth=1
	ds_read_b64 v[52:53], v43
	v_add_nc_u32_e32 v43, 8, v43
	s_waitcnt lgkmcnt(0)
	v_cmp_lt_f64_e64 vcc_lo, |v[0:1]|, |v[52:53]|
	v_cndmask_b32_e32 v1, v1, v53, vcc_lo
	v_cndmask_b32_e32 v0, v0, v52, vcc_lo
	v_cndmask_b32_e64 v42, v42, s0, vcc_lo
	s_add_i32 s0, s0, 1
	s_cmp_lg_u32 s2, s0
	s_cbranch_scc1 .LBB34_269
.LBB34_270:
	s_mov_b32 s0, exec_lo
	s_waitcnt lgkmcnt(0)
	v_cmpx_eq_f64_e32 0, v[0:1]
	s_xor_b32 s0, exec_lo, s0
; %bb.271:
	v_cmp_ne_u32_e32 vcc_lo, 0, v50
	v_cndmask_b32_e32 v50, 17, v50, vcc_lo
; %bb.272:
	s_andn2_saveexec_b32 s0, s0
	s_cbranch_execz .LBB34_274
; %bb.273:
	v_div_scale_f64 v[43:44], null, v[0:1], v[0:1], 1.0
	v_rcp_f64_e32 v[52:53], v[43:44]
	v_fma_f64 v[54:55], -v[43:44], v[52:53], 1.0
	v_fma_f64 v[52:53], v[52:53], v[54:55], v[52:53]
	v_fma_f64 v[54:55], -v[43:44], v[52:53], 1.0
	v_fma_f64 v[52:53], v[52:53], v[54:55], v[52:53]
	v_div_scale_f64 v[54:55], vcc_lo, 1.0, v[0:1], 1.0
	v_mul_f64 v[56:57], v[54:55], v[52:53]
	v_fma_f64 v[43:44], -v[43:44], v[56:57], v[54:55]
	v_div_fmas_f64 v[43:44], v[43:44], v[52:53], v[56:57]
	v_div_fixup_f64 v[0:1], v[43:44], v[0:1], 1.0
.LBB34_274:
	s_or_b32 exec_lo, exec_lo, s0
	s_mov_b32 s0, exec_lo
	v_cmpx_ne_u32_e64 v51, v42
	s_xor_b32 s0, exec_lo, s0
	s_cbranch_execz .LBB34_280
; %bb.275:
	s_mov_b32 s1, exec_lo
	v_cmpx_eq_u32_e32 16, v51
	s_cbranch_execz .LBB34_279
; %bb.276:
	v_cmp_ne_u32_e32 vcc_lo, 16, v42
	s_xor_b32 s3, s6, -1
	s_and_b32 s7, s3, vcc_lo
	s_and_saveexec_b32 s3, s7
	s_cbranch_execz .LBB34_278
; %bb.277:
	v_ashrrev_i32_e32 v43, 31, v42
	v_lshlrev_b64 v[43:44], 2, v[42:43]
	v_add_co_u32 v43, vcc_lo, v38, v43
	v_add_co_ci_u32_e64 v44, null, v39, v44, vcc_lo
	s_clause 0x1
	global_load_dword v45, v[43:44], off
	global_load_dword v51, v[38:39], off offset:64
	s_waitcnt vmcnt(1)
	global_store_dword v[38:39], v45, off offset:64
	s_waitcnt vmcnt(0)
	global_store_dword v[43:44], v51, off
.LBB34_278:
	s_or_b32 exec_lo, exec_lo, s3
	v_mov_b32_e32 v45, v42
	v_mov_b32_e32 v51, v42
.LBB34_279:
	s_or_b32 exec_lo, exec_lo, s1
.LBB34_280:
	s_andn2_saveexec_b32 s0, s0
; %bb.281:
	v_mov_b32_e32 v51, 16
	ds_write_b64 v48, v[40:41] offset:136
; %bb.282:
	s_or_b32 exec_lo, exec_lo, s0
	s_mov_b32 s0, exec_lo
	s_waitcnt lgkmcnt(0)
	s_waitcnt_vscnt null, 0x0
	s_barrier
	buffer_gl0_inv
	v_cmpx_lt_i32_e32 16, v51
	s_cbranch_execz .LBB34_284
; %bb.283:
	v_mul_f64 v[16:17], v[0:1], v[16:17]
	ds_read_b64 v[0:1], v48 offset:136
	s_waitcnt lgkmcnt(0)
	v_fma_f64 v[40:41], -v[16:17], v[0:1], v[40:41]
.LBB34_284:
	s_or_b32 exec_lo, exec_lo, s0
	v_lshl_add_u32 v0, v51, 3, v48
	s_barrier
	buffer_gl0_inv
	v_mov_b32_e32 v42, 17
	ds_write_b64 v0, v[40:41]
	s_waitcnt lgkmcnt(0)
	s_barrier
	buffer_gl0_inv
	ds_read_b64 v[0:1], v48 offset:136
	s_cmp_lt_i32 s2, 19
	s_cbranch_scc1 .LBB34_287
; %bb.285:
	v_add3_u32 v43, v49, 0, 0x90
	v_mov_b32_e32 v42, 17
	s_mov_b32 s0, 18
.LBB34_286:                             ; =>This Inner Loop Header: Depth=1
	ds_read_b64 v[48:49], v43
	v_add_nc_u32_e32 v43, 8, v43
	s_waitcnt lgkmcnt(0)
	v_cmp_lt_f64_e64 vcc_lo, |v[0:1]|, |v[48:49]|
	v_cndmask_b32_e32 v1, v1, v49, vcc_lo
	v_cndmask_b32_e32 v0, v0, v48, vcc_lo
	v_cndmask_b32_e64 v42, v42, s0, vcc_lo
	s_add_i32 s0, s0, 1
	s_cmp_lg_u32 s2, s0
	s_cbranch_scc1 .LBB34_286
.LBB34_287:
	s_mov_b32 s0, exec_lo
	s_waitcnt lgkmcnt(0)
	v_cmpx_eq_f64_e32 0, v[0:1]
	s_xor_b32 s0, exec_lo, s0
; %bb.288:
	v_cmp_ne_u32_e32 vcc_lo, 0, v50
	v_cndmask_b32_e32 v50, 18, v50, vcc_lo
; %bb.289:
	s_andn2_saveexec_b32 s0, s0
	s_cbranch_execz .LBB34_291
; %bb.290:
	v_div_scale_f64 v[43:44], null, v[0:1], v[0:1], 1.0
	v_rcp_f64_e32 v[48:49], v[43:44]
	v_fma_f64 v[52:53], -v[43:44], v[48:49], 1.0
	v_fma_f64 v[48:49], v[48:49], v[52:53], v[48:49]
	v_fma_f64 v[52:53], -v[43:44], v[48:49], 1.0
	v_fma_f64 v[48:49], v[48:49], v[52:53], v[48:49]
	v_div_scale_f64 v[52:53], vcc_lo, 1.0, v[0:1], 1.0
	v_mul_f64 v[54:55], v[52:53], v[48:49]
	v_fma_f64 v[43:44], -v[43:44], v[54:55], v[52:53]
	v_div_fmas_f64 v[43:44], v[43:44], v[48:49], v[54:55]
	v_div_fixup_f64 v[0:1], v[43:44], v[0:1], 1.0
.LBB34_291:
	s_or_b32 exec_lo, exec_lo, s0
	v_mov_b32_e32 v43, 17
	s_mov_b32 s0, exec_lo
	v_cmpx_ne_u32_e64 v51, v42
	s_cbranch_execz .LBB34_297
; %bb.292:
	s_mov_b32 s1, exec_lo
	v_cmpx_eq_u32_e32 17, v51
	s_cbranch_execz .LBB34_296
; %bb.293:
	v_cmp_ne_u32_e32 vcc_lo, 17, v42
	s_xor_b32 s2, s6, -1
	s_and_b32 s3, s2, vcc_lo
	s_and_saveexec_b32 s2, s3
	s_cbranch_execz .LBB34_295
; %bb.294:
	v_ashrrev_i32_e32 v43, 31, v42
	v_lshlrev_b64 v[43:44], 2, v[42:43]
	v_add_co_u32 v43, vcc_lo, v38, v43
	v_add_co_ci_u32_e64 v44, null, v39, v44, vcc_lo
	s_clause 0x1
	global_load_dword v45, v[43:44], off
	global_load_dword v48, v[38:39], off offset:68
	s_waitcnt vmcnt(1)
	global_store_dword v[38:39], v45, off offset:68
	s_waitcnt vmcnt(0)
	global_store_dword v[43:44], v48, off
.LBB34_295:
	s_or_b32 exec_lo, exec_lo, s2
	v_mov_b32_e32 v45, v42
	v_mov_b32_e32 v51, v42
.LBB34_296:
	s_or_b32 exec_lo, exec_lo, s1
	v_mov_b32_e32 v43, v51
.LBB34_297:
	s_or_b32 exec_lo, exec_lo, s0
	s_load_dwordx8 s[0:7], s[4:5], 0x28
	v_ashrrev_i32_e32 v44, 31, v43
	s_mov_b32 s9, exec_lo
	s_waitcnt lgkmcnt(0)
	s_waitcnt_vscnt null, 0x0
	s_barrier
	buffer_gl0_inv
	s_barrier
	buffer_gl0_inv
	v_cmpx_gt_i32_e32 18, v43
	s_cbranch_execz .LBB34_299
; %bb.298:
	v_mul_lo_u32 v42, s5, v2
	v_mul_lo_u32 v48, s4, v3
	v_mad_u64_u32 v[38:39], null, s4, v2, 0
	s_lshl_b64 s[2:3], s[2:3], 2
	v_add3_u32 v39, v39, v48, v42
	v_lshlrev_b64 v[38:39], 2, v[38:39]
	v_add_co_u32 v42, vcc_lo, s0, v38
	v_add_co_ci_u32_e64 v48, null, s1, v39, vcc_lo
	v_lshlrev_b64 v[38:39], 2, v[43:44]
	v_add_co_u32 v42, vcc_lo, v42, s2
	v_add_co_ci_u32_e64 v48, null, s3, v48, vcc_lo
	v_add_co_u32 v38, vcc_lo, v42, v38
	v_add_co_ci_u32_e64 v39, null, v48, v39, vcc_lo
	v_add3_u32 v42, v45, s13, 1
	global_store_dword v[38:39], v42, off
.LBB34_299:
	s_or_b32 exec_lo, exec_lo, s9
	s_mov_b32 s1, exec_lo
	v_cmpx_eq_u32_e32 0, v43
	s_cbranch_execz .LBB34_302
; %bb.300:
	v_lshlrev_b64 v[2:3], 2, v[2:3]
	v_cmp_ne_u32_e64 s0, 0, v50
	v_add_co_u32 v2, vcc_lo, s6, v2
	v_add_co_ci_u32_e64 v3, null, s7, v3, vcc_lo
	global_load_dword v38, v[2:3], off
	s_waitcnt vmcnt(0)
	v_cmp_eq_u32_e32 vcc_lo, 0, v38
	s_and_b32 s0, vcc_lo, s0
	s_and_b32 exec_lo, exec_lo, s0
	s_cbranch_execz .LBB34_302
; %bb.301:
	v_add_nc_u32_e32 v38, s13, v50
	global_store_dword v[2:3], v38, off
.LBB34_302:
	s_or_b32 exec_lo, exec_lo, s1
	v_mul_f64 v[0:1], v[0:1], v[40:41]
	v_add3_u32 v2, s8, s8, v43
	v_lshlrev_b64 v[38:39], 3, v[43:44]
	v_ashrrev_i32_e32 v3, 31, v2
	v_add_nc_u32_e32 v42, s8, v2
	v_add_co_u32 v38, vcc_lo, v46, v38
	v_add_co_ci_u32_e64 v39, null, v47, v39, vcc_lo
	v_lshlrev_b64 v[2:3], 3, v[2:3]
	v_add_nc_u32_e32 v44, s8, v42
	v_cmp_lt_i32_e32 vcc_lo, 17, v43
	v_ashrrev_i32_e32 v43, 31, v42
	flat_store_dwordx2 v[38:39], v[36:37]
	v_add_co_u32 v36, s0, v38, s10
	v_add_nc_u32_e32 v38, s8, v44
	v_add_co_ci_u32_e64 v37, null, s11, v39, s0
	v_cndmask_b32_e32 v1, v41, v1, vcc_lo
	v_cndmask_b32_e32 v0, v40, v0, vcc_lo
	v_add_co_u32 v2, vcc_lo, v46, v2
	v_add_co_ci_u32_e64 v3, null, v47, v3, vcc_lo
	v_ashrrev_i32_e32 v45, 31, v44
	v_lshlrev_b64 v[40:41], 3, v[42:43]
	v_ashrrev_i32_e32 v39, 31, v38
	flat_store_dwordx2 v[36:37], v[22:23]
	flat_store_dwordx2 v[2:3], v[26:27]
	v_add_nc_u32_e32 v36, s8, v38
	v_lshlrev_b64 v[2:3], 3, v[44:45]
	v_add_co_u32 v22, vcc_lo, v46, v40
	v_lshlrev_b64 v[26:27], 3, v[38:39]
	v_add_co_ci_u32_e64 v23, null, v47, v41, vcc_lo
	v_add_nc_u32_e32 v38, s8, v36
	v_add_co_u32 v2, vcc_lo, v46, v2
	v_add_co_ci_u32_e64 v3, null, v47, v3, vcc_lo
	v_ashrrev_i32_e32 v37, 31, v36
	v_add_co_u32 v26, vcc_lo, v46, v26
	flat_store_dwordx2 v[22:23], v[6:7]
	v_add_nc_u32_e32 v22, s8, v38
	v_add_co_ci_u32_e64 v27, null, v47, v27, vcc_lo
	v_ashrrev_i32_e32 v39, 31, v38
	v_lshlrev_b64 v[6:7], 3, v[36:37]
	flat_store_dwordx2 v[2:3], v[32:33]
	flat_store_dwordx2 v[26:27], v[30:31]
	v_add_nc_u32_e32 v26, s8, v22
	v_ashrrev_i32_e32 v23, 31, v22
	v_lshlrev_b64 v[2:3], 3, v[38:39]
	v_add_co_u32 v6, vcc_lo, v46, v6
	v_add_nc_u32_e32 v30, s8, v26
	v_add_co_ci_u32_e64 v7, null, v47, v7, vcc_lo
	v_add_co_u32 v2, vcc_lo, v46, v2
	v_ashrrev_i32_e32 v27, 31, v26
	v_add_co_ci_u32_e64 v3, null, v47, v3, vcc_lo
	v_ashrrev_i32_e32 v31, 31, v30
	v_lshlrev_b64 v[22:23], 3, v[22:23]
	flat_store_dwordx2 v[6:7], v[10:11]
	flat_store_dwordx2 v[2:3], v[8:9]
	v_lshlrev_b64 v[2:3], 3, v[26:27]
	v_add_nc_u32_e32 v10, s8, v30
	v_lshlrev_b64 v[8:9], 3, v[30:31]
	v_add_co_u32 v6, vcc_lo, v46, v22
	v_add_co_ci_u32_e64 v7, null, v47, v23, vcc_lo
	v_add_co_u32 v2, vcc_lo, v46, v2
	v_add_co_ci_u32_e64 v3, null, v47, v3, vcc_lo
	v_add_co_u32 v8, vcc_lo, v46, v8
	v_add_nc_u32_e32 v22, s8, v10
	v_add_co_ci_u32_e64 v9, null, v47, v9, vcc_lo
	v_ashrrev_i32_e32 v11, 31, v10
	flat_store_dwordx2 v[6:7], v[28:29]
	flat_store_dwordx2 v[2:3], v[20:21]
	;; [unrolled: 1-line block ×3, first 2 shown]
	v_add_nc_u32_e32 v8, s8, v22
	v_ashrrev_i32_e32 v23, 31, v22
	v_lshlrev_b64 v[6:7], 3, v[10:11]
	v_add_nc_u32_e32 v10, s8, v8
	v_lshlrev_b64 v[2:3], 3, v[22:23]
	v_ashrrev_i32_e32 v9, 31, v8
	v_add_co_u32 v6, vcc_lo, v46, v6
	v_add_co_ci_u32_e64 v7, null, v47, v7, vcc_lo
	v_add_nc_u32_e32 v20, s8, v10
	v_add_co_u32 v2, vcc_lo, v46, v2
	v_add_co_ci_u32_e64 v3, null, v47, v3, vcc_lo
	v_ashrrev_i32_e32 v11, 31, v10
	flat_store_dwordx2 v[6:7], v[4:5]
	v_add_nc_u32_e32 v6, s8, v20
	flat_store_dwordx2 v[2:3], v[34:35]
	v_ashrrev_i32_e32 v21, 31, v20
	v_lshlrev_b64 v[2:3], 3, v[10:11]
	v_lshlrev_b64 v[4:5], 3, v[8:9]
	v_add_nc_u32_e32 v10, s8, v6
	v_ashrrev_i32_e32 v7, 31, v6
	v_lshlrev_b64 v[8:9], 3, v[20:21]
	v_ashrrev_i32_e32 v11, 31, v10
	v_add_co_u32 v4, vcc_lo, v46, v4
	v_lshlrev_b64 v[6:7], 3, v[6:7]
	v_add_co_ci_u32_e64 v5, null, v47, v5, vcc_lo
	v_add_co_u32 v2, vcc_lo, v46, v2
	v_lshlrev_b64 v[10:11], 3, v[10:11]
	v_add_co_ci_u32_e64 v3, null, v47, v3, vcc_lo
	v_add_co_u32 v8, vcc_lo, v46, v8
	v_add_co_ci_u32_e64 v9, null, v47, v9, vcc_lo
	v_add_co_u32 v6, vcc_lo, v46, v6
	;; [unrolled: 2-line block ×3, first 2 shown]
	v_add_co_ci_u32_e64 v11, null, v47, v11, vcc_lo
	flat_store_dwordx2 v[4:5], v[14:15]
	flat_store_dwordx2 v[2:3], v[18:19]
	flat_store_dwordx2 v[8:9], v[12:13]
	flat_store_dwordx2 v[6:7], v[16:17]
	flat_store_dwordx2 v[10:11], v[0:1]
.LBB34_303:
	s_endpgm
	.section	.rodata,"a",@progbits
	.p2align	6, 0x0
	.amdhsa_kernel _ZN9rocsolver6v33100L18getf2_small_kernelILi18EdiiPKPdEEvT1_T3_lS5_lPS5_llPT2_S5_S5_S7_l
		.amdhsa_group_segment_fixed_size 0
		.amdhsa_private_segment_fixed_size 0
		.amdhsa_kernarg_size 352
		.amdhsa_user_sgpr_count 6
		.amdhsa_user_sgpr_private_segment_buffer 1
		.amdhsa_user_sgpr_dispatch_ptr 0
		.amdhsa_user_sgpr_queue_ptr 0
		.amdhsa_user_sgpr_kernarg_segment_ptr 1
		.amdhsa_user_sgpr_dispatch_id 0
		.amdhsa_user_sgpr_flat_scratch_init 0
		.amdhsa_user_sgpr_private_segment_size 0
		.amdhsa_wavefront_size32 1
		.amdhsa_uses_dynamic_stack 0
		.amdhsa_system_sgpr_private_segment_wavefront_offset 0
		.amdhsa_system_sgpr_workgroup_id_x 1
		.amdhsa_system_sgpr_workgroup_id_y 1
		.amdhsa_system_sgpr_workgroup_id_z 0
		.amdhsa_system_sgpr_workgroup_info 0
		.amdhsa_system_vgpr_workitem_id 1
		.amdhsa_next_free_vgpr 84
		.amdhsa_next_free_sgpr 14
		.amdhsa_reserve_vcc 1
		.amdhsa_reserve_flat_scratch 1
		.amdhsa_float_round_mode_32 0
		.amdhsa_float_round_mode_16_64 0
		.amdhsa_float_denorm_mode_32 3
		.amdhsa_float_denorm_mode_16_64 3
		.amdhsa_dx10_clamp 1
		.amdhsa_ieee_mode 1
		.amdhsa_fp16_overflow 0
		.amdhsa_workgroup_processor_mode 1
		.amdhsa_memory_ordered 1
		.amdhsa_forward_progress 1
		.amdhsa_shared_vgpr_count 0
		.amdhsa_exception_fp_ieee_invalid_op 0
		.amdhsa_exception_fp_denorm_src 0
		.amdhsa_exception_fp_ieee_div_zero 0
		.amdhsa_exception_fp_ieee_overflow 0
		.amdhsa_exception_fp_ieee_underflow 0
		.amdhsa_exception_fp_ieee_inexact 0
		.amdhsa_exception_int_div_zero 0
	.end_amdhsa_kernel
	.section	.text._ZN9rocsolver6v33100L18getf2_small_kernelILi18EdiiPKPdEEvT1_T3_lS5_lPS5_llPT2_S5_S5_S7_l,"axG",@progbits,_ZN9rocsolver6v33100L18getf2_small_kernelILi18EdiiPKPdEEvT1_T3_lS5_lPS5_llPT2_S5_S5_S7_l,comdat
.Lfunc_end34:
	.size	_ZN9rocsolver6v33100L18getf2_small_kernelILi18EdiiPKPdEEvT1_T3_lS5_lPS5_llPT2_S5_S5_S7_l, .Lfunc_end34-_ZN9rocsolver6v33100L18getf2_small_kernelILi18EdiiPKPdEEvT1_T3_lS5_lPS5_llPT2_S5_S5_S7_l
                                        ; -- End function
	.set _ZN9rocsolver6v33100L18getf2_small_kernelILi18EdiiPKPdEEvT1_T3_lS5_lPS5_llPT2_S5_S5_S7_l.num_vgpr, 84
	.set _ZN9rocsolver6v33100L18getf2_small_kernelILi18EdiiPKPdEEvT1_T3_lS5_lPS5_llPT2_S5_S5_S7_l.num_agpr, 0
	.set _ZN9rocsolver6v33100L18getf2_small_kernelILi18EdiiPKPdEEvT1_T3_lS5_lPS5_llPT2_S5_S5_S7_l.numbered_sgpr, 14
	.set _ZN9rocsolver6v33100L18getf2_small_kernelILi18EdiiPKPdEEvT1_T3_lS5_lPS5_llPT2_S5_S5_S7_l.num_named_barrier, 0
	.set _ZN9rocsolver6v33100L18getf2_small_kernelILi18EdiiPKPdEEvT1_T3_lS5_lPS5_llPT2_S5_S5_S7_l.private_seg_size, 0
	.set _ZN9rocsolver6v33100L18getf2_small_kernelILi18EdiiPKPdEEvT1_T3_lS5_lPS5_llPT2_S5_S5_S7_l.uses_vcc, 1
	.set _ZN9rocsolver6v33100L18getf2_small_kernelILi18EdiiPKPdEEvT1_T3_lS5_lPS5_llPT2_S5_S5_S7_l.uses_flat_scratch, 1
	.set _ZN9rocsolver6v33100L18getf2_small_kernelILi18EdiiPKPdEEvT1_T3_lS5_lPS5_llPT2_S5_S5_S7_l.has_dyn_sized_stack, 0
	.set _ZN9rocsolver6v33100L18getf2_small_kernelILi18EdiiPKPdEEvT1_T3_lS5_lPS5_llPT2_S5_S5_S7_l.has_recursion, 0
	.set _ZN9rocsolver6v33100L18getf2_small_kernelILi18EdiiPKPdEEvT1_T3_lS5_lPS5_llPT2_S5_S5_S7_l.has_indirect_call, 0
	.section	.AMDGPU.csdata,"",@progbits
; Kernel info:
; codeLenInByte = 13444
; TotalNumSgprs: 16
; NumVgprs: 84
; ScratchSize: 0
; MemoryBound: 0
; FloatMode: 240
; IeeeMode: 1
; LDSByteSize: 0 bytes/workgroup (compile time only)
; SGPRBlocks: 0
; VGPRBlocks: 10
; NumSGPRsForWavesPerEU: 16
; NumVGPRsForWavesPerEU: 84
; Occupancy: 10
; WaveLimiterHint : 1
; COMPUTE_PGM_RSRC2:SCRATCH_EN: 0
; COMPUTE_PGM_RSRC2:USER_SGPR: 6
; COMPUTE_PGM_RSRC2:TRAP_HANDLER: 0
; COMPUTE_PGM_RSRC2:TGID_X_EN: 1
; COMPUTE_PGM_RSRC2:TGID_Y_EN: 1
; COMPUTE_PGM_RSRC2:TGID_Z_EN: 0
; COMPUTE_PGM_RSRC2:TIDIG_COMP_CNT: 1
	.section	.text._ZN9rocsolver6v33100L23getf2_npvt_small_kernelILi18EdiiPKPdEEvT1_T3_lS5_lPT2_S5_S5_,"axG",@progbits,_ZN9rocsolver6v33100L23getf2_npvt_small_kernelILi18EdiiPKPdEEvT1_T3_lS5_lPT2_S5_S5_,comdat
	.globl	_ZN9rocsolver6v33100L23getf2_npvt_small_kernelILi18EdiiPKPdEEvT1_T3_lS5_lPT2_S5_S5_ ; -- Begin function _ZN9rocsolver6v33100L23getf2_npvt_small_kernelILi18EdiiPKPdEEvT1_T3_lS5_lPT2_S5_S5_
	.p2align	8
	.type	_ZN9rocsolver6v33100L23getf2_npvt_small_kernelILi18EdiiPKPdEEvT1_T3_lS5_lPT2_S5_S5_,@function
_ZN9rocsolver6v33100L23getf2_npvt_small_kernelILi18EdiiPKPdEEvT1_T3_lS5_lPT2_S5_S5_: ; @_ZN9rocsolver6v33100L23getf2_npvt_small_kernelILi18EdiiPKPdEEvT1_T3_lS5_lPT2_S5_S5_
; %bb.0:
	s_clause 0x1
	s_load_dword s0, s[4:5], 0x44
	s_load_dwordx2 s[8:9], s[4:5], 0x30
	s_waitcnt lgkmcnt(0)
	s_lshr_b32 s10, s0, 16
	s_mov_b32 s0, exec_lo
	v_mad_u64_u32 v[2:3], null, s7, s10, v[1:2]
	v_cmpx_gt_i32_e64 s8, v2
	s_cbranch_execz .LBB35_93
; %bb.1:
	s_clause 0x1
	s_load_dwordx4 s[0:3], s[4:5], 0x8
	s_load_dword s6, s[4:5], 0x18
	v_ashrrev_i32_e32 v3, 31, v2
	v_lshlrev_b32_e32 v40, 3, v0
	v_lshlrev_b32_e32 v76, 3, v1
	s_mulk_i32 s10, 0x90
	v_mad_u32_u24 v110, 0x90, v1, 0
	v_lshlrev_b64 v[4:5], 3, v[2:3]
	v_add3_u32 v1, 0, s10, v76
	s_waitcnt lgkmcnt(0)
	v_add_co_u32 v4, vcc_lo, s0, v4
	v_add_co_ci_u32_e64 v5, null, s1, v5, vcc_lo
	v_add3_u32 v6, s6, s6, v0
	s_lshl_b64 s[0:1], s[2:3], 3
	s_ashr_i32 s7, s6, 31
	global_load_dwordx2 v[4:5], v[4:5], off
	s_lshl_b64 s[2:3], s[6:7], 3
	v_add_nc_u32_e32 v8, s6, v6
	v_ashrrev_i32_e32 v7, 31, v6
	v_add_nc_u32_e32 v10, s6, v8
	v_ashrrev_i32_e32 v9, 31, v8
	v_lshlrev_b64 v[6:7], 3, v[6:7]
	v_add_nc_u32_e32 v12, s6, v10
	v_ashrrev_i32_e32 v11, 31, v10
	v_lshlrev_b64 v[8:9], 3, v[8:9]
	v_add_nc_u32_e32 v14, s6, v12
	v_ashrrev_i32_e32 v13, 31, v12
	v_lshlrev_b64 v[10:11], 3, v[10:11]
	v_add_nc_u32_e32 v16, s6, v14
	v_ashrrev_i32_e32 v15, 31, v14
	v_lshlrev_b64 v[12:13], 3, v[12:13]
	v_add_nc_u32_e32 v18, s6, v16
	v_ashrrev_i32_e32 v17, 31, v16
	v_lshlrev_b64 v[14:15], 3, v[14:15]
	v_add_nc_u32_e32 v20, s6, v18
	v_ashrrev_i32_e32 v19, 31, v18
	v_lshlrev_b64 v[16:17], 3, v[16:17]
	v_add_nc_u32_e32 v22, s6, v20
	v_ashrrev_i32_e32 v21, 31, v20
	v_lshlrev_b64 v[18:19], 3, v[18:19]
	v_add_nc_u32_e32 v24, s6, v22
	v_ashrrev_i32_e32 v23, 31, v22
	v_lshlrev_b64 v[20:21], 3, v[20:21]
	v_add_nc_u32_e32 v26, s6, v24
	v_ashrrev_i32_e32 v25, 31, v24
	v_lshlrev_b64 v[22:23], 3, v[22:23]
	v_add_nc_u32_e32 v28, s6, v26
	v_ashrrev_i32_e32 v27, 31, v26
	v_lshlrev_b64 v[24:25], 3, v[24:25]
	v_add_nc_u32_e32 v30, s6, v28
	v_lshlrev_b64 v[36:37], 3, v[26:27]
	v_ashrrev_i32_e32 v29, 31, v28
	v_add_nc_u32_e32 v32, s6, v30
	v_ashrrev_i32_e32 v31, 31, v30
	v_lshlrev_b64 v[28:29], 3, v[28:29]
	v_add_nc_u32_e32 v34, s6, v32
	v_ashrrev_i32_e32 v33, 31, v32
	v_lshlrev_b64 v[30:31], 3, v[30:31]
	;; [unrolled: 3-line block ×3, first 2 shown]
	v_ashrrev_i32_e32 v27, 31, v26
	v_lshlrev_b64 v[34:35], 3, v[34:35]
	v_lshlrev_b64 v[38:39], 3, v[26:27]
	s_waitcnt vmcnt(0)
	v_add_co_u32 v41, vcc_lo, v4, s0
	v_add_co_ci_u32_e64 v42, null, s1, v5, vcc_lo
	v_cmp_ne_u32_e64 s1, 0, v0
	v_add_co_u32 v4, vcc_lo, v41, v40
	v_add_co_ci_u32_e64 v5, null, 0, v42, vcc_lo
	v_add_co_u32 v6, vcc_lo, v41, v6
	v_add_co_ci_u32_e64 v7, null, v42, v7, vcc_lo
	;; [unrolled: 2-line block ×18, first 2 shown]
	s_clause 0x11
	flat_load_dwordx2 v[60:61], v[10:11]
	flat_load_dwordx2 v[52:53], v[12:13]
	flat_load_dwordx2 v[58:59], v[14:15]
	flat_load_dwordx2 v[50:51], v[16:17]
	flat_load_dwordx2 v[56:57], v[18:19]
	flat_load_dwordx2 v[48:49], v[20:21]
	flat_load_dwordx2 v[54:55], v[22:23]
	flat_load_dwordx2 v[46:47], v[26:27]
	flat_load_dwordx2 v[44:45], v[24:25]
	flat_load_dwordx2 v[40:41], v[28:29]
	flat_load_dwordx2 v[42:43], v[30:31]
	flat_load_dwordx2 v[38:39], v[32:33]
	flat_load_dwordx2 v[68:69], v[4:5]
	flat_load_dwordx2 v[72:73], v[62:63]
	flat_load_dwordx2 v[74:75], v[6:7]
	flat_load_dwordx2 v[70:71], v[8:9]
	flat_load_dwordx2 v[64:65], v[34:35]
	flat_load_dwordx2 v[66:67], v[36:37]
	v_cmp_eq_u32_e64 s0, 0, v0
	s_and_saveexec_b32 s2, s0
	s_cbranch_execz .LBB35_4
; %bb.2:
	s_waitcnt vmcnt(5) lgkmcnt(5)
	ds_write_b64 v1, v[68:69]
	s_waitcnt vmcnt(3) lgkmcnt(4)
	ds_write2_b64 v110, v[72:73], v[74:75] offset0:1 offset1:2
	s_waitcnt vmcnt(2) lgkmcnt(4)
	ds_write2_b64 v110, v[70:71], v[60:61] offset0:3 offset1:4
	ds_write2_b64 v110, v[52:53], v[58:59] offset0:5 offset1:6
	;; [unrolled: 1-line block ×6, first 2 shown]
	s_waitcnt vmcnt(1) lgkmcnt(9)
	ds_write2_b64 v110, v[38:39], v[64:65] offset0:15 offset1:16
	s_waitcnt vmcnt(0) lgkmcnt(9)
	ds_write_b64 v110, v[66:67] offset:136
	ds_read_b64 v[76:77], v1
	s_waitcnt lgkmcnt(0)
	v_cmp_neq_f64_e32 vcc_lo, 0, v[76:77]
	s_and_b32 exec_lo, exec_lo, vcc_lo
	s_cbranch_execz .LBB35_4
; %bb.3:
	v_div_scale_f64 v[78:79], null, v[76:77], v[76:77], 1.0
	v_rcp_f64_e32 v[80:81], v[78:79]
	v_fma_f64 v[82:83], -v[78:79], v[80:81], 1.0
	v_fma_f64 v[80:81], v[80:81], v[82:83], v[80:81]
	v_fma_f64 v[82:83], -v[78:79], v[80:81], 1.0
	v_fma_f64 v[80:81], v[80:81], v[82:83], v[80:81]
	v_div_scale_f64 v[82:83], vcc_lo, 1.0, v[76:77], 1.0
	v_mul_f64 v[84:85], v[82:83], v[80:81]
	v_fma_f64 v[78:79], -v[78:79], v[84:85], v[82:83]
	v_div_fmas_f64 v[78:79], v[78:79], v[80:81], v[84:85]
	v_div_fixup_f64 v[76:77], v[78:79], v[76:77], 1.0
	ds_write_b64 v1, v[76:77]
.LBB35_4:
	s_or_b32 exec_lo, exec_lo, s2
	s_waitcnt vmcnt(0) lgkmcnt(0)
	s_barrier
	buffer_gl0_inv
	ds_read_b64 v[76:77], v1
	s_and_saveexec_b32 s2, s1
	s_cbranch_execz .LBB35_6
; %bb.5:
	s_waitcnt lgkmcnt(0)
	v_mul_f64 v[68:69], v[76:77], v[68:69]
	ds_read2_b64 v[78:81], v110 offset0:1 offset1:2
	ds_read2_b64 v[82:85], v110 offset0:3 offset1:4
	;; [unrolled: 1-line block ×8, first 2 shown]
	ds_read_b64 v[111:112], v110 offset:136
	s_waitcnt lgkmcnt(8)
	v_fma_f64 v[72:73], -v[68:69], v[78:79], v[72:73]
	v_fma_f64 v[74:75], -v[68:69], v[80:81], v[74:75]
	s_waitcnt lgkmcnt(7)
	v_fma_f64 v[70:71], -v[68:69], v[82:83], v[70:71]
	v_fma_f64 v[60:61], -v[68:69], v[84:85], v[60:61]
	;; [unrolled: 3-line block ×8, first 2 shown]
	s_waitcnt lgkmcnt(0)
	v_fma_f64 v[66:67], -v[68:69], v[111:112], v[66:67]
.LBB35_6:
	s_or_b32 exec_lo, exec_lo, s2
	s_mov_b32 s1, exec_lo
	s_waitcnt lgkmcnt(0)
	s_barrier
	buffer_gl0_inv
	v_cmpx_eq_u32_e32 1, v0
	s_cbranch_execz .LBB35_9
; %bb.7:
	v_mov_b32_e32 v78, v74
	v_mov_b32_e32 v79, v75
	;; [unrolled: 1-line block ×12, first 2 shown]
	ds_write_b64 v1, v[72:73]
	ds_write2_b64 v110, v[78:79], v[80:81] offset0:2 offset1:3
	ds_write2_b64 v110, v[82:83], v[84:85] offset0:4 offset1:5
	;; [unrolled: 1-line block ×3, first 2 shown]
	v_mov_b32_e32 v78, v56
	v_mov_b32_e32 v79, v57
	;; [unrolled: 1-line block ×18, first 2 shown]
	ds_write2_b64 v110, v[78:79], v[80:81] offset0:8 offset1:9
	ds_write2_b64 v110, v[82:83], v[84:85] offset0:10 offset1:11
	;; [unrolled: 1-line block ×5, first 2 shown]
	ds_read_b64 v[78:79], v1
	s_waitcnt lgkmcnt(0)
	v_cmp_neq_f64_e32 vcc_lo, 0, v[78:79]
	s_and_b32 exec_lo, exec_lo, vcc_lo
	s_cbranch_execz .LBB35_9
; %bb.8:
	v_div_scale_f64 v[80:81], null, v[78:79], v[78:79], 1.0
	v_rcp_f64_e32 v[82:83], v[80:81]
	v_fma_f64 v[84:85], -v[80:81], v[82:83], 1.0
	v_fma_f64 v[82:83], v[82:83], v[84:85], v[82:83]
	v_fma_f64 v[84:85], -v[80:81], v[82:83], 1.0
	v_fma_f64 v[82:83], v[82:83], v[84:85], v[82:83]
	v_div_scale_f64 v[84:85], vcc_lo, 1.0, v[78:79], 1.0
	v_mul_f64 v[86:87], v[84:85], v[82:83]
	v_fma_f64 v[80:81], -v[80:81], v[86:87], v[84:85]
	v_div_fmas_f64 v[80:81], v[80:81], v[82:83], v[86:87]
	v_div_fixup_f64 v[78:79], v[80:81], v[78:79], 1.0
	ds_write_b64 v1, v[78:79]
.LBB35_9:
	s_or_b32 exec_lo, exec_lo, s1
	s_waitcnt lgkmcnt(0)
	s_barrier
	buffer_gl0_inv
	ds_read_b64 v[78:79], v1
	s_mov_b32 s1, exec_lo
	v_cmpx_lt_u32_e32 1, v0
	s_cbranch_execz .LBB35_11
; %bb.10:
	s_waitcnt lgkmcnt(0)
	v_mul_f64 v[72:73], v[78:79], v[72:73]
	ds_read2_b64 v[80:83], v110 offset0:2 offset1:3
	ds_read2_b64 v[84:87], v110 offset0:4 offset1:5
	;; [unrolled: 1-line block ×8, first 2 shown]
	s_waitcnt lgkmcnt(7)
	v_fma_f64 v[74:75], -v[72:73], v[80:81], v[74:75]
	v_fma_f64 v[70:71], -v[72:73], v[82:83], v[70:71]
	s_waitcnt lgkmcnt(6)
	v_fma_f64 v[60:61], -v[72:73], v[84:85], v[60:61]
	v_fma_f64 v[52:53], -v[72:73], v[86:87], v[52:53]
	;; [unrolled: 3-line block ×8, first 2 shown]
.LBB35_11:
	s_or_b32 exec_lo, exec_lo, s1
	s_mov_b32 s1, exec_lo
	s_waitcnt lgkmcnt(0)
	s_barrier
	buffer_gl0_inv
	v_cmpx_eq_u32_e32 2, v0
	s_cbranch_execz .LBB35_14
; %bb.12:
	ds_write_b64 v1, v[74:75]
	ds_write2_b64 v110, v[70:71], v[60:61] offset0:3 offset1:4
	ds_write2_b64 v110, v[52:53], v[58:59] offset0:5 offset1:6
	;; [unrolled: 1-line block ×7, first 2 shown]
	ds_write_b64 v110, v[66:67] offset:136
	ds_read_b64 v[80:81], v1
	s_waitcnt lgkmcnt(0)
	v_cmp_neq_f64_e32 vcc_lo, 0, v[80:81]
	s_and_b32 exec_lo, exec_lo, vcc_lo
	s_cbranch_execz .LBB35_14
; %bb.13:
	v_div_scale_f64 v[82:83], null, v[80:81], v[80:81], 1.0
	v_rcp_f64_e32 v[84:85], v[82:83]
	v_fma_f64 v[86:87], -v[82:83], v[84:85], 1.0
	v_fma_f64 v[84:85], v[84:85], v[86:87], v[84:85]
	v_fma_f64 v[86:87], -v[82:83], v[84:85], 1.0
	v_fma_f64 v[84:85], v[84:85], v[86:87], v[84:85]
	v_div_scale_f64 v[86:87], vcc_lo, 1.0, v[80:81], 1.0
	v_mul_f64 v[88:89], v[86:87], v[84:85]
	v_fma_f64 v[82:83], -v[82:83], v[88:89], v[86:87]
	v_div_fmas_f64 v[82:83], v[82:83], v[84:85], v[88:89]
	v_div_fixup_f64 v[80:81], v[82:83], v[80:81], 1.0
	ds_write_b64 v1, v[80:81]
.LBB35_14:
	s_or_b32 exec_lo, exec_lo, s1
	s_waitcnt lgkmcnt(0)
	s_barrier
	buffer_gl0_inv
	ds_read_b64 v[80:81], v1
	s_mov_b32 s1, exec_lo
	v_cmpx_lt_u32_e32 2, v0
	s_cbranch_execz .LBB35_16
; %bb.15:
	s_waitcnt lgkmcnt(0)
	v_mul_f64 v[74:75], v[80:81], v[74:75]
	ds_read2_b64 v[82:85], v110 offset0:3 offset1:4
	ds_read2_b64 v[86:89], v110 offset0:5 offset1:6
	;; [unrolled: 1-line block ×7, first 2 shown]
	ds_read_b64 v[111:112], v110 offset:136
	s_waitcnt lgkmcnt(7)
	v_fma_f64 v[70:71], -v[74:75], v[82:83], v[70:71]
	v_fma_f64 v[60:61], -v[74:75], v[84:85], v[60:61]
	s_waitcnt lgkmcnt(6)
	v_fma_f64 v[52:53], -v[74:75], v[86:87], v[52:53]
	v_fma_f64 v[58:59], -v[74:75], v[88:89], v[58:59]
	;; [unrolled: 3-line block ×7, first 2 shown]
	s_waitcnt lgkmcnt(0)
	v_fma_f64 v[66:67], -v[74:75], v[111:112], v[66:67]
.LBB35_16:
	s_or_b32 exec_lo, exec_lo, s1
	s_mov_b32 s1, exec_lo
	s_waitcnt lgkmcnt(0)
	s_barrier
	buffer_gl0_inv
	v_cmpx_eq_u32_e32 3, v0
	s_cbranch_execz .LBB35_19
; %bb.17:
	v_mov_b32_e32 v82, v60
	v_mov_b32_e32 v83, v61
	;; [unrolled: 1-line block ×8, first 2 shown]
	ds_write_b64 v1, v[70:71]
	ds_write2_b64 v110, v[82:83], v[84:85] offset0:4 offset1:5
	ds_write2_b64 v110, v[86:87], v[88:89] offset0:6 offset1:7
	v_mov_b32_e32 v82, v56
	v_mov_b32_e32 v83, v57
	;; [unrolled: 1-line block ×18, first 2 shown]
	ds_write2_b64 v110, v[82:83], v[84:85] offset0:8 offset1:9
	ds_write2_b64 v110, v[86:87], v[88:89] offset0:10 offset1:11
	;; [unrolled: 1-line block ×5, first 2 shown]
	ds_read_b64 v[82:83], v1
	s_waitcnt lgkmcnt(0)
	v_cmp_neq_f64_e32 vcc_lo, 0, v[82:83]
	s_and_b32 exec_lo, exec_lo, vcc_lo
	s_cbranch_execz .LBB35_19
; %bb.18:
	v_div_scale_f64 v[84:85], null, v[82:83], v[82:83], 1.0
	v_rcp_f64_e32 v[86:87], v[84:85]
	v_fma_f64 v[88:89], -v[84:85], v[86:87], 1.0
	v_fma_f64 v[86:87], v[86:87], v[88:89], v[86:87]
	v_fma_f64 v[88:89], -v[84:85], v[86:87], 1.0
	v_fma_f64 v[86:87], v[86:87], v[88:89], v[86:87]
	v_div_scale_f64 v[88:89], vcc_lo, 1.0, v[82:83], 1.0
	v_mul_f64 v[90:91], v[88:89], v[86:87]
	v_fma_f64 v[84:85], -v[84:85], v[90:91], v[88:89]
	v_div_fmas_f64 v[84:85], v[84:85], v[86:87], v[90:91]
	v_div_fixup_f64 v[82:83], v[84:85], v[82:83], 1.0
	ds_write_b64 v1, v[82:83]
.LBB35_19:
	s_or_b32 exec_lo, exec_lo, s1
	s_waitcnt lgkmcnt(0)
	s_barrier
	buffer_gl0_inv
	ds_read_b64 v[82:83], v1
	s_mov_b32 s1, exec_lo
	v_cmpx_lt_u32_e32 3, v0
	s_cbranch_execz .LBB35_21
; %bb.20:
	s_waitcnt lgkmcnt(0)
	v_mul_f64 v[70:71], v[82:83], v[70:71]
	ds_read2_b64 v[84:87], v110 offset0:4 offset1:5
	ds_read2_b64 v[88:91], v110 offset0:6 offset1:7
	;; [unrolled: 1-line block ×7, first 2 shown]
	s_waitcnt lgkmcnt(6)
	v_fma_f64 v[60:61], -v[70:71], v[84:85], v[60:61]
	v_fma_f64 v[52:53], -v[70:71], v[86:87], v[52:53]
	s_waitcnt lgkmcnt(5)
	v_fma_f64 v[58:59], -v[70:71], v[88:89], v[58:59]
	v_fma_f64 v[50:51], -v[70:71], v[90:91], v[50:51]
	s_waitcnt lgkmcnt(4)
	v_fma_f64 v[56:57], -v[70:71], v[92:93], v[56:57]
	v_fma_f64 v[48:49], -v[70:71], v[94:95], v[48:49]
	s_waitcnt lgkmcnt(3)
	v_fma_f64 v[54:55], -v[70:71], v[96:97], v[54:55]
	v_fma_f64 v[46:47], -v[70:71], v[98:99], v[46:47]
	s_waitcnt lgkmcnt(2)
	v_fma_f64 v[44:45], -v[70:71], v[100:101], v[44:45]
	v_fma_f64 v[40:41], -v[70:71], v[102:103], v[40:41]
	s_waitcnt lgkmcnt(1)
	v_fma_f64 v[42:43], -v[70:71], v[104:105], v[42:43]
	v_fma_f64 v[38:39], -v[70:71], v[106:107], v[38:39]
	s_waitcnt lgkmcnt(0)
	v_fma_f64 v[64:65], -v[70:71], v[111:112], v[64:65]
	v_fma_f64 v[66:67], -v[70:71], v[113:114], v[66:67]
.LBB35_21:
	s_or_b32 exec_lo, exec_lo, s1
	s_mov_b32 s1, exec_lo
	s_waitcnt lgkmcnt(0)
	s_barrier
	buffer_gl0_inv
	v_cmpx_eq_u32_e32 4, v0
	s_cbranch_execz .LBB35_24
; %bb.22:
	ds_write_b64 v1, v[60:61]
	ds_write2_b64 v110, v[52:53], v[58:59] offset0:5 offset1:6
	ds_write2_b64 v110, v[50:51], v[56:57] offset0:7 offset1:8
	;; [unrolled: 1-line block ×6, first 2 shown]
	ds_write_b64 v110, v[66:67] offset:136
	ds_read_b64 v[84:85], v1
	s_waitcnt lgkmcnt(0)
	v_cmp_neq_f64_e32 vcc_lo, 0, v[84:85]
	s_and_b32 exec_lo, exec_lo, vcc_lo
	s_cbranch_execz .LBB35_24
; %bb.23:
	v_div_scale_f64 v[86:87], null, v[84:85], v[84:85], 1.0
	v_rcp_f64_e32 v[88:89], v[86:87]
	v_fma_f64 v[90:91], -v[86:87], v[88:89], 1.0
	v_fma_f64 v[88:89], v[88:89], v[90:91], v[88:89]
	v_fma_f64 v[90:91], -v[86:87], v[88:89], 1.0
	v_fma_f64 v[88:89], v[88:89], v[90:91], v[88:89]
	v_div_scale_f64 v[90:91], vcc_lo, 1.0, v[84:85], 1.0
	v_mul_f64 v[92:93], v[90:91], v[88:89]
	v_fma_f64 v[86:87], -v[86:87], v[92:93], v[90:91]
	v_div_fmas_f64 v[86:87], v[86:87], v[88:89], v[92:93]
	v_div_fixup_f64 v[84:85], v[86:87], v[84:85], 1.0
	ds_write_b64 v1, v[84:85]
.LBB35_24:
	s_or_b32 exec_lo, exec_lo, s1
	s_waitcnt lgkmcnt(0)
	s_barrier
	buffer_gl0_inv
	ds_read_b64 v[84:85], v1
	s_mov_b32 s1, exec_lo
	v_cmpx_lt_u32_e32 4, v0
	s_cbranch_execz .LBB35_26
; %bb.25:
	s_waitcnt lgkmcnt(0)
	v_mul_f64 v[60:61], v[84:85], v[60:61]
	ds_read2_b64 v[86:89], v110 offset0:5 offset1:6
	ds_read2_b64 v[90:93], v110 offset0:7 offset1:8
	;; [unrolled: 1-line block ×6, first 2 shown]
	ds_read_b64 v[111:112], v110 offset:136
	s_waitcnt lgkmcnt(6)
	v_fma_f64 v[52:53], -v[60:61], v[86:87], v[52:53]
	v_fma_f64 v[58:59], -v[60:61], v[88:89], v[58:59]
	s_waitcnt lgkmcnt(5)
	v_fma_f64 v[50:51], -v[60:61], v[90:91], v[50:51]
	v_fma_f64 v[56:57], -v[60:61], v[92:93], v[56:57]
	;; [unrolled: 3-line block ×6, first 2 shown]
	s_waitcnt lgkmcnt(0)
	v_fma_f64 v[66:67], -v[60:61], v[111:112], v[66:67]
.LBB35_26:
	s_or_b32 exec_lo, exec_lo, s1
	s_mov_b32 s1, exec_lo
	s_waitcnt lgkmcnt(0)
	s_barrier
	buffer_gl0_inv
	v_cmpx_eq_u32_e32 5, v0
	s_cbranch_execz .LBB35_29
; %bb.27:
	v_mov_b32_e32 v86, v58
	v_mov_b32_e32 v87, v59
	;; [unrolled: 1-line block ×4, first 2 shown]
	ds_write_b64 v1, v[52:53]
	ds_write2_b64 v110, v[86:87], v[88:89] offset0:6 offset1:7
	v_mov_b32_e32 v86, v56
	v_mov_b32_e32 v87, v57
	;; [unrolled: 1-line block ×18, first 2 shown]
	ds_write2_b64 v110, v[86:87], v[88:89] offset0:8 offset1:9
	ds_write2_b64 v110, v[90:91], v[92:93] offset0:10 offset1:11
	;; [unrolled: 1-line block ×5, first 2 shown]
	ds_read_b64 v[86:87], v1
	s_waitcnt lgkmcnt(0)
	v_cmp_neq_f64_e32 vcc_lo, 0, v[86:87]
	s_and_b32 exec_lo, exec_lo, vcc_lo
	s_cbranch_execz .LBB35_29
; %bb.28:
	v_div_scale_f64 v[88:89], null, v[86:87], v[86:87], 1.0
	v_rcp_f64_e32 v[90:91], v[88:89]
	v_fma_f64 v[92:93], -v[88:89], v[90:91], 1.0
	v_fma_f64 v[90:91], v[90:91], v[92:93], v[90:91]
	v_fma_f64 v[92:93], -v[88:89], v[90:91], 1.0
	v_fma_f64 v[90:91], v[90:91], v[92:93], v[90:91]
	v_div_scale_f64 v[92:93], vcc_lo, 1.0, v[86:87], 1.0
	v_mul_f64 v[94:95], v[92:93], v[90:91]
	v_fma_f64 v[88:89], -v[88:89], v[94:95], v[92:93]
	v_div_fmas_f64 v[88:89], v[88:89], v[90:91], v[94:95]
	v_div_fixup_f64 v[86:87], v[88:89], v[86:87], 1.0
	ds_write_b64 v1, v[86:87]
.LBB35_29:
	s_or_b32 exec_lo, exec_lo, s1
	s_waitcnt lgkmcnt(0)
	s_barrier
	buffer_gl0_inv
	ds_read_b64 v[86:87], v1
	s_mov_b32 s1, exec_lo
	v_cmpx_lt_u32_e32 5, v0
	s_cbranch_execz .LBB35_31
; %bb.30:
	s_waitcnt lgkmcnt(0)
	v_mul_f64 v[52:53], v[86:87], v[52:53]
	ds_read2_b64 v[88:91], v110 offset0:6 offset1:7
	ds_read2_b64 v[92:95], v110 offset0:8 offset1:9
	;; [unrolled: 1-line block ×6, first 2 shown]
	s_waitcnt lgkmcnt(5)
	v_fma_f64 v[58:59], -v[52:53], v[88:89], v[58:59]
	v_fma_f64 v[50:51], -v[52:53], v[90:91], v[50:51]
	s_waitcnt lgkmcnt(4)
	v_fma_f64 v[56:57], -v[52:53], v[92:93], v[56:57]
	v_fma_f64 v[48:49], -v[52:53], v[94:95], v[48:49]
	;; [unrolled: 3-line block ×6, first 2 shown]
.LBB35_31:
	s_or_b32 exec_lo, exec_lo, s1
	s_mov_b32 s1, exec_lo
	s_waitcnt lgkmcnt(0)
	s_barrier
	buffer_gl0_inv
	v_cmpx_eq_u32_e32 6, v0
	s_cbranch_execz .LBB35_34
; %bb.32:
	ds_write_b64 v1, v[58:59]
	ds_write2_b64 v110, v[50:51], v[56:57] offset0:7 offset1:8
	ds_write2_b64 v110, v[48:49], v[54:55] offset0:9 offset1:10
	;; [unrolled: 1-line block ×5, first 2 shown]
	ds_write_b64 v110, v[66:67] offset:136
	ds_read_b64 v[88:89], v1
	s_waitcnt lgkmcnt(0)
	v_cmp_neq_f64_e32 vcc_lo, 0, v[88:89]
	s_and_b32 exec_lo, exec_lo, vcc_lo
	s_cbranch_execz .LBB35_34
; %bb.33:
	v_div_scale_f64 v[90:91], null, v[88:89], v[88:89], 1.0
	v_rcp_f64_e32 v[92:93], v[90:91]
	v_fma_f64 v[94:95], -v[90:91], v[92:93], 1.0
	v_fma_f64 v[92:93], v[92:93], v[94:95], v[92:93]
	v_fma_f64 v[94:95], -v[90:91], v[92:93], 1.0
	v_fma_f64 v[92:93], v[92:93], v[94:95], v[92:93]
	v_div_scale_f64 v[94:95], vcc_lo, 1.0, v[88:89], 1.0
	v_mul_f64 v[96:97], v[94:95], v[92:93]
	v_fma_f64 v[90:91], -v[90:91], v[96:97], v[94:95]
	v_div_fmas_f64 v[90:91], v[90:91], v[92:93], v[96:97]
	v_div_fixup_f64 v[88:89], v[90:91], v[88:89], 1.0
	ds_write_b64 v1, v[88:89]
.LBB35_34:
	s_or_b32 exec_lo, exec_lo, s1
	s_waitcnt lgkmcnt(0)
	s_barrier
	buffer_gl0_inv
	ds_read_b64 v[88:89], v1
	s_mov_b32 s1, exec_lo
	v_cmpx_lt_u32_e32 6, v0
	s_cbranch_execz .LBB35_36
; %bb.35:
	s_waitcnt lgkmcnt(0)
	v_mul_f64 v[58:59], v[88:89], v[58:59]
	ds_read2_b64 v[90:93], v110 offset0:7 offset1:8
	ds_read2_b64 v[94:97], v110 offset0:9 offset1:10
	;; [unrolled: 1-line block ×5, first 2 shown]
	ds_read_b64 v[111:112], v110 offset:136
	s_waitcnt lgkmcnt(5)
	v_fma_f64 v[50:51], -v[58:59], v[90:91], v[50:51]
	v_fma_f64 v[56:57], -v[58:59], v[92:93], v[56:57]
	s_waitcnt lgkmcnt(4)
	v_fma_f64 v[48:49], -v[58:59], v[94:95], v[48:49]
	v_fma_f64 v[54:55], -v[58:59], v[96:97], v[54:55]
	;; [unrolled: 3-line block ×5, first 2 shown]
	s_waitcnt lgkmcnt(0)
	v_fma_f64 v[66:67], -v[58:59], v[111:112], v[66:67]
.LBB35_36:
	s_or_b32 exec_lo, exec_lo, s1
	s_mov_b32 s1, exec_lo
	s_waitcnt lgkmcnt(0)
	s_barrier
	buffer_gl0_inv
	v_cmpx_eq_u32_e32 7, v0
	s_cbranch_execz .LBB35_39
; %bb.37:
	v_mov_b32_e32 v90, v56
	v_mov_b32_e32 v91, v57
	;; [unrolled: 1-line block ×18, first 2 shown]
	ds_write_b64 v1, v[50:51]
	ds_write2_b64 v110, v[90:91], v[92:93] offset0:8 offset1:9
	ds_write2_b64 v110, v[94:95], v[96:97] offset0:10 offset1:11
	;; [unrolled: 1-line block ×5, first 2 shown]
	ds_read_b64 v[90:91], v1
	s_waitcnt lgkmcnt(0)
	v_cmp_neq_f64_e32 vcc_lo, 0, v[90:91]
	s_and_b32 exec_lo, exec_lo, vcc_lo
	s_cbranch_execz .LBB35_39
; %bb.38:
	v_div_scale_f64 v[92:93], null, v[90:91], v[90:91], 1.0
	v_rcp_f64_e32 v[94:95], v[92:93]
	v_fma_f64 v[96:97], -v[92:93], v[94:95], 1.0
	v_fma_f64 v[94:95], v[94:95], v[96:97], v[94:95]
	v_fma_f64 v[96:97], -v[92:93], v[94:95], 1.0
	v_fma_f64 v[94:95], v[94:95], v[96:97], v[94:95]
	v_div_scale_f64 v[96:97], vcc_lo, 1.0, v[90:91], 1.0
	v_mul_f64 v[98:99], v[96:97], v[94:95]
	v_fma_f64 v[92:93], -v[92:93], v[98:99], v[96:97]
	v_div_fmas_f64 v[92:93], v[92:93], v[94:95], v[98:99]
	v_div_fixup_f64 v[90:91], v[92:93], v[90:91], 1.0
	ds_write_b64 v1, v[90:91]
.LBB35_39:
	s_or_b32 exec_lo, exec_lo, s1
	s_waitcnt lgkmcnt(0)
	s_barrier
	buffer_gl0_inv
	ds_read_b64 v[90:91], v1
	s_mov_b32 s1, exec_lo
	v_cmpx_lt_u32_e32 7, v0
	s_cbranch_execz .LBB35_41
; %bb.40:
	s_waitcnt lgkmcnt(0)
	v_mul_f64 v[50:51], v[90:91], v[50:51]
	ds_read2_b64 v[92:95], v110 offset0:8 offset1:9
	ds_read2_b64 v[96:99], v110 offset0:10 offset1:11
	;; [unrolled: 1-line block ×5, first 2 shown]
	s_waitcnt lgkmcnt(4)
	v_fma_f64 v[56:57], -v[50:51], v[92:93], v[56:57]
	v_fma_f64 v[48:49], -v[50:51], v[94:95], v[48:49]
	s_waitcnt lgkmcnt(3)
	v_fma_f64 v[54:55], -v[50:51], v[96:97], v[54:55]
	v_fma_f64 v[46:47], -v[50:51], v[98:99], v[46:47]
	;; [unrolled: 3-line block ×5, first 2 shown]
.LBB35_41:
	s_or_b32 exec_lo, exec_lo, s1
	s_mov_b32 s1, exec_lo
	s_waitcnt lgkmcnt(0)
	s_barrier
	buffer_gl0_inv
	v_cmpx_eq_u32_e32 8, v0
	s_cbranch_execz .LBB35_44
; %bb.42:
	ds_write_b64 v1, v[56:57]
	ds_write2_b64 v110, v[48:49], v[54:55] offset0:9 offset1:10
	ds_write2_b64 v110, v[46:47], v[44:45] offset0:11 offset1:12
	;; [unrolled: 1-line block ×4, first 2 shown]
	ds_write_b64 v110, v[66:67] offset:136
	ds_read_b64 v[92:93], v1
	s_waitcnt lgkmcnt(0)
	v_cmp_neq_f64_e32 vcc_lo, 0, v[92:93]
	s_and_b32 exec_lo, exec_lo, vcc_lo
	s_cbranch_execz .LBB35_44
; %bb.43:
	v_div_scale_f64 v[94:95], null, v[92:93], v[92:93], 1.0
	v_rcp_f64_e32 v[96:97], v[94:95]
	v_fma_f64 v[98:99], -v[94:95], v[96:97], 1.0
	v_fma_f64 v[96:97], v[96:97], v[98:99], v[96:97]
	v_fma_f64 v[98:99], -v[94:95], v[96:97], 1.0
	v_fma_f64 v[96:97], v[96:97], v[98:99], v[96:97]
	v_div_scale_f64 v[98:99], vcc_lo, 1.0, v[92:93], 1.0
	v_mul_f64 v[100:101], v[98:99], v[96:97]
	v_fma_f64 v[94:95], -v[94:95], v[100:101], v[98:99]
	v_div_fmas_f64 v[94:95], v[94:95], v[96:97], v[100:101]
	v_div_fixup_f64 v[92:93], v[94:95], v[92:93], 1.0
	ds_write_b64 v1, v[92:93]
.LBB35_44:
	s_or_b32 exec_lo, exec_lo, s1
	s_waitcnt lgkmcnt(0)
	s_barrier
	buffer_gl0_inv
	ds_read_b64 v[92:93], v1
	s_mov_b32 s1, exec_lo
	v_cmpx_lt_u32_e32 8, v0
	s_cbranch_execz .LBB35_46
; %bb.45:
	s_waitcnt lgkmcnt(0)
	v_mul_f64 v[56:57], v[92:93], v[56:57]
	ds_read2_b64 v[94:97], v110 offset0:9 offset1:10
	ds_read2_b64 v[98:101], v110 offset0:11 offset1:12
	ds_read2_b64 v[102:105], v110 offset0:13 offset1:14
	ds_read2_b64 v[106:109], v110 offset0:15 offset1:16
	ds_read_b64 v[111:112], v110 offset:136
	s_waitcnt lgkmcnt(4)
	v_fma_f64 v[48:49], -v[56:57], v[94:95], v[48:49]
	v_fma_f64 v[54:55], -v[56:57], v[96:97], v[54:55]
	s_waitcnt lgkmcnt(3)
	v_fma_f64 v[46:47], -v[56:57], v[98:99], v[46:47]
	v_fma_f64 v[44:45], -v[56:57], v[100:101], v[44:45]
	s_waitcnt lgkmcnt(2)
	v_fma_f64 v[40:41], -v[56:57], v[102:103], v[40:41]
	v_fma_f64 v[42:43], -v[56:57], v[104:105], v[42:43]
	s_waitcnt lgkmcnt(1)
	v_fma_f64 v[38:39], -v[56:57], v[106:107], v[38:39]
	v_fma_f64 v[64:65], -v[56:57], v[108:109], v[64:65]
	s_waitcnt lgkmcnt(0)
	v_fma_f64 v[66:67], -v[56:57], v[111:112], v[66:67]
.LBB35_46:
	s_or_b32 exec_lo, exec_lo, s1
	s_mov_b32 s1, exec_lo
	s_waitcnt lgkmcnt(0)
	s_barrier
	buffer_gl0_inv
	v_cmpx_eq_u32_e32 9, v0
	s_cbranch_execz .LBB35_49
; %bb.47:
	v_mov_b32_e32 v94, v54
	v_mov_b32_e32 v95, v55
	;; [unrolled: 1-line block ×14, first 2 shown]
	ds_write_b64 v1, v[48:49]
	ds_write2_b64 v110, v[94:95], v[96:97] offset0:10 offset1:11
	ds_write2_b64 v110, v[98:99], v[100:101] offset0:12 offset1:13
	;; [unrolled: 1-line block ×4, first 2 shown]
	ds_read_b64 v[94:95], v1
	s_waitcnt lgkmcnt(0)
	v_cmp_neq_f64_e32 vcc_lo, 0, v[94:95]
	s_and_b32 exec_lo, exec_lo, vcc_lo
	s_cbranch_execz .LBB35_49
; %bb.48:
	v_div_scale_f64 v[96:97], null, v[94:95], v[94:95], 1.0
	v_rcp_f64_e32 v[98:99], v[96:97]
	v_fma_f64 v[100:101], -v[96:97], v[98:99], 1.0
	v_fma_f64 v[98:99], v[98:99], v[100:101], v[98:99]
	v_fma_f64 v[100:101], -v[96:97], v[98:99], 1.0
	v_fma_f64 v[98:99], v[98:99], v[100:101], v[98:99]
	v_div_scale_f64 v[100:101], vcc_lo, 1.0, v[94:95], 1.0
	v_mul_f64 v[102:103], v[100:101], v[98:99]
	v_fma_f64 v[96:97], -v[96:97], v[102:103], v[100:101]
	v_div_fmas_f64 v[96:97], v[96:97], v[98:99], v[102:103]
	v_div_fixup_f64 v[94:95], v[96:97], v[94:95], 1.0
	ds_write_b64 v1, v[94:95]
.LBB35_49:
	s_or_b32 exec_lo, exec_lo, s1
	s_waitcnt lgkmcnt(0)
	s_barrier
	buffer_gl0_inv
	ds_read_b64 v[94:95], v1
	s_mov_b32 s1, exec_lo
	v_cmpx_lt_u32_e32 9, v0
	s_cbranch_execz .LBB35_51
; %bb.50:
	s_waitcnt lgkmcnt(0)
	v_mul_f64 v[48:49], v[94:95], v[48:49]
	ds_read2_b64 v[96:99], v110 offset0:10 offset1:11
	ds_read2_b64 v[100:103], v110 offset0:12 offset1:13
	;; [unrolled: 1-line block ×4, first 2 shown]
	s_waitcnt lgkmcnt(3)
	v_fma_f64 v[54:55], -v[48:49], v[96:97], v[54:55]
	v_fma_f64 v[46:47], -v[48:49], v[98:99], v[46:47]
	s_waitcnt lgkmcnt(2)
	v_fma_f64 v[44:45], -v[48:49], v[100:101], v[44:45]
	v_fma_f64 v[40:41], -v[48:49], v[102:103], v[40:41]
	;; [unrolled: 3-line block ×4, first 2 shown]
.LBB35_51:
	s_or_b32 exec_lo, exec_lo, s1
	s_mov_b32 s1, exec_lo
	s_waitcnt lgkmcnt(0)
	s_barrier
	buffer_gl0_inv
	v_cmpx_eq_u32_e32 10, v0
	s_cbranch_execz .LBB35_54
; %bb.52:
	ds_write_b64 v1, v[54:55]
	ds_write2_b64 v110, v[46:47], v[44:45] offset0:11 offset1:12
	ds_write2_b64 v110, v[40:41], v[42:43] offset0:13 offset1:14
	;; [unrolled: 1-line block ×3, first 2 shown]
	ds_write_b64 v110, v[66:67] offset:136
	ds_read_b64 v[96:97], v1
	s_waitcnt lgkmcnt(0)
	v_cmp_neq_f64_e32 vcc_lo, 0, v[96:97]
	s_and_b32 exec_lo, exec_lo, vcc_lo
	s_cbranch_execz .LBB35_54
; %bb.53:
	v_div_scale_f64 v[98:99], null, v[96:97], v[96:97], 1.0
	v_rcp_f64_e32 v[100:101], v[98:99]
	v_fma_f64 v[102:103], -v[98:99], v[100:101], 1.0
	v_fma_f64 v[100:101], v[100:101], v[102:103], v[100:101]
	v_fma_f64 v[102:103], -v[98:99], v[100:101], 1.0
	v_fma_f64 v[100:101], v[100:101], v[102:103], v[100:101]
	v_div_scale_f64 v[102:103], vcc_lo, 1.0, v[96:97], 1.0
	v_mul_f64 v[104:105], v[102:103], v[100:101]
	v_fma_f64 v[98:99], -v[98:99], v[104:105], v[102:103]
	v_div_fmas_f64 v[98:99], v[98:99], v[100:101], v[104:105]
	v_div_fixup_f64 v[96:97], v[98:99], v[96:97], 1.0
	ds_write_b64 v1, v[96:97]
.LBB35_54:
	s_or_b32 exec_lo, exec_lo, s1
	s_waitcnt lgkmcnt(0)
	s_barrier
	buffer_gl0_inv
	ds_read_b64 v[96:97], v1
	s_mov_b32 s1, exec_lo
	v_cmpx_lt_u32_e32 10, v0
	s_cbranch_execz .LBB35_56
; %bb.55:
	s_waitcnt lgkmcnt(0)
	v_mul_f64 v[54:55], v[96:97], v[54:55]
	ds_read2_b64 v[98:101], v110 offset0:11 offset1:12
	ds_read2_b64 v[102:105], v110 offset0:13 offset1:14
	;; [unrolled: 1-line block ×3, first 2 shown]
	ds_read_b64 v[111:112], v110 offset:136
	s_waitcnt lgkmcnt(3)
	v_fma_f64 v[46:47], -v[54:55], v[98:99], v[46:47]
	v_fma_f64 v[44:45], -v[54:55], v[100:101], v[44:45]
	s_waitcnt lgkmcnt(2)
	v_fma_f64 v[40:41], -v[54:55], v[102:103], v[40:41]
	v_fma_f64 v[42:43], -v[54:55], v[104:105], v[42:43]
	;; [unrolled: 3-line block ×3, first 2 shown]
	s_waitcnt lgkmcnt(0)
	v_fma_f64 v[66:67], -v[54:55], v[111:112], v[66:67]
.LBB35_56:
	s_or_b32 exec_lo, exec_lo, s1
	s_mov_b32 s1, exec_lo
	s_waitcnt lgkmcnt(0)
	s_barrier
	buffer_gl0_inv
	v_cmpx_eq_u32_e32 11, v0
	s_cbranch_execz .LBB35_59
; %bb.57:
	v_mov_b32_e32 v98, v44
	v_mov_b32_e32 v99, v45
	v_mov_b32_e32 v100, v40
	v_mov_b32_e32 v101, v41
	v_mov_b32_e32 v102, v42
	v_mov_b32_e32 v103, v43
	v_mov_b32_e32 v104, v38
	v_mov_b32_e32 v105, v39
	v_mov_b32_e32 v106, v64
	v_mov_b32_e32 v107, v65
	ds_write_b64 v1, v[46:47]
	ds_write2_b64 v110, v[98:99], v[100:101] offset0:12 offset1:13
	ds_write2_b64 v110, v[102:103], v[104:105] offset0:14 offset1:15
	;; [unrolled: 1-line block ×3, first 2 shown]
	ds_read_b64 v[98:99], v1
	s_waitcnt lgkmcnt(0)
	v_cmp_neq_f64_e32 vcc_lo, 0, v[98:99]
	s_and_b32 exec_lo, exec_lo, vcc_lo
	s_cbranch_execz .LBB35_59
; %bb.58:
	v_div_scale_f64 v[100:101], null, v[98:99], v[98:99], 1.0
	v_rcp_f64_e32 v[102:103], v[100:101]
	v_fma_f64 v[104:105], -v[100:101], v[102:103], 1.0
	v_fma_f64 v[102:103], v[102:103], v[104:105], v[102:103]
	v_fma_f64 v[104:105], -v[100:101], v[102:103], 1.0
	v_fma_f64 v[102:103], v[102:103], v[104:105], v[102:103]
	v_div_scale_f64 v[104:105], vcc_lo, 1.0, v[98:99], 1.0
	v_mul_f64 v[106:107], v[104:105], v[102:103]
	v_fma_f64 v[100:101], -v[100:101], v[106:107], v[104:105]
	v_div_fmas_f64 v[100:101], v[100:101], v[102:103], v[106:107]
	v_div_fixup_f64 v[98:99], v[100:101], v[98:99], 1.0
	ds_write_b64 v1, v[98:99]
.LBB35_59:
	s_or_b32 exec_lo, exec_lo, s1
	s_waitcnt lgkmcnt(0)
	s_barrier
	buffer_gl0_inv
	ds_read_b64 v[98:99], v1
	s_mov_b32 s1, exec_lo
	v_cmpx_lt_u32_e32 11, v0
	s_cbranch_execz .LBB35_61
; %bb.60:
	s_waitcnt lgkmcnt(0)
	v_mul_f64 v[46:47], v[98:99], v[46:47]
	ds_read2_b64 v[100:103], v110 offset0:12 offset1:13
	ds_read2_b64 v[104:107], v110 offset0:14 offset1:15
	;; [unrolled: 1-line block ×3, first 2 shown]
	s_waitcnt lgkmcnt(2)
	v_fma_f64 v[44:45], -v[46:47], v[100:101], v[44:45]
	v_fma_f64 v[40:41], -v[46:47], v[102:103], v[40:41]
	s_waitcnt lgkmcnt(1)
	v_fma_f64 v[42:43], -v[46:47], v[104:105], v[42:43]
	v_fma_f64 v[38:39], -v[46:47], v[106:107], v[38:39]
	;; [unrolled: 3-line block ×3, first 2 shown]
.LBB35_61:
	s_or_b32 exec_lo, exec_lo, s1
	s_mov_b32 s1, exec_lo
	s_waitcnt lgkmcnt(0)
	s_barrier
	buffer_gl0_inv
	v_cmpx_eq_u32_e32 12, v0
	s_cbranch_execz .LBB35_64
; %bb.62:
	ds_write_b64 v1, v[44:45]
	ds_write2_b64 v110, v[40:41], v[42:43] offset0:13 offset1:14
	ds_write2_b64 v110, v[38:39], v[64:65] offset0:15 offset1:16
	ds_write_b64 v110, v[66:67] offset:136
	ds_read_b64 v[100:101], v1
	s_waitcnt lgkmcnt(0)
	v_cmp_neq_f64_e32 vcc_lo, 0, v[100:101]
	s_and_b32 exec_lo, exec_lo, vcc_lo
	s_cbranch_execz .LBB35_64
; %bb.63:
	v_div_scale_f64 v[102:103], null, v[100:101], v[100:101], 1.0
	v_rcp_f64_e32 v[104:105], v[102:103]
	v_fma_f64 v[106:107], -v[102:103], v[104:105], 1.0
	v_fma_f64 v[104:105], v[104:105], v[106:107], v[104:105]
	v_fma_f64 v[106:107], -v[102:103], v[104:105], 1.0
	v_fma_f64 v[104:105], v[104:105], v[106:107], v[104:105]
	v_div_scale_f64 v[106:107], vcc_lo, 1.0, v[100:101], 1.0
	v_mul_f64 v[108:109], v[106:107], v[104:105]
	v_fma_f64 v[102:103], -v[102:103], v[108:109], v[106:107]
	v_div_fmas_f64 v[102:103], v[102:103], v[104:105], v[108:109]
	v_div_fixup_f64 v[100:101], v[102:103], v[100:101], 1.0
	ds_write_b64 v1, v[100:101]
.LBB35_64:
	s_or_b32 exec_lo, exec_lo, s1
	s_waitcnt lgkmcnt(0)
	s_barrier
	buffer_gl0_inv
	ds_read_b64 v[100:101], v1
	s_mov_b32 s1, exec_lo
	v_cmpx_lt_u32_e32 12, v0
	s_cbranch_execz .LBB35_66
; %bb.65:
	s_waitcnt lgkmcnt(0)
	v_mul_f64 v[44:45], v[100:101], v[44:45]
	ds_read2_b64 v[102:105], v110 offset0:13 offset1:14
	ds_read2_b64 v[106:109], v110 offset0:15 offset1:16
	ds_read_b64 v[111:112], v110 offset:136
	s_waitcnt lgkmcnt(2)
	v_fma_f64 v[40:41], -v[44:45], v[102:103], v[40:41]
	v_fma_f64 v[42:43], -v[44:45], v[104:105], v[42:43]
	s_waitcnt lgkmcnt(1)
	v_fma_f64 v[38:39], -v[44:45], v[106:107], v[38:39]
	v_fma_f64 v[64:65], -v[44:45], v[108:109], v[64:65]
	s_waitcnt lgkmcnt(0)
	v_fma_f64 v[66:67], -v[44:45], v[111:112], v[66:67]
.LBB35_66:
	s_or_b32 exec_lo, exec_lo, s1
	s_mov_b32 s1, exec_lo
	s_waitcnt lgkmcnt(0)
	s_barrier
	buffer_gl0_inv
	v_cmpx_eq_u32_e32 13, v0
	s_cbranch_execz .LBB35_69
; %bb.67:
	v_mov_b32_e32 v102, v42
	v_mov_b32_e32 v103, v43
	;; [unrolled: 1-line block ×6, first 2 shown]
	ds_write_b64 v1, v[40:41]
	ds_write2_b64 v110, v[102:103], v[104:105] offset0:14 offset1:15
	ds_write2_b64 v110, v[106:107], v[66:67] offset0:16 offset1:17
	ds_read_b64 v[102:103], v1
	s_waitcnt lgkmcnt(0)
	v_cmp_neq_f64_e32 vcc_lo, 0, v[102:103]
	s_and_b32 exec_lo, exec_lo, vcc_lo
	s_cbranch_execz .LBB35_69
; %bb.68:
	v_div_scale_f64 v[104:105], null, v[102:103], v[102:103], 1.0
	v_rcp_f64_e32 v[106:107], v[104:105]
	v_fma_f64 v[108:109], -v[104:105], v[106:107], 1.0
	v_fma_f64 v[106:107], v[106:107], v[108:109], v[106:107]
	v_fma_f64 v[108:109], -v[104:105], v[106:107], 1.0
	v_fma_f64 v[106:107], v[106:107], v[108:109], v[106:107]
	v_div_scale_f64 v[108:109], vcc_lo, 1.0, v[102:103], 1.0
	v_mul_f64 v[111:112], v[108:109], v[106:107]
	v_fma_f64 v[104:105], -v[104:105], v[111:112], v[108:109]
	v_div_fmas_f64 v[104:105], v[104:105], v[106:107], v[111:112]
	v_div_fixup_f64 v[102:103], v[104:105], v[102:103], 1.0
	ds_write_b64 v1, v[102:103]
.LBB35_69:
	s_or_b32 exec_lo, exec_lo, s1
	s_waitcnt lgkmcnt(0)
	s_barrier
	buffer_gl0_inv
	ds_read_b64 v[102:103], v1
	s_mov_b32 s1, exec_lo
	v_cmpx_lt_u32_e32 13, v0
	s_cbranch_execz .LBB35_71
; %bb.70:
	s_waitcnt lgkmcnt(0)
	v_mul_f64 v[40:41], v[102:103], v[40:41]
	ds_read2_b64 v[104:107], v110 offset0:14 offset1:15
	ds_read2_b64 v[111:114], v110 offset0:16 offset1:17
	s_waitcnt lgkmcnt(1)
	v_fma_f64 v[42:43], -v[40:41], v[104:105], v[42:43]
	v_fma_f64 v[38:39], -v[40:41], v[106:107], v[38:39]
	s_waitcnt lgkmcnt(0)
	v_fma_f64 v[64:65], -v[40:41], v[111:112], v[64:65]
	v_fma_f64 v[66:67], -v[40:41], v[113:114], v[66:67]
.LBB35_71:
	s_or_b32 exec_lo, exec_lo, s1
	s_mov_b32 s1, exec_lo
	s_waitcnt lgkmcnt(0)
	s_barrier
	buffer_gl0_inv
	v_cmpx_eq_u32_e32 14, v0
	s_cbranch_execz .LBB35_74
; %bb.72:
	ds_write_b64 v1, v[42:43]
	ds_write2_b64 v110, v[38:39], v[64:65] offset0:15 offset1:16
	ds_write_b64 v110, v[66:67] offset:136
	ds_read_b64 v[104:105], v1
	s_waitcnt lgkmcnt(0)
	v_cmp_neq_f64_e32 vcc_lo, 0, v[104:105]
	s_and_b32 exec_lo, exec_lo, vcc_lo
	s_cbranch_execz .LBB35_74
; %bb.73:
	v_div_scale_f64 v[106:107], null, v[104:105], v[104:105], 1.0
	v_rcp_f64_e32 v[108:109], v[106:107]
	v_fma_f64 v[111:112], -v[106:107], v[108:109], 1.0
	v_fma_f64 v[108:109], v[108:109], v[111:112], v[108:109]
	v_fma_f64 v[111:112], -v[106:107], v[108:109], 1.0
	v_fma_f64 v[108:109], v[108:109], v[111:112], v[108:109]
	v_div_scale_f64 v[111:112], vcc_lo, 1.0, v[104:105], 1.0
	v_mul_f64 v[113:114], v[111:112], v[108:109]
	v_fma_f64 v[106:107], -v[106:107], v[113:114], v[111:112]
	v_div_fmas_f64 v[106:107], v[106:107], v[108:109], v[113:114]
	v_div_fixup_f64 v[104:105], v[106:107], v[104:105], 1.0
	ds_write_b64 v1, v[104:105]
.LBB35_74:
	s_or_b32 exec_lo, exec_lo, s1
	s_waitcnt lgkmcnt(0)
	s_barrier
	buffer_gl0_inv
	ds_read_b64 v[104:105], v1
	s_mov_b32 s1, exec_lo
	v_cmpx_lt_u32_e32 14, v0
	s_cbranch_execz .LBB35_76
; %bb.75:
	s_waitcnt lgkmcnt(0)
	v_mul_f64 v[42:43], v[104:105], v[42:43]
	ds_read2_b64 v[106:109], v110 offset0:15 offset1:16
	ds_read_b64 v[111:112], v110 offset:136
	s_waitcnt lgkmcnt(1)
	v_fma_f64 v[38:39], -v[42:43], v[106:107], v[38:39]
	v_fma_f64 v[64:65], -v[42:43], v[108:109], v[64:65]
	s_waitcnt lgkmcnt(0)
	v_fma_f64 v[66:67], -v[42:43], v[111:112], v[66:67]
.LBB35_76:
	s_or_b32 exec_lo, exec_lo, s1
	s_mov_b32 s1, exec_lo
	s_waitcnt lgkmcnt(0)
	s_barrier
	buffer_gl0_inv
	v_cmpx_eq_u32_e32 15, v0
	s_cbranch_execz .LBB35_79
; %bb.77:
	v_mov_b32_e32 v106, v64
	v_mov_b32_e32 v107, v65
	ds_write_b64 v1, v[38:39]
	ds_write2_b64 v110, v[106:107], v[66:67] offset0:16 offset1:17
	ds_read_b64 v[106:107], v1
	s_waitcnt lgkmcnt(0)
	v_cmp_neq_f64_e32 vcc_lo, 0, v[106:107]
	s_and_b32 exec_lo, exec_lo, vcc_lo
	s_cbranch_execz .LBB35_79
; %bb.78:
	v_div_scale_f64 v[108:109], null, v[106:107], v[106:107], 1.0
	v_rcp_f64_e32 v[111:112], v[108:109]
	v_fma_f64 v[113:114], -v[108:109], v[111:112], 1.0
	v_fma_f64 v[111:112], v[111:112], v[113:114], v[111:112]
	v_fma_f64 v[113:114], -v[108:109], v[111:112], 1.0
	v_fma_f64 v[111:112], v[111:112], v[113:114], v[111:112]
	v_div_scale_f64 v[113:114], vcc_lo, 1.0, v[106:107], 1.0
	v_mul_f64 v[115:116], v[113:114], v[111:112]
	v_fma_f64 v[108:109], -v[108:109], v[115:116], v[113:114]
	v_div_fmas_f64 v[108:109], v[108:109], v[111:112], v[115:116]
	v_div_fixup_f64 v[106:107], v[108:109], v[106:107], 1.0
	ds_write_b64 v1, v[106:107]
.LBB35_79:
	s_or_b32 exec_lo, exec_lo, s1
	s_waitcnt lgkmcnt(0)
	s_barrier
	buffer_gl0_inv
	ds_read_b64 v[106:107], v1
	s_mov_b32 s1, exec_lo
	v_cmpx_lt_u32_e32 15, v0
	s_cbranch_execz .LBB35_81
; %bb.80:
	s_waitcnt lgkmcnt(0)
	v_mul_f64 v[38:39], v[106:107], v[38:39]
	ds_read2_b64 v[111:114], v110 offset0:16 offset1:17
	s_waitcnt lgkmcnt(0)
	v_fma_f64 v[64:65], -v[38:39], v[111:112], v[64:65]
	v_fma_f64 v[66:67], -v[38:39], v[113:114], v[66:67]
.LBB35_81:
	s_or_b32 exec_lo, exec_lo, s1
	s_mov_b32 s1, exec_lo
	s_waitcnt lgkmcnt(0)
	s_barrier
	buffer_gl0_inv
	v_cmpx_eq_u32_e32 16, v0
	s_cbranch_execz .LBB35_84
; %bb.82:
	ds_write_b64 v1, v[64:65]
	ds_write_b64 v110, v[66:67] offset:136
	ds_read_b64 v[108:109], v1
	s_waitcnt lgkmcnt(0)
	v_cmp_neq_f64_e32 vcc_lo, 0, v[108:109]
	s_and_b32 exec_lo, exec_lo, vcc_lo
	s_cbranch_execz .LBB35_84
; %bb.83:
	v_div_scale_f64 v[111:112], null, v[108:109], v[108:109], 1.0
	v_rcp_f64_e32 v[113:114], v[111:112]
	v_fma_f64 v[115:116], -v[111:112], v[113:114], 1.0
	v_fma_f64 v[113:114], v[113:114], v[115:116], v[113:114]
	v_fma_f64 v[115:116], -v[111:112], v[113:114], 1.0
	v_fma_f64 v[113:114], v[113:114], v[115:116], v[113:114]
	v_div_scale_f64 v[115:116], vcc_lo, 1.0, v[108:109], 1.0
	v_mul_f64 v[117:118], v[115:116], v[113:114]
	v_fma_f64 v[111:112], -v[111:112], v[117:118], v[115:116]
	v_div_fmas_f64 v[111:112], v[111:112], v[113:114], v[117:118]
	v_div_fixup_f64 v[108:109], v[111:112], v[108:109], 1.0
	ds_write_b64 v1, v[108:109]
.LBB35_84:
	s_or_b32 exec_lo, exec_lo, s1
	s_waitcnt lgkmcnt(0)
	s_barrier
	buffer_gl0_inv
	ds_read_b64 v[108:109], v1
	s_mov_b32 s1, exec_lo
	v_cmpx_lt_u32_e32 16, v0
	s_cbranch_execz .LBB35_86
; %bb.85:
	s_waitcnt lgkmcnt(0)
	v_mul_f64 v[64:65], v[108:109], v[64:65]
	ds_read_b64 v[110:111], v110 offset:136
	s_waitcnt lgkmcnt(0)
	v_fma_f64 v[66:67], -v[64:65], v[110:111], v[66:67]
.LBB35_86:
	s_or_b32 exec_lo, exec_lo, s1
	s_mov_b32 s1, exec_lo
	s_waitcnt lgkmcnt(0)
	s_barrier
	buffer_gl0_inv
	v_cmpx_eq_u32_e32 17, v0
	s_cbranch_execz .LBB35_89
; %bb.87:
	v_cmp_neq_f64_e32 vcc_lo, 0, v[66:67]
	ds_write_b64 v1, v[66:67]
	s_and_b32 exec_lo, exec_lo, vcc_lo
	s_cbranch_execz .LBB35_89
; %bb.88:
	v_div_scale_f64 v[110:111], null, v[66:67], v[66:67], 1.0
	v_rcp_f64_e32 v[112:113], v[110:111]
	v_fma_f64 v[114:115], -v[110:111], v[112:113], 1.0
	v_fma_f64 v[112:113], v[112:113], v[114:115], v[112:113]
	v_fma_f64 v[114:115], -v[110:111], v[112:113], 1.0
	v_fma_f64 v[112:113], v[112:113], v[114:115], v[112:113]
	v_div_scale_f64 v[114:115], vcc_lo, 1.0, v[66:67], 1.0
	v_mul_f64 v[116:117], v[114:115], v[112:113]
	v_fma_f64 v[110:111], -v[110:111], v[116:117], v[114:115]
	v_div_fmas_f64 v[110:111], v[110:111], v[112:113], v[116:117]
	v_div_fixup_f64 v[110:111], v[110:111], v[66:67], 1.0
	ds_write_b64 v1, v[110:111]
.LBB35_89:
	s_or_b32 exec_lo, exec_lo, s1
	s_waitcnt lgkmcnt(0)
	s_barrier
	buffer_gl0_inv
	ds_read_b64 v[110:111], v1
	s_waitcnt lgkmcnt(0)
	s_barrier
	buffer_gl0_inv
	s_and_saveexec_b32 s3, s0
	s_cbranch_execz .LBB35_92
; %bb.90:
	s_load_dwordx2 s[0:1], s[4:5], 0x28
	v_lshlrev_b64 v[1:2], 2, v[2:3]
	v_cmp_eq_f64_e64 s2, 0, v[82:83]
	s_waitcnt lgkmcnt(0)
	v_add_co_u32 v1, vcc_lo, s0, v1
	v_add_co_ci_u32_e64 v2, null, s1, v2, vcc_lo
	v_cmp_eq_f64_e32 vcc_lo, 0, v[76:77]
	v_cmp_neq_f64_e64 s0, 0, v[78:79]
	v_cmp_eq_f64_e64 s1, 0, v[80:81]
	global_load_dword v112, v[1:2], off
	v_cndmask_b32_e64 v3, 0, 1, vcc_lo
	s_or_b32 vcc_lo, s0, vcc_lo
	v_cmp_eq_f64_e64 s0, 0, v[84:85]
	v_cndmask_b32_e32 v3, 2, v3, vcc_lo
	v_cmp_eq_u32_e32 vcc_lo, 0, v3
	s_and_b32 s1, s1, vcc_lo
	v_cndmask_b32_e64 v3, v3, 3, s1
	v_cmp_eq_f64_e64 s1, 0, v[86:87]
	v_cmp_eq_u32_e32 vcc_lo, 0, v3
	s_and_b32 s2, s2, vcc_lo
	v_cndmask_b32_e64 v3, v3, 4, s2
	v_cmp_eq_f64_e64 s2, 0, v[88:89]
	;; [unrolled: 4-line block ×13, first 2 shown]
	v_cmp_eq_u32_e32 vcc_lo, 0, v3
	s_and_b32 s2, s2, vcc_lo
	v_cndmask_b32_e64 v3, v3, 16, s2
	v_cmp_eq_u32_e32 vcc_lo, 0, v3
	s_and_b32 s0, s0, vcc_lo
	v_cndmask_b32_e64 v3, v3, 17, s0
	;; [unrolled: 3-line block ×3, first 2 shown]
	v_cmp_ne_u32_e64 s0, 0, v3
	s_waitcnt vmcnt(0)
	v_cmp_eq_u32_e32 vcc_lo, 0, v112
	s_and_b32 s0, vcc_lo, s0
	s_and_b32 exec_lo, exec_lo, s0
	s_cbranch_execz .LBB35_92
; %bb.91:
	v_add_nc_u32_e32 v3, s9, v3
	global_store_dword v[1:2], v3, off
.LBB35_92:
	s_or_b32 exec_lo, exec_lo, s3
	v_mul_f64 v[1:2], v[110:111], v[66:67]
	v_cmp_lt_u32_e32 vcc_lo, 17, v0
	flat_store_dwordx2 v[4:5], v[68:69]
	flat_store_dwordx2 v[62:63], v[72:73]
	;; [unrolled: 1-line block ×12, first 2 shown]
	v_cndmask_b32_e32 v2, v67, v2, vcc_lo
	v_cndmask_b32_e32 v1, v66, v1, vcc_lo
	flat_store_dwordx2 v[24:25], v[44:45]
	flat_store_dwordx2 v[28:29], v[40:41]
	;; [unrolled: 1-line block ×6, first 2 shown]
.LBB35_93:
	s_endpgm
	.section	.rodata,"a",@progbits
	.p2align	6, 0x0
	.amdhsa_kernel _ZN9rocsolver6v33100L23getf2_npvt_small_kernelILi18EdiiPKPdEEvT1_T3_lS5_lPT2_S5_S5_
		.amdhsa_group_segment_fixed_size 0
		.amdhsa_private_segment_fixed_size 0
		.amdhsa_kernarg_size 312
		.amdhsa_user_sgpr_count 6
		.amdhsa_user_sgpr_private_segment_buffer 1
		.amdhsa_user_sgpr_dispatch_ptr 0
		.amdhsa_user_sgpr_queue_ptr 0
		.amdhsa_user_sgpr_kernarg_segment_ptr 1
		.amdhsa_user_sgpr_dispatch_id 0
		.amdhsa_user_sgpr_flat_scratch_init 0
		.amdhsa_user_sgpr_private_segment_size 0
		.amdhsa_wavefront_size32 1
		.amdhsa_uses_dynamic_stack 0
		.amdhsa_system_sgpr_private_segment_wavefront_offset 0
		.amdhsa_system_sgpr_workgroup_id_x 1
		.amdhsa_system_sgpr_workgroup_id_y 1
		.amdhsa_system_sgpr_workgroup_id_z 0
		.amdhsa_system_sgpr_workgroup_info 0
		.amdhsa_system_vgpr_workitem_id 1
		.amdhsa_next_free_vgpr 119
		.amdhsa_next_free_sgpr 11
		.amdhsa_reserve_vcc 1
		.amdhsa_reserve_flat_scratch 1
		.amdhsa_float_round_mode_32 0
		.amdhsa_float_round_mode_16_64 0
		.amdhsa_float_denorm_mode_32 3
		.amdhsa_float_denorm_mode_16_64 3
		.amdhsa_dx10_clamp 1
		.amdhsa_ieee_mode 1
		.amdhsa_fp16_overflow 0
		.amdhsa_workgroup_processor_mode 1
		.amdhsa_memory_ordered 1
		.amdhsa_forward_progress 1
		.amdhsa_shared_vgpr_count 0
		.amdhsa_exception_fp_ieee_invalid_op 0
		.amdhsa_exception_fp_denorm_src 0
		.amdhsa_exception_fp_ieee_div_zero 0
		.amdhsa_exception_fp_ieee_overflow 0
		.amdhsa_exception_fp_ieee_underflow 0
		.amdhsa_exception_fp_ieee_inexact 0
		.amdhsa_exception_int_div_zero 0
	.end_amdhsa_kernel
	.section	.text._ZN9rocsolver6v33100L23getf2_npvt_small_kernelILi18EdiiPKPdEEvT1_T3_lS5_lPT2_S5_S5_,"axG",@progbits,_ZN9rocsolver6v33100L23getf2_npvt_small_kernelILi18EdiiPKPdEEvT1_T3_lS5_lPT2_S5_S5_,comdat
.Lfunc_end35:
	.size	_ZN9rocsolver6v33100L23getf2_npvt_small_kernelILi18EdiiPKPdEEvT1_T3_lS5_lPT2_S5_S5_, .Lfunc_end35-_ZN9rocsolver6v33100L23getf2_npvt_small_kernelILi18EdiiPKPdEEvT1_T3_lS5_lPT2_S5_S5_
                                        ; -- End function
	.set _ZN9rocsolver6v33100L23getf2_npvt_small_kernelILi18EdiiPKPdEEvT1_T3_lS5_lPT2_S5_S5_.num_vgpr, 119
	.set _ZN9rocsolver6v33100L23getf2_npvt_small_kernelILi18EdiiPKPdEEvT1_T3_lS5_lPT2_S5_S5_.num_agpr, 0
	.set _ZN9rocsolver6v33100L23getf2_npvt_small_kernelILi18EdiiPKPdEEvT1_T3_lS5_lPT2_S5_S5_.numbered_sgpr, 11
	.set _ZN9rocsolver6v33100L23getf2_npvt_small_kernelILi18EdiiPKPdEEvT1_T3_lS5_lPT2_S5_S5_.num_named_barrier, 0
	.set _ZN9rocsolver6v33100L23getf2_npvt_small_kernelILi18EdiiPKPdEEvT1_T3_lS5_lPT2_S5_S5_.private_seg_size, 0
	.set _ZN9rocsolver6v33100L23getf2_npvt_small_kernelILi18EdiiPKPdEEvT1_T3_lS5_lPT2_S5_S5_.uses_vcc, 1
	.set _ZN9rocsolver6v33100L23getf2_npvt_small_kernelILi18EdiiPKPdEEvT1_T3_lS5_lPT2_S5_S5_.uses_flat_scratch, 1
	.set _ZN9rocsolver6v33100L23getf2_npvt_small_kernelILi18EdiiPKPdEEvT1_T3_lS5_lPT2_S5_S5_.has_dyn_sized_stack, 0
	.set _ZN9rocsolver6v33100L23getf2_npvt_small_kernelILi18EdiiPKPdEEvT1_T3_lS5_lPT2_S5_S5_.has_recursion, 0
	.set _ZN9rocsolver6v33100L23getf2_npvt_small_kernelILi18EdiiPKPdEEvT1_T3_lS5_lPT2_S5_S5_.has_indirect_call, 0
	.section	.AMDGPU.csdata,"",@progbits
; Kernel info:
; codeLenInByte = 8636
; TotalNumSgprs: 13
; NumVgprs: 119
; ScratchSize: 0
; MemoryBound: 0
; FloatMode: 240
; IeeeMode: 1
; LDSByteSize: 0 bytes/workgroup (compile time only)
; SGPRBlocks: 0
; VGPRBlocks: 14
; NumSGPRsForWavesPerEU: 13
; NumVGPRsForWavesPerEU: 119
; Occupancy: 8
; WaveLimiterHint : 1
; COMPUTE_PGM_RSRC2:SCRATCH_EN: 0
; COMPUTE_PGM_RSRC2:USER_SGPR: 6
; COMPUTE_PGM_RSRC2:TRAP_HANDLER: 0
; COMPUTE_PGM_RSRC2:TGID_X_EN: 1
; COMPUTE_PGM_RSRC2:TGID_Y_EN: 1
; COMPUTE_PGM_RSRC2:TGID_Z_EN: 0
; COMPUTE_PGM_RSRC2:TIDIG_COMP_CNT: 1
	.section	.text._ZN9rocsolver6v33100L18getf2_small_kernelILi19EdiiPKPdEEvT1_T3_lS5_lPS5_llPT2_S5_S5_S7_l,"axG",@progbits,_ZN9rocsolver6v33100L18getf2_small_kernelILi19EdiiPKPdEEvT1_T3_lS5_lPS5_llPT2_S5_S5_S7_l,comdat
	.globl	_ZN9rocsolver6v33100L18getf2_small_kernelILi19EdiiPKPdEEvT1_T3_lS5_lPS5_llPT2_S5_S5_S7_l ; -- Begin function _ZN9rocsolver6v33100L18getf2_small_kernelILi19EdiiPKPdEEvT1_T3_lS5_lPS5_llPT2_S5_S5_S7_l
	.p2align	8
	.type	_ZN9rocsolver6v33100L18getf2_small_kernelILi19EdiiPKPdEEvT1_T3_lS5_lPS5_llPT2_S5_S5_S7_l,@function
_ZN9rocsolver6v33100L18getf2_small_kernelILi19EdiiPKPdEEvT1_T3_lS5_lPS5_llPT2_S5_S5_S7_l: ; @_ZN9rocsolver6v33100L18getf2_small_kernelILi19EdiiPKPdEEvT1_T3_lS5_lPS5_llPT2_S5_S5_S7_l
; %bb.0:
	s_clause 0x1
	s_load_dword s0, s[4:5], 0x6c
	s_load_dwordx2 s[12:13], s[4:5], 0x48
	s_waitcnt lgkmcnt(0)
	s_lshr_b32 s0, s0, 16
	v_mad_u64_u32 v[2:3], null, s7, s0, v[1:2]
	s_mov_b32 s0, exec_lo
	v_cmpx_gt_i32_e64 s12, v2
	s_cbranch_execz .LBB36_320
; %bb.1:
	s_clause 0x1
	s_load_dwordx4 s[0:3], s[4:5], 0x8
	s_load_dwordx4 s[8:11], s[4:5], 0x50
	v_ashrrev_i32_e32 v3, 31, v2
	v_mov_b32_e32 v40, 0
	v_mov_b32_e32 v41, 0
	v_lshlrev_b64 v[4:5], 3, v[2:3]
	s_waitcnt lgkmcnt(0)
	v_add_co_u32 v4, vcc_lo, s0, v4
	v_add_co_ci_u32_e64 v5, null, s1, v5, vcc_lo
	s_cmp_eq_u64 s[8:9], 0
	s_cselect_b32 s6, -1, 0
	global_load_dwordx2 v[4:5], v[4:5], off
	s_and_b32 vcc_lo, exec_lo, s6
	s_cbranch_vccnz .LBB36_3
; %bb.2:
	v_mul_lo_u32 v8, s11, v2
	v_mul_lo_u32 v9, s10, v3
	v_mad_u64_u32 v[6:7], null, s10, v2, 0
	v_add3_u32 v7, v7, v9, v8
	v_lshlrev_b64 v[6:7], 2, v[6:7]
	v_add_co_u32 v40, vcc_lo, s8, v6
	v_add_co_ci_u32_e64 v41, null, s9, v7, vcc_lo
.LBB36_3:
	s_load_dword s8, s[4:5], 0x18
	s_lshl_b64 s[0:1], s[2:3], 3
	s_load_dword s2, s[4:5], 0x0
	s_waitcnt vmcnt(0)
	v_add_co_u32 v48, vcc_lo, v4, s0
	v_lshlrev_b32_e32 v51, 3, v0
	v_add_co_ci_u32_e64 v49, null, s1, v5, vcc_lo
	v_add_co_u32 v8, vcc_lo, v48, v51
	v_add_co_ci_u32_e64 v9, null, 0, v49, vcc_lo
	s_waitcnt lgkmcnt(0)
	v_add3_u32 v6, s8, s8, v0
	s_ashr_i32 s9, s8, 31
	s_max_i32 s0, s2, 19
	s_lshl_b64 s[10:11], s[8:9], 3
	v_mul_lo_u32 v1, s0, v1
	v_add_nc_u32_e32 v4, s8, v6
	v_ashrrev_i32_e32 v7, 31, v6
	v_add_co_u32 v12, vcc_lo, v8, s10
	v_add_co_ci_u32_e64 v13, null, s11, v9, vcc_lo
	v_add_nc_u32_e32 v10, s8, v4
	v_ashrrev_i32_e32 v5, 31, v4
	v_lshlrev_b64 v[6:7], 3, v[6:7]
	v_lshl_add_u32 v50, v1, 3, 0
	s_cmp_lt_i32 s2, 2
	v_add_nc_u32_e32 v14, s8, v10
	v_lshlrev_b64 v[4:5], 3, v[4:5]
	v_ashrrev_i32_e32 v11, 31, v10
	v_add_co_u32 v6, vcc_lo, v48, v6
	v_add_nc_u32_e32 v18, s8, v14
	v_ashrrev_i32_e32 v15, 31, v14
	v_add_co_ci_u32_e64 v7, null, v49, v7, vcc_lo
	v_add_co_u32 v4, vcc_lo, v48, v4
	v_add_nc_u32_e32 v22, s8, v18
	v_lshlrev_b64 v[10:11], 3, v[10:11]
	v_add_co_ci_u32_e64 v5, null, v49, v5, vcc_lo
	v_ashrrev_i32_e32 v19, 31, v18
	v_lshlrev_b64 v[14:15], 3, v[14:15]
	s_clause 0x3
	flat_load_dwordx2 v[32:33], v[8:9]
	flat_load_dwordx2 v[30:31], v[12:13]
	;; [unrolled: 1-line block ×4, first 2 shown]
	v_ashrrev_i32_e32 v23, 31, v22
	v_add_nc_u32_e32 v8, s8, v22
	v_add_co_u32 v4, vcc_lo, v48, v10
	v_lshlrev_b64 v[6:7], 3, v[18:19]
	v_add_co_ci_u32_e64 v5, null, v49, v11, vcc_lo
	v_add_co_u32 v10, vcc_lo, v48, v14
	v_lshlrev_b64 v[12:13], 3, v[22:23]
	v_add_nc_u32_e32 v14, s8, v8
	v_add_co_ci_u32_e64 v11, null, v49, v15, vcc_lo
	v_add_co_u32 v6, vcc_lo, v48, v6
	v_add_nc_u32_e32 v18, s8, v14
	v_add_co_ci_u32_e64 v7, null, v49, v7, vcc_lo
	v_add_co_u32 v12, vcc_lo, v48, v12
	v_add_co_ci_u32_e64 v13, null, v49, v13, vcc_lo
	s_clause 0x3
	flat_load_dwordx2 v[28:29], v[4:5]
	flat_load_dwordx2 v[24:25], v[10:11]
	;; [unrolled: 1-line block ×4, first 2 shown]
	v_add_nc_u32_e32 v10, s8, v18
	v_ashrrev_i32_e32 v9, 31, v8
	v_ashrrev_i32_e32 v15, 31, v14
	;; [unrolled: 1-line block ×4, first 2 shown]
	v_lshlrev_b64 v[8:9], 3, v[8:9]
	v_lshlrev_b64 v[6:7], 3, v[14:15]
	;; [unrolled: 1-line block ×4, first 2 shown]
	v_add_nc_u32_e32 v10, s8, v10
	v_add_co_u32 v8, vcc_lo, v48, v8
	v_add_co_ci_u32_e64 v9, null, v49, v9, vcc_lo
	v_add_nc_u32_e32 v34, s8, v10
	v_add_co_u32 v6, vcc_lo, v48, v6
	v_add_co_ci_u32_e64 v7, null, v49, v7, vcc_lo
	v_add_co_u32 v12, vcc_lo, v48, v12
	v_add_nc_u32_e32 v38, s8, v34
	v_add_co_ci_u32_e64 v13, null, v49, v13, vcc_lo
	v_add_co_u32 v14, vcc_lo, v48, v14
	v_add_co_ci_u32_e64 v15, null, v49, v15, vcc_lo
	v_ashrrev_i32_e32 v35, 31, v34
	s_clause 0x3
	flat_load_dwordx2 v[36:37], v[8:9]
	flat_load_dwordx2 v[22:23], v[6:7]
	flat_load_dwordx2 v[18:19], v[12:13]
	flat_load_dwordx2 v[14:15], v[14:15]
	v_add_nc_u32_e32 v8, s8, v38
	v_ashrrev_i32_e32 v11, 31, v10
	v_ashrrev_i32_e32 v39, 31, v38
	v_lshlrev_b64 v[6:7], 3, v[34:35]
	v_add_nc_u32_e32 v34, s8, v8
	v_lshlrev_b64 v[10:11], 3, v[10:11]
	v_lshlrev_b64 v[12:13], 3, v[38:39]
	v_ashrrev_i32_e32 v9, 31, v8
	v_add_nc_u32_e32 v38, s8, v34
	v_ashrrev_i32_e32 v35, 31, v34
	v_add_co_u32 v10, vcc_lo, v48, v10
	v_lshlrev_b64 v[8:9], 3, v[8:9]
	v_add_nc_u32_e32 v42, s8, v38
	v_add_co_ci_u32_e64 v11, null, v49, v11, vcc_lo
	v_add_co_u32 v6, vcc_lo, v48, v6
	v_lshlrev_b64 v[34:35], 3, v[34:35]
	v_ashrrev_i32_e32 v39, 31, v38
	v_add_co_ci_u32_e64 v7, null, v49, v7, vcc_lo
	v_add_co_u32 v12, vcc_lo, v48, v12
	v_ashrrev_i32_e32 v43, 31, v42
	v_add_co_ci_u32_e64 v13, null, v49, v13, vcc_lo
	v_add_co_u32 v8, vcc_lo, v48, v8
	v_add_co_ci_u32_e64 v9, null, v49, v9, vcc_lo
	v_lshlrev_b64 v[38:39], 3, v[38:39]
	v_add_co_u32 v44, vcc_lo, v48, v34
	v_add_co_ci_u32_e64 v45, null, v49, v35, vcc_lo
	v_lshlrev_b64 v[34:35], 3, v[42:43]
	v_add_co_u32 v42, vcc_lo, v48, v38
	v_add_co_ci_u32_e64 v43, null, v49, v39, vcc_lo
	v_add_co_u32 v46, vcc_lo, v48, v34
	v_add_co_ci_u32_e64 v47, null, v49, v35, vcc_lo
	s_clause 0x6
	flat_load_dwordx2 v[38:39], v[10:11]
	flat_load_dwordx2 v[34:35], v[6:7]
	;; [unrolled: 1-line block ×7, first 2 shown]
	v_add_nc_u32_e32 v44, v50, v51
	v_mov_b32_e32 v46, 0
	v_lshlrev_b32_e32 v51, 3, v1
	s_waitcnt vmcnt(18) lgkmcnt(18)
	ds_write_b64 v44, v[32:33]
	s_waitcnt vmcnt(0) lgkmcnt(0)
	s_barrier
	buffer_gl0_inv
	ds_read_b64 v[44:45], v50
	s_cbranch_scc1 .LBB36_6
; %bb.4:
	v_add3_u32 v1, v51, 0, 8
	v_mov_b32_e32 v46, 0
	s_mov_b32 s0, 1
.LBB36_5:                               ; =>This Inner Loop Header: Depth=1
	ds_read_b64 v[52:53], v1
	v_add_nc_u32_e32 v1, 8, v1
	s_waitcnt lgkmcnt(0)
	v_cmp_lt_f64_e64 vcc_lo, |v[44:45]|, |v[52:53]|
	v_cndmask_b32_e32 v45, v45, v53, vcc_lo
	v_cndmask_b32_e32 v44, v44, v52, vcc_lo
	v_cndmask_b32_e64 v46, v46, s0, vcc_lo
	s_add_i32 s0, s0, 1
	s_cmp_eq_u32 s2, s0
	s_cbranch_scc0 .LBB36_5
.LBB36_6:
	s_mov_b32 s0, exec_lo
                                        ; implicit-def: $vgpr53
	v_cmpx_ne_u32_e64 v0, v46
	s_xor_b32 s0, exec_lo, s0
	s_cbranch_execz .LBB36_12
; %bb.7:
	s_mov_b32 s1, exec_lo
	v_cmpx_eq_u32_e32 0, v0
	s_cbranch_execz .LBB36_11
; %bb.8:
	v_cmp_ne_u32_e32 vcc_lo, 0, v46
	s_xor_b32 s3, s6, -1
	s_and_b32 s7, s3, vcc_lo
	s_and_saveexec_b32 s3, s7
	s_cbranch_execz .LBB36_10
; %bb.9:
	v_ashrrev_i32_e32 v47, 31, v46
	v_lshlrev_b64 v[0:1], 2, v[46:47]
	v_add_co_u32 v0, vcc_lo, v40, v0
	v_add_co_ci_u32_e64 v1, null, v41, v1, vcc_lo
	s_clause 0x1
	global_load_dword v47, v[0:1], off
	global_load_dword v52, v[40:41], off
	s_waitcnt vmcnt(1)
	global_store_dword v[40:41], v47, off
	s_waitcnt vmcnt(0)
	global_store_dword v[0:1], v52, off
.LBB36_10:
	s_or_b32 exec_lo, exec_lo, s3
	v_mov_b32_e32 v0, v46
.LBB36_11:
	s_or_b32 exec_lo, exec_lo, s1
	v_mov_b32_e32 v53, v0
                                        ; implicit-def: $vgpr0
.LBB36_12:
	s_or_saveexec_b32 s0, s0
	v_mov_b32_e32 v47, v53
	s_xor_b32 exec_lo, exec_lo, s0
	s_cbranch_execz .LBB36_14
; %bb.13:
	v_mov_b32_e32 v53, 0
	v_mov_b32_e32 v47, v0
	ds_write2_b64 v50, v[30:31], v[20:21] offset0:1 offset1:2
	ds_write2_b64 v50, v[16:17], v[28:29] offset0:3 offset1:4
	;; [unrolled: 1-line block ×9, first 2 shown]
.LBB36_14:
	s_or_b32 exec_lo, exec_lo, s0
	s_waitcnt lgkmcnt(0)
	v_cmp_eq_f64_e64 s0, 0, v[44:45]
	s_mov_b32 s1, exec_lo
	s_waitcnt_vscnt null, 0x0
	s_barrier
	buffer_gl0_inv
	v_cmpx_lt_i32_e32 0, v53
	s_cbranch_execz .LBB36_16
; %bb.15:
	v_div_scale_f64 v[0:1], null, v[44:45], v[44:45], 1.0
	v_div_scale_f64 v[58:59], vcc_lo, 1.0, v[44:45], 1.0
	v_rcp_f64_e32 v[54:55], v[0:1]
	v_fma_f64 v[56:57], -v[0:1], v[54:55], 1.0
	v_fma_f64 v[54:55], v[54:55], v[56:57], v[54:55]
	v_fma_f64 v[56:57], -v[0:1], v[54:55], 1.0
	v_fma_f64 v[54:55], v[54:55], v[56:57], v[54:55]
	v_mul_f64 v[56:57], v[58:59], v[54:55]
	v_fma_f64 v[0:1], -v[0:1], v[56:57], v[58:59]
	v_div_fmas_f64 v[0:1], v[0:1], v[54:55], v[56:57]
	ds_read2_b64 v[54:57], v50 offset0:1 offset1:2
	ds_read2_b64 v[58:61], v50 offset0:3 offset1:4
	;; [unrolled: 1-line block ×9, first 2 shown]
	v_div_fixup_f64 v[0:1], v[0:1], v[44:45], 1.0
	v_cndmask_b32_e64 v1, v1, v45, s0
	v_cndmask_b32_e64 v0, v0, v44, s0
	v_mul_f64 v[32:33], v[0:1], v[32:33]
	s_waitcnt lgkmcnt(8)
	v_fma_f64 v[30:31], -v[32:33], v[54:55], v[30:31]
	v_fma_f64 v[20:21], -v[32:33], v[56:57], v[20:21]
	s_waitcnt lgkmcnt(7)
	v_fma_f64 v[16:17], -v[32:33], v[58:59], v[16:17]
	v_fma_f64 v[28:29], -v[32:33], v[60:61], v[28:29]
	;; [unrolled: 3-line block ×9, first 2 shown]
.LBB36_16:
	s_or_b32 exec_lo, exec_lo, s1
	v_lshl_add_u32 v0, v53, 3, v50
	s_barrier
	buffer_gl0_inv
	v_mov_b32_e32 v44, 1
	ds_write_b64 v0, v[30:31]
	s_waitcnt lgkmcnt(0)
	s_barrier
	buffer_gl0_inv
	ds_read_b64 v[0:1], v50 offset:8
	s_cmp_lt_i32 s2, 3
	s_cbranch_scc1 .LBB36_19
; %bb.17:
	v_add3_u32 v45, v51, 0, 16
	v_mov_b32_e32 v44, 1
	s_mov_b32 s1, 2
.LBB36_18:                              ; =>This Inner Loop Header: Depth=1
	ds_read_b64 v[54:55], v45
	v_add_nc_u32_e32 v45, 8, v45
	s_waitcnt lgkmcnt(0)
	v_cmp_lt_f64_e64 vcc_lo, |v[0:1]|, |v[54:55]|
	v_cndmask_b32_e32 v1, v1, v55, vcc_lo
	v_cndmask_b32_e32 v0, v0, v54, vcc_lo
	v_cndmask_b32_e64 v44, v44, s1, vcc_lo
	s_add_i32 s1, s1, 1
	s_cmp_lg_u32 s2, s1
	s_cbranch_scc1 .LBB36_18
.LBB36_19:
	s_mov_b32 s1, exec_lo
	v_cmpx_ne_u32_e64 v53, v44
	s_xor_b32 s1, exec_lo, s1
	s_cbranch_execz .LBB36_25
; %bb.20:
	s_mov_b32 s3, exec_lo
	v_cmpx_eq_u32_e32 1, v53
	s_cbranch_execz .LBB36_24
; %bb.21:
	v_cmp_ne_u32_e32 vcc_lo, 1, v44
	s_xor_b32 s7, s6, -1
	s_and_b32 s9, s7, vcc_lo
	s_and_saveexec_b32 s7, s9
	s_cbranch_execz .LBB36_23
; %bb.22:
	v_ashrrev_i32_e32 v45, 31, v44
	v_lshlrev_b64 v[45:46], 2, v[44:45]
	v_add_co_u32 v45, vcc_lo, v40, v45
	v_add_co_ci_u32_e64 v46, null, v41, v46, vcc_lo
	s_clause 0x1
	global_load_dword v47, v[45:46], off
	global_load_dword v52, v[40:41], off offset:4
	s_waitcnt vmcnt(1)
	global_store_dword v[40:41], v47, off offset:4
	s_waitcnt vmcnt(0)
	global_store_dword v[45:46], v52, off
.LBB36_23:
	s_or_b32 exec_lo, exec_lo, s7
	v_mov_b32_e32 v47, v44
	v_mov_b32_e32 v53, v44
.LBB36_24:
	s_or_b32 exec_lo, exec_lo, s3
.LBB36_25:
	s_andn2_saveexec_b32 s1, s1
	s_cbranch_execz .LBB36_27
; %bb.26:
	v_mov_b32_e32 v44, v20
	v_mov_b32_e32 v45, v21
	;; [unrolled: 1-line block ×16, first 2 shown]
	ds_write2_b64 v50, v[44:45], v[52:53] offset0:2 offset1:3
	ds_write2_b64 v50, v[54:55], v[56:57] offset0:4 offset1:5
	;; [unrolled: 1-line block ×4, first 2 shown]
	v_mov_b32_e32 v44, v18
	v_mov_b32_e32 v45, v19
	;; [unrolled: 1-line block ×8, first 2 shown]
	ds_write2_b64 v50, v[44:45], v[52:53] offset0:10 offset1:11
	v_mov_b32_e32 v53, 1
	v_mov_b32_e32 v58, v12
	v_mov_b32_e32 v59, v13
	v_mov_b32_e32 v60, v8
	v_mov_b32_e32 v61, v9
	v_mov_b32_e32 v62, v10
	v_mov_b32_e32 v63, v11
	v_mov_b32_e32 v64, v6
	v_mov_b32_e32 v65, v7
	ds_write2_b64 v50, v[54:55], v[56:57] offset0:12 offset1:13
	ds_write2_b64 v50, v[58:59], v[60:61] offset0:14 offset1:15
	ds_write2_b64 v50, v[62:63], v[64:65] offset0:16 offset1:17
	ds_write_b64 v50, v[42:43] offset:144
.LBB36_27:
	s_or_b32 exec_lo, exec_lo, s1
	s_waitcnt lgkmcnt(0)
	v_cmp_neq_f64_e64 s1, 0, v[0:1]
	s_mov_b32 s3, exec_lo
	s_waitcnt_vscnt null, 0x0
	s_barrier
	buffer_gl0_inv
	v_cmpx_lt_i32_e32 1, v53
	s_cbranch_execz .LBB36_29
; %bb.28:
	v_div_scale_f64 v[44:45], null, v[0:1], v[0:1], 1.0
	v_div_scale_f64 v[58:59], vcc_lo, 1.0, v[0:1], 1.0
	v_rcp_f64_e32 v[54:55], v[44:45]
	v_fma_f64 v[56:57], -v[44:45], v[54:55], 1.0
	v_fma_f64 v[54:55], v[54:55], v[56:57], v[54:55]
	v_fma_f64 v[56:57], -v[44:45], v[54:55], 1.0
	v_fma_f64 v[54:55], v[54:55], v[56:57], v[54:55]
	v_mul_f64 v[56:57], v[58:59], v[54:55]
	v_fma_f64 v[44:45], -v[44:45], v[56:57], v[58:59]
	v_div_fmas_f64 v[44:45], v[44:45], v[54:55], v[56:57]
	v_div_fixup_f64 v[44:45], v[44:45], v[0:1], 1.0
	v_cndmask_b32_e64 v1, v1, v45, s1
	v_cndmask_b32_e64 v0, v0, v44, s1
	v_mul_f64 v[30:31], v[0:1], v[30:31]
	ds_read2_b64 v[54:57], v50 offset0:2 offset1:3
	ds_read2_b64 v[58:61], v50 offset0:4 offset1:5
	;; [unrolled: 1-line block ×8, first 2 shown]
	ds_read_b64 v[0:1], v50 offset:144
	s_waitcnt lgkmcnt(8)
	v_fma_f64 v[20:21], -v[30:31], v[54:55], v[20:21]
	v_fma_f64 v[16:17], -v[30:31], v[56:57], v[16:17]
	s_waitcnt lgkmcnt(7)
	v_fma_f64 v[28:29], -v[30:31], v[58:59], v[28:29]
	v_fma_f64 v[24:25], -v[30:31], v[60:61], v[24:25]
	;; [unrolled: 3-line block ×8, first 2 shown]
	s_waitcnt lgkmcnt(0)
	v_fma_f64 v[42:43], -v[30:31], v[0:1], v[42:43]
.LBB36_29:
	s_or_b32 exec_lo, exec_lo, s3
	v_lshl_add_u32 v0, v53, 3, v50
	s_barrier
	buffer_gl0_inv
	v_mov_b32_e32 v44, 2
	ds_write_b64 v0, v[20:21]
	s_waitcnt lgkmcnt(0)
	s_barrier
	buffer_gl0_inv
	ds_read_b64 v[0:1], v50 offset:16
	s_cmp_lt_i32 s2, 4
	s_mov_b32 s3, 3
	s_cbranch_scc1 .LBB36_32
; %bb.30:
	v_add3_u32 v45, v51, 0, 24
	v_mov_b32_e32 v44, 2
.LBB36_31:                              ; =>This Inner Loop Header: Depth=1
	ds_read_b64 v[54:55], v45
	v_add_nc_u32_e32 v45, 8, v45
	s_waitcnt lgkmcnt(0)
	v_cmp_lt_f64_e64 vcc_lo, |v[0:1]|, |v[54:55]|
	v_cndmask_b32_e32 v1, v1, v55, vcc_lo
	v_cndmask_b32_e32 v0, v0, v54, vcc_lo
	v_cndmask_b32_e64 v44, v44, s3, vcc_lo
	s_add_i32 s3, s3, 1
	s_cmp_lg_u32 s2, s3
	s_cbranch_scc1 .LBB36_31
.LBB36_32:
	v_cndmask_b32_e64 v45, 2, 1, s0
	v_cndmask_b32_e64 v46, 0, 1, s0
	s_mov_b32 s0, exec_lo
	v_cndmask_b32_e64 v52, v45, v46, s1
	s_waitcnt lgkmcnt(0)
	v_cmpx_eq_f64_e32 0, v[0:1]
	s_xor_b32 s0, exec_lo, s0
; %bb.33:
	v_cmp_ne_u32_e32 vcc_lo, 0, v52
	v_cndmask_b32_e32 v52, 3, v52, vcc_lo
; %bb.34:
	s_andn2_saveexec_b32 s0, s0
	s_cbranch_execz .LBB36_36
; %bb.35:
	v_div_scale_f64 v[45:46], null, v[0:1], v[0:1], 1.0
	v_rcp_f64_e32 v[54:55], v[45:46]
	v_fma_f64 v[56:57], -v[45:46], v[54:55], 1.0
	v_fma_f64 v[54:55], v[54:55], v[56:57], v[54:55]
	v_fma_f64 v[56:57], -v[45:46], v[54:55], 1.0
	v_fma_f64 v[54:55], v[54:55], v[56:57], v[54:55]
	v_div_scale_f64 v[56:57], vcc_lo, 1.0, v[0:1], 1.0
	v_mul_f64 v[58:59], v[56:57], v[54:55]
	v_fma_f64 v[45:46], -v[45:46], v[58:59], v[56:57]
	v_div_fmas_f64 v[45:46], v[45:46], v[54:55], v[58:59]
	v_div_fixup_f64 v[0:1], v[45:46], v[0:1], 1.0
.LBB36_36:
	s_or_b32 exec_lo, exec_lo, s0
	s_mov_b32 s0, exec_lo
	v_cmpx_ne_u32_e64 v53, v44
	s_xor_b32 s0, exec_lo, s0
	s_cbranch_execz .LBB36_42
; %bb.37:
	s_mov_b32 s1, exec_lo
	v_cmpx_eq_u32_e32 2, v53
	s_cbranch_execz .LBB36_41
; %bb.38:
	v_cmp_ne_u32_e32 vcc_lo, 2, v44
	s_xor_b32 s3, s6, -1
	s_and_b32 s7, s3, vcc_lo
	s_and_saveexec_b32 s3, s7
	s_cbranch_execz .LBB36_40
; %bb.39:
	v_ashrrev_i32_e32 v45, 31, v44
	v_lshlrev_b64 v[45:46], 2, v[44:45]
	v_add_co_u32 v45, vcc_lo, v40, v45
	v_add_co_ci_u32_e64 v46, null, v41, v46, vcc_lo
	s_clause 0x1
	global_load_dword v47, v[45:46], off
	global_load_dword v53, v[40:41], off offset:8
	s_waitcnt vmcnt(1)
	global_store_dword v[40:41], v47, off offset:8
	s_waitcnt vmcnt(0)
	global_store_dword v[45:46], v53, off
.LBB36_40:
	s_or_b32 exec_lo, exec_lo, s3
	v_mov_b32_e32 v47, v44
	v_mov_b32_e32 v53, v44
.LBB36_41:
	s_or_b32 exec_lo, exec_lo, s1
.LBB36_42:
	s_andn2_saveexec_b32 s0, s0
	s_cbranch_execz .LBB36_44
; %bb.43:
	v_mov_b32_e32 v53, 2
	ds_write2_b64 v50, v[16:17], v[28:29] offset0:3 offset1:4
	ds_write2_b64 v50, v[24:25], v[26:27] offset0:5 offset1:6
	;; [unrolled: 1-line block ×8, first 2 shown]
.LBB36_44:
	s_or_b32 exec_lo, exec_lo, s0
	s_mov_b32 s0, exec_lo
	s_waitcnt lgkmcnt(0)
	s_waitcnt_vscnt null, 0x0
	s_barrier
	buffer_gl0_inv
	v_cmpx_lt_i32_e32 2, v53
	s_cbranch_execz .LBB36_46
; %bb.45:
	v_mul_f64 v[20:21], v[0:1], v[20:21]
	ds_read2_b64 v[54:57], v50 offset0:3 offset1:4
	ds_read2_b64 v[58:61], v50 offset0:5 offset1:6
	;; [unrolled: 1-line block ×8, first 2 shown]
	s_waitcnt lgkmcnt(7)
	v_fma_f64 v[16:17], -v[20:21], v[54:55], v[16:17]
	v_fma_f64 v[28:29], -v[20:21], v[56:57], v[28:29]
	s_waitcnt lgkmcnt(6)
	v_fma_f64 v[24:25], -v[20:21], v[58:59], v[24:25]
	v_fma_f64 v[26:27], -v[20:21], v[60:61], v[26:27]
	;; [unrolled: 3-line block ×8, first 2 shown]
.LBB36_46:
	s_or_b32 exec_lo, exec_lo, s0
	v_lshl_add_u32 v0, v53, 3, v50
	s_barrier
	buffer_gl0_inv
	v_mov_b32_e32 v44, 3
	ds_write_b64 v0, v[16:17]
	s_waitcnt lgkmcnt(0)
	s_barrier
	buffer_gl0_inv
	ds_read_b64 v[0:1], v50 offset:24
	s_cmp_lt_i32 s2, 5
	s_cbranch_scc1 .LBB36_49
; %bb.47:
	v_mov_b32_e32 v44, 3
	v_add3_u32 v45, v51, 0, 32
	s_mov_b32 s0, 4
.LBB36_48:                              ; =>This Inner Loop Header: Depth=1
	ds_read_b64 v[54:55], v45
	v_add_nc_u32_e32 v45, 8, v45
	s_waitcnt lgkmcnt(0)
	v_cmp_lt_f64_e64 vcc_lo, |v[0:1]|, |v[54:55]|
	v_cndmask_b32_e32 v1, v1, v55, vcc_lo
	v_cndmask_b32_e32 v0, v0, v54, vcc_lo
	v_cndmask_b32_e64 v44, v44, s0, vcc_lo
	s_add_i32 s0, s0, 1
	s_cmp_lg_u32 s2, s0
	s_cbranch_scc1 .LBB36_48
.LBB36_49:
	s_mov_b32 s0, exec_lo
	s_waitcnt lgkmcnt(0)
	v_cmpx_eq_f64_e32 0, v[0:1]
	s_xor_b32 s0, exec_lo, s0
; %bb.50:
	v_cmp_ne_u32_e32 vcc_lo, 0, v52
	v_cndmask_b32_e32 v52, 4, v52, vcc_lo
; %bb.51:
	s_andn2_saveexec_b32 s0, s0
	s_cbranch_execz .LBB36_53
; %bb.52:
	v_div_scale_f64 v[45:46], null, v[0:1], v[0:1], 1.0
	v_rcp_f64_e32 v[54:55], v[45:46]
	v_fma_f64 v[56:57], -v[45:46], v[54:55], 1.0
	v_fma_f64 v[54:55], v[54:55], v[56:57], v[54:55]
	v_fma_f64 v[56:57], -v[45:46], v[54:55], 1.0
	v_fma_f64 v[54:55], v[54:55], v[56:57], v[54:55]
	v_div_scale_f64 v[56:57], vcc_lo, 1.0, v[0:1], 1.0
	v_mul_f64 v[58:59], v[56:57], v[54:55]
	v_fma_f64 v[45:46], -v[45:46], v[58:59], v[56:57]
	v_div_fmas_f64 v[45:46], v[45:46], v[54:55], v[58:59]
	v_div_fixup_f64 v[0:1], v[45:46], v[0:1], 1.0
.LBB36_53:
	s_or_b32 exec_lo, exec_lo, s0
	s_mov_b32 s0, exec_lo
	v_cmpx_ne_u32_e64 v53, v44
	s_xor_b32 s0, exec_lo, s0
	s_cbranch_execz .LBB36_59
; %bb.54:
	s_mov_b32 s1, exec_lo
	v_cmpx_eq_u32_e32 3, v53
	s_cbranch_execz .LBB36_58
; %bb.55:
	v_cmp_ne_u32_e32 vcc_lo, 3, v44
	s_xor_b32 s3, s6, -1
	s_and_b32 s7, s3, vcc_lo
	s_and_saveexec_b32 s3, s7
	s_cbranch_execz .LBB36_57
; %bb.56:
	v_ashrrev_i32_e32 v45, 31, v44
	v_lshlrev_b64 v[45:46], 2, v[44:45]
	v_add_co_u32 v45, vcc_lo, v40, v45
	v_add_co_ci_u32_e64 v46, null, v41, v46, vcc_lo
	s_clause 0x1
	global_load_dword v47, v[45:46], off
	global_load_dword v53, v[40:41], off offset:12
	s_waitcnt vmcnt(1)
	global_store_dword v[40:41], v47, off offset:12
	s_waitcnt vmcnt(0)
	global_store_dword v[45:46], v53, off
.LBB36_57:
	s_or_b32 exec_lo, exec_lo, s3
	v_mov_b32_e32 v47, v44
	v_mov_b32_e32 v53, v44
.LBB36_58:
	s_or_b32 exec_lo, exec_lo, s1
.LBB36_59:
	s_andn2_saveexec_b32 s0, s0
	s_cbranch_execz .LBB36_61
; %bb.60:
	v_mov_b32_e32 v44, v28
	v_mov_b32_e32 v45, v29
	;; [unrolled: 1-line block ×12, first 2 shown]
	ds_write2_b64 v50, v[44:45], v[53:54] offset0:4 offset1:5
	ds_write2_b64 v50, v[55:56], v[57:58] offset0:6 offset1:7
	;; [unrolled: 1-line block ×3, first 2 shown]
	v_mov_b32_e32 v44, v18
	v_mov_b32_e32 v45, v19
	;; [unrolled: 1-line block ×8, first 2 shown]
	ds_write2_b64 v50, v[44:45], v[53:54] offset0:10 offset1:11
	v_mov_b32_e32 v53, 3
	v_mov_b32_e32 v59, v12
	;; [unrolled: 1-line block ×9, first 2 shown]
	ds_write2_b64 v50, v[55:56], v[57:58] offset0:12 offset1:13
	ds_write2_b64 v50, v[59:60], v[61:62] offset0:14 offset1:15
	;; [unrolled: 1-line block ×3, first 2 shown]
	ds_write_b64 v50, v[42:43] offset:144
.LBB36_61:
	s_or_b32 exec_lo, exec_lo, s0
	s_mov_b32 s0, exec_lo
	s_waitcnt lgkmcnt(0)
	s_waitcnt_vscnt null, 0x0
	s_barrier
	buffer_gl0_inv
	v_cmpx_lt_i32_e32 3, v53
	s_cbranch_execz .LBB36_63
; %bb.62:
	v_mul_f64 v[16:17], v[0:1], v[16:17]
	ds_read2_b64 v[54:57], v50 offset0:4 offset1:5
	ds_read2_b64 v[58:61], v50 offset0:6 offset1:7
	;; [unrolled: 1-line block ×7, first 2 shown]
	ds_read_b64 v[0:1], v50 offset:144
	s_waitcnt lgkmcnt(7)
	v_fma_f64 v[28:29], -v[16:17], v[54:55], v[28:29]
	v_fma_f64 v[24:25], -v[16:17], v[56:57], v[24:25]
	s_waitcnt lgkmcnt(6)
	v_fma_f64 v[26:27], -v[16:17], v[58:59], v[26:27]
	v_fma_f64 v[4:5], -v[16:17], v[60:61], v[4:5]
	;; [unrolled: 3-line block ×7, first 2 shown]
	s_waitcnt lgkmcnt(0)
	v_fma_f64 v[42:43], -v[16:17], v[0:1], v[42:43]
.LBB36_63:
	s_or_b32 exec_lo, exec_lo, s0
	v_lshl_add_u32 v0, v53, 3, v50
	s_barrier
	buffer_gl0_inv
	v_mov_b32_e32 v44, 4
	ds_write_b64 v0, v[28:29]
	s_waitcnt lgkmcnt(0)
	s_barrier
	buffer_gl0_inv
	ds_read_b64 v[0:1], v50 offset:32
	s_cmp_lt_i32 s2, 6
	s_cbranch_scc1 .LBB36_66
; %bb.64:
	v_add3_u32 v45, v51, 0, 40
	v_mov_b32_e32 v44, 4
	s_mov_b32 s0, 5
.LBB36_65:                              ; =>This Inner Loop Header: Depth=1
	ds_read_b64 v[54:55], v45
	v_add_nc_u32_e32 v45, 8, v45
	s_waitcnt lgkmcnt(0)
	v_cmp_lt_f64_e64 vcc_lo, |v[0:1]|, |v[54:55]|
	v_cndmask_b32_e32 v1, v1, v55, vcc_lo
	v_cndmask_b32_e32 v0, v0, v54, vcc_lo
	v_cndmask_b32_e64 v44, v44, s0, vcc_lo
	s_add_i32 s0, s0, 1
	s_cmp_lg_u32 s2, s0
	s_cbranch_scc1 .LBB36_65
.LBB36_66:
	s_mov_b32 s0, exec_lo
	s_waitcnt lgkmcnt(0)
	v_cmpx_eq_f64_e32 0, v[0:1]
	s_xor_b32 s0, exec_lo, s0
; %bb.67:
	v_cmp_ne_u32_e32 vcc_lo, 0, v52
	v_cndmask_b32_e32 v52, 5, v52, vcc_lo
; %bb.68:
	s_andn2_saveexec_b32 s0, s0
	s_cbranch_execz .LBB36_70
; %bb.69:
	v_div_scale_f64 v[45:46], null, v[0:1], v[0:1], 1.0
	v_rcp_f64_e32 v[54:55], v[45:46]
	v_fma_f64 v[56:57], -v[45:46], v[54:55], 1.0
	v_fma_f64 v[54:55], v[54:55], v[56:57], v[54:55]
	v_fma_f64 v[56:57], -v[45:46], v[54:55], 1.0
	v_fma_f64 v[54:55], v[54:55], v[56:57], v[54:55]
	v_div_scale_f64 v[56:57], vcc_lo, 1.0, v[0:1], 1.0
	v_mul_f64 v[58:59], v[56:57], v[54:55]
	v_fma_f64 v[45:46], -v[45:46], v[58:59], v[56:57]
	v_div_fmas_f64 v[45:46], v[45:46], v[54:55], v[58:59]
	v_div_fixup_f64 v[0:1], v[45:46], v[0:1], 1.0
.LBB36_70:
	s_or_b32 exec_lo, exec_lo, s0
	s_mov_b32 s0, exec_lo
	v_cmpx_ne_u32_e64 v53, v44
	s_xor_b32 s0, exec_lo, s0
	s_cbranch_execz .LBB36_76
; %bb.71:
	s_mov_b32 s1, exec_lo
	v_cmpx_eq_u32_e32 4, v53
	s_cbranch_execz .LBB36_75
; %bb.72:
	v_cmp_ne_u32_e32 vcc_lo, 4, v44
	s_xor_b32 s3, s6, -1
	s_and_b32 s7, s3, vcc_lo
	s_and_saveexec_b32 s3, s7
	s_cbranch_execz .LBB36_74
; %bb.73:
	v_ashrrev_i32_e32 v45, 31, v44
	v_lshlrev_b64 v[45:46], 2, v[44:45]
	v_add_co_u32 v45, vcc_lo, v40, v45
	v_add_co_ci_u32_e64 v46, null, v41, v46, vcc_lo
	s_clause 0x1
	global_load_dword v47, v[45:46], off
	global_load_dword v53, v[40:41], off offset:16
	s_waitcnt vmcnt(1)
	global_store_dword v[40:41], v47, off offset:16
	s_waitcnt vmcnt(0)
	global_store_dword v[45:46], v53, off
.LBB36_74:
	s_or_b32 exec_lo, exec_lo, s3
	v_mov_b32_e32 v47, v44
	v_mov_b32_e32 v53, v44
.LBB36_75:
	s_or_b32 exec_lo, exec_lo, s1
.LBB36_76:
	s_andn2_saveexec_b32 s0, s0
	s_cbranch_execz .LBB36_78
; %bb.77:
	v_mov_b32_e32 v53, 4
	ds_write2_b64 v50, v[24:25], v[26:27] offset0:5 offset1:6
	ds_write2_b64 v50, v[4:5], v[36:37] offset0:7 offset1:8
	;; [unrolled: 1-line block ×7, first 2 shown]
.LBB36_78:
	s_or_b32 exec_lo, exec_lo, s0
	s_mov_b32 s0, exec_lo
	s_waitcnt lgkmcnt(0)
	s_waitcnt_vscnt null, 0x0
	s_barrier
	buffer_gl0_inv
	v_cmpx_lt_i32_e32 4, v53
	s_cbranch_execz .LBB36_80
; %bb.79:
	v_mul_f64 v[28:29], v[0:1], v[28:29]
	ds_read2_b64 v[54:57], v50 offset0:5 offset1:6
	ds_read2_b64 v[58:61], v50 offset0:7 offset1:8
	;; [unrolled: 1-line block ×7, first 2 shown]
	s_waitcnt lgkmcnt(6)
	v_fma_f64 v[24:25], -v[28:29], v[54:55], v[24:25]
	v_fma_f64 v[26:27], -v[28:29], v[56:57], v[26:27]
	s_waitcnt lgkmcnt(5)
	v_fma_f64 v[4:5], -v[28:29], v[58:59], v[4:5]
	v_fma_f64 v[36:37], -v[28:29], v[60:61], v[36:37]
	;; [unrolled: 3-line block ×7, first 2 shown]
.LBB36_80:
	s_or_b32 exec_lo, exec_lo, s0
	v_lshl_add_u32 v0, v53, 3, v50
	s_barrier
	buffer_gl0_inv
	v_mov_b32_e32 v44, 5
	ds_write_b64 v0, v[24:25]
	s_waitcnt lgkmcnt(0)
	s_barrier
	buffer_gl0_inv
	ds_read_b64 v[0:1], v50 offset:40
	s_cmp_lt_i32 s2, 7
	s_cbranch_scc1 .LBB36_83
; %bb.81:
	v_add3_u32 v45, v51, 0, 48
	v_mov_b32_e32 v44, 5
	s_mov_b32 s0, 6
.LBB36_82:                              ; =>This Inner Loop Header: Depth=1
	ds_read_b64 v[54:55], v45
	v_add_nc_u32_e32 v45, 8, v45
	s_waitcnt lgkmcnt(0)
	v_cmp_lt_f64_e64 vcc_lo, |v[0:1]|, |v[54:55]|
	v_cndmask_b32_e32 v1, v1, v55, vcc_lo
	v_cndmask_b32_e32 v0, v0, v54, vcc_lo
	v_cndmask_b32_e64 v44, v44, s0, vcc_lo
	s_add_i32 s0, s0, 1
	s_cmp_lg_u32 s2, s0
	s_cbranch_scc1 .LBB36_82
.LBB36_83:
	s_mov_b32 s0, exec_lo
	s_waitcnt lgkmcnt(0)
	v_cmpx_eq_f64_e32 0, v[0:1]
	s_xor_b32 s0, exec_lo, s0
; %bb.84:
	v_cmp_ne_u32_e32 vcc_lo, 0, v52
	v_cndmask_b32_e32 v52, 6, v52, vcc_lo
; %bb.85:
	s_andn2_saveexec_b32 s0, s0
	s_cbranch_execz .LBB36_87
; %bb.86:
	v_div_scale_f64 v[45:46], null, v[0:1], v[0:1], 1.0
	v_rcp_f64_e32 v[54:55], v[45:46]
	v_fma_f64 v[56:57], -v[45:46], v[54:55], 1.0
	v_fma_f64 v[54:55], v[54:55], v[56:57], v[54:55]
	v_fma_f64 v[56:57], -v[45:46], v[54:55], 1.0
	v_fma_f64 v[54:55], v[54:55], v[56:57], v[54:55]
	v_div_scale_f64 v[56:57], vcc_lo, 1.0, v[0:1], 1.0
	v_mul_f64 v[58:59], v[56:57], v[54:55]
	v_fma_f64 v[45:46], -v[45:46], v[58:59], v[56:57]
	v_div_fmas_f64 v[45:46], v[45:46], v[54:55], v[58:59]
	v_div_fixup_f64 v[0:1], v[45:46], v[0:1], 1.0
.LBB36_87:
	s_or_b32 exec_lo, exec_lo, s0
	s_mov_b32 s0, exec_lo
	v_cmpx_ne_u32_e64 v53, v44
	s_xor_b32 s0, exec_lo, s0
	s_cbranch_execz .LBB36_93
; %bb.88:
	s_mov_b32 s1, exec_lo
	v_cmpx_eq_u32_e32 5, v53
	s_cbranch_execz .LBB36_92
; %bb.89:
	v_cmp_ne_u32_e32 vcc_lo, 5, v44
	s_xor_b32 s3, s6, -1
	s_and_b32 s7, s3, vcc_lo
	s_and_saveexec_b32 s3, s7
	s_cbranch_execz .LBB36_91
; %bb.90:
	v_ashrrev_i32_e32 v45, 31, v44
	v_lshlrev_b64 v[45:46], 2, v[44:45]
	v_add_co_u32 v45, vcc_lo, v40, v45
	v_add_co_ci_u32_e64 v46, null, v41, v46, vcc_lo
	s_clause 0x1
	global_load_dword v47, v[45:46], off
	global_load_dword v53, v[40:41], off offset:20
	s_waitcnt vmcnt(1)
	global_store_dword v[40:41], v47, off offset:20
	s_waitcnt vmcnt(0)
	global_store_dword v[45:46], v53, off
.LBB36_91:
	s_or_b32 exec_lo, exec_lo, s3
	v_mov_b32_e32 v47, v44
	v_mov_b32_e32 v53, v44
.LBB36_92:
	s_or_b32 exec_lo, exec_lo, s1
.LBB36_93:
	s_andn2_saveexec_b32 s0, s0
	s_cbranch_execz .LBB36_95
; %bb.94:
	v_mov_b32_e32 v44, v26
	v_mov_b32_e32 v45, v27
	;; [unrolled: 1-line block ×8, first 2 shown]
	ds_write2_b64 v50, v[44:45], v[53:54] offset0:6 offset1:7
	ds_write2_b64 v50, v[55:56], v[57:58] offset0:8 offset1:9
	v_mov_b32_e32 v44, v18
	v_mov_b32_e32 v45, v19
	;; [unrolled: 1-line block ×8, first 2 shown]
	ds_write2_b64 v50, v[44:45], v[53:54] offset0:10 offset1:11
	v_mov_b32_e32 v53, 5
	v_mov_b32_e32 v59, v12
	v_mov_b32_e32 v60, v13
	v_mov_b32_e32 v61, v8
	v_mov_b32_e32 v62, v9
	v_mov_b32_e32 v63, v10
	v_mov_b32_e32 v64, v11
	v_mov_b32_e32 v65, v6
	v_mov_b32_e32 v66, v7
	ds_write2_b64 v50, v[55:56], v[57:58] offset0:12 offset1:13
	ds_write2_b64 v50, v[59:60], v[61:62] offset0:14 offset1:15
	ds_write2_b64 v50, v[63:64], v[65:66] offset0:16 offset1:17
	ds_write_b64 v50, v[42:43] offset:144
.LBB36_95:
	s_or_b32 exec_lo, exec_lo, s0
	s_mov_b32 s0, exec_lo
	s_waitcnt lgkmcnt(0)
	s_waitcnt_vscnt null, 0x0
	s_barrier
	buffer_gl0_inv
	v_cmpx_lt_i32_e32 5, v53
	s_cbranch_execz .LBB36_97
; %bb.96:
	v_mul_f64 v[24:25], v[0:1], v[24:25]
	ds_read2_b64 v[54:57], v50 offset0:6 offset1:7
	ds_read2_b64 v[58:61], v50 offset0:8 offset1:9
	;; [unrolled: 1-line block ×6, first 2 shown]
	ds_read_b64 v[0:1], v50 offset:144
	s_waitcnt lgkmcnt(6)
	v_fma_f64 v[26:27], -v[24:25], v[54:55], v[26:27]
	v_fma_f64 v[4:5], -v[24:25], v[56:57], v[4:5]
	s_waitcnt lgkmcnt(5)
	v_fma_f64 v[36:37], -v[24:25], v[58:59], v[36:37]
	v_fma_f64 v[22:23], -v[24:25], v[60:61], v[22:23]
	;; [unrolled: 3-line block ×6, first 2 shown]
	s_waitcnt lgkmcnt(0)
	v_fma_f64 v[42:43], -v[24:25], v[0:1], v[42:43]
.LBB36_97:
	s_or_b32 exec_lo, exec_lo, s0
	v_lshl_add_u32 v0, v53, 3, v50
	s_barrier
	buffer_gl0_inv
	v_mov_b32_e32 v44, 6
	ds_write_b64 v0, v[26:27]
	s_waitcnt lgkmcnt(0)
	s_barrier
	buffer_gl0_inv
	ds_read_b64 v[0:1], v50 offset:48
	s_cmp_lt_i32 s2, 8
	s_cbranch_scc1 .LBB36_100
; %bb.98:
	v_add3_u32 v45, v51, 0, 56
	v_mov_b32_e32 v44, 6
	s_mov_b32 s0, 7
.LBB36_99:                              ; =>This Inner Loop Header: Depth=1
	ds_read_b64 v[54:55], v45
	v_add_nc_u32_e32 v45, 8, v45
	s_waitcnt lgkmcnt(0)
	v_cmp_lt_f64_e64 vcc_lo, |v[0:1]|, |v[54:55]|
	v_cndmask_b32_e32 v1, v1, v55, vcc_lo
	v_cndmask_b32_e32 v0, v0, v54, vcc_lo
	v_cndmask_b32_e64 v44, v44, s0, vcc_lo
	s_add_i32 s0, s0, 1
	s_cmp_lg_u32 s2, s0
	s_cbranch_scc1 .LBB36_99
.LBB36_100:
	s_mov_b32 s0, exec_lo
	s_waitcnt lgkmcnt(0)
	v_cmpx_eq_f64_e32 0, v[0:1]
	s_xor_b32 s0, exec_lo, s0
; %bb.101:
	v_cmp_ne_u32_e32 vcc_lo, 0, v52
	v_cndmask_b32_e32 v52, 7, v52, vcc_lo
; %bb.102:
	s_andn2_saveexec_b32 s0, s0
	s_cbranch_execz .LBB36_104
; %bb.103:
	v_div_scale_f64 v[45:46], null, v[0:1], v[0:1], 1.0
	v_rcp_f64_e32 v[54:55], v[45:46]
	v_fma_f64 v[56:57], -v[45:46], v[54:55], 1.0
	v_fma_f64 v[54:55], v[54:55], v[56:57], v[54:55]
	v_fma_f64 v[56:57], -v[45:46], v[54:55], 1.0
	v_fma_f64 v[54:55], v[54:55], v[56:57], v[54:55]
	v_div_scale_f64 v[56:57], vcc_lo, 1.0, v[0:1], 1.0
	v_mul_f64 v[58:59], v[56:57], v[54:55]
	v_fma_f64 v[45:46], -v[45:46], v[58:59], v[56:57]
	v_div_fmas_f64 v[45:46], v[45:46], v[54:55], v[58:59]
	v_div_fixup_f64 v[0:1], v[45:46], v[0:1], 1.0
.LBB36_104:
	s_or_b32 exec_lo, exec_lo, s0
	s_mov_b32 s0, exec_lo
	v_cmpx_ne_u32_e64 v53, v44
	s_xor_b32 s0, exec_lo, s0
	s_cbranch_execz .LBB36_110
; %bb.105:
	s_mov_b32 s1, exec_lo
	v_cmpx_eq_u32_e32 6, v53
	s_cbranch_execz .LBB36_109
; %bb.106:
	v_cmp_ne_u32_e32 vcc_lo, 6, v44
	s_xor_b32 s3, s6, -1
	s_and_b32 s7, s3, vcc_lo
	s_and_saveexec_b32 s3, s7
	s_cbranch_execz .LBB36_108
; %bb.107:
	v_ashrrev_i32_e32 v45, 31, v44
	v_lshlrev_b64 v[45:46], 2, v[44:45]
	v_add_co_u32 v45, vcc_lo, v40, v45
	v_add_co_ci_u32_e64 v46, null, v41, v46, vcc_lo
	s_clause 0x1
	global_load_dword v47, v[45:46], off
	global_load_dword v53, v[40:41], off offset:24
	s_waitcnt vmcnt(1)
	global_store_dword v[40:41], v47, off offset:24
	s_waitcnt vmcnt(0)
	global_store_dword v[45:46], v53, off
.LBB36_108:
	s_or_b32 exec_lo, exec_lo, s3
	v_mov_b32_e32 v47, v44
	v_mov_b32_e32 v53, v44
.LBB36_109:
	s_or_b32 exec_lo, exec_lo, s1
.LBB36_110:
	s_andn2_saveexec_b32 s0, s0
	s_cbranch_execz .LBB36_112
; %bb.111:
	v_mov_b32_e32 v53, 6
	ds_write2_b64 v50, v[4:5], v[36:37] offset0:7 offset1:8
	ds_write2_b64 v50, v[22:23], v[18:19] offset0:9 offset1:10
	;; [unrolled: 1-line block ×6, first 2 shown]
.LBB36_112:
	s_or_b32 exec_lo, exec_lo, s0
	s_mov_b32 s0, exec_lo
	s_waitcnt lgkmcnt(0)
	s_waitcnt_vscnt null, 0x0
	s_barrier
	buffer_gl0_inv
	v_cmpx_lt_i32_e32 6, v53
	s_cbranch_execz .LBB36_114
; %bb.113:
	v_mul_f64 v[26:27], v[0:1], v[26:27]
	ds_read2_b64 v[54:57], v50 offset0:7 offset1:8
	ds_read2_b64 v[58:61], v50 offset0:9 offset1:10
	;; [unrolled: 1-line block ×6, first 2 shown]
	s_waitcnt lgkmcnt(5)
	v_fma_f64 v[4:5], -v[26:27], v[54:55], v[4:5]
	v_fma_f64 v[36:37], -v[26:27], v[56:57], v[36:37]
	s_waitcnt lgkmcnt(4)
	v_fma_f64 v[22:23], -v[26:27], v[58:59], v[22:23]
	v_fma_f64 v[18:19], -v[26:27], v[60:61], v[18:19]
	s_waitcnt lgkmcnt(3)
	v_fma_f64 v[14:15], -v[26:27], v[62:63], v[14:15]
	v_fma_f64 v[38:39], -v[26:27], v[64:65], v[38:39]
	s_waitcnt lgkmcnt(2)
	v_fma_f64 v[34:35], -v[26:27], v[66:67], v[34:35]
	v_fma_f64 v[12:13], -v[26:27], v[68:69], v[12:13]
	s_waitcnt lgkmcnt(1)
	v_fma_f64 v[8:9], -v[26:27], v[70:71], v[8:9]
	v_fma_f64 v[10:11], -v[26:27], v[72:73], v[10:11]
	s_waitcnt lgkmcnt(0)
	v_fma_f64 v[6:7], -v[26:27], v[74:75], v[6:7]
	v_fma_f64 v[42:43], -v[26:27], v[76:77], v[42:43]
.LBB36_114:
	s_or_b32 exec_lo, exec_lo, s0
	v_lshl_add_u32 v0, v53, 3, v50
	s_barrier
	buffer_gl0_inv
	v_mov_b32_e32 v44, 7
	ds_write_b64 v0, v[4:5]
	s_waitcnt lgkmcnt(0)
	s_barrier
	buffer_gl0_inv
	ds_read_b64 v[0:1], v50 offset:56
	s_cmp_lt_i32 s2, 9
	s_cbranch_scc1 .LBB36_117
; %bb.115:
	v_add3_u32 v45, v51, 0, 64
	v_mov_b32_e32 v44, 7
	s_mov_b32 s0, 8
.LBB36_116:                             ; =>This Inner Loop Header: Depth=1
	ds_read_b64 v[54:55], v45
	v_add_nc_u32_e32 v45, 8, v45
	s_waitcnt lgkmcnt(0)
	v_cmp_lt_f64_e64 vcc_lo, |v[0:1]|, |v[54:55]|
	v_cndmask_b32_e32 v1, v1, v55, vcc_lo
	v_cndmask_b32_e32 v0, v0, v54, vcc_lo
	v_cndmask_b32_e64 v44, v44, s0, vcc_lo
	s_add_i32 s0, s0, 1
	s_cmp_lg_u32 s2, s0
	s_cbranch_scc1 .LBB36_116
.LBB36_117:
	s_mov_b32 s0, exec_lo
	s_waitcnt lgkmcnt(0)
	v_cmpx_eq_f64_e32 0, v[0:1]
	s_xor_b32 s0, exec_lo, s0
; %bb.118:
	v_cmp_ne_u32_e32 vcc_lo, 0, v52
	v_cndmask_b32_e32 v52, 8, v52, vcc_lo
; %bb.119:
	s_andn2_saveexec_b32 s0, s0
	s_cbranch_execz .LBB36_121
; %bb.120:
	v_div_scale_f64 v[45:46], null, v[0:1], v[0:1], 1.0
	v_rcp_f64_e32 v[54:55], v[45:46]
	v_fma_f64 v[56:57], -v[45:46], v[54:55], 1.0
	v_fma_f64 v[54:55], v[54:55], v[56:57], v[54:55]
	v_fma_f64 v[56:57], -v[45:46], v[54:55], 1.0
	v_fma_f64 v[54:55], v[54:55], v[56:57], v[54:55]
	v_div_scale_f64 v[56:57], vcc_lo, 1.0, v[0:1], 1.0
	v_mul_f64 v[58:59], v[56:57], v[54:55]
	v_fma_f64 v[45:46], -v[45:46], v[58:59], v[56:57]
	v_div_fmas_f64 v[45:46], v[45:46], v[54:55], v[58:59]
	v_div_fixup_f64 v[0:1], v[45:46], v[0:1], 1.0
.LBB36_121:
	s_or_b32 exec_lo, exec_lo, s0
	s_mov_b32 s0, exec_lo
	v_cmpx_ne_u32_e64 v53, v44
	s_xor_b32 s0, exec_lo, s0
	s_cbranch_execz .LBB36_127
; %bb.122:
	s_mov_b32 s1, exec_lo
	v_cmpx_eq_u32_e32 7, v53
	s_cbranch_execz .LBB36_126
; %bb.123:
	v_cmp_ne_u32_e32 vcc_lo, 7, v44
	s_xor_b32 s3, s6, -1
	s_and_b32 s7, s3, vcc_lo
	s_and_saveexec_b32 s3, s7
	s_cbranch_execz .LBB36_125
; %bb.124:
	v_ashrrev_i32_e32 v45, 31, v44
	v_lshlrev_b64 v[45:46], 2, v[44:45]
	v_add_co_u32 v45, vcc_lo, v40, v45
	v_add_co_ci_u32_e64 v46, null, v41, v46, vcc_lo
	s_clause 0x1
	global_load_dword v47, v[45:46], off
	global_load_dword v53, v[40:41], off offset:28
	s_waitcnt vmcnt(1)
	global_store_dword v[40:41], v47, off offset:28
	s_waitcnt vmcnt(0)
	global_store_dword v[45:46], v53, off
.LBB36_125:
	s_or_b32 exec_lo, exec_lo, s3
	v_mov_b32_e32 v47, v44
	v_mov_b32_e32 v53, v44
.LBB36_126:
	s_or_b32 exec_lo, exec_lo, s1
.LBB36_127:
	s_andn2_saveexec_b32 s0, s0
	s_cbranch_execz .LBB36_129
; %bb.128:
	v_mov_b32_e32 v44, v36
	v_mov_b32_e32 v45, v37
	;; [unrolled: 1-line block ×8, first 2 shown]
	ds_write2_b64 v50, v[44:45], v[53:54] offset0:8 offset1:9
	v_mov_b32_e32 v44, v14
	v_mov_b32_e32 v45, v15
	;; [unrolled: 1-line block ×13, first 2 shown]
	ds_write2_b64 v50, v[55:56], v[44:45] offset0:10 offset1:11
	ds_write2_b64 v50, v[57:58], v[59:60] offset0:12 offset1:13
	;; [unrolled: 1-line block ×4, first 2 shown]
	ds_write_b64 v50, v[42:43] offset:144
.LBB36_129:
	s_or_b32 exec_lo, exec_lo, s0
	s_mov_b32 s0, exec_lo
	s_waitcnt lgkmcnt(0)
	s_waitcnt_vscnt null, 0x0
	s_barrier
	buffer_gl0_inv
	v_cmpx_lt_i32_e32 7, v53
	s_cbranch_execz .LBB36_131
; %bb.130:
	v_mul_f64 v[4:5], v[0:1], v[4:5]
	ds_read2_b64 v[54:57], v50 offset0:8 offset1:9
	ds_read2_b64 v[58:61], v50 offset0:10 offset1:11
	;; [unrolled: 1-line block ×5, first 2 shown]
	ds_read_b64 v[0:1], v50 offset:144
	s_waitcnt lgkmcnt(5)
	v_fma_f64 v[36:37], -v[4:5], v[54:55], v[36:37]
	v_fma_f64 v[22:23], -v[4:5], v[56:57], v[22:23]
	s_waitcnt lgkmcnt(4)
	v_fma_f64 v[18:19], -v[4:5], v[58:59], v[18:19]
	v_fma_f64 v[14:15], -v[4:5], v[60:61], v[14:15]
	;; [unrolled: 3-line block ×5, first 2 shown]
	s_waitcnt lgkmcnt(0)
	v_fma_f64 v[42:43], -v[4:5], v[0:1], v[42:43]
.LBB36_131:
	s_or_b32 exec_lo, exec_lo, s0
	v_lshl_add_u32 v0, v53, 3, v50
	s_barrier
	buffer_gl0_inv
	v_mov_b32_e32 v44, 8
	ds_write_b64 v0, v[36:37]
	s_waitcnt lgkmcnt(0)
	s_barrier
	buffer_gl0_inv
	ds_read_b64 v[0:1], v50 offset:64
	s_cmp_lt_i32 s2, 10
	s_cbranch_scc1 .LBB36_134
; %bb.132:
	v_add3_u32 v45, v51, 0, 0x48
	v_mov_b32_e32 v44, 8
	s_mov_b32 s0, 9
.LBB36_133:                             ; =>This Inner Loop Header: Depth=1
	ds_read_b64 v[54:55], v45
	v_add_nc_u32_e32 v45, 8, v45
	s_waitcnt lgkmcnt(0)
	v_cmp_lt_f64_e64 vcc_lo, |v[0:1]|, |v[54:55]|
	v_cndmask_b32_e32 v1, v1, v55, vcc_lo
	v_cndmask_b32_e32 v0, v0, v54, vcc_lo
	v_cndmask_b32_e64 v44, v44, s0, vcc_lo
	s_add_i32 s0, s0, 1
	s_cmp_lg_u32 s2, s0
	s_cbranch_scc1 .LBB36_133
.LBB36_134:
	s_mov_b32 s0, exec_lo
	s_waitcnt lgkmcnt(0)
	v_cmpx_eq_f64_e32 0, v[0:1]
	s_xor_b32 s0, exec_lo, s0
; %bb.135:
	v_cmp_ne_u32_e32 vcc_lo, 0, v52
	v_cndmask_b32_e32 v52, 9, v52, vcc_lo
; %bb.136:
	s_andn2_saveexec_b32 s0, s0
	s_cbranch_execz .LBB36_138
; %bb.137:
	v_div_scale_f64 v[45:46], null, v[0:1], v[0:1], 1.0
	v_rcp_f64_e32 v[54:55], v[45:46]
	v_fma_f64 v[56:57], -v[45:46], v[54:55], 1.0
	v_fma_f64 v[54:55], v[54:55], v[56:57], v[54:55]
	v_fma_f64 v[56:57], -v[45:46], v[54:55], 1.0
	v_fma_f64 v[54:55], v[54:55], v[56:57], v[54:55]
	v_div_scale_f64 v[56:57], vcc_lo, 1.0, v[0:1], 1.0
	v_mul_f64 v[58:59], v[56:57], v[54:55]
	v_fma_f64 v[45:46], -v[45:46], v[58:59], v[56:57]
	v_div_fmas_f64 v[45:46], v[45:46], v[54:55], v[58:59]
	v_div_fixup_f64 v[0:1], v[45:46], v[0:1], 1.0
.LBB36_138:
	s_or_b32 exec_lo, exec_lo, s0
	s_mov_b32 s0, exec_lo
	v_cmpx_ne_u32_e64 v53, v44
	s_xor_b32 s0, exec_lo, s0
	s_cbranch_execz .LBB36_144
; %bb.139:
	s_mov_b32 s1, exec_lo
	v_cmpx_eq_u32_e32 8, v53
	s_cbranch_execz .LBB36_143
; %bb.140:
	v_cmp_ne_u32_e32 vcc_lo, 8, v44
	s_xor_b32 s3, s6, -1
	s_and_b32 s7, s3, vcc_lo
	s_and_saveexec_b32 s3, s7
	s_cbranch_execz .LBB36_142
; %bb.141:
	v_ashrrev_i32_e32 v45, 31, v44
	v_lshlrev_b64 v[45:46], 2, v[44:45]
	v_add_co_u32 v45, vcc_lo, v40, v45
	v_add_co_ci_u32_e64 v46, null, v41, v46, vcc_lo
	s_clause 0x1
	global_load_dword v47, v[45:46], off
	global_load_dword v53, v[40:41], off offset:32
	s_waitcnt vmcnt(1)
	global_store_dword v[40:41], v47, off offset:32
	s_waitcnt vmcnt(0)
	global_store_dword v[45:46], v53, off
.LBB36_142:
	s_or_b32 exec_lo, exec_lo, s3
	v_mov_b32_e32 v47, v44
	v_mov_b32_e32 v53, v44
.LBB36_143:
	s_or_b32 exec_lo, exec_lo, s1
.LBB36_144:
	s_andn2_saveexec_b32 s0, s0
	s_cbranch_execz .LBB36_146
; %bb.145:
	v_mov_b32_e32 v53, 8
	ds_write2_b64 v50, v[22:23], v[18:19] offset0:9 offset1:10
	ds_write2_b64 v50, v[14:15], v[38:39] offset0:11 offset1:12
	;; [unrolled: 1-line block ×5, first 2 shown]
.LBB36_146:
	s_or_b32 exec_lo, exec_lo, s0
	s_mov_b32 s0, exec_lo
	s_waitcnt lgkmcnt(0)
	s_waitcnt_vscnt null, 0x0
	s_barrier
	buffer_gl0_inv
	v_cmpx_lt_i32_e32 8, v53
	s_cbranch_execz .LBB36_148
; %bb.147:
	v_mul_f64 v[36:37], v[0:1], v[36:37]
	ds_read2_b64 v[54:57], v50 offset0:9 offset1:10
	ds_read2_b64 v[58:61], v50 offset0:11 offset1:12
	;; [unrolled: 1-line block ×5, first 2 shown]
	s_waitcnt lgkmcnt(4)
	v_fma_f64 v[22:23], -v[36:37], v[54:55], v[22:23]
	v_fma_f64 v[18:19], -v[36:37], v[56:57], v[18:19]
	s_waitcnt lgkmcnt(3)
	v_fma_f64 v[14:15], -v[36:37], v[58:59], v[14:15]
	v_fma_f64 v[38:39], -v[36:37], v[60:61], v[38:39]
	;; [unrolled: 3-line block ×5, first 2 shown]
.LBB36_148:
	s_or_b32 exec_lo, exec_lo, s0
	v_lshl_add_u32 v0, v53, 3, v50
	s_barrier
	buffer_gl0_inv
	v_mov_b32_e32 v44, 9
	ds_write_b64 v0, v[22:23]
	s_waitcnt lgkmcnt(0)
	s_barrier
	buffer_gl0_inv
	ds_read_b64 v[0:1], v50 offset:72
	s_cmp_lt_i32 s2, 11
	s_cbranch_scc1 .LBB36_151
; %bb.149:
	v_add3_u32 v45, v51, 0, 0x50
	v_mov_b32_e32 v44, 9
	s_mov_b32 s0, 10
.LBB36_150:                             ; =>This Inner Loop Header: Depth=1
	ds_read_b64 v[54:55], v45
	v_add_nc_u32_e32 v45, 8, v45
	s_waitcnt lgkmcnt(0)
	v_cmp_lt_f64_e64 vcc_lo, |v[0:1]|, |v[54:55]|
	v_cndmask_b32_e32 v1, v1, v55, vcc_lo
	v_cndmask_b32_e32 v0, v0, v54, vcc_lo
	v_cndmask_b32_e64 v44, v44, s0, vcc_lo
	s_add_i32 s0, s0, 1
	s_cmp_lg_u32 s2, s0
	s_cbranch_scc1 .LBB36_150
.LBB36_151:
	s_mov_b32 s0, exec_lo
	s_waitcnt lgkmcnt(0)
	v_cmpx_eq_f64_e32 0, v[0:1]
	s_xor_b32 s0, exec_lo, s0
; %bb.152:
	v_cmp_ne_u32_e32 vcc_lo, 0, v52
	v_cndmask_b32_e32 v52, 10, v52, vcc_lo
; %bb.153:
	s_andn2_saveexec_b32 s0, s0
	s_cbranch_execz .LBB36_155
; %bb.154:
	v_div_scale_f64 v[45:46], null, v[0:1], v[0:1], 1.0
	v_rcp_f64_e32 v[54:55], v[45:46]
	v_fma_f64 v[56:57], -v[45:46], v[54:55], 1.0
	v_fma_f64 v[54:55], v[54:55], v[56:57], v[54:55]
	v_fma_f64 v[56:57], -v[45:46], v[54:55], 1.0
	v_fma_f64 v[54:55], v[54:55], v[56:57], v[54:55]
	v_div_scale_f64 v[56:57], vcc_lo, 1.0, v[0:1], 1.0
	v_mul_f64 v[58:59], v[56:57], v[54:55]
	v_fma_f64 v[45:46], -v[45:46], v[58:59], v[56:57]
	v_div_fmas_f64 v[45:46], v[45:46], v[54:55], v[58:59]
	v_div_fixup_f64 v[0:1], v[45:46], v[0:1], 1.0
.LBB36_155:
	s_or_b32 exec_lo, exec_lo, s0
	s_mov_b32 s0, exec_lo
	v_cmpx_ne_u32_e64 v53, v44
	s_xor_b32 s0, exec_lo, s0
	s_cbranch_execz .LBB36_161
; %bb.156:
	s_mov_b32 s1, exec_lo
	v_cmpx_eq_u32_e32 9, v53
	s_cbranch_execz .LBB36_160
; %bb.157:
	v_cmp_ne_u32_e32 vcc_lo, 9, v44
	s_xor_b32 s3, s6, -1
	s_and_b32 s7, s3, vcc_lo
	s_and_saveexec_b32 s3, s7
	s_cbranch_execz .LBB36_159
; %bb.158:
	v_ashrrev_i32_e32 v45, 31, v44
	v_lshlrev_b64 v[45:46], 2, v[44:45]
	v_add_co_u32 v45, vcc_lo, v40, v45
	v_add_co_ci_u32_e64 v46, null, v41, v46, vcc_lo
	s_clause 0x1
	global_load_dword v47, v[45:46], off
	global_load_dword v53, v[40:41], off offset:36
	s_waitcnt vmcnt(1)
	global_store_dword v[40:41], v47, off offset:36
	s_waitcnt vmcnt(0)
	global_store_dword v[45:46], v53, off
.LBB36_159:
	s_or_b32 exec_lo, exec_lo, s3
	v_mov_b32_e32 v47, v44
	v_mov_b32_e32 v53, v44
.LBB36_160:
	s_or_b32 exec_lo, exec_lo, s1
.LBB36_161:
	s_andn2_saveexec_b32 s0, s0
	s_cbranch_execz .LBB36_163
; %bb.162:
	v_mov_b32_e32 v44, v18
	v_mov_b32_e32 v45, v19
	v_mov_b32_e32 v53, v14
	v_mov_b32_e32 v54, v15
	v_mov_b32_e32 v55, v38
	v_mov_b32_e32 v56, v39
	v_mov_b32_e32 v57, v34
	v_mov_b32_e32 v58, v35
	ds_write2_b64 v50, v[44:45], v[53:54] offset0:10 offset1:11
	v_mov_b32_e32 v53, 9
	v_mov_b32_e32 v59, v12
	v_mov_b32_e32 v60, v13
	v_mov_b32_e32 v61, v8
	v_mov_b32_e32 v62, v9
	v_mov_b32_e32 v63, v10
	v_mov_b32_e32 v64, v11
	v_mov_b32_e32 v65, v6
	v_mov_b32_e32 v66, v7
	ds_write2_b64 v50, v[55:56], v[57:58] offset0:12 offset1:13
	ds_write2_b64 v50, v[59:60], v[61:62] offset0:14 offset1:15
	;; [unrolled: 1-line block ×3, first 2 shown]
	ds_write_b64 v50, v[42:43] offset:144
.LBB36_163:
	s_or_b32 exec_lo, exec_lo, s0
	s_mov_b32 s0, exec_lo
	s_waitcnt lgkmcnt(0)
	s_waitcnt_vscnt null, 0x0
	s_barrier
	buffer_gl0_inv
	v_cmpx_lt_i32_e32 9, v53
	s_cbranch_execz .LBB36_165
; %bb.164:
	v_mul_f64 v[22:23], v[0:1], v[22:23]
	ds_read2_b64 v[54:57], v50 offset0:10 offset1:11
	ds_read2_b64 v[58:61], v50 offset0:12 offset1:13
	;; [unrolled: 1-line block ×4, first 2 shown]
	ds_read_b64 v[0:1], v50 offset:144
	s_waitcnt lgkmcnt(4)
	v_fma_f64 v[18:19], -v[22:23], v[54:55], v[18:19]
	v_fma_f64 v[14:15], -v[22:23], v[56:57], v[14:15]
	s_waitcnt lgkmcnt(3)
	v_fma_f64 v[38:39], -v[22:23], v[58:59], v[38:39]
	v_fma_f64 v[34:35], -v[22:23], v[60:61], v[34:35]
	;; [unrolled: 3-line block ×4, first 2 shown]
	s_waitcnt lgkmcnt(0)
	v_fma_f64 v[42:43], -v[22:23], v[0:1], v[42:43]
.LBB36_165:
	s_or_b32 exec_lo, exec_lo, s0
	v_lshl_add_u32 v0, v53, 3, v50
	s_barrier
	buffer_gl0_inv
	v_mov_b32_e32 v44, 10
	ds_write_b64 v0, v[18:19]
	s_waitcnt lgkmcnt(0)
	s_barrier
	buffer_gl0_inv
	ds_read_b64 v[0:1], v50 offset:80
	s_cmp_lt_i32 s2, 12
	s_cbranch_scc1 .LBB36_168
; %bb.166:
	v_add3_u32 v45, v51, 0, 0x58
	v_mov_b32_e32 v44, 10
	s_mov_b32 s0, 11
.LBB36_167:                             ; =>This Inner Loop Header: Depth=1
	ds_read_b64 v[54:55], v45
	v_add_nc_u32_e32 v45, 8, v45
	s_waitcnt lgkmcnt(0)
	v_cmp_lt_f64_e64 vcc_lo, |v[0:1]|, |v[54:55]|
	v_cndmask_b32_e32 v1, v1, v55, vcc_lo
	v_cndmask_b32_e32 v0, v0, v54, vcc_lo
	v_cndmask_b32_e64 v44, v44, s0, vcc_lo
	s_add_i32 s0, s0, 1
	s_cmp_lg_u32 s2, s0
	s_cbranch_scc1 .LBB36_167
.LBB36_168:
	s_mov_b32 s0, exec_lo
	s_waitcnt lgkmcnt(0)
	v_cmpx_eq_f64_e32 0, v[0:1]
	s_xor_b32 s0, exec_lo, s0
; %bb.169:
	v_cmp_ne_u32_e32 vcc_lo, 0, v52
	v_cndmask_b32_e32 v52, 11, v52, vcc_lo
; %bb.170:
	s_andn2_saveexec_b32 s0, s0
	s_cbranch_execz .LBB36_172
; %bb.171:
	v_div_scale_f64 v[45:46], null, v[0:1], v[0:1], 1.0
	v_rcp_f64_e32 v[54:55], v[45:46]
	v_fma_f64 v[56:57], -v[45:46], v[54:55], 1.0
	v_fma_f64 v[54:55], v[54:55], v[56:57], v[54:55]
	v_fma_f64 v[56:57], -v[45:46], v[54:55], 1.0
	v_fma_f64 v[54:55], v[54:55], v[56:57], v[54:55]
	v_div_scale_f64 v[56:57], vcc_lo, 1.0, v[0:1], 1.0
	v_mul_f64 v[58:59], v[56:57], v[54:55]
	v_fma_f64 v[45:46], -v[45:46], v[58:59], v[56:57]
	v_div_fmas_f64 v[45:46], v[45:46], v[54:55], v[58:59]
	v_div_fixup_f64 v[0:1], v[45:46], v[0:1], 1.0
.LBB36_172:
	s_or_b32 exec_lo, exec_lo, s0
	s_mov_b32 s0, exec_lo
	v_cmpx_ne_u32_e64 v53, v44
	s_xor_b32 s0, exec_lo, s0
	s_cbranch_execz .LBB36_178
; %bb.173:
	s_mov_b32 s1, exec_lo
	v_cmpx_eq_u32_e32 10, v53
	s_cbranch_execz .LBB36_177
; %bb.174:
	v_cmp_ne_u32_e32 vcc_lo, 10, v44
	s_xor_b32 s3, s6, -1
	s_and_b32 s7, s3, vcc_lo
	s_and_saveexec_b32 s3, s7
	s_cbranch_execz .LBB36_176
; %bb.175:
	v_ashrrev_i32_e32 v45, 31, v44
	v_lshlrev_b64 v[45:46], 2, v[44:45]
	v_add_co_u32 v45, vcc_lo, v40, v45
	v_add_co_ci_u32_e64 v46, null, v41, v46, vcc_lo
	s_clause 0x1
	global_load_dword v47, v[45:46], off
	global_load_dword v53, v[40:41], off offset:40
	s_waitcnt vmcnt(1)
	global_store_dword v[40:41], v47, off offset:40
	s_waitcnt vmcnt(0)
	global_store_dword v[45:46], v53, off
.LBB36_176:
	s_or_b32 exec_lo, exec_lo, s3
	v_mov_b32_e32 v47, v44
	v_mov_b32_e32 v53, v44
.LBB36_177:
	s_or_b32 exec_lo, exec_lo, s1
.LBB36_178:
	s_andn2_saveexec_b32 s0, s0
	s_cbranch_execz .LBB36_180
; %bb.179:
	v_mov_b32_e32 v53, 10
	ds_write2_b64 v50, v[14:15], v[38:39] offset0:11 offset1:12
	ds_write2_b64 v50, v[34:35], v[12:13] offset0:13 offset1:14
	;; [unrolled: 1-line block ×4, first 2 shown]
.LBB36_180:
	s_or_b32 exec_lo, exec_lo, s0
	s_mov_b32 s0, exec_lo
	s_waitcnt lgkmcnt(0)
	s_waitcnt_vscnt null, 0x0
	s_barrier
	buffer_gl0_inv
	v_cmpx_lt_i32_e32 10, v53
	s_cbranch_execz .LBB36_182
; %bb.181:
	v_mul_f64 v[18:19], v[0:1], v[18:19]
	ds_read2_b64 v[54:57], v50 offset0:11 offset1:12
	ds_read2_b64 v[58:61], v50 offset0:13 offset1:14
	;; [unrolled: 1-line block ×4, first 2 shown]
	s_waitcnt lgkmcnt(3)
	v_fma_f64 v[14:15], -v[18:19], v[54:55], v[14:15]
	v_fma_f64 v[38:39], -v[18:19], v[56:57], v[38:39]
	s_waitcnt lgkmcnt(2)
	v_fma_f64 v[34:35], -v[18:19], v[58:59], v[34:35]
	v_fma_f64 v[12:13], -v[18:19], v[60:61], v[12:13]
	;; [unrolled: 3-line block ×4, first 2 shown]
.LBB36_182:
	s_or_b32 exec_lo, exec_lo, s0
	v_lshl_add_u32 v0, v53, 3, v50
	s_barrier
	buffer_gl0_inv
	v_mov_b32_e32 v44, 11
	ds_write_b64 v0, v[14:15]
	s_waitcnt lgkmcnt(0)
	s_barrier
	buffer_gl0_inv
	ds_read_b64 v[0:1], v50 offset:88
	s_cmp_lt_i32 s2, 13
	s_cbranch_scc1 .LBB36_185
; %bb.183:
	v_add3_u32 v45, v51, 0, 0x60
	v_mov_b32_e32 v44, 11
	s_mov_b32 s0, 12
.LBB36_184:                             ; =>This Inner Loop Header: Depth=1
	ds_read_b64 v[54:55], v45
	v_add_nc_u32_e32 v45, 8, v45
	s_waitcnt lgkmcnt(0)
	v_cmp_lt_f64_e64 vcc_lo, |v[0:1]|, |v[54:55]|
	v_cndmask_b32_e32 v1, v1, v55, vcc_lo
	v_cndmask_b32_e32 v0, v0, v54, vcc_lo
	v_cndmask_b32_e64 v44, v44, s0, vcc_lo
	s_add_i32 s0, s0, 1
	s_cmp_lg_u32 s2, s0
	s_cbranch_scc1 .LBB36_184
.LBB36_185:
	s_mov_b32 s0, exec_lo
	s_waitcnt lgkmcnt(0)
	v_cmpx_eq_f64_e32 0, v[0:1]
	s_xor_b32 s0, exec_lo, s0
; %bb.186:
	v_cmp_ne_u32_e32 vcc_lo, 0, v52
	v_cndmask_b32_e32 v52, 12, v52, vcc_lo
; %bb.187:
	s_andn2_saveexec_b32 s0, s0
	s_cbranch_execz .LBB36_189
; %bb.188:
	v_div_scale_f64 v[45:46], null, v[0:1], v[0:1], 1.0
	v_rcp_f64_e32 v[54:55], v[45:46]
	v_fma_f64 v[56:57], -v[45:46], v[54:55], 1.0
	v_fma_f64 v[54:55], v[54:55], v[56:57], v[54:55]
	v_fma_f64 v[56:57], -v[45:46], v[54:55], 1.0
	v_fma_f64 v[54:55], v[54:55], v[56:57], v[54:55]
	v_div_scale_f64 v[56:57], vcc_lo, 1.0, v[0:1], 1.0
	v_mul_f64 v[58:59], v[56:57], v[54:55]
	v_fma_f64 v[45:46], -v[45:46], v[58:59], v[56:57]
	v_div_fmas_f64 v[45:46], v[45:46], v[54:55], v[58:59]
	v_div_fixup_f64 v[0:1], v[45:46], v[0:1], 1.0
.LBB36_189:
	s_or_b32 exec_lo, exec_lo, s0
	s_mov_b32 s0, exec_lo
	v_cmpx_ne_u32_e64 v53, v44
	s_xor_b32 s0, exec_lo, s0
	s_cbranch_execz .LBB36_195
; %bb.190:
	s_mov_b32 s1, exec_lo
	v_cmpx_eq_u32_e32 11, v53
	s_cbranch_execz .LBB36_194
; %bb.191:
	v_cmp_ne_u32_e32 vcc_lo, 11, v44
	s_xor_b32 s3, s6, -1
	s_and_b32 s7, s3, vcc_lo
	s_and_saveexec_b32 s3, s7
	s_cbranch_execz .LBB36_193
; %bb.192:
	v_ashrrev_i32_e32 v45, 31, v44
	v_lshlrev_b64 v[45:46], 2, v[44:45]
	v_add_co_u32 v45, vcc_lo, v40, v45
	v_add_co_ci_u32_e64 v46, null, v41, v46, vcc_lo
	s_clause 0x1
	global_load_dword v47, v[45:46], off
	global_load_dword v53, v[40:41], off offset:44
	s_waitcnt vmcnt(1)
	global_store_dword v[40:41], v47, off offset:44
	s_waitcnt vmcnt(0)
	global_store_dword v[45:46], v53, off
.LBB36_193:
	s_or_b32 exec_lo, exec_lo, s3
	v_mov_b32_e32 v47, v44
	v_mov_b32_e32 v53, v44
.LBB36_194:
	s_or_b32 exec_lo, exec_lo, s1
.LBB36_195:
	s_andn2_saveexec_b32 s0, s0
	s_cbranch_execz .LBB36_197
; %bb.196:
	v_mov_b32_e32 v44, v38
	v_mov_b32_e32 v45, v39
	;; [unrolled: 1-line block ×13, first 2 shown]
	ds_write2_b64 v50, v[44:45], v[54:55] offset0:12 offset1:13
	ds_write2_b64 v50, v[56:57], v[58:59] offset0:14 offset1:15
	;; [unrolled: 1-line block ×3, first 2 shown]
	ds_write_b64 v50, v[42:43] offset:144
.LBB36_197:
	s_or_b32 exec_lo, exec_lo, s0
	s_mov_b32 s0, exec_lo
	s_waitcnt lgkmcnt(0)
	s_waitcnt_vscnt null, 0x0
	s_barrier
	buffer_gl0_inv
	v_cmpx_lt_i32_e32 11, v53
	s_cbranch_execz .LBB36_199
; %bb.198:
	v_mul_f64 v[14:15], v[0:1], v[14:15]
	ds_read2_b64 v[54:57], v50 offset0:12 offset1:13
	ds_read2_b64 v[58:61], v50 offset0:14 offset1:15
	;; [unrolled: 1-line block ×3, first 2 shown]
	ds_read_b64 v[0:1], v50 offset:144
	s_waitcnt lgkmcnt(3)
	v_fma_f64 v[38:39], -v[14:15], v[54:55], v[38:39]
	v_fma_f64 v[34:35], -v[14:15], v[56:57], v[34:35]
	s_waitcnt lgkmcnt(2)
	v_fma_f64 v[12:13], -v[14:15], v[58:59], v[12:13]
	v_fma_f64 v[8:9], -v[14:15], v[60:61], v[8:9]
	;; [unrolled: 3-line block ×3, first 2 shown]
	s_waitcnt lgkmcnt(0)
	v_fma_f64 v[42:43], -v[14:15], v[0:1], v[42:43]
.LBB36_199:
	s_or_b32 exec_lo, exec_lo, s0
	v_lshl_add_u32 v0, v53, 3, v50
	s_barrier
	buffer_gl0_inv
	v_mov_b32_e32 v44, 12
	ds_write_b64 v0, v[38:39]
	s_waitcnt lgkmcnt(0)
	s_barrier
	buffer_gl0_inv
	ds_read_b64 v[0:1], v50 offset:96
	s_cmp_lt_i32 s2, 14
	s_cbranch_scc1 .LBB36_202
; %bb.200:
	v_add3_u32 v45, v51, 0, 0x68
	v_mov_b32_e32 v44, 12
	s_mov_b32 s0, 13
.LBB36_201:                             ; =>This Inner Loop Header: Depth=1
	ds_read_b64 v[54:55], v45
	v_add_nc_u32_e32 v45, 8, v45
	s_waitcnt lgkmcnt(0)
	v_cmp_lt_f64_e64 vcc_lo, |v[0:1]|, |v[54:55]|
	v_cndmask_b32_e32 v1, v1, v55, vcc_lo
	v_cndmask_b32_e32 v0, v0, v54, vcc_lo
	v_cndmask_b32_e64 v44, v44, s0, vcc_lo
	s_add_i32 s0, s0, 1
	s_cmp_lg_u32 s2, s0
	s_cbranch_scc1 .LBB36_201
.LBB36_202:
	s_mov_b32 s0, exec_lo
	s_waitcnt lgkmcnt(0)
	v_cmpx_eq_f64_e32 0, v[0:1]
	s_xor_b32 s0, exec_lo, s0
; %bb.203:
	v_cmp_ne_u32_e32 vcc_lo, 0, v52
	v_cndmask_b32_e32 v52, 13, v52, vcc_lo
; %bb.204:
	s_andn2_saveexec_b32 s0, s0
	s_cbranch_execz .LBB36_206
; %bb.205:
	v_div_scale_f64 v[45:46], null, v[0:1], v[0:1], 1.0
	v_rcp_f64_e32 v[54:55], v[45:46]
	v_fma_f64 v[56:57], -v[45:46], v[54:55], 1.0
	v_fma_f64 v[54:55], v[54:55], v[56:57], v[54:55]
	v_fma_f64 v[56:57], -v[45:46], v[54:55], 1.0
	v_fma_f64 v[54:55], v[54:55], v[56:57], v[54:55]
	v_div_scale_f64 v[56:57], vcc_lo, 1.0, v[0:1], 1.0
	v_mul_f64 v[58:59], v[56:57], v[54:55]
	v_fma_f64 v[45:46], -v[45:46], v[58:59], v[56:57]
	v_div_fmas_f64 v[45:46], v[45:46], v[54:55], v[58:59]
	v_div_fixup_f64 v[0:1], v[45:46], v[0:1], 1.0
.LBB36_206:
	s_or_b32 exec_lo, exec_lo, s0
	s_mov_b32 s0, exec_lo
	v_cmpx_ne_u32_e64 v53, v44
	s_xor_b32 s0, exec_lo, s0
	s_cbranch_execz .LBB36_212
; %bb.207:
	s_mov_b32 s1, exec_lo
	v_cmpx_eq_u32_e32 12, v53
	s_cbranch_execz .LBB36_211
; %bb.208:
	v_cmp_ne_u32_e32 vcc_lo, 12, v44
	s_xor_b32 s3, s6, -1
	s_and_b32 s7, s3, vcc_lo
	s_and_saveexec_b32 s3, s7
	s_cbranch_execz .LBB36_210
; %bb.209:
	v_ashrrev_i32_e32 v45, 31, v44
	v_lshlrev_b64 v[45:46], 2, v[44:45]
	v_add_co_u32 v45, vcc_lo, v40, v45
	v_add_co_ci_u32_e64 v46, null, v41, v46, vcc_lo
	s_clause 0x1
	global_load_dword v47, v[45:46], off
	global_load_dword v53, v[40:41], off offset:48
	s_waitcnt vmcnt(1)
	global_store_dword v[40:41], v47, off offset:48
	s_waitcnt vmcnt(0)
	global_store_dword v[45:46], v53, off
.LBB36_210:
	s_or_b32 exec_lo, exec_lo, s3
	v_mov_b32_e32 v47, v44
	v_mov_b32_e32 v53, v44
.LBB36_211:
	s_or_b32 exec_lo, exec_lo, s1
.LBB36_212:
	s_andn2_saveexec_b32 s0, s0
	s_cbranch_execz .LBB36_214
; %bb.213:
	v_mov_b32_e32 v53, 12
	ds_write2_b64 v50, v[34:35], v[12:13] offset0:13 offset1:14
	ds_write2_b64 v50, v[8:9], v[10:11] offset0:15 offset1:16
	;; [unrolled: 1-line block ×3, first 2 shown]
.LBB36_214:
	s_or_b32 exec_lo, exec_lo, s0
	s_mov_b32 s0, exec_lo
	s_waitcnt lgkmcnt(0)
	s_waitcnt_vscnt null, 0x0
	s_barrier
	buffer_gl0_inv
	v_cmpx_lt_i32_e32 12, v53
	s_cbranch_execz .LBB36_216
; %bb.215:
	v_mul_f64 v[38:39], v[0:1], v[38:39]
	ds_read2_b64 v[54:57], v50 offset0:13 offset1:14
	ds_read2_b64 v[58:61], v50 offset0:15 offset1:16
	;; [unrolled: 1-line block ×3, first 2 shown]
	s_waitcnt lgkmcnt(2)
	v_fma_f64 v[34:35], -v[38:39], v[54:55], v[34:35]
	v_fma_f64 v[12:13], -v[38:39], v[56:57], v[12:13]
	s_waitcnt lgkmcnt(1)
	v_fma_f64 v[8:9], -v[38:39], v[58:59], v[8:9]
	v_fma_f64 v[10:11], -v[38:39], v[60:61], v[10:11]
	;; [unrolled: 3-line block ×3, first 2 shown]
.LBB36_216:
	s_or_b32 exec_lo, exec_lo, s0
	v_lshl_add_u32 v0, v53, 3, v50
	s_barrier
	buffer_gl0_inv
	v_mov_b32_e32 v44, 13
	ds_write_b64 v0, v[34:35]
	s_waitcnt lgkmcnt(0)
	s_barrier
	buffer_gl0_inv
	ds_read_b64 v[0:1], v50 offset:104
	s_cmp_lt_i32 s2, 15
	s_cbranch_scc1 .LBB36_219
; %bb.217:
	v_add3_u32 v45, v51, 0, 0x70
	v_mov_b32_e32 v44, 13
	s_mov_b32 s0, 14
.LBB36_218:                             ; =>This Inner Loop Header: Depth=1
	ds_read_b64 v[54:55], v45
	v_add_nc_u32_e32 v45, 8, v45
	s_waitcnt lgkmcnt(0)
	v_cmp_lt_f64_e64 vcc_lo, |v[0:1]|, |v[54:55]|
	v_cndmask_b32_e32 v1, v1, v55, vcc_lo
	v_cndmask_b32_e32 v0, v0, v54, vcc_lo
	v_cndmask_b32_e64 v44, v44, s0, vcc_lo
	s_add_i32 s0, s0, 1
	s_cmp_lg_u32 s2, s0
	s_cbranch_scc1 .LBB36_218
.LBB36_219:
	s_mov_b32 s0, exec_lo
	s_waitcnt lgkmcnt(0)
	v_cmpx_eq_f64_e32 0, v[0:1]
	s_xor_b32 s0, exec_lo, s0
; %bb.220:
	v_cmp_ne_u32_e32 vcc_lo, 0, v52
	v_cndmask_b32_e32 v52, 14, v52, vcc_lo
; %bb.221:
	s_andn2_saveexec_b32 s0, s0
	s_cbranch_execz .LBB36_223
; %bb.222:
	v_div_scale_f64 v[45:46], null, v[0:1], v[0:1], 1.0
	v_rcp_f64_e32 v[54:55], v[45:46]
	v_fma_f64 v[56:57], -v[45:46], v[54:55], 1.0
	v_fma_f64 v[54:55], v[54:55], v[56:57], v[54:55]
	v_fma_f64 v[56:57], -v[45:46], v[54:55], 1.0
	v_fma_f64 v[54:55], v[54:55], v[56:57], v[54:55]
	v_div_scale_f64 v[56:57], vcc_lo, 1.0, v[0:1], 1.0
	v_mul_f64 v[58:59], v[56:57], v[54:55]
	v_fma_f64 v[45:46], -v[45:46], v[58:59], v[56:57]
	v_div_fmas_f64 v[45:46], v[45:46], v[54:55], v[58:59]
	v_div_fixup_f64 v[0:1], v[45:46], v[0:1], 1.0
.LBB36_223:
	s_or_b32 exec_lo, exec_lo, s0
	s_mov_b32 s0, exec_lo
	v_cmpx_ne_u32_e64 v53, v44
	s_xor_b32 s0, exec_lo, s0
	s_cbranch_execz .LBB36_229
; %bb.224:
	s_mov_b32 s1, exec_lo
	v_cmpx_eq_u32_e32 13, v53
	s_cbranch_execz .LBB36_228
; %bb.225:
	v_cmp_ne_u32_e32 vcc_lo, 13, v44
	s_xor_b32 s3, s6, -1
	s_and_b32 s7, s3, vcc_lo
	s_and_saveexec_b32 s3, s7
	s_cbranch_execz .LBB36_227
; %bb.226:
	v_ashrrev_i32_e32 v45, 31, v44
	v_lshlrev_b64 v[45:46], 2, v[44:45]
	v_add_co_u32 v45, vcc_lo, v40, v45
	v_add_co_ci_u32_e64 v46, null, v41, v46, vcc_lo
	s_clause 0x1
	global_load_dword v47, v[45:46], off
	global_load_dword v53, v[40:41], off offset:52
	s_waitcnt vmcnt(1)
	global_store_dword v[40:41], v47, off offset:52
	s_waitcnt vmcnt(0)
	global_store_dword v[45:46], v53, off
.LBB36_227:
	s_or_b32 exec_lo, exec_lo, s3
	v_mov_b32_e32 v47, v44
	v_mov_b32_e32 v53, v44
.LBB36_228:
	s_or_b32 exec_lo, exec_lo, s1
.LBB36_229:
	s_andn2_saveexec_b32 s0, s0
	s_cbranch_execz .LBB36_231
; %bb.230:
	v_mov_b32_e32 v44, v12
	v_mov_b32_e32 v45, v13
	;; [unrolled: 1-line block ×9, first 2 shown]
	ds_write2_b64 v50, v[44:45], v[54:55] offset0:14 offset1:15
	ds_write2_b64 v50, v[56:57], v[58:59] offset0:16 offset1:17
	ds_write_b64 v50, v[42:43] offset:144
.LBB36_231:
	s_or_b32 exec_lo, exec_lo, s0
	s_mov_b32 s0, exec_lo
	s_waitcnt lgkmcnt(0)
	s_waitcnt_vscnt null, 0x0
	s_barrier
	buffer_gl0_inv
	v_cmpx_lt_i32_e32 13, v53
	s_cbranch_execz .LBB36_233
; %bb.232:
	v_mul_f64 v[34:35], v[0:1], v[34:35]
	ds_read2_b64 v[54:57], v50 offset0:14 offset1:15
	ds_read2_b64 v[58:61], v50 offset0:16 offset1:17
	ds_read_b64 v[0:1], v50 offset:144
	s_waitcnt lgkmcnt(2)
	v_fma_f64 v[12:13], -v[34:35], v[54:55], v[12:13]
	v_fma_f64 v[8:9], -v[34:35], v[56:57], v[8:9]
	s_waitcnt lgkmcnt(1)
	v_fma_f64 v[10:11], -v[34:35], v[58:59], v[10:11]
	v_fma_f64 v[6:7], -v[34:35], v[60:61], v[6:7]
	s_waitcnt lgkmcnt(0)
	v_fma_f64 v[42:43], -v[34:35], v[0:1], v[42:43]
.LBB36_233:
	s_or_b32 exec_lo, exec_lo, s0
	v_lshl_add_u32 v0, v53, 3, v50
	s_barrier
	buffer_gl0_inv
	v_mov_b32_e32 v44, 14
	ds_write_b64 v0, v[12:13]
	s_waitcnt lgkmcnt(0)
	s_barrier
	buffer_gl0_inv
	ds_read_b64 v[0:1], v50 offset:112
	s_cmp_lt_i32 s2, 16
	s_cbranch_scc1 .LBB36_236
; %bb.234:
	v_add3_u32 v45, v51, 0, 0x78
	v_mov_b32_e32 v44, 14
	s_mov_b32 s0, 15
.LBB36_235:                             ; =>This Inner Loop Header: Depth=1
	ds_read_b64 v[54:55], v45
	v_add_nc_u32_e32 v45, 8, v45
	s_waitcnt lgkmcnt(0)
	v_cmp_lt_f64_e64 vcc_lo, |v[0:1]|, |v[54:55]|
	v_cndmask_b32_e32 v1, v1, v55, vcc_lo
	v_cndmask_b32_e32 v0, v0, v54, vcc_lo
	v_cndmask_b32_e64 v44, v44, s0, vcc_lo
	s_add_i32 s0, s0, 1
	s_cmp_lg_u32 s2, s0
	s_cbranch_scc1 .LBB36_235
.LBB36_236:
	s_mov_b32 s0, exec_lo
	s_waitcnt lgkmcnt(0)
	v_cmpx_eq_f64_e32 0, v[0:1]
	s_xor_b32 s0, exec_lo, s0
; %bb.237:
	v_cmp_ne_u32_e32 vcc_lo, 0, v52
	v_cndmask_b32_e32 v52, 15, v52, vcc_lo
; %bb.238:
	s_andn2_saveexec_b32 s0, s0
	s_cbranch_execz .LBB36_240
; %bb.239:
	v_div_scale_f64 v[45:46], null, v[0:1], v[0:1], 1.0
	v_rcp_f64_e32 v[54:55], v[45:46]
	v_fma_f64 v[56:57], -v[45:46], v[54:55], 1.0
	v_fma_f64 v[54:55], v[54:55], v[56:57], v[54:55]
	v_fma_f64 v[56:57], -v[45:46], v[54:55], 1.0
	v_fma_f64 v[54:55], v[54:55], v[56:57], v[54:55]
	v_div_scale_f64 v[56:57], vcc_lo, 1.0, v[0:1], 1.0
	v_mul_f64 v[58:59], v[56:57], v[54:55]
	v_fma_f64 v[45:46], -v[45:46], v[58:59], v[56:57]
	v_div_fmas_f64 v[45:46], v[45:46], v[54:55], v[58:59]
	v_div_fixup_f64 v[0:1], v[45:46], v[0:1], 1.0
.LBB36_240:
	s_or_b32 exec_lo, exec_lo, s0
	s_mov_b32 s0, exec_lo
	v_cmpx_ne_u32_e64 v53, v44
	s_xor_b32 s0, exec_lo, s0
	s_cbranch_execz .LBB36_246
; %bb.241:
	s_mov_b32 s1, exec_lo
	v_cmpx_eq_u32_e32 14, v53
	s_cbranch_execz .LBB36_245
; %bb.242:
	v_cmp_ne_u32_e32 vcc_lo, 14, v44
	s_xor_b32 s3, s6, -1
	s_and_b32 s7, s3, vcc_lo
	s_and_saveexec_b32 s3, s7
	s_cbranch_execz .LBB36_244
; %bb.243:
	v_ashrrev_i32_e32 v45, 31, v44
	v_lshlrev_b64 v[45:46], 2, v[44:45]
	v_add_co_u32 v45, vcc_lo, v40, v45
	v_add_co_ci_u32_e64 v46, null, v41, v46, vcc_lo
	s_clause 0x1
	global_load_dword v47, v[45:46], off
	global_load_dword v53, v[40:41], off offset:56
	s_waitcnt vmcnt(1)
	global_store_dword v[40:41], v47, off offset:56
	s_waitcnt vmcnt(0)
	global_store_dword v[45:46], v53, off
.LBB36_244:
	s_or_b32 exec_lo, exec_lo, s3
	v_mov_b32_e32 v47, v44
	v_mov_b32_e32 v53, v44
.LBB36_245:
	s_or_b32 exec_lo, exec_lo, s1
.LBB36_246:
	s_andn2_saveexec_b32 s0, s0
	s_cbranch_execz .LBB36_248
; %bb.247:
	v_mov_b32_e32 v53, 14
	ds_write2_b64 v50, v[8:9], v[10:11] offset0:15 offset1:16
	ds_write2_b64 v50, v[6:7], v[42:43] offset0:17 offset1:18
.LBB36_248:
	s_or_b32 exec_lo, exec_lo, s0
	s_mov_b32 s0, exec_lo
	s_waitcnt lgkmcnt(0)
	s_waitcnt_vscnt null, 0x0
	s_barrier
	buffer_gl0_inv
	v_cmpx_lt_i32_e32 14, v53
	s_cbranch_execz .LBB36_250
; %bb.249:
	v_mul_f64 v[12:13], v[0:1], v[12:13]
	ds_read2_b64 v[54:57], v50 offset0:15 offset1:16
	ds_read2_b64 v[58:61], v50 offset0:17 offset1:18
	s_waitcnt lgkmcnt(1)
	v_fma_f64 v[8:9], -v[12:13], v[54:55], v[8:9]
	v_fma_f64 v[10:11], -v[12:13], v[56:57], v[10:11]
	s_waitcnt lgkmcnt(0)
	v_fma_f64 v[6:7], -v[12:13], v[58:59], v[6:7]
	v_fma_f64 v[42:43], -v[12:13], v[60:61], v[42:43]
.LBB36_250:
	s_or_b32 exec_lo, exec_lo, s0
	v_lshl_add_u32 v0, v53, 3, v50
	s_barrier
	buffer_gl0_inv
	v_mov_b32_e32 v44, 15
	ds_write_b64 v0, v[8:9]
	s_waitcnt lgkmcnt(0)
	s_barrier
	buffer_gl0_inv
	ds_read_b64 v[0:1], v50 offset:120
	s_cmp_lt_i32 s2, 17
	s_cbranch_scc1 .LBB36_253
; %bb.251:
	v_add3_u32 v45, v51, 0, 0x80
	v_mov_b32_e32 v44, 15
	s_mov_b32 s0, 16
.LBB36_252:                             ; =>This Inner Loop Header: Depth=1
	ds_read_b64 v[54:55], v45
	v_add_nc_u32_e32 v45, 8, v45
	s_waitcnt lgkmcnt(0)
	v_cmp_lt_f64_e64 vcc_lo, |v[0:1]|, |v[54:55]|
	v_cndmask_b32_e32 v1, v1, v55, vcc_lo
	v_cndmask_b32_e32 v0, v0, v54, vcc_lo
	v_cndmask_b32_e64 v44, v44, s0, vcc_lo
	s_add_i32 s0, s0, 1
	s_cmp_lg_u32 s2, s0
	s_cbranch_scc1 .LBB36_252
.LBB36_253:
	s_mov_b32 s0, exec_lo
	s_waitcnt lgkmcnt(0)
	v_cmpx_eq_f64_e32 0, v[0:1]
	s_xor_b32 s0, exec_lo, s0
; %bb.254:
	v_cmp_ne_u32_e32 vcc_lo, 0, v52
	v_cndmask_b32_e32 v52, 16, v52, vcc_lo
; %bb.255:
	s_andn2_saveexec_b32 s0, s0
	s_cbranch_execz .LBB36_257
; %bb.256:
	v_div_scale_f64 v[45:46], null, v[0:1], v[0:1], 1.0
	v_rcp_f64_e32 v[54:55], v[45:46]
	v_fma_f64 v[56:57], -v[45:46], v[54:55], 1.0
	v_fma_f64 v[54:55], v[54:55], v[56:57], v[54:55]
	v_fma_f64 v[56:57], -v[45:46], v[54:55], 1.0
	v_fma_f64 v[54:55], v[54:55], v[56:57], v[54:55]
	v_div_scale_f64 v[56:57], vcc_lo, 1.0, v[0:1], 1.0
	v_mul_f64 v[58:59], v[56:57], v[54:55]
	v_fma_f64 v[45:46], -v[45:46], v[58:59], v[56:57]
	v_div_fmas_f64 v[45:46], v[45:46], v[54:55], v[58:59]
	v_div_fixup_f64 v[0:1], v[45:46], v[0:1], 1.0
.LBB36_257:
	s_or_b32 exec_lo, exec_lo, s0
	s_mov_b32 s0, exec_lo
	v_cmpx_ne_u32_e64 v53, v44
	s_xor_b32 s0, exec_lo, s0
	s_cbranch_execz .LBB36_263
; %bb.258:
	s_mov_b32 s1, exec_lo
	v_cmpx_eq_u32_e32 15, v53
	s_cbranch_execz .LBB36_262
; %bb.259:
	v_cmp_ne_u32_e32 vcc_lo, 15, v44
	s_xor_b32 s3, s6, -1
	s_and_b32 s7, s3, vcc_lo
	s_and_saveexec_b32 s3, s7
	s_cbranch_execz .LBB36_261
; %bb.260:
	v_ashrrev_i32_e32 v45, 31, v44
	v_lshlrev_b64 v[45:46], 2, v[44:45]
	v_add_co_u32 v45, vcc_lo, v40, v45
	v_add_co_ci_u32_e64 v46, null, v41, v46, vcc_lo
	s_clause 0x1
	global_load_dword v47, v[45:46], off
	global_load_dword v53, v[40:41], off offset:60
	s_waitcnt vmcnt(1)
	global_store_dword v[40:41], v47, off offset:60
	s_waitcnt vmcnt(0)
	global_store_dword v[45:46], v53, off
.LBB36_261:
	s_or_b32 exec_lo, exec_lo, s3
	v_mov_b32_e32 v47, v44
	v_mov_b32_e32 v53, v44
.LBB36_262:
	s_or_b32 exec_lo, exec_lo, s1
.LBB36_263:
	s_andn2_saveexec_b32 s0, s0
	s_cbranch_execz .LBB36_265
; %bb.264:
	v_mov_b32_e32 v44, v10
	v_mov_b32_e32 v45, v11
	;; [unrolled: 1-line block ×5, first 2 shown]
	ds_write2_b64 v50, v[44:45], v[54:55] offset0:16 offset1:17
	ds_write_b64 v50, v[42:43] offset:144
.LBB36_265:
	s_or_b32 exec_lo, exec_lo, s0
	s_mov_b32 s0, exec_lo
	s_waitcnt lgkmcnt(0)
	s_waitcnt_vscnt null, 0x0
	s_barrier
	buffer_gl0_inv
	v_cmpx_lt_i32_e32 15, v53
	s_cbranch_execz .LBB36_267
; %bb.266:
	v_mul_f64 v[8:9], v[0:1], v[8:9]
	ds_read2_b64 v[54:57], v50 offset0:16 offset1:17
	ds_read_b64 v[0:1], v50 offset:144
	s_waitcnt lgkmcnt(1)
	v_fma_f64 v[10:11], -v[8:9], v[54:55], v[10:11]
	v_fma_f64 v[6:7], -v[8:9], v[56:57], v[6:7]
	s_waitcnt lgkmcnt(0)
	v_fma_f64 v[42:43], -v[8:9], v[0:1], v[42:43]
.LBB36_267:
	s_or_b32 exec_lo, exec_lo, s0
	v_lshl_add_u32 v0, v53, 3, v50
	s_barrier
	buffer_gl0_inv
	v_mov_b32_e32 v44, 16
	ds_write_b64 v0, v[10:11]
	s_waitcnt lgkmcnt(0)
	s_barrier
	buffer_gl0_inv
	ds_read_b64 v[0:1], v50 offset:128
	s_cmp_lt_i32 s2, 18
	s_cbranch_scc1 .LBB36_270
; %bb.268:
	v_add3_u32 v45, v51, 0, 0x88
	v_mov_b32_e32 v44, 16
	s_mov_b32 s0, 17
.LBB36_269:                             ; =>This Inner Loop Header: Depth=1
	ds_read_b64 v[54:55], v45
	v_add_nc_u32_e32 v45, 8, v45
	s_waitcnt lgkmcnt(0)
	v_cmp_lt_f64_e64 vcc_lo, |v[0:1]|, |v[54:55]|
	v_cndmask_b32_e32 v1, v1, v55, vcc_lo
	v_cndmask_b32_e32 v0, v0, v54, vcc_lo
	v_cndmask_b32_e64 v44, v44, s0, vcc_lo
	s_add_i32 s0, s0, 1
	s_cmp_lg_u32 s2, s0
	s_cbranch_scc1 .LBB36_269
.LBB36_270:
	s_mov_b32 s0, exec_lo
	s_waitcnt lgkmcnt(0)
	v_cmpx_eq_f64_e32 0, v[0:1]
	s_xor_b32 s0, exec_lo, s0
; %bb.271:
	v_cmp_ne_u32_e32 vcc_lo, 0, v52
	v_cndmask_b32_e32 v52, 17, v52, vcc_lo
; %bb.272:
	s_andn2_saveexec_b32 s0, s0
	s_cbranch_execz .LBB36_274
; %bb.273:
	v_div_scale_f64 v[45:46], null, v[0:1], v[0:1], 1.0
	v_rcp_f64_e32 v[54:55], v[45:46]
	v_fma_f64 v[56:57], -v[45:46], v[54:55], 1.0
	v_fma_f64 v[54:55], v[54:55], v[56:57], v[54:55]
	v_fma_f64 v[56:57], -v[45:46], v[54:55], 1.0
	v_fma_f64 v[54:55], v[54:55], v[56:57], v[54:55]
	v_div_scale_f64 v[56:57], vcc_lo, 1.0, v[0:1], 1.0
	v_mul_f64 v[58:59], v[56:57], v[54:55]
	v_fma_f64 v[45:46], -v[45:46], v[58:59], v[56:57]
	v_div_fmas_f64 v[45:46], v[45:46], v[54:55], v[58:59]
	v_div_fixup_f64 v[0:1], v[45:46], v[0:1], 1.0
.LBB36_274:
	s_or_b32 exec_lo, exec_lo, s0
	s_mov_b32 s0, exec_lo
	v_cmpx_ne_u32_e64 v53, v44
	s_xor_b32 s0, exec_lo, s0
	s_cbranch_execz .LBB36_280
; %bb.275:
	s_mov_b32 s1, exec_lo
	v_cmpx_eq_u32_e32 16, v53
	s_cbranch_execz .LBB36_279
; %bb.276:
	v_cmp_ne_u32_e32 vcc_lo, 16, v44
	s_xor_b32 s3, s6, -1
	s_and_b32 s7, s3, vcc_lo
	s_and_saveexec_b32 s3, s7
	s_cbranch_execz .LBB36_278
; %bb.277:
	v_ashrrev_i32_e32 v45, 31, v44
	v_lshlrev_b64 v[45:46], 2, v[44:45]
	v_add_co_u32 v45, vcc_lo, v40, v45
	v_add_co_ci_u32_e64 v46, null, v41, v46, vcc_lo
	s_clause 0x1
	global_load_dword v47, v[45:46], off
	global_load_dword v53, v[40:41], off offset:64
	s_waitcnt vmcnt(1)
	global_store_dword v[40:41], v47, off offset:64
	s_waitcnt vmcnt(0)
	global_store_dword v[45:46], v53, off
.LBB36_278:
	s_or_b32 exec_lo, exec_lo, s3
	v_mov_b32_e32 v47, v44
	v_mov_b32_e32 v53, v44
.LBB36_279:
	s_or_b32 exec_lo, exec_lo, s1
.LBB36_280:
	s_andn2_saveexec_b32 s0, s0
; %bb.281:
	v_mov_b32_e32 v53, 16
	ds_write2_b64 v50, v[6:7], v[42:43] offset0:17 offset1:18
; %bb.282:
	s_or_b32 exec_lo, exec_lo, s0
	s_mov_b32 s0, exec_lo
	s_waitcnt lgkmcnt(0)
	s_waitcnt_vscnt null, 0x0
	s_barrier
	buffer_gl0_inv
	v_cmpx_lt_i32_e32 16, v53
	s_cbranch_execz .LBB36_284
; %bb.283:
	v_mul_f64 v[10:11], v[0:1], v[10:11]
	ds_read2_b64 v[54:57], v50 offset0:17 offset1:18
	s_waitcnt lgkmcnt(0)
	v_fma_f64 v[6:7], -v[10:11], v[54:55], v[6:7]
	v_fma_f64 v[42:43], -v[10:11], v[56:57], v[42:43]
.LBB36_284:
	s_or_b32 exec_lo, exec_lo, s0
	v_lshl_add_u32 v0, v53, 3, v50
	s_barrier
	buffer_gl0_inv
	v_mov_b32_e32 v44, 17
	ds_write_b64 v0, v[6:7]
	s_waitcnt lgkmcnt(0)
	s_barrier
	buffer_gl0_inv
	ds_read_b64 v[0:1], v50 offset:136
	s_cmp_lt_i32 s2, 19
	s_cbranch_scc1 .LBB36_287
; %bb.285:
	v_add3_u32 v45, v51, 0, 0x90
	v_mov_b32_e32 v44, 17
	s_mov_b32 s0, 18
.LBB36_286:                             ; =>This Inner Loop Header: Depth=1
	ds_read_b64 v[54:55], v45
	v_add_nc_u32_e32 v45, 8, v45
	s_waitcnt lgkmcnt(0)
	v_cmp_lt_f64_e64 vcc_lo, |v[0:1]|, |v[54:55]|
	v_cndmask_b32_e32 v1, v1, v55, vcc_lo
	v_cndmask_b32_e32 v0, v0, v54, vcc_lo
	v_cndmask_b32_e64 v44, v44, s0, vcc_lo
	s_add_i32 s0, s0, 1
	s_cmp_lg_u32 s2, s0
	s_cbranch_scc1 .LBB36_286
.LBB36_287:
	s_mov_b32 s0, exec_lo
	s_waitcnt lgkmcnt(0)
	v_cmpx_eq_f64_e32 0, v[0:1]
	s_xor_b32 s0, exec_lo, s0
; %bb.288:
	v_cmp_ne_u32_e32 vcc_lo, 0, v52
	v_cndmask_b32_e32 v52, 18, v52, vcc_lo
; %bb.289:
	s_andn2_saveexec_b32 s0, s0
	s_cbranch_execz .LBB36_291
; %bb.290:
	v_div_scale_f64 v[45:46], null, v[0:1], v[0:1], 1.0
	v_rcp_f64_e32 v[54:55], v[45:46]
	v_fma_f64 v[56:57], -v[45:46], v[54:55], 1.0
	v_fma_f64 v[54:55], v[54:55], v[56:57], v[54:55]
	v_fma_f64 v[56:57], -v[45:46], v[54:55], 1.0
	v_fma_f64 v[54:55], v[54:55], v[56:57], v[54:55]
	v_div_scale_f64 v[56:57], vcc_lo, 1.0, v[0:1], 1.0
	v_mul_f64 v[58:59], v[56:57], v[54:55]
	v_fma_f64 v[45:46], -v[45:46], v[58:59], v[56:57]
	v_div_fmas_f64 v[45:46], v[45:46], v[54:55], v[58:59]
	v_div_fixup_f64 v[0:1], v[45:46], v[0:1], 1.0
.LBB36_291:
	s_or_b32 exec_lo, exec_lo, s0
	s_mov_b32 s0, exec_lo
	v_cmpx_ne_u32_e64 v53, v44
	s_xor_b32 s0, exec_lo, s0
	s_cbranch_execz .LBB36_297
; %bb.292:
	s_mov_b32 s1, exec_lo
	v_cmpx_eq_u32_e32 17, v53
	s_cbranch_execz .LBB36_296
; %bb.293:
	v_cmp_ne_u32_e32 vcc_lo, 17, v44
	s_xor_b32 s3, s6, -1
	s_and_b32 s7, s3, vcc_lo
	s_and_saveexec_b32 s3, s7
	s_cbranch_execz .LBB36_295
; %bb.294:
	v_ashrrev_i32_e32 v45, 31, v44
	v_lshlrev_b64 v[45:46], 2, v[44:45]
	v_add_co_u32 v45, vcc_lo, v40, v45
	v_add_co_ci_u32_e64 v46, null, v41, v46, vcc_lo
	s_clause 0x1
	global_load_dword v47, v[45:46], off
	global_load_dword v53, v[40:41], off offset:68
	s_waitcnt vmcnt(1)
	global_store_dword v[40:41], v47, off offset:68
	s_waitcnt vmcnt(0)
	global_store_dword v[45:46], v53, off
.LBB36_295:
	s_or_b32 exec_lo, exec_lo, s3
	v_mov_b32_e32 v47, v44
	v_mov_b32_e32 v53, v44
.LBB36_296:
	s_or_b32 exec_lo, exec_lo, s1
.LBB36_297:
	s_andn2_saveexec_b32 s0, s0
; %bb.298:
	v_mov_b32_e32 v53, 17
	ds_write_b64 v50, v[42:43] offset:144
; %bb.299:
	s_or_b32 exec_lo, exec_lo, s0
	s_mov_b32 s0, exec_lo
	s_waitcnt lgkmcnt(0)
	s_waitcnt_vscnt null, 0x0
	s_barrier
	buffer_gl0_inv
	v_cmpx_lt_i32_e32 17, v53
	s_cbranch_execz .LBB36_301
; %bb.300:
	v_mul_f64 v[6:7], v[0:1], v[6:7]
	ds_read_b64 v[0:1], v50 offset:144
	s_waitcnt lgkmcnt(0)
	v_fma_f64 v[42:43], -v[6:7], v[0:1], v[42:43]
.LBB36_301:
	s_or_b32 exec_lo, exec_lo, s0
	v_lshl_add_u32 v0, v53, 3, v50
	s_barrier
	buffer_gl0_inv
	v_mov_b32_e32 v44, 18
	ds_write_b64 v0, v[42:43]
	s_waitcnt lgkmcnt(0)
	s_barrier
	buffer_gl0_inv
	ds_read_b64 v[0:1], v50 offset:144
	s_cmp_lt_i32 s2, 20
	s_cbranch_scc1 .LBB36_304
; %bb.302:
	v_add3_u32 v45, v51, 0, 0x98
	v_mov_b32_e32 v44, 18
	s_mov_b32 s0, 19
.LBB36_303:                             ; =>This Inner Loop Header: Depth=1
	ds_read_b64 v[50:51], v45
	v_add_nc_u32_e32 v45, 8, v45
	s_waitcnt lgkmcnt(0)
	v_cmp_lt_f64_e64 vcc_lo, |v[0:1]|, |v[50:51]|
	v_cndmask_b32_e32 v1, v1, v51, vcc_lo
	v_cndmask_b32_e32 v0, v0, v50, vcc_lo
	v_cndmask_b32_e64 v44, v44, s0, vcc_lo
	s_add_i32 s0, s0, 1
	s_cmp_lg_u32 s2, s0
	s_cbranch_scc1 .LBB36_303
.LBB36_304:
	s_mov_b32 s0, exec_lo
	s_waitcnt lgkmcnt(0)
	v_cmpx_eq_f64_e32 0, v[0:1]
	s_xor_b32 s0, exec_lo, s0
; %bb.305:
	v_cmp_ne_u32_e32 vcc_lo, 0, v52
	v_cndmask_b32_e32 v52, 19, v52, vcc_lo
; %bb.306:
	s_andn2_saveexec_b32 s0, s0
	s_cbranch_execz .LBB36_308
; %bb.307:
	v_div_scale_f64 v[45:46], null, v[0:1], v[0:1], 1.0
	v_rcp_f64_e32 v[50:51], v[45:46]
	v_fma_f64 v[54:55], -v[45:46], v[50:51], 1.0
	v_fma_f64 v[50:51], v[50:51], v[54:55], v[50:51]
	v_fma_f64 v[54:55], -v[45:46], v[50:51], 1.0
	v_fma_f64 v[50:51], v[50:51], v[54:55], v[50:51]
	v_div_scale_f64 v[54:55], vcc_lo, 1.0, v[0:1], 1.0
	v_mul_f64 v[56:57], v[54:55], v[50:51]
	v_fma_f64 v[45:46], -v[45:46], v[56:57], v[54:55]
	v_div_fmas_f64 v[45:46], v[45:46], v[50:51], v[56:57]
	v_div_fixup_f64 v[0:1], v[45:46], v[0:1], 1.0
.LBB36_308:
	s_or_b32 exec_lo, exec_lo, s0
	v_mov_b32_e32 v45, 18
	s_mov_b32 s0, exec_lo
	v_cmpx_ne_u32_e64 v53, v44
	s_cbranch_execz .LBB36_314
; %bb.309:
	s_mov_b32 s1, exec_lo
	v_cmpx_eq_u32_e32 18, v53
	s_cbranch_execz .LBB36_313
; %bb.310:
	v_cmp_ne_u32_e32 vcc_lo, 18, v44
	s_xor_b32 s2, s6, -1
	s_and_b32 s3, s2, vcc_lo
	s_and_saveexec_b32 s2, s3
	s_cbranch_execz .LBB36_312
; %bb.311:
	v_ashrrev_i32_e32 v45, 31, v44
	v_lshlrev_b64 v[45:46], 2, v[44:45]
	v_add_co_u32 v45, vcc_lo, v40, v45
	v_add_co_ci_u32_e64 v46, null, v41, v46, vcc_lo
	s_clause 0x1
	global_load_dword v47, v[45:46], off
	global_load_dword v50, v[40:41], off offset:72
	s_waitcnt vmcnt(1)
	global_store_dword v[40:41], v47, off offset:72
	s_waitcnt vmcnt(0)
	global_store_dword v[45:46], v50, off
.LBB36_312:
	s_or_b32 exec_lo, exec_lo, s2
	v_mov_b32_e32 v47, v44
	v_mov_b32_e32 v53, v44
.LBB36_313:
	s_or_b32 exec_lo, exec_lo, s1
	v_mov_b32_e32 v45, v53
.LBB36_314:
	s_or_b32 exec_lo, exec_lo, s0
	s_load_dwordx8 s[0:7], s[4:5], 0x28
	v_ashrrev_i32_e32 v46, 31, v45
	s_mov_b32 s9, exec_lo
	s_waitcnt lgkmcnt(0)
	s_waitcnt_vscnt null, 0x0
	s_barrier
	buffer_gl0_inv
	s_barrier
	buffer_gl0_inv
	v_cmpx_gt_i32_e32 19, v45
	s_cbranch_execz .LBB36_316
; %bb.315:
	v_mul_lo_u32 v44, s5, v2
	v_mul_lo_u32 v50, s4, v3
	v_mad_u64_u32 v[40:41], null, s4, v2, 0
	s_lshl_b64 s[2:3], s[2:3], 2
	v_add3_u32 v41, v41, v50, v44
	v_lshlrev_b64 v[40:41], 2, v[40:41]
	v_add_co_u32 v44, vcc_lo, s0, v40
	v_add_co_ci_u32_e64 v50, null, s1, v41, vcc_lo
	v_lshlrev_b64 v[40:41], 2, v[45:46]
	v_add_co_u32 v44, vcc_lo, v44, s2
	v_add_co_ci_u32_e64 v50, null, s3, v50, vcc_lo
	v_add_co_u32 v40, vcc_lo, v44, v40
	v_add_co_ci_u32_e64 v41, null, v50, v41, vcc_lo
	v_add3_u32 v44, v47, s13, 1
	global_store_dword v[40:41], v44, off
.LBB36_316:
	s_or_b32 exec_lo, exec_lo, s9
	s_mov_b32 s1, exec_lo
	v_cmpx_eq_u32_e32 0, v45
	s_cbranch_execz .LBB36_319
; %bb.317:
	v_lshlrev_b64 v[2:3], 2, v[2:3]
	v_cmp_ne_u32_e64 s0, 0, v52
	v_add_co_u32 v2, vcc_lo, s6, v2
	v_add_co_ci_u32_e64 v3, null, s7, v3, vcc_lo
	global_load_dword v40, v[2:3], off
	s_waitcnt vmcnt(0)
	v_cmp_eq_u32_e32 vcc_lo, 0, v40
	s_and_b32 s0, vcc_lo, s0
	s_and_b32 exec_lo, exec_lo, s0
	s_cbranch_execz .LBB36_319
; %bb.318:
	v_add_nc_u32_e32 v40, s13, v52
	global_store_dword v[2:3], v40, off
.LBB36_319:
	s_or_b32 exec_lo, exec_lo, s1
	v_lshlrev_b64 v[40:41], 3, v[45:46]
	v_mul_f64 v[0:1], v[0:1], v[42:43]
	v_add3_u32 v2, s8, s8, v45
	v_cmp_lt_i32_e32 vcc_lo, 18, v45
	v_add_co_u32 v40, s0, v48, v40
	v_add_nc_u32_e32 v44, s8, v2
	v_add_co_ci_u32_e64 v41, null, v49, v41, s0
	v_add_co_u32 v46, s0, v40, s10
	v_ashrrev_i32_e32 v3, 31, v2
	v_add_co_ci_u32_e64 v47, null, s11, v41, s0
	v_add_nc_u32_e32 v50, s8, v44
	v_ashrrev_i32_e32 v45, 31, v44
	v_lshlrev_b64 v[2:3], 3, v[2:3]
	flat_store_dwordx2 v[40:41], v[32:33]
	flat_store_dwordx2 v[46:47], v[30:31]
	v_add_nc_u32_e32 v30, s8, v50
	v_lshlrev_b64 v[32:33], 3, v[44:45]
	v_cndmask_b32_e32 v1, v43, v1, vcc_lo
	v_cndmask_b32_e32 v0, v42, v0, vcc_lo
	v_add_co_u32 v2, vcc_lo, v48, v2
	v_add_nc_u32_e32 v40, s8, v30
	v_ashrrev_i32_e32 v51, 31, v50
	v_add_co_ci_u32_e64 v3, null, v49, v3, vcc_lo
	v_add_co_u32 v32, vcc_lo, v48, v32
	v_ashrrev_i32_e32 v31, 31, v30
	v_add_co_ci_u32_e64 v33, null, v49, v33, vcc_lo
	v_ashrrev_i32_e32 v41, 31, v40
	v_lshlrev_b64 v[42:43], 3, v[50:51]
	flat_store_dwordx2 v[2:3], v[20:21]
	flat_store_dwordx2 v[32:33], v[16:17]
	v_lshlrev_b64 v[2:3], 3, v[30:31]
	v_add_nc_u32_e32 v30, s8, v40
	v_lshlrev_b64 v[20:21], 3, v[40:41]
	v_add_co_u32 v16, vcc_lo, v48, v42
	v_add_co_ci_u32_e64 v17, null, v49, v43, vcc_lo
	v_add_co_u32 v2, vcc_lo, v48, v2
	v_add_co_ci_u32_e64 v3, null, v49, v3, vcc_lo
	v_add_co_u32 v20, vcc_lo, v48, v20
	v_add_nc_u32_e32 v32, s8, v30
	v_add_co_ci_u32_e64 v21, null, v49, v21, vcc_lo
	v_ashrrev_i32_e32 v31, 31, v30
	flat_store_dwordx2 v[16:17], v[28:29]
	flat_store_dwordx2 v[2:3], v[24:25]
	;; [unrolled: 1-line block ×3, first 2 shown]
	v_add_nc_u32_e32 v20, s8, v32
	v_ashrrev_i32_e32 v33, 31, v32
	v_lshlrev_b64 v[16:17], 3, v[30:31]
	v_add_nc_u32_e32 v24, s8, v20
	v_lshlrev_b64 v[2:3], 3, v[32:33]
	v_ashrrev_i32_e32 v21, 31, v20
	v_add_co_u32 v16, vcc_lo, v48, v16
	v_add_nc_u32_e32 v26, s8, v24
	v_add_co_ci_u32_e64 v17, null, v49, v17, vcc_lo
	v_add_co_u32 v2, vcc_lo, v48, v2
	v_ashrrev_i32_e32 v25, 31, v24
	v_add_co_ci_u32_e64 v3, null, v49, v3, vcc_lo
	v_ashrrev_i32_e32 v27, 31, v26
	v_lshlrev_b64 v[20:21], 3, v[20:21]
	flat_store_dwordx2 v[16:17], v[4:5]
	flat_store_dwordx2 v[2:3], v[36:37]
	v_lshlrev_b64 v[2:3], 3, v[24:25]
	v_lshlrev_b64 v[16:17], 3, v[26:27]
	v_add_co_u32 v4, vcc_lo, v48, v20
	v_add_nc_u32_e32 v20, s8, v26
	v_add_co_ci_u32_e64 v5, null, v49, v21, vcc_lo
	v_add_co_u32 v2, vcc_lo, v48, v2
	v_add_co_ci_u32_e64 v3, null, v49, v3, vcc_lo
	v_add_co_u32 v16, vcc_lo, v48, v16
	v_add_nc_u32_e32 v24, s8, v20
	v_add_co_ci_u32_e64 v17, null, v49, v17, vcc_lo
	v_ashrrev_i32_e32 v21, 31, v20
	flat_store_dwordx2 v[4:5], v[22:23]
	flat_store_dwordx2 v[2:3], v[18:19]
	flat_store_dwordx2 v[16:17], v[14:15]
	v_add_nc_u32_e32 v14, s8, v24
	v_ashrrev_i32_e32 v25, 31, v24
	v_lshlrev_b64 v[4:5], 3, v[20:21]
	v_add_nc_u32_e32 v16, s8, v14
	v_lshlrev_b64 v[2:3], 3, v[24:25]
	v_ashrrev_i32_e32 v15, 31, v14
	v_add_co_u32 v4, vcc_lo, v48, v4
	v_add_co_ci_u32_e64 v5, null, v49, v5, vcc_lo
	v_add_nc_u32_e32 v18, s8, v16
	v_add_co_u32 v2, vcc_lo, v48, v2
	v_add_co_ci_u32_e64 v3, null, v49, v3, vcc_lo
	v_ashrrev_i32_e32 v17, 31, v16
	flat_store_dwordx2 v[4:5], v[38:39]
	v_lshlrev_b64 v[4:5], 3, v[14:15]
	v_ashrrev_i32_e32 v19, 31, v18
	v_add_nc_u32_e32 v14, s8, v18
	flat_store_dwordx2 v[2:3], v[34:35]
	v_lshlrev_b64 v[2:3], 3, v[16:17]
	v_lshlrev_b64 v[16:17], 3, v[18:19]
	v_add_nc_u32_e32 v18, s8, v14
	v_ashrrev_i32_e32 v15, 31, v14
	v_add_co_u32 v4, vcc_lo, v48, v4
	v_add_co_ci_u32_e64 v5, null, v49, v5, vcc_lo
	v_ashrrev_i32_e32 v19, 31, v18
	v_lshlrev_b64 v[14:15], 3, v[14:15]
	v_add_co_u32 v2, vcc_lo, v48, v2
	v_add_co_ci_u32_e64 v3, null, v49, v3, vcc_lo
	v_lshlrev_b64 v[18:19], 3, v[18:19]
	v_add_co_u32 v16, vcc_lo, v48, v16
	v_add_co_ci_u32_e64 v17, null, v49, v17, vcc_lo
	v_add_co_u32 v14, vcc_lo, v48, v14
	v_add_co_ci_u32_e64 v15, null, v49, v15, vcc_lo
	;; [unrolled: 2-line block ×3, first 2 shown]
	flat_store_dwordx2 v[4:5], v[12:13]
	flat_store_dwordx2 v[2:3], v[8:9]
	;; [unrolled: 1-line block ×5, first 2 shown]
.LBB36_320:
	s_endpgm
	.section	.rodata,"a",@progbits
	.p2align	6, 0x0
	.amdhsa_kernel _ZN9rocsolver6v33100L18getf2_small_kernelILi19EdiiPKPdEEvT1_T3_lS5_lPS5_llPT2_S5_S5_S7_l
		.amdhsa_group_segment_fixed_size 0
		.amdhsa_private_segment_fixed_size 0
		.amdhsa_kernarg_size 352
		.amdhsa_user_sgpr_count 6
		.amdhsa_user_sgpr_private_segment_buffer 1
		.amdhsa_user_sgpr_dispatch_ptr 0
		.amdhsa_user_sgpr_queue_ptr 0
		.amdhsa_user_sgpr_kernarg_segment_ptr 1
		.amdhsa_user_sgpr_dispatch_id 0
		.amdhsa_user_sgpr_flat_scratch_init 0
		.amdhsa_user_sgpr_private_segment_size 0
		.amdhsa_wavefront_size32 1
		.amdhsa_uses_dynamic_stack 0
		.amdhsa_system_sgpr_private_segment_wavefront_offset 0
		.amdhsa_system_sgpr_workgroup_id_x 1
		.amdhsa_system_sgpr_workgroup_id_y 1
		.amdhsa_system_sgpr_workgroup_id_z 0
		.amdhsa_system_sgpr_workgroup_info 0
		.amdhsa_system_vgpr_workitem_id 1
		.amdhsa_next_free_vgpr 90
		.amdhsa_next_free_sgpr 14
		.amdhsa_reserve_vcc 1
		.amdhsa_reserve_flat_scratch 1
		.amdhsa_float_round_mode_32 0
		.amdhsa_float_round_mode_16_64 0
		.amdhsa_float_denorm_mode_32 3
		.amdhsa_float_denorm_mode_16_64 3
		.amdhsa_dx10_clamp 1
		.amdhsa_ieee_mode 1
		.amdhsa_fp16_overflow 0
		.amdhsa_workgroup_processor_mode 1
		.amdhsa_memory_ordered 1
		.amdhsa_forward_progress 1
		.amdhsa_shared_vgpr_count 0
		.amdhsa_exception_fp_ieee_invalid_op 0
		.amdhsa_exception_fp_denorm_src 0
		.amdhsa_exception_fp_ieee_div_zero 0
		.amdhsa_exception_fp_ieee_overflow 0
		.amdhsa_exception_fp_ieee_underflow 0
		.amdhsa_exception_fp_ieee_inexact 0
		.amdhsa_exception_int_div_zero 0
	.end_amdhsa_kernel
	.section	.text._ZN9rocsolver6v33100L18getf2_small_kernelILi19EdiiPKPdEEvT1_T3_lS5_lPS5_llPT2_S5_S5_S7_l,"axG",@progbits,_ZN9rocsolver6v33100L18getf2_small_kernelILi19EdiiPKPdEEvT1_T3_lS5_lPS5_llPT2_S5_S5_S7_l,comdat
.Lfunc_end36:
	.size	_ZN9rocsolver6v33100L18getf2_small_kernelILi19EdiiPKPdEEvT1_T3_lS5_lPS5_llPT2_S5_S5_S7_l, .Lfunc_end36-_ZN9rocsolver6v33100L18getf2_small_kernelILi19EdiiPKPdEEvT1_T3_lS5_lPS5_llPT2_S5_S5_S7_l
                                        ; -- End function
	.set _ZN9rocsolver6v33100L18getf2_small_kernelILi19EdiiPKPdEEvT1_T3_lS5_lPS5_llPT2_S5_S5_S7_l.num_vgpr, 90
	.set _ZN9rocsolver6v33100L18getf2_small_kernelILi19EdiiPKPdEEvT1_T3_lS5_lPS5_llPT2_S5_S5_S7_l.num_agpr, 0
	.set _ZN9rocsolver6v33100L18getf2_small_kernelILi19EdiiPKPdEEvT1_T3_lS5_lPS5_llPT2_S5_S5_S7_l.numbered_sgpr, 14
	.set _ZN9rocsolver6v33100L18getf2_small_kernelILi19EdiiPKPdEEvT1_T3_lS5_lPS5_llPT2_S5_S5_S7_l.num_named_barrier, 0
	.set _ZN9rocsolver6v33100L18getf2_small_kernelILi19EdiiPKPdEEvT1_T3_lS5_lPS5_llPT2_S5_S5_S7_l.private_seg_size, 0
	.set _ZN9rocsolver6v33100L18getf2_small_kernelILi19EdiiPKPdEEvT1_T3_lS5_lPS5_llPT2_S5_S5_S7_l.uses_vcc, 1
	.set _ZN9rocsolver6v33100L18getf2_small_kernelILi19EdiiPKPdEEvT1_T3_lS5_lPS5_llPT2_S5_S5_S7_l.uses_flat_scratch, 1
	.set _ZN9rocsolver6v33100L18getf2_small_kernelILi19EdiiPKPdEEvT1_T3_lS5_lPS5_llPT2_S5_S5_S7_l.has_dyn_sized_stack, 0
	.set _ZN9rocsolver6v33100L18getf2_small_kernelILi19EdiiPKPdEEvT1_T3_lS5_lPS5_llPT2_S5_S5_S7_l.has_recursion, 0
	.set _ZN9rocsolver6v33100L18getf2_small_kernelILi19EdiiPKPdEEvT1_T3_lS5_lPS5_llPT2_S5_S5_S7_l.has_indirect_call, 0
	.section	.AMDGPU.csdata,"",@progbits
; Kernel info:
; codeLenInByte = 14364
; TotalNumSgprs: 16
; NumVgprs: 90
; ScratchSize: 0
; MemoryBound: 0
; FloatMode: 240
; IeeeMode: 1
; LDSByteSize: 0 bytes/workgroup (compile time only)
; SGPRBlocks: 0
; VGPRBlocks: 11
; NumSGPRsForWavesPerEU: 16
; NumVGPRsForWavesPerEU: 90
; Occupancy: 10
; WaveLimiterHint : 1
; COMPUTE_PGM_RSRC2:SCRATCH_EN: 0
; COMPUTE_PGM_RSRC2:USER_SGPR: 6
; COMPUTE_PGM_RSRC2:TRAP_HANDLER: 0
; COMPUTE_PGM_RSRC2:TGID_X_EN: 1
; COMPUTE_PGM_RSRC2:TGID_Y_EN: 1
; COMPUTE_PGM_RSRC2:TGID_Z_EN: 0
; COMPUTE_PGM_RSRC2:TIDIG_COMP_CNT: 1
	.section	.text._ZN9rocsolver6v33100L23getf2_npvt_small_kernelILi19EdiiPKPdEEvT1_T3_lS5_lPT2_S5_S5_,"axG",@progbits,_ZN9rocsolver6v33100L23getf2_npvt_small_kernelILi19EdiiPKPdEEvT1_T3_lS5_lPT2_S5_S5_,comdat
	.globl	_ZN9rocsolver6v33100L23getf2_npvt_small_kernelILi19EdiiPKPdEEvT1_T3_lS5_lPT2_S5_S5_ ; -- Begin function _ZN9rocsolver6v33100L23getf2_npvt_small_kernelILi19EdiiPKPdEEvT1_T3_lS5_lPT2_S5_S5_
	.p2align	8
	.type	_ZN9rocsolver6v33100L23getf2_npvt_small_kernelILi19EdiiPKPdEEvT1_T3_lS5_lPT2_S5_S5_,@function
_ZN9rocsolver6v33100L23getf2_npvt_small_kernelILi19EdiiPKPdEEvT1_T3_lS5_lPT2_S5_S5_: ; @_ZN9rocsolver6v33100L23getf2_npvt_small_kernelILi19EdiiPKPdEEvT1_T3_lS5_lPT2_S5_S5_
; %bb.0:
	s_clause 0x1
	s_load_dword s0, s[4:5], 0x44
	s_load_dwordx2 s[8:9], s[4:5], 0x30
	s_waitcnt lgkmcnt(0)
	s_lshr_b32 s10, s0, 16
	s_mov_b32 s0, exec_lo
	v_mad_u64_u32 v[2:3], null, s7, s10, v[1:2]
	v_cmpx_gt_i32_e64 s8, v2
	s_cbranch_execz .LBB37_98
; %bb.1:
	s_clause 0x1
	s_load_dwordx4 s[0:3], s[4:5], 0x8
	s_load_dword s6, s[4:5], 0x18
	v_ashrrev_i32_e32 v3, 31, v2
	v_lshlrev_b32_e32 v42, 3, v0
	v_lshlrev_b32_e32 v80, 3, v1
	s_mulk_i32 s10, 0x98
	v_mad_u32_u24 v116, 0x98, v1, 0
	v_lshlrev_b64 v[4:5], 3, v[2:3]
	v_add3_u32 v1, 0, s10, v80
	s_waitcnt lgkmcnt(0)
	v_add_co_u32 v4, vcc_lo, s0, v4
	v_add_co_ci_u32_e64 v5, null, s1, v5, vcc_lo
	v_add3_u32 v6, s6, s6, v0
	s_lshl_b64 s[0:1], s[2:3], 3
	s_ashr_i32 s7, s6, 31
	global_load_dwordx2 v[4:5], v[4:5], off
	s_lshl_b64 s[2:3], s[6:7], 3
	v_add_nc_u32_e32 v8, s6, v6
	v_ashrrev_i32_e32 v7, 31, v6
	v_add_nc_u32_e32 v10, s6, v8
	v_ashrrev_i32_e32 v9, 31, v8
	v_lshlrev_b64 v[6:7], 3, v[6:7]
	v_add_nc_u32_e32 v12, s6, v10
	v_ashrrev_i32_e32 v11, 31, v10
	v_lshlrev_b64 v[8:9], 3, v[8:9]
	;; [unrolled: 3-line block ×11, first 2 shown]
	v_add_nc_u32_e32 v32, s6, v30
	v_lshlrev_b64 v[38:39], 3, v[28:29]
	v_ashrrev_i32_e32 v31, 31, v30
	v_add_nc_u32_e32 v34, s6, v32
	v_ashrrev_i32_e32 v33, 31, v32
	v_lshlrev_b64 v[30:31], 3, v[30:31]
	v_add_nc_u32_e32 v36, s6, v34
	v_ashrrev_i32_e32 v35, 31, v34
	v_lshlrev_b64 v[32:33], 3, v[32:33]
	;; [unrolled: 3-line block ×3, first 2 shown]
	v_ashrrev_i32_e32 v29, 31, v28
	v_lshlrev_b64 v[36:37], 3, v[36:37]
	v_lshlrev_b64 v[40:41], 3, v[28:29]
	s_waitcnt vmcnt(0)
	v_add_co_u32 v43, vcc_lo, v4, s0
	v_add_co_ci_u32_e64 v44, null, s1, v5, vcc_lo
	v_cmp_ne_u32_e64 s1, 0, v0
	v_add_co_u32 v4, vcc_lo, v43, v42
	v_add_co_ci_u32_e64 v5, null, 0, v44, vcc_lo
	v_add_co_u32 v6, vcc_lo, v43, v6
	v_add_co_ci_u32_e64 v7, null, v44, v7, vcc_lo
	;; [unrolled: 2-line block ×19, first 2 shown]
	s_clause 0x12
	flat_load_dwordx2 v[62:63], v[10:11]
	flat_load_dwordx2 v[52:53], v[12:13]
	;; [unrolled: 1-line block ×19, first 2 shown]
	v_cmp_eq_u32_e64 s0, 0, v0
	s_and_saveexec_b32 s2, s0
	s_cbranch_execz .LBB37_4
; %bb.2:
	s_waitcnt vmcnt(6) lgkmcnt(6)
	ds_write_b64 v1, v[72:73]
	s_waitcnt vmcnt(4) lgkmcnt(5)
	ds_write2_b64 v116, v[76:77], v[78:79] offset0:1 offset1:2
	s_waitcnt vmcnt(3) lgkmcnt(5)
	ds_write2_b64 v116, v[74:75], v[62:63] offset0:3 offset1:4
	ds_write2_b64 v116, v[52:53], v[60:61] offset0:5 offset1:6
	;; [unrolled: 1-line block ×6, first 2 shown]
	s_waitcnt vmcnt(2) lgkmcnt(10)
	ds_write2_b64 v116, v[40:41], v[68:69] offset0:15 offset1:16
	s_waitcnt vmcnt(0) lgkmcnt(9)
	ds_write2_b64 v116, v[66:67], v[70:71] offset0:17 offset1:18
	ds_read_b64 v[80:81], v1
	s_waitcnt lgkmcnt(0)
	v_cmp_neq_f64_e32 vcc_lo, 0, v[80:81]
	s_and_b32 exec_lo, exec_lo, vcc_lo
	s_cbranch_execz .LBB37_4
; %bb.3:
	v_div_scale_f64 v[82:83], null, v[80:81], v[80:81], 1.0
	v_rcp_f64_e32 v[84:85], v[82:83]
	v_fma_f64 v[86:87], -v[82:83], v[84:85], 1.0
	v_fma_f64 v[84:85], v[84:85], v[86:87], v[84:85]
	v_fma_f64 v[86:87], -v[82:83], v[84:85], 1.0
	v_fma_f64 v[84:85], v[84:85], v[86:87], v[84:85]
	v_div_scale_f64 v[86:87], vcc_lo, 1.0, v[80:81], 1.0
	v_mul_f64 v[88:89], v[86:87], v[84:85]
	v_fma_f64 v[82:83], -v[82:83], v[88:89], v[86:87]
	v_div_fmas_f64 v[82:83], v[82:83], v[84:85], v[88:89]
	v_div_fixup_f64 v[80:81], v[82:83], v[80:81], 1.0
	ds_write_b64 v1, v[80:81]
.LBB37_4:
	s_or_b32 exec_lo, exec_lo, s2
	s_waitcnt vmcnt(0) lgkmcnt(0)
	s_barrier
	buffer_gl0_inv
	ds_read_b64 v[80:81], v1
	s_and_saveexec_b32 s2, s1
	s_cbranch_execz .LBB37_6
; %bb.5:
	s_waitcnt lgkmcnt(0)
	v_mul_f64 v[72:73], v[80:81], v[72:73]
	ds_read2_b64 v[82:85], v116 offset0:1 offset1:2
	ds_read2_b64 v[86:89], v116 offset0:3 offset1:4
	;; [unrolled: 1-line block ×9, first 2 shown]
	s_waitcnt lgkmcnt(8)
	v_fma_f64 v[76:77], -v[72:73], v[82:83], v[76:77]
	v_fma_f64 v[78:79], -v[72:73], v[84:85], v[78:79]
	s_waitcnt lgkmcnt(7)
	v_fma_f64 v[74:75], -v[72:73], v[86:87], v[74:75]
	v_fma_f64 v[62:63], -v[72:73], v[88:89], v[62:63]
	;; [unrolled: 3-line block ×9, first 2 shown]
.LBB37_6:
	s_or_b32 exec_lo, exec_lo, s2
	s_mov_b32 s1, exec_lo
	s_waitcnt lgkmcnt(0)
	s_barrier
	buffer_gl0_inv
	v_cmpx_eq_u32_e32 1, v0
	s_cbranch_execz .LBB37_9
; %bb.7:
	v_mov_b32_e32 v82, v78
	v_mov_b32_e32 v83, v79
	;; [unrolled: 1-line block ×12, first 2 shown]
	ds_write_b64 v1, v[76:77]
	ds_write2_b64 v116, v[82:83], v[84:85] offset0:2 offset1:3
	ds_write2_b64 v116, v[86:87], v[88:89] offset0:4 offset1:5
	;; [unrolled: 1-line block ×3, first 2 shown]
	v_mov_b32_e32 v82, v58
	v_mov_b32_e32 v83, v59
	;; [unrolled: 1-line block ×20, first 2 shown]
	ds_write2_b64 v116, v[82:83], v[84:85] offset0:8 offset1:9
	ds_write2_b64 v116, v[86:87], v[88:89] offset0:10 offset1:11
	;; [unrolled: 1-line block ×5, first 2 shown]
	ds_write_b64 v116, v[70:71] offset:144
	ds_read_b64 v[82:83], v1
	s_waitcnt lgkmcnt(0)
	v_cmp_neq_f64_e32 vcc_lo, 0, v[82:83]
	s_and_b32 exec_lo, exec_lo, vcc_lo
	s_cbranch_execz .LBB37_9
; %bb.8:
	v_div_scale_f64 v[84:85], null, v[82:83], v[82:83], 1.0
	v_rcp_f64_e32 v[86:87], v[84:85]
	v_fma_f64 v[88:89], -v[84:85], v[86:87], 1.0
	v_fma_f64 v[86:87], v[86:87], v[88:89], v[86:87]
	v_fma_f64 v[88:89], -v[84:85], v[86:87], 1.0
	v_fma_f64 v[86:87], v[86:87], v[88:89], v[86:87]
	v_div_scale_f64 v[88:89], vcc_lo, 1.0, v[82:83], 1.0
	v_mul_f64 v[90:91], v[88:89], v[86:87]
	v_fma_f64 v[84:85], -v[84:85], v[90:91], v[88:89]
	v_div_fmas_f64 v[84:85], v[84:85], v[86:87], v[90:91]
	v_div_fixup_f64 v[82:83], v[84:85], v[82:83], 1.0
	ds_write_b64 v1, v[82:83]
.LBB37_9:
	s_or_b32 exec_lo, exec_lo, s1
	s_waitcnt lgkmcnt(0)
	s_barrier
	buffer_gl0_inv
	ds_read_b64 v[82:83], v1
	s_mov_b32 s1, exec_lo
	v_cmpx_lt_u32_e32 1, v0
	s_cbranch_execz .LBB37_11
; %bb.10:
	s_waitcnt lgkmcnt(0)
	v_mul_f64 v[76:77], v[82:83], v[76:77]
	ds_read2_b64 v[84:87], v116 offset0:2 offset1:3
	ds_read2_b64 v[88:91], v116 offset0:4 offset1:5
	;; [unrolled: 1-line block ×8, first 2 shown]
	ds_read_b64 v[117:118], v116 offset:144
	s_waitcnt lgkmcnt(8)
	v_fma_f64 v[78:79], -v[76:77], v[84:85], v[78:79]
	v_fma_f64 v[74:75], -v[76:77], v[86:87], v[74:75]
	s_waitcnt lgkmcnt(7)
	v_fma_f64 v[62:63], -v[76:77], v[88:89], v[62:63]
	v_fma_f64 v[52:53], -v[76:77], v[90:91], v[52:53]
	;; [unrolled: 3-line block ×8, first 2 shown]
	s_waitcnt lgkmcnt(0)
	v_fma_f64 v[70:71], -v[76:77], v[117:118], v[70:71]
.LBB37_11:
	s_or_b32 exec_lo, exec_lo, s1
	s_mov_b32 s1, exec_lo
	s_waitcnt lgkmcnt(0)
	s_barrier
	buffer_gl0_inv
	v_cmpx_eq_u32_e32 2, v0
	s_cbranch_execz .LBB37_14
; %bb.12:
	ds_write_b64 v1, v[78:79]
	ds_write2_b64 v116, v[74:75], v[62:63] offset0:3 offset1:4
	ds_write2_b64 v116, v[52:53], v[60:61] offset0:5 offset1:6
	;; [unrolled: 1-line block ×8, first 2 shown]
	ds_read_b64 v[84:85], v1
	s_waitcnt lgkmcnt(0)
	v_cmp_neq_f64_e32 vcc_lo, 0, v[84:85]
	s_and_b32 exec_lo, exec_lo, vcc_lo
	s_cbranch_execz .LBB37_14
; %bb.13:
	v_div_scale_f64 v[86:87], null, v[84:85], v[84:85], 1.0
	v_rcp_f64_e32 v[88:89], v[86:87]
	v_fma_f64 v[90:91], -v[86:87], v[88:89], 1.0
	v_fma_f64 v[88:89], v[88:89], v[90:91], v[88:89]
	v_fma_f64 v[90:91], -v[86:87], v[88:89], 1.0
	v_fma_f64 v[88:89], v[88:89], v[90:91], v[88:89]
	v_div_scale_f64 v[90:91], vcc_lo, 1.0, v[84:85], 1.0
	v_mul_f64 v[92:93], v[90:91], v[88:89]
	v_fma_f64 v[86:87], -v[86:87], v[92:93], v[90:91]
	v_div_fmas_f64 v[86:87], v[86:87], v[88:89], v[92:93]
	v_div_fixup_f64 v[84:85], v[86:87], v[84:85], 1.0
	ds_write_b64 v1, v[84:85]
.LBB37_14:
	s_or_b32 exec_lo, exec_lo, s1
	s_waitcnt lgkmcnt(0)
	s_barrier
	buffer_gl0_inv
	ds_read_b64 v[84:85], v1
	s_mov_b32 s1, exec_lo
	v_cmpx_lt_u32_e32 2, v0
	s_cbranch_execz .LBB37_16
; %bb.15:
	s_waitcnt lgkmcnt(0)
	v_mul_f64 v[78:79], v[84:85], v[78:79]
	ds_read2_b64 v[86:89], v116 offset0:3 offset1:4
	ds_read2_b64 v[90:93], v116 offset0:5 offset1:6
	;; [unrolled: 1-line block ×8, first 2 shown]
	s_waitcnt lgkmcnt(7)
	v_fma_f64 v[74:75], -v[78:79], v[86:87], v[74:75]
	v_fma_f64 v[62:63], -v[78:79], v[88:89], v[62:63]
	s_waitcnt lgkmcnt(6)
	v_fma_f64 v[52:53], -v[78:79], v[90:91], v[52:53]
	v_fma_f64 v[60:61], -v[78:79], v[92:93], v[60:61]
	;; [unrolled: 3-line block ×8, first 2 shown]
.LBB37_16:
	s_or_b32 exec_lo, exec_lo, s1
	s_mov_b32 s1, exec_lo
	s_waitcnt lgkmcnt(0)
	s_barrier
	buffer_gl0_inv
	v_cmpx_eq_u32_e32 3, v0
	s_cbranch_execz .LBB37_19
; %bb.17:
	v_mov_b32_e32 v86, v62
	v_mov_b32_e32 v87, v63
	;; [unrolled: 1-line block ×8, first 2 shown]
	ds_write_b64 v1, v[74:75]
	ds_write2_b64 v116, v[86:87], v[88:89] offset0:4 offset1:5
	ds_write2_b64 v116, v[90:91], v[92:93] offset0:6 offset1:7
	v_mov_b32_e32 v86, v58
	v_mov_b32_e32 v87, v59
	;; [unrolled: 1-line block ×20, first 2 shown]
	ds_write2_b64 v116, v[86:87], v[88:89] offset0:8 offset1:9
	ds_write2_b64 v116, v[90:91], v[92:93] offset0:10 offset1:11
	ds_write2_b64 v116, v[94:95], v[96:97] offset0:12 offset1:13
	ds_write2_b64 v116, v[98:99], v[100:101] offset0:14 offset1:15
	ds_write2_b64 v116, v[102:103], v[104:105] offset0:16 offset1:17
	ds_write_b64 v116, v[70:71] offset:144
	ds_read_b64 v[86:87], v1
	s_waitcnt lgkmcnt(0)
	v_cmp_neq_f64_e32 vcc_lo, 0, v[86:87]
	s_and_b32 exec_lo, exec_lo, vcc_lo
	s_cbranch_execz .LBB37_19
; %bb.18:
	v_div_scale_f64 v[88:89], null, v[86:87], v[86:87], 1.0
	v_rcp_f64_e32 v[90:91], v[88:89]
	v_fma_f64 v[92:93], -v[88:89], v[90:91], 1.0
	v_fma_f64 v[90:91], v[90:91], v[92:93], v[90:91]
	v_fma_f64 v[92:93], -v[88:89], v[90:91], 1.0
	v_fma_f64 v[90:91], v[90:91], v[92:93], v[90:91]
	v_div_scale_f64 v[92:93], vcc_lo, 1.0, v[86:87], 1.0
	v_mul_f64 v[94:95], v[92:93], v[90:91]
	v_fma_f64 v[88:89], -v[88:89], v[94:95], v[92:93]
	v_div_fmas_f64 v[88:89], v[88:89], v[90:91], v[94:95]
	v_div_fixup_f64 v[86:87], v[88:89], v[86:87], 1.0
	ds_write_b64 v1, v[86:87]
.LBB37_19:
	s_or_b32 exec_lo, exec_lo, s1
	s_waitcnt lgkmcnt(0)
	s_barrier
	buffer_gl0_inv
	ds_read_b64 v[86:87], v1
	s_mov_b32 s1, exec_lo
	v_cmpx_lt_u32_e32 3, v0
	s_cbranch_execz .LBB37_21
; %bb.20:
	s_waitcnt lgkmcnt(0)
	v_mul_f64 v[74:75], v[86:87], v[74:75]
	ds_read2_b64 v[88:91], v116 offset0:4 offset1:5
	ds_read2_b64 v[92:95], v116 offset0:6 offset1:7
	;; [unrolled: 1-line block ×7, first 2 shown]
	ds_read_b64 v[117:118], v116 offset:144
	s_waitcnt lgkmcnt(7)
	v_fma_f64 v[62:63], -v[74:75], v[88:89], v[62:63]
	v_fma_f64 v[52:53], -v[74:75], v[90:91], v[52:53]
	s_waitcnt lgkmcnt(6)
	v_fma_f64 v[60:61], -v[74:75], v[92:93], v[60:61]
	v_fma_f64 v[50:51], -v[74:75], v[94:95], v[50:51]
	;; [unrolled: 3-line block ×7, first 2 shown]
	s_waitcnt lgkmcnt(0)
	v_fma_f64 v[70:71], -v[74:75], v[117:118], v[70:71]
.LBB37_21:
	s_or_b32 exec_lo, exec_lo, s1
	s_mov_b32 s1, exec_lo
	s_waitcnt lgkmcnt(0)
	s_barrier
	buffer_gl0_inv
	v_cmpx_eq_u32_e32 4, v0
	s_cbranch_execz .LBB37_24
; %bb.22:
	ds_write_b64 v1, v[62:63]
	ds_write2_b64 v116, v[52:53], v[60:61] offset0:5 offset1:6
	ds_write2_b64 v116, v[50:51], v[58:59] offset0:7 offset1:8
	;; [unrolled: 1-line block ×7, first 2 shown]
	ds_read_b64 v[88:89], v1
	s_waitcnt lgkmcnt(0)
	v_cmp_neq_f64_e32 vcc_lo, 0, v[88:89]
	s_and_b32 exec_lo, exec_lo, vcc_lo
	s_cbranch_execz .LBB37_24
; %bb.23:
	v_div_scale_f64 v[90:91], null, v[88:89], v[88:89], 1.0
	v_rcp_f64_e32 v[92:93], v[90:91]
	v_fma_f64 v[94:95], -v[90:91], v[92:93], 1.0
	v_fma_f64 v[92:93], v[92:93], v[94:95], v[92:93]
	v_fma_f64 v[94:95], -v[90:91], v[92:93], 1.0
	v_fma_f64 v[92:93], v[92:93], v[94:95], v[92:93]
	v_div_scale_f64 v[94:95], vcc_lo, 1.0, v[88:89], 1.0
	v_mul_f64 v[96:97], v[94:95], v[92:93]
	v_fma_f64 v[90:91], -v[90:91], v[96:97], v[94:95]
	v_div_fmas_f64 v[90:91], v[90:91], v[92:93], v[96:97]
	v_div_fixup_f64 v[88:89], v[90:91], v[88:89], 1.0
	ds_write_b64 v1, v[88:89]
.LBB37_24:
	s_or_b32 exec_lo, exec_lo, s1
	s_waitcnt lgkmcnt(0)
	s_barrier
	buffer_gl0_inv
	ds_read_b64 v[88:89], v1
	s_mov_b32 s1, exec_lo
	v_cmpx_lt_u32_e32 4, v0
	s_cbranch_execz .LBB37_26
; %bb.25:
	s_waitcnt lgkmcnt(0)
	v_mul_f64 v[62:63], v[88:89], v[62:63]
	ds_read2_b64 v[90:93], v116 offset0:5 offset1:6
	ds_read2_b64 v[94:97], v116 offset0:7 offset1:8
	;; [unrolled: 1-line block ×7, first 2 shown]
	s_waitcnt lgkmcnt(6)
	v_fma_f64 v[52:53], -v[62:63], v[90:91], v[52:53]
	v_fma_f64 v[60:61], -v[62:63], v[92:93], v[60:61]
	s_waitcnt lgkmcnt(5)
	v_fma_f64 v[50:51], -v[62:63], v[94:95], v[50:51]
	v_fma_f64 v[58:59], -v[62:63], v[96:97], v[58:59]
	;; [unrolled: 3-line block ×7, first 2 shown]
.LBB37_26:
	s_or_b32 exec_lo, exec_lo, s1
	s_mov_b32 s1, exec_lo
	s_waitcnt lgkmcnt(0)
	s_barrier
	buffer_gl0_inv
	v_cmpx_eq_u32_e32 5, v0
	s_cbranch_execz .LBB37_29
; %bb.27:
	v_mov_b32_e32 v90, v60
	v_mov_b32_e32 v91, v61
	v_mov_b32_e32 v92, v50
	v_mov_b32_e32 v93, v51
	ds_write_b64 v1, v[52:53]
	ds_write2_b64 v116, v[90:91], v[92:93] offset0:6 offset1:7
	v_mov_b32_e32 v90, v58
	v_mov_b32_e32 v91, v59
	v_mov_b32_e32 v92, v48
	v_mov_b32_e32 v93, v49
	v_mov_b32_e32 v94, v56
	v_mov_b32_e32 v95, v57
	v_mov_b32_e32 v96, v46
	v_mov_b32_e32 v97, v47
	v_mov_b32_e32 v98, v54
	v_mov_b32_e32 v99, v55
	v_mov_b32_e32 v100, v42
	v_mov_b32_e32 v101, v43
	v_mov_b32_e32 v102, v44
	v_mov_b32_e32 v103, v45
	v_mov_b32_e32 v104, v40
	v_mov_b32_e32 v105, v41
	v_mov_b32_e32 v106, v68
	v_mov_b32_e32 v107, v69
	v_mov_b32_e32 v108, v66
	v_mov_b32_e32 v109, v67
	ds_write2_b64 v116, v[90:91], v[92:93] offset0:8 offset1:9
	ds_write2_b64 v116, v[94:95], v[96:97] offset0:10 offset1:11
	;; [unrolled: 1-line block ×5, first 2 shown]
	ds_write_b64 v116, v[70:71] offset:144
	ds_read_b64 v[90:91], v1
	s_waitcnt lgkmcnt(0)
	v_cmp_neq_f64_e32 vcc_lo, 0, v[90:91]
	s_and_b32 exec_lo, exec_lo, vcc_lo
	s_cbranch_execz .LBB37_29
; %bb.28:
	v_div_scale_f64 v[92:93], null, v[90:91], v[90:91], 1.0
	v_rcp_f64_e32 v[94:95], v[92:93]
	v_fma_f64 v[96:97], -v[92:93], v[94:95], 1.0
	v_fma_f64 v[94:95], v[94:95], v[96:97], v[94:95]
	v_fma_f64 v[96:97], -v[92:93], v[94:95], 1.0
	v_fma_f64 v[94:95], v[94:95], v[96:97], v[94:95]
	v_div_scale_f64 v[96:97], vcc_lo, 1.0, v[90:91], 1.0
	v_mul_f64 v[98:99], v[96:97], v[94:95]
	v_fma_f64 v[92:93], -v[92:93], v[98:99], v[96:97]
	v_div_fmas_f64 v[92:93], v[92:93], v[94:95], v[98:99]
	v_div_fixup_f64 v[90:91], v[92:93], v[90:91], 1.0
	ds_write_b64 v1, v[90:91]
.LBB37_29:
	s_or_b32 exec_lo, exec_lo, s1
	s_waitcnt lgkmcnt(0)
	s_barrier
	buffer_gl0_inv
	ds_read_b64 v[90:91], v1
	s_mov_b32 s1, exec_lo
	v_cmpx_lt_u32_e32 5, v0
	s_cbranch_execz .LBB37_31
; %bb.30:
	s_waitcnt lgkmcnt(0)
	v_mul_f64 v[52:53], v[90:91], v[52:53]
	ds_read2_b64 v[92:95], v116 offset0:6 offset1:7
	ds_read2_b64 v[96:99], v116 offset0:8 offset1:9
	;; [unrolled: 1-line block ×6, first 2 shown]
	ds_read_b64 v[117:118], v116 offset:144
	s_waitcnt lgkmcnt(6)
	v_fma_f64 v[60:61], -v[52:53], v[92:93], v[60:61]
	v_fma_f64 v[50:51], -v[52:53], v[94:95], v[50:51]
	s_waitcnt lgkmcnt(5)
	v_fma_f64 v[58:59], -v[52:53], v[96:97], v[58:59]
	v_fma_f64 v[48:49], -v[52:53], v[98:99], v[48:49]
	;; [unrolled: 3-line block ×6, first 2 shown]
	s_waitcnt lgkmcnt(0)
	v_fma_f64 v[70:71], -v[52:53], v[117:118], v[70:71]
.LBB37_31:
	s_or_b32 exec_lo, exec_lo, s1
	s_mov_b32 s1, exec_lo
	s_waitcnt lgkmcnt(0)
	s_barrier
	buffer_gl0_inv
	v_cmpx_eq_u32_e32 6, v0
	s_cbranch_execz .LBB37_34
; %bb.32:
	ds_write_b64 v1, v[60:61]
	ds_write2_b64 v116, v[50:51], v[58:59] offset0:7 offset1:8
	ds_write2_b64 v116, v[48:49], v[56:57] offset0:9 offset1:10
	;; [unrolled: 1-line block ×6, first 2 shown]
	ds_read_b64 v[92:93], v1
	s_waitcnt lgkmcnt(0)
	v_cmp_neq_f64_e32 vcc_lo, 0, v[92:93]
	s_and_b32 exec_lo, exec_lo, vcc_lo
	s_cbranch_execz .LBB37_34
; %bb.33:
	v_div_scale_f64 v[94:95], null, v[92:93], v[92:93], 1.0
	v_rcp_f64_e32 v[96:97], v[94:95]
	v_fma_f64 v[98:99], -v[94:95], v[96:97], 1.0
	v_fma_f64 v[96:97], v[96:97], v[98:99], v[96:97]
	v_fma_f64 v[98:99], -v[94:95], v[96:97], 1.0
	v_fma_f64 v[96:97], v[96:97], v[98:99], v[96:97]
	v_div_scale_f64 v[98:99], vcc_lo, 1.0, v[92:93], 1.0
	v_mul_f64 v[100:101], v[98:99], v[96:97]
	v_fma_f64 v[94:95], -v[94:95], v[100:101], v[98:99]
	v_div_fmas_f64 v[94:95], v[94:95], v[96:97], v[100:101]
	v_div_fixup_f64 v[92:93], v[94:95], v[92:93], 1.0
	ds_write_b64 v1, v[92:93]
.LBB37_34:
	s_or_b32 exec_lo, exec_lo, s1
	s_waitcnt lgkmcnt(0)
	s_barrier
	buffer_gl0_inv
	ds_read_b64 v[92:93], v1
	s_mov_b32 s1, exec_lo
	v_cmpx_lt_u32_e32 6, v0
	s_cbranch_execz .LBB37_36
; %bb.35:
	s_waitcnt lgkmcnt(0)
	v_mul_f64 v[60:61], v[92:93], v[60:61]
	ds_read2_b64 v[94:97], v116 offset0:7 offset1:8
	ds_read2_b64 v[98:101], v116 offset0:9 offset1:10
	ds_read2_b64 v[102:105], v116 offset0:11 offset1:12
	ds_read2_b64 v[106:109], v116 offset0:13 offset1:14
	ds_read2_b64 v[110:113], v116 offset0:15 offset1:16
	ds_read2_b64 v[117:120], v116 offset0:17 offset1:18
	s_waitcnt lgkmcnt(5)
	v_fma_f64 v[50:51], -v[60:61], v[94:95], v[50:51]
	v_fma_f64 v[58:59], -v[60:61], v[96:97], v[58:59]
	s_waitcnt lgkmcnt(4)
	v_fma_f64 v[48:49], -v[60:61], v[98:99], v[48:49]
	v_fma_f64 v[56:57], -v[60:61], v[100:101], v[56:57]
	;; [unrolled: 3-line block ×6, first 2 shown]
.LBB37_36:
	s_or_b32 exec_lo, exec_lo, s1
	s_mov_b32 s1, exec_lo
	s_waitcnt lgkmcnt(0)
	s_barrier
	buffer_gl0_inv
	v_cmpx_eq_u32_e32 7, v0
	s_cbranch_execz .LBB37_39
; %bb.37:
	v_mov_b32_e32 v94, v58
	v_mov_b32_e32 v95, v59
	;; [unrolled: 1-line block ×20, first 2 shown]
	ds_write_b64 v1, v[50:51]
	ds_write2_b64 v116, v[94:95], v[96:97] offset0:8 offset1:9
	ds_write2_b64 v116, v[98:99], v[100:101] offset0:10 offset1:11
	;; [unrolled: 1-line block ×5, first 2 shown]
	ds_write_b64 v116, v[70:71] offset:144
	ds_read_b64 v[94:95], v1
	s_waitcnt lgkmcnt(0)
	v_cmp_neq_f64_e32 vcc_lo, 0, v[94:95]
	s_and_b32 exec_lo, exec_lo, vcc_lo
	s_cbranch_execz .LBB37_39
; %bb.38:
	v_div_scale_f64 v[96:97], null, v[94:95], v[94:95], 1.0
	v_rcp_f64_e32 v[98:99], v[96:97]
	v_fma_f64 v[100:101], -v[96:97], v[98:99], 1.0
	v_fma_f64 v[98:99], v[98:99], v[100:101], v[98:99]
	v_fma_f64 v[100:101], -v[96:97], v[98:99], 1.0
	v_fma_f64 v[98:99], v[98:99], v[100:101], v[98:99]
	v_div_scale_f64 v[100:101], vcc_lo, 1.0, v[94:95], 1.0
	v_mul_f64 v[102:103], v[100:101], v[98:99]
	v_fma_f64 v[96:97], -v[96:97], v[102:103], v[100:101]
	v_div_fmas_f64 v[96:97], v[96:97], v[98:99], v[102:103]
	v_div_fixup_f64 v[94:95], v[96:97], v[94:95], 1.0
	ds_write_b64 v1, v[94:95]
.LBB37_39:
	s_or_b32 exec_lo, exec_lo, s1
	s_waitcnt lgkmcnt(0)
	s_barrier
	buffer_gl0_inv
	ds_read_b64 v[94:95], v1
	s_mov_b32 s1, exec_lo
	v_cmpx_lt_u32_e32 7, v0
	s_cbranch_execz .LBB37_41
; %bb.40:
	s_waitcnt lgkmcnt(0)
	v_mul_f64 v[50:51], v[94:95], v[50:51]
	ds_read2_b64 v[96:99], v116 offset0:8 offset1:9
	ds_read2_b64 v[100:103], v116 offset0:10 offset1:11
	;; [unrolled: 1-line block ×5, first 2 shown]
	ds_read_b64 v[117:118], v116 offset:144
	s_waitcnt lgkmcnt(5)
	v_fma_f64 v[58:59], -v[50:51], v[96:97], v[58:59]
	v_fma_f64 v[48:49], -v[50:51], v[98:99], v[48:49]
	s_waitcnt lgkmcnt(4)
	v_fma_f64 v[56:57], -v[50:51], v[100:101], v[56:57]
	v_fma_f64 v[46:47], -v[50:51], v[102:103], v[46:47]
	;; [unrolled: 3-line block ×5, first 2 shown]
	s_waitcnt lgkmcnt(0)
	v_fma_f64 v[70:71], -v[50:51], v[117:118], v[70:71]
.LBB37_41:
	s_or_b32 exec_lo, exec_lo, s1
	s_mov_b32 s1, exec_lo
	s_waitcnt lgkmcnt(0)
	s_barrier
	buffer_gl0_inv
	v_cmpx_eq_u32_e32 8, v0
	s_cbranch_execz .LBB37_44
; %bb.42:
	ds_write_b64 v1, v[58:59]
	ds_write2_b64 v116, v[48:49], v[56:57] offset0:9 offset1:10
	ds_write2_b64 v116, v[46:47], v[54:55] offset0:11 offset1:12
	;; [unrolled: 1-line block ×5, first 2 shown]
	ds_read_b64 v[96:97], v1
	s_waitcnt lgkmcnt(0)
	v_cmp_neq_f64_e32 vcc_lo, 0, v[96:97]
	s_and_b32 exec_lo, exec_lo, vcc_lo
	s_cbranch_execz .LBB37_44
; %bb.43:
	v_div_scale_f64 v[98:99], null, v[96:97], v[96:97], 1.0
	v_rcp_f64_e32 v[100:101], v[98:99]
	v_fma_f64 v[102:103], -v[98:99], v[100:101], 1.0
	v_fma_f64 v[100:101], v[100:101], v[102:103], v[100:101]
	v_fma_f64 v[102:103], -v[98:99], v[100:101], 1.0
	v_fma_f64 v[100:101], v[100:101], v[102:103], v[100:101]
	v_div_scale_f64 v[102:103], vcc_lo, 1.0, v[96:97], 1.0
	v_mul_f64 v[104:105], v[102:103], v[100:101]
	v_fma_f64 v[98:99], -v[98:99], v[104:105], v[102:103]
	v_div_fmas_f64 v[98:99], v[98:99], v[100:101], v[104:105]
	v_div_fixup_f64 v[96:97], v[98:99], v[96:97], 1.0
	ds_write_b64 v1, v[96:97]
.LBB37_44:
	s_or_b32 exec_lo, exec_lo, s1
	s_waitcnt lgkmcnt(0)
	s_barrier
	buffer_gl0_inv
	ds_read_b64 v[96:97], v1
	s_mov_b32 s1, exec_lo
	v_cmpx_lt_u32_e32 8, v0
	s_cbranch_execz .LBB37_46
; %bb.45:
	s_waitcnt lgkmcnt(0)
	v_mul_f64 v[58:59], v[96:97], v[58:59]
	ds_read2_b64 v[98:101], v116 offset0:9 offset1:10
	ds_read2_b64 v[102:105], v116 offset0:11 offset1:12
	;; [unrolled: 1-line block ×5, first 2 shown]
	s_waitcnt lgkmcnt(4)
	v_fma_f64 v[48:49], -v[58:59], v[98:99], v[48:49]
	v_fma_f64 v[56:57], -v[58:59], v[100:101], v[56:57]
	s_waitcnt lgkmcnt(3)
	v_fma_f64 v[46:47], -v[58:59], v[102:103], v[46:47]
	v_fma_f64 v[54:55], -v[58:59], v[104:105], v[54:55]
	;; [unrolled: 3-line block ×5, first 2 shown]
.LBB37_46:
	s_or_b32 exec_lo, exec_lo, s1
	s_mov_b32 s1, exec_lo
	s_waitcnt lgkmcnt(0)
	s_barrier
	buffer_gl0_inv
	v_cmpx_eq_u32_e32 9, v0
	s_cbranch_execz .LBB37_49
; %bb.47:
	v_mov_b32_e32 v98, v56
	v_mov_b32_e32 v99, v57
	;; [unrolled: 1-line block ×16, first 2 shown]
	ds_write_b64 v1, v[48:49]
	ds_write2_b64 v116, v[98:99], v[100:101] offset0:10 offset1:11
	ds_write2_b64 v116, v[102:103], v[104:105] offset0:12 offset1:13
	;; [unrolled: 1-line block ×4, first 2 shown]
	ds_write_b64 v116, v[70:71] offset:144
	ds_read_b64 v[98:99], v1
	s_waitcnt lgkmcnt(0)
	v_cmp_neq_f64_e32 vcc_lo, 0, v[98:99]
	s_and_b32 exec_lo, exec_lo, vcc_lo
	s_cbranch_execz .LBB37_49
; %bb.48:
	v_div_scale_f64 v[100:101], null, v[98:99], v[98:99], 1.0
	v_rcp_f64_e32 v[102:103], v[100:101]
	v_fma_f64 v[104:105], -v[100:101], v[102:103], 1.0
	v_fma_f64 v[102:103], v[102:103], v[104:105], v[102:103]
	v_fma_f64 v[104:105], -v[100:101], v[102:103], 1.0
	v_fma_f64 v[102:103], v[102:103], v[104:105], v[102:103]
	v_div_scale_f64 v[104:105], vcc_lo, 1.0, v[98:99], 1.0
	v_mul_f64 v[106:107], v[104:105], v[102:103]
	v_fma_f64 v[100:101], -v[100:101], v[106:107], v[104:105]
	v_div_fmas_f64 v[100:101], v[100:101], v[102:103], v[106:107]
	v_div_fixup_f64 v[98:99], v[100:101], v[98:99], 1.0
	ds_write_b64 v1, v[98:99]
.LBB37_49:
	s_or_b32 exec_lo, exec_lo, s1
	s_waitcnt lgkmcnt(0)
	s_barrier
	buffer_gl0_inv
	ds_read_b64 v[98:99], v1
	s_mov_b32 s1, exec_lo
	v_cmpx_lt_u32_e32 9, v0
	s_cbranch_execz .LBB37_51
; %bb.50:
	s_waitcnt lgkmcnt(0)
	v_mul_f64 v[48:49], v[98:99], v[48:49]
	ds_read2_b64 v[100:103], v116 offset0:10 offset1:11
	ds_read2_b64 v[104:107], v116 offset0:12 offset1:13
	;; [unrolled: 1-line block ×4, first 2 shown]
	ds_read_b64 v[117:118], v116 offset:144
	s_waitcnt lgkmcnt(4)
	v_fma_f64 v[56:57], -v[48:49], v[100:101], v[56:57]
	v_fma_f64 v[46:47], -v[48:49], v[102:103], v[46:47]
	s_waitcnt lgkmcnt(3)
	v_fma_f64 v[54:55], -v[48:49], v[104:105], v[54:55]
	v_fma_f64 v[42:43], -v[48:49], v[106:107], v[42:43]
	;; [unrolled: 3-line block ×4, first 2 shown]
	s_waitcnt lgkmcnt(0)
	v_fma_f64 v[70:71], -v[48:49], v[117:118], v[70:71]
.LBB37_51:
	s_or_b32 exec_lo, exec_lo, s1
	s_mov_b32 s1, exec_lo
	s_waitcnt lgkmcnt(0)
	s_barrier
	buffer_gl0_inv
	v_cmpx_eq_u32_e32 10, v0
	s_cbranch_execz .LBB37_54
; %bb.52:
	ds_write_b64 v1, v[56:57]
	ds_write2_b64 v116, v[46:47], v[54:55] offset0:11 offset1:12
	ds_write2_b64 v116, v[42:43], v[44:45] offset0:13 offset1:14
	;; [unrolled: 1-line block ×4, first 2 shown]
	ds_read_b64 v[100:101], v1
	s_waitcnt lgkmcnt(0)
	v_cmp_neq_f64_e32 vcc_lo, 0, v[100:101]
	s_and_b32 exec_lo, exec_lo, vcc_lo
	s_cbranch_execz .LBB37_54
; %bb.53:
	v_div_scale_f64 v[102:103], null, v[100:101], v[100:101], 1.0
	v_rcp_f64_e32 v[104:105], v[102:103]
	v_fma_f64 v[106:107], -v[102:103], v[104:105], 1.0
	v_fma_f64 v[104:105], v[104:105], v[106:107], v[104:105]
	v_fma_f64 v[106:107], -v[102:103], v[104:105], 1.0
	v_fma_f64 v[104:105], v[104:105], v[106:107], v[104:105]
	v_div_scale_f64 v[106:107], vcc_lo, 1.0, v[100:101], 1.0
	v_mul_f64 v[108:109], v[106:107], v[104:105]
	v_fma_f64 v[102:103], -v[102:103], v[108:109], v[106:107]
	v_div_fmas_f64 v[102:103], v[102:103], v[104:105], v[108:109]
	v_div_fixup_f64 v[100:101], v[102:103], v[100:101], 1.0
	ds_write_b64 v1, v[100:101]
.LBB37_54:
	s_or_b32 exec_lo, exec_lo, s1
	s_waitcnt lgkmcnt(0)
	s_barrier
	buffer_gl0_inv
	ds_read_b64 v[100:101], v1
	s_mov_b32 s1, exec_lo
	v_cmpx_lt_u32_e32 10, v0
	s_cbranch_execz .LBB37_56
; %bb.55:
	s_waitcnt lgkmcnt(0)
	v_mul_f64 v[56:57], v[100:101], v[56:57]
	ds_read2_b64 v[102:105], v116 offset0:11 offset1:12
	ds_read2_b64 v[106:109], v116 offset0:13 offset1:14
	;; [unrolled: 1-line block ×4, first 2 shown]
	s_waitcnt lgkmcnt(3)
	v_fma_f64 v[46:47], -v[56:57], v[102:103], v[46:47]
	v_fma_f64 v[54:55], -v[56:57], v[104:105], v[54:55]
	s_waitcnt lgkmcnt(2)
	v_fma_f64 v[42:43], -v[56:57], v[106:107], v[42:43]
	v_fma_f64 v[44:45], -v[56:57], v[108:109], v[44:45]
	;; [unrolled: 3-line block ×4, first 2 shown]
.LBB37_56:
	s_or_b32 exec_lo, exec_lo, s1
	s_mov_b32 s1, exec_lo
	s_waitcnt lgkmcnt(0)
	s_barrier
	buffer_gl0_inv
	v_cmpx_eq_u32_e32 11, v0
	s_cbranch_execz .LBB37_59
; %bb.57:
	v_mov_b32_e32 v102, v54
	v_mov_b32_e32 v103, v55
	;; [unrolled: 1-line block ×12, first 2 shown]
	ds_write_b64 v1, v[46:47]
	ds_write2_b64 v116, v[102:103], v[104:105] offset0:12 offset1:13
	ds_write2_b64 v116, v[106:107], v[108:109] offset0:14 offset1:15
	ds_write2_b64 v116, v[110:111], v[112:113] offset0:16 offset1:17
	ds_write_b64 v116, v[70:71] offset:144
	ds_read_b64 v[102:103], v1
	s_waitcnt lgkmcnt(0)
	v_cmp_neq_f64_e32 vcc_lo, 0, v[102:103]
	s_and_b32 exec_lo, exec_lo, vcc_lo
	s_cbranch_execz .LBB37_59
; %bb.58:
	v_div_scale_f64 v[104:105], null, v[102:103], v[102:103], 1.0
	v_rcp_f64_e32 v[106:107], v[104:105]
	v_fma_f64 v[108:109], -v[104:105], v[106:107], 1.0
	v_fma_f64 v[106:107], v[106:107], v[108:109], v[106:107]
	v_fma_f64 v[108:109], -v[104:105], v[106:107], 1.0
	v_fma_f64 v[106:107], v[106:107], v[108:109], v[106:107]
	v_div_scale_f64 v[108:109], vcc_lo, 1.0, v[102:103], 1.0
	v_mul_f64 v[110:111], v[108:109], v[106:107]
	v_fma_f64 v[104:105], -v[104:105], v[110:111], v[108:109]
	v_div_fmas_f64 v[104:105], v[104:105], v[106:107], v[110:111]
	v_div_fixup_f64 v[102:103], v[104:105], v[102:103], 1.0
	ds_write_b64 v1, v[102:103]
.LBB37_59:
	s_or_b32 exec_lo, exec_lo, s1
	s_waitcnt lgkmcnt(0)
	s_barrier
	buffer_gl0_inv
	ds_read_b64 v[102:103], v1
	s_mov_b32 s1, exec_lo
	v_cmpx_lt_u32_e32 11, v0
	s_cbranch_execz .LBB37_61
; %bb.60:
	s_waitcnt lgkmcnt(0)
	v_mul_f64 v[46:47], v[102:103], v[46:47]
	ds_read2_b64 v[104:107], v116 offset0:12 offset1:13
	ds_read2_b64 v[108:111], v116 offset0:14 offset1:15
	;; [unrolled: 1-line block ×3, first 2 shown]
	ds_read_b64 v[117:118], v116 offset:144
	s_waitcnt lgkmcnt(3)
	v_fma_f64 v[54:55], -v[46:47], v[104:105], v[54:55]
	v_fma_f64 v[42:43], -v[46:47], v[106:107], v[42:43]
	s_waitcnt lgkmcnt(2)
	v_fma_f64 v[44:45], -v[46:47], v[108:109], v[44:45]
	v_fma_f64 v[40:41], -v[46:47], v[110:111], v[40:41]
	;; [unrolled: 3-line block ×3, first 2 shown]
	s_waitcnt lgkmcnt(0)
	v_fma_f64 v[70:71], -v[46:47], v[117:118], v[70:71]
.LBB37_61:
	s_or_b32 exec_lo, exec_lo, s1
	s_mov_b32 s1, exec_lo
	s_waitcnt lgkmcnt(0)
	s_barrier
	buffer_gl0_inv
	v_cmpx_eq_u32_e32 12, v0
	s_cbranch_execz .LBB37_64
; %bb.62:
	ds_write_b64 v1, v[54:55]
	ds_write2_b64 v116, v[42:43], v[44:45] offset0:13 offset1:14
	ds_write2_b64 v116, v[40:41], v[68:69] offset0:15 offset1:16
	;; [unrolled: 1-line block ×3, first 2 shown]
	ds_read_b64 v[104:105], v1
	s_waitcnt lgkmcnt(0)
	v_cmp_neq_f64_e32 vcc_lo, 0, v[104:105]
	s_and_b32 exec_lo, exec_lo, vcc_lo
	s_cbranch_execz .LBB37_64
; %bb.63:
	v_div_scale_f64 v[106:107], null, v[104:105], v[104:105], 1.0
	v_rcp_f64_e32 v[108:109], v[106:107]
	v_fma_f64 v[110:111], -v[106:107], v[108:109], 1.0
	v_fma_f64 v[108:109], v[108:109], v[110:111], v[108:109]
	v_fma_f64 v[110:111], -v[106:107], v[108:109], 1.0
	v_fma_f64 v[108:109], v[108:109], v[110:111], v[108:109]
	v_div_scale_f64 v[110:111], vcc_lo, 1.0, v[104:105], 1.0
	v_mul_f64 v[112:113], v[110:111], v[108:109]
	v_fma_f64 v[106:107], -v[106:107], v[112:113], v[110:111]
	v_div_fmas_f64 v[106:107], v[106:107], v[108:109], v[112:113]
	v_div_fixup_f64 v[104:105], v[106:107], v[104:105], 1.0
	ds_write_b64 v1, v[104:105]
.LBB37_64:
	s_or_b32 exec_lo, exec_lo, s1
	s_waitcnt lgkmcnt(0)
	s_barrier
	buffer_gl0_inv
	ds_read_b64 v[104:105], v1
	s_mov_b32 s1, exec_lo
	v_cmpx_lt_u32_e32 12, v0
	s_cbranch_execz .LBB37_66
; %bb.65:
	s_waitcnt lgkmcnt(0)
	v_mul_f64 v[54:55], v[104:105], v[54:55]
	ds_read2_b64 v[106:109], v116 offset0:13 offset1:14
	ds_read2_b64 v[110:113], v116 offset0:15 offset1:16
	;; [unrolled: 1-line block ×3, first 2 shown]
	s_waitcnt lgkmcnt(2)
	v_fma_f64 v[42:43], -v[54:55], v[106:107], v[42:43]
	v_fma_f64 v[44:45], -v[54:55], v[108:109], v[44:45]
	s_waitcnt lgkmcnt(1)
	v_fma_f64 v[40:41], -v[54:55], v[110:111], v[40:41]
	v_fma_f64 v[68:69], -v[54:55], v[112:113], v[68:69]
	;; [unrolled: 3-line block ×3, first 2 shown]
.LBB37_66:
	s_or_b32 exec_lo, exec_lo, s1
	s_mov_b32 s1, exec_lo
	s_waitcnt lgkmcnt(0)
	s_barrier
	buffer_gl0_inv
	v_cmpx_eq_u32_e32 13, v0
	s_cbranch_execz .LBB37_69
; %bb.67:
	v_mov_b32_e32 v106, v44
	v_mov_b32_e32 v107, v45
	;; [unrolled: 1-line block ×8, first 2 shown]
	ds_write_b64 v1, v[42:43]
	ds_write2_b64 v116, v[106:107], v[108:109] offset0:14 offset1:15
	ds_write2_b64 v116, v[110:111], v[112:113] offset0:16 offset1:17
	ds_write_b64 v116, v[70:71] offset:144
	ds_read_b64 v[106:107], v1
	s_waitcnt lgkmcnt(0)
	v_cmp_neq_f64_e32 vcc_lo, 0, v[106:107]
	s_and_b32 exec_lo, exec_lo, vcc_lo
	s_cbranch_execz .LBB37_69
; %bb.68:
	v_div_scale_f64 v[108:109], null, v[106:107], v[106:107], 1.0
	v_rcp_f64_e32 v[110:111], v[108:109]
	v_fma_f64 v[112:113], -v[108:109], v[110:111], 1.0
	v_fma_f64 v[110:111], v[110:111], v[112:113], v[110:111]
	v_fma_f64 v[112:113], -v[108:109], v[110:111], 1.0
	v_fma_f64 v[110:111], v[110:111], v[112:113], v[110:111]
	v_div_scale_f64 v[112:113], vcc_lo, 1.0, v[106:107], 1.0
	v_mul_f64 v[114:115], v[112:113], v[110:111]
	v_fma_f64 v[108:109], -v[108:109], v[114:115], v[112:113]
	v_div_fmas_f64 v[108:109], v[108:109], v[110:111], v[114:115]
	v_div_fixup_f64 v[106:107], v[108:109], v[106:107], 1.0
	ds_write_b64 v1, v[106:107]
.LBB37_69:
	s_or_b32 exec_lo, exec_lo, s1
	s_waitcnt lgkmcnt(0)
	s_barrier
	buffer_gl0_inv
	ds_read_b64 v[106:107], v1
	s_mov_b32 s1, exec_lo
	v_cmpx_lt_u32_e32 13, v0
	s_cbranch_execz .LBB37_71
; %bb.70:
	s_waitcnt lgkmcnt(0)
	v_mul_f64 v[42:43], v[106:107], v[42:43]
	ds_read2_b64 v[108:111], v116 offset0:14 offset1:15
	ds_read2_b64 v[112:115], v116 offset0:16 offset1:17
	ds_read_b64 v[117:118], v116 offset:144
	s_waitcnt lgkmcnt(2)
	v_fma_f64 v[44:45], -v[42:43], v[108:109], v[44:45]
	v_fma_f64 v[40:41], -v[42:43], v[110:111], v[40:41]
	s_waitcnt lgkmcnt(1)
	v_fma_f64 v[68:69], -v[42:43], v[112:113], v[68:69]
	v_fma_f64 v[66:67], -v[42:43], v[114:115], v[66:67]
	s_waitcnt lgkmcnt(0)
	v_fma_f64 v[70:71], -v[42:43], v[117:118], v[70:71]
.LBB37_71:
	s_or_b32 exec_lo, exec_lo, s1
	s_mov_b32 s1, exec_lo
	s_waitcnt lgkmcnt(0)
	s_barrier
	buffer_gl0_inv
	v_cmpx_eq_u32_e32 14, v0
	s_cbranch_execz .LBB37_74
; %bb.72:
	ds_write_b64 v1, v[44:45]
	ds_write2_b64 v116, v[40:41], v[68:69] offset0:15 offset1:16
	ds_write2_b64 v116, v[66:67], v[70:71] offset0:17 offset1:18
	ds_read_b64 v[108:109], v1
	s_waitcnt lgkmcnt(0)
	v_cmp_neq_f64_e32 vcc_lo, 0, v[108:109]
	s_and_b32 exec_lo, exec_lo, vcc_lo
	s_cbranch_execz .LBB37_74
; %bb.73:
	v_div_scale_f64 v[110:111], null, v[108:109], v[108:109], 1.0
	v_rcp_f64_e32 v[112:113], v[110:111]
	v_fma_f64 v[114:115], -v[110:111], v[112:113], 1.0
	v_fma_f64 v[112:113], v[112:113], v[114:115], v[112:113]
	v_fma_f64 v[114:115], -v[110:111], v[112:113], 1.0
	v_fma_f64 v[112:113], v[112:113], v[114:115], v[112:113]
	v_div_scale_f64 v[114:115], vcc_lo, 1.0, v[108:109], 1.0
	v_mul_f64 v[117:118], v[114:115], v[112:113]
	v_fma_f64 v[110:111], -v[110:111], v[117:118], v[114:115]
	v_div_fmas_f64 v[110:111], v[110:111], v[112:113], v[117:118]
	v_div_fixup_f64 v[108:109], v[110:111], v[108:109], 1.0
	ds_write_b64 v1, v[108:109]
.LBB37_74:
	s_or_b32 exec_lo, exec_lo, s1
	s_waitcnt lgkmcnt(0)
	s_barrier
	buffer_gl0_inv
	ds_read_b64 v[108:109], v1
	s_mov_b32 s1, exec_lo
	v_cmpx_lt_u32_e32 14, v0
	s_cbranch_execz .LBB37_76
; %bb.75:
	s_waitcnt lgkmcnt(0)
	v_mul_f64 v[44:45], v[108:109], v[44:45]
	ds_read2_b64 v[110:113], v116 offset0:15 offset1:16
	ds_read2_b64 v[117:120], v116 offset0:17 offset1:18
	s_waitcnt lgkmcnt(1)
	v_fma_f64 v[40:41], -v[44:45], v[110:111], v[40:41]
	v_fma_f64 v[68:69], -v[44:45], v[112:113], v[68:69]
	s_waitcnt lgkmcnt(0)
	v_fma_f64 v[66:67], -v[44:45], v[117:118], v[66:67]
	v_fma_f64 v[70:71], -v[44:45], v[119:120], v[70:71]
.LBB37_76:
	s_or_b32 exec_lo, exec_lo, s1
	s_mov_b32 s1, exec_lo
	s_waitcnt lgkmcnt(0)
	s_barrier
	buffer_gl0_inv
	v_cmpx_eq_u32_e32 15, v0
	s_cbranch_execz .LBB37_79
; %bb.77:
	v_mov_b32_e32 v110, v68
	v_mov_b32_e32 v111, v69
	;; [unrolled: 1-line block ×4, first 2 shown]
	ds_write_b64 v1, v[40:41]
	ds_write2_b64 v116, v[110:111], v[112:113] offset0:16 offset1:17
	ds_write_b64 v116, v[70:71] offset:144
	ds_read_b64 v[110:111], v1
	s_waitcnt lgkmcnt(0)
	v_cmp_neq_f64_e32 vcc_lo, 0, v[110:111]
	s_and_b32 exec_lo, exec_lo, vcc_lo
	s_cbranch_execz .LBB37_79
; %bb.78:
	v_div_scale_f64 v[112:113], null, v[110:111], v[110:111], 1.0
	v_rcp_f64_e32 v[114:115], v[112:113]
	v_fma_f64 v[117:118], -v[112:113], v[114:115], 1.0
	v_fma_f64 v[114:115], v[114:115], v[117:118], v[114:115]
	v_fma_f64 v[117:118], -v[112:113], v[114:115], 1.0
	v_fma_f64 v[114:115], v[114:115], v[117:118], v[114:115]
	v_div_scale_f64 v[117:118], vcc_lo, 1.0, v[110:111], 1.0
	v_mul_f64 v[119:120], v[117:118], v[114:115]
	v_fma_f64 v[112:113], -v[112:113], v[119:120], v[117:118]
	v_div_fmas_f64 v[112:113], v[112:113], v[114:115], v[119:120]
	v_div_fixup_f64 v[110:111], v[112:113], v[110:111], 1.0
	ds_write_b64 v1, v[110:111]
.LBB37_79:
	s_or_b32 exec_lo, exec_lo, s1
	s_waitcnt lgkmcnt(0)
	s_barrier
	buffer_gl0_inv
	ds_read_b64 v[110:111], v1
	s_mov_b32 s1, exec_lo
	v_cmpx_lt_u32_e32 15, v0
	s_cbranch_execz .LBB37_81
; %bb.80:
	s_waitcnt lgkmcnt(0)
	v_mul_f64 v[40:41], v[110:111], v[40:41]
	ds_read2_b64 v[112:115], v116 offset0:16 offset1:17
	ds_read_b64 v[117:118], v116 offset:144
	s_waitcnt lgkmcnt(1)
	v_fma_f64 v[68:69], -v[40:41], v[112:113], v[68:69]
	v_fma_f64 v[66:67], -v[40:41], v[114:115], v[66:67]
	s_waitcnt lgkmcnt(0)
	v_fma_f64 v[70:71], -v[40:41], v[117:118], v[70:71]
.LBB37_81:
	s_or_b32 exec_lo, exec_lo, s1
	s_mov_b32 s1, exec_lo
	s_waitcnt lgkmcnt(0)
	s_barrier
	buffer_gl0_inv
	v_cmpx_eq_u32_e32 16, v0
	s_cbranch_execz .LBB37_84
; %bb.82:
	ds_write_b64 v1, v[68:69]
	ds_write2_b64 v116, v[66:67], v[70:71] offset0:17 offset1:18
	ds_read_b64 v[112:113], v1
	s_waitcnt lgkmcnt(0)
	v_cmp_neq_f64_e32 vcc_lo, 0, v[112:113]
	s_and_b32 exec_lo, exec_lo, vcc_lo
	s_cbranch_execz .LBB37_84
; %bb.83:
	v_div_scale_f64 v[114:115], null, v[112:113], v[112:113], 1.0
	v_rcp_f64_e32 v[117:118], v[114:115]
	v_fma_f64 v[119:120], -v[114:115], v[117:118], 1.0
	v_fma_f64 v[117:118], v[117:118], v[119:120], v[117:118]
	v_fma_f64 v[119:120], -v[114:115], v[117:118], 1.0
	v_fma_f64 v[117:118], v[117:118], v[119:120], v[117:118]
	v_div_scale_f64 v[119:120], vcc_lo, 1.0, v[112:113], 1.0
	v_mul_f64 v[121:122], v[119:120], v[117:118]
	v_fma_f64 v[114:115], -v[114:115], v[121:122], v[119:120]
	v_div_fmas_f64 v[114:115], v[114:115], v[117:118], v[121:122]
	v_div_fixup_f64 v[112:113], v[114:115], v[112:113], 1.0
	ds_write_b64 v1, v[112:113]
.LBB37_84:
	s_or_b32 exec_lo, exec_lo, s1
	s_waitcnt lgkmcnt(0)
	s_barrier
	buffer_gl0_inv
	ds_read_b64 v[112:113], v1
	s_mov_b32 s1, exec_lo
	v_cmpx_lt_u32_e32 16, v0
	s_cbranch_execz .LBB37_86
; %bb.85:
	s_waitcnt lgkmcnt(0)
	v_mul_f64 v[68:69], v[112:113], v[68:69]
	ds_read2_b64 v[117:120], v116 offset0:17 offset1:18
	s_waitcnt lgkmcnt(0)
	v_fma_f64 v[66:67], -v[68:69], v[117:118], v[66:67]
	v_fma_f64 v[70:71], -v[68:69], v[119:120], v[70:71]
.LBB37_86:
	s_or_b32 exec_lo, exec_lo, s1
	s_mov_b32 s1, exec_lo
	s_waitcnt lgkmcnt(0)
	s_barrier
	buffer_gl0_inv
	v_cmpx_eq_u32_e32 17, v0
	s_cbranch_execz .LBB37_89
; %bb.87:
	ds_write_b64 v1, v[66:67]
	ds_write_b64 v116, v[70:71] offset:144
	ds_read_b64 v[114:115], v1
	s_waitcnt lgkmcnt(0)
	v_cmp_neq_f64_e32 vcc_lo, 0, v[114:115]
	s_and_b32 exec_lo, exec_lo, vcc_lo
	s_cbranch_execz .LBB37_89
; %bb.88:
	v_div_scale_f64 v[117:118], null, v[114:115], v[114:115], 1.0
	v_rcp_f64_e32 v[119:120], v[117:118]
	v_fma_f64 v[121:122], -v[117:118], v[119:120], 1.0
	v_fma_f64 v[119:120], v[119:120], v[121:122], v[119:120]
	v_fma_f64 v[121:122], -v[117:118], v[119:120], 1.0
	v_fma_f64 v[119:120], v[119:120], v[121:122], v[119:120]
	v_div_scale_f64 v[121:122], vcc_lo, 1.0, v[114:115], 1.0
	v_mul_f64 v[123:124], v[121:122], v[119:120]
	v_fma_f64 v[117:118], -v[117:118], v[123:124], v[121:122]
	v_div_fmas_f64 v[117:118], v[117:118], v[119:120], v[123:124]
	v_div_fixup_f64 v[114:115], v[117:118], v[114:115], 1.0
	ds_write_b64 v1, v[114:115]
.LBB37_89:
	s_or_b32 exec_lo, exec_lo, s1
	s_waitcnt lgkmcnt(0)
	s_barrier
	buffer_gl0_inv
	ds_read_b64 v[114:115], v1
	s_mov_b32 s1, exec_lo
	v_cmpx_lt_u32_e32 17, v0
	s_cbranch_execz .LBB37_91
; %bb.90:
	s_waitcnt lgkmcnt(0)
	v_mul_f64 v[66:67], v[114:115], v[66:67]
	ds_read_b64 v[116:117], v116 offset:144
	s_waitcnt lgkmcnt(0)
	v_fma_f64 v[70:71], -v[66:67], v[116:117], v[70:71]
.LBB37_91:
	s_or_b32 exec_lo, exec_lo, s1
	s_mov_b32 s1, exec_lo
	s_waitcnt lgkmcnt(0)
	s_barrier
	buffer_gl0_inv
	v_cmpx_eq_u32_e32 18, v0
	s_cbranch_execz .LBB37_94
; %bb.92:
	v_cmp_neq_f64_e32 vcc_lo, 0, v[70:71]
	ds_write_b64 v1, v[70:71]
	s_and_b32 exec_lo, exec_lo, vcc_lo
	s_cbranch_execz .LBB37_94
; %bb.93:
	v_div_scale_f64 v[116:117], null, v[70:71], v[70:71], 1.0
	v_rcp_f64_e32 v[118:119], v[116:117]
	v_fma_f64 v[120:121], -v[116:117], v[118:119], 1.0
	v_fma_f64 v[118:119], v[118:119], v[120:121], v[118:119]
	v_fma_f64 v[120:121], -v[116:117], v[118:119], 1.0
	v_fma_f64 v[118:119], v[118:119], v[120:121], v[118:119]
	v_div_scale_f64 v[120:121], vcc_lo, 1.0, v[70:71], 1.0
	v_mul_f64 v[122:123], v[120:121], v[118:119]
	v_fma_f64 v[116:117], -v[116:117], v[122:123], v[120:121]
	v_div_fmas_f64 v[116:117], v[116:117], v[118:119], v[122:123]
	v_div_fixup_f64 v[116:117], v[116:117], v[70:71], 1.0
	ds_write_b64 v1, v[116:117]
.LBB37_94:
	s_or_b32 exec_lo, exec_lo, s1
	s_waitcnt lgkmcnt(0)
	s_barrier
	buffer_gl0_inv
	ds_read_b64 v[116:117], v1
	s_waitcnt lgkmcnt(0)
	s_barrier
	buffer_gl0_inv
	s_and_saveexec_b32 s3, s0
	s_cbranch_execz .LBB37_97
; %bb.95:
	s_load_dwordx2 s[0:1], s[4:5], 0x28
	v_lshlrev_b64 v[1:2], 2, v[2:3]
	v_cmp_eq_f64_e64 s2, 0, v[86:87]
	s_waitcnt lgkmcnt(0)
	v_add_co_u32 v1, vcc_lo, s0, v1
	v_add_co_ci_u32_e64 v2, null, s1, v2, vcc_lo
	v_cmp_eq_f64_e32 vcc_lo, 0, v[80:81]
	v_cmp_neq_f64_e64 s0, 0, v[82:83]
	v_cmp_eq_f64_e64 s1, 0, v[84:85]
	global_load_dword v118, v[1:2], off
	v_cndmask_b32_e64 v3, 0, 1, vcc_lo
	s_or_b32 vcc_lo, s0, vcc_lo
	v_cmp_eq_f64_e64 s0, 0, v[88:89]
	v_cndmask_b32_e32 v3, 2, v3, vcc_lo
	v_cmp_eq_u32_e32 vcc_lo, 0, v3
	s_and_b32 s1, s1, vcc_lo
	v_cndmask_b32_e64 v3, v3, 3, s1
	v_cmp_eq_f64_e64 s1, 0, v[90:91]
	v_cmp_eq_u32_e32 vcc_lo, 0, v3
	s_and_b32 s2, s2, vcc_lo
	v_cndmask_b32_e64 v3, v3, 4, s2
	v_cmp_eq_f64_e64 s2, 0, v[92:93]
	;; [unrolled: 4-line block ×14, first 2 shown]
	v_cmp_eq_u32_e32 vcc_lo, 0, v3
	s_and_b32 s0, s0, vcc_lo
	v_cndmask_b32_e64 v3, v3, 17, s0
	v_cmp_eq_u32_e32 vcc_lo, 0, v3
	s_and_b32 s0, s1, vcc_lo
	v_cndmask_b32_e64 v3, v3, 18, s0
	;; [unrolled: 3-line block ×3, first 2 shown]
	v_cmp_ne_u32_e64 s0, 0, v3
	s_waitcnt vmcnt(0)
	v_cmp_eq_u32_e32 vcc_lo, 0, v118
	s_and_b32 s0, vcc_lo, s0
	s_and_b32 exec_lo, exec_lo, s0
	s_cbranch_execz .LBB37_97
; %bb.96:
	v_add_nc_u32_e32 v3, s9, v3
	global_store_dword v[1:2], v3, off
.LBB37_97:
	s_or_b32 exec_lo, exec_lo, s3
	v_mul_f64 v[1:2], v[116:117], v[70:71]
	v_cmp_lt_u32_e32 vcc_lo, 18, v0
	flat_store_dwordx2 v[4:5], v[72:73]
	flat_store_dwordx2 v[64:65], v[76:77]
	;; [unrolled: 1-line block ×13, first 2 shown]
	v_cndmask_b32_e32 v2, v71, v2, vcc_lo
	v_cndmask_b32_e32 v1, v70, v1, vcc_lo
	flat_store_dwordx2 v[26:27], v[42:43]
	flat_store_dwordx2 v[30:31], v[44:45]
	flat_store_dwordx2 v[32:33], v[40:41]
	flat_store_dwordx2 v[34:35], v[68:69]
	flat_store_dwordx2 v[36:37], v[66:67]
	flat_store_dwordx2 v[38:39], v[1:2]
.LBB37_98:
	s_endpgm
	.section	.rodata,"a",@progbits
	.p2align	6, 0x0
	.amdhsa_kernel _ZN9rocsolver6v33100L23getf2_npvt_small_kernelILi19EdiiPKPdEEvT1_T3_lS5_lPT2_S5_S5_
		.amdhsa_group_segment_fixed_size 0
		.amdhsa_private_segment_fixed_size 0
		.amdhsa_kernarg_size 312
		.amdhsa_user_sgpr_count 6
		.amdhsa_user_sgpr_private_segment_buffer 1
		.amdhsa_user_sgpr_dispatch_ptr 0
		.amdhsa_user_sgpr_queue_ptr 0
		.amdhsa_user_sgpr_kernarg_segment_ptr 1
		.amdhsa_user_sgpr_dispatch_id 0
		.amdhsa_user_sgpr_flat_scratch_init 0
		.amdhsa_user_sgpr_private_segment_size 0
		.amdhsa_wavefront_size32 1
		.amdhsa_uses_dynamic_stack 0
		.amdhsa_system_sgpr_private_segment_wavefront_offset 0
		.amdhsa_system_sgpr_workgroup_id_x 1
		.amdhsa_system_sgpr_workgroup_id_y 1
		.amdhsa_system_sgpr_workgroup_id_z 0
		.amdhsa_system_sgpr_workgroup_info 0
		.amdhsa_system_vgpr_workitem_id 1
		.amdhsa_next_free_vgpr 125
		.amdhsa_next_free_sgpr 11
		.amdhsa_reserve_vcc 1
		.amdhsa_reserve_flat_scratch 1
		.amdhsa_float_round_mode_32 0
		.amdhsa_float_round_mode_16_64 0
		.amdhsa_float_denorm_mode_32 3
		.amdhsa_float_denorm_mode_16_64 3
		.amdhsa_dx10_clamp 1
		.amdhsa_ieee_mode 1
		.amdhsa_fp16_overflow 0
		.amdhsa_workgroup_processor_mode 1
		.amdhsa_memory_ordered 1
		.amdhsa_forward_progress 1
		.amdhsa_shared_vgpr_count 0
		.amdhsa_exception_fp_ieee_invalid_op 0
		.amdhsa_exception_fp_denorm_src 0
		.amdhsa_exception_fp_ieee_div_zero 0
		.amdhsa_exception_fp_ieee_overflow 0
		.amdhsa_exception_fp_ieee_underflow 0
		.amdhsa_exception_fp_ieee_inexact 0
		.amdhsa_exception_int_div_zero 0
	.end_amdhsa_kernel
	.section	.text._ZN9rocsolver6v33100L23getf2_npvt_small_kernelILi19EdiiPKPdEEvT1_T3_lS5_lPT2_S5_S5_,"axG",@progbits,_ZN9rocsolver6v33100L23getf2_npvt_small_kernelILi19EdiiPKPdEEvT1_T3_lS5_lPT2_S5_S5_,comdat
.Lfunc_end37:
	.size	_ZN9rocsolver6v33100L23getf2_npvt_small_kernelILi19EdiiPKPdEEvT1_T3_lS5_lPT2_S5_S5_, .Lfunc_end37-_ZN9rocsolver6v33100L23getf2_npvt_small_kernelILi19EdiiPKPdEEvT1_T3_lS5_lPT2_S5_S5_
                                        ; -- End function
	.set _ZN9rocsolver6v33100L23getf2_npvt_small_kernelILi19EdiiPKPdEEvT1_T3_lS5_lPT2_S5_S5_.num_vgpr, 125
	.set _ZN9rocsolver6v33100L23getf2_npvt_small_kernelILi19EdiiPKPdEEvT1_T3_lS5_lPT2_S5_S5_.num_agpr, 0
	.set _ZN9rocsolver6v33100L23getf2_npvt_small_kernelILi19EdiiPKPdEEvT1_T3_lS5_lPT2_S5_S5_.numbered_sgpr, 11
	.set _ZN9rocsolver6v33100L23getf2_npvt_small_kernelILi19EdiiPKPdEEvT1_T3_lS5_lPT2_S5_S5_.num_named_barrier, 0
	.set _ZN9rocsolver6v33100L23getf2_npvt_small_kernelILi19EdiiPKPdEEvT1_T3_lS5_lPT2_S5_S5_.private_seg_size, 0
	.set _ZN9rocsolver6v33100L23getf2_npvt_small_kernelILi19EdiiPKPdEEvT1_T3_lS5_lPT2_S5_S5_.uses_vcc, 1
	.set _ZN9rocsolver6v33100L23getf2_npvt_small_kernelILi19EdiiPKPdEEvT1_T3_lS5_lPT2_S5_S5_.uses_flat_scratch, 1
	.set _ZN9rocsolver6v33100L23getf2_npvt_small_kernelILi19EdiiPKPdEEvT1_T3_lS5_lPT2_S5_S5_.has_dyn_sized_stack, 0
	.set _ZN9rocsolver6v33100L23getf2_npvt_small_kernelILi19EdiiPKPdEEvT1_T3_lS5_lPT2_S5_S5_.has_recursion, 0
	.set _ZN9rocsolver6v33100L23getf2_npvt_small_kernelILi19EdiiPKPdEEvT1_T3_lS5_lPT2_S5_S5_.has_indirect_call, 0
	.section	.AMDGPU.csdata,"",@progbits
; Kernel info:
; codeLenInByte = 9304
; TotalNumSgprs: 13
; NumVgprs: 125
; ScratchSize: 0
; MemoryBound: 0
; FloatMode: 240
; IeeeMode: 1
; LDSByteSize: 0 bytes/workgroup (compile time only)
; SGPRBlocks: 0
; VGPRBlocks: 15
; NumSGPRsForWavesPerEU: 13
; NumVGPRsForWavesPerEU: 125
; Occupancy: 8
; WaveLimiterHint : 1
; COMPUTE_PGM_RSRC2:SCRATCH_EN: 0
; COMPUTE_PGM_RSRC2:USER_SGPR: 6
; COMPUTE_PGM_RSRC2:TRAP_HANDLER: 0
; COMPUTE_PGM_RSRC2:TGID_X_EN: 1
; COMPUTE_PGM_RSRC2:TGID_Y_EN: 1
; COMPUTE_PGM_RSRC2:TGID_Z_EN: 0
; COMPUTE_PGM_RSRC2:TIDIG_COMP_CNT: 1
	.section	.text._ZN9rocsolver6v33100L18getf2_small_kernelILi20EdiiPKPdEEvT1_T3_lS5_lPS5_llPT2_S5_S5_S7_l,"axG",@progbits,_ZN9rocsolver6v33100L18getf2_small_kernelILi20EdiiPKPdEEvT1_T3_lS5_lPS5_llPT2_S5_S5_S7_l,comdat
	.globl	_ZN9rocsolver6v33100L18getf2_small_kernelILi20EdiiPKPdEEvT1_T3_lS5_lPS5_llPT2_S5_S5_S7_l ; -- Begin function _ZN9rocsolver6v33100L18getf2_small_kernelILi20EdiiPKPdEEvT1_T3_lS5_lPS5_llPT2_S5_S5_S7_l
	.p2align	8
	.type	_ZN9rocsolver6v33100L18getf2_small_kernelILi20EdiiPKPdEEvT1_T3_lS5_lPS5_llPT2_S5_S5_S7_l,@function
_ZN9rocsolver6v33100L18getf2_small_kernelILi20EdiiPKPdEEvT1_T3_lS5_lPS5_llPT2_S5_S5_S7_l: ; @_ZN9rocsolver6v33100L18getf2_small_kernelILi20EdiiPKPdEEvT1_T3_lS5_lPS5_llPT2_S5_S5_S7_l
; %bb.0:
	s_clause 0x1
	s_load_dword s0, s[4:5], 0x6c
	s_load_dwordx2 s[12:13], s[4:5], 0x48
	s_waitcnt lgkmcnt(0)
	s_lshr_b32 s0, s0, 16
	v_mad_u64_u32 v[2:3], null, s7, s0, v[1:2]
	s_mov_b32 s0, exec_lo
	v_cmpx_gt_i32_e64 s12, v2
	s_cbranch_execz .LBB38_337
; %bb.1:
	s_clause 0x1
	s_load_dwordx4 s[0:3], s[4:5], 0x8
	s_load_dwordx4 s[8:11], s[4:5], 0x50
	v_ashrrev_i32_e32 v3, 31, v2
	v_mov_b32_e32 v40, 0
	v_mov_b32_e32 v41, 0
	v_lshlrev_b64 v[4:5], 3, v[2:3]
	s_waitcnt lgkmcnt(0)
	v_add_co_u32 v4, vcc_lo, s0, v4
	v_add_co_ci_u32_e64 v5, null, s1, v5, vcc_lo
	s_cmp_eq_u64 s[8:9], 0
	s_cselect_b32 s6, -1, 0
	global_load_dwordx2 v[4:5], v[4:5], off
	s_and_b32 vcc_lo, exec_lo, s6
	s_cbranch_vccnz .LBB38_3
; %bb.2:
	v_mul_lo_u32 v8, s11, v2
	v_mul_lo_u32 v9, s10, v3
	v_mad_u64_u32 v[6:7], null, s10, v2, 0
	v_add3_u32 v7, v7, v9, v8
	v_lshlrev_b64 v[6:7], 2, v[6:7]
	v_add_co_u32 v40, vcc_lo, s8, v6
	v_add_co_ci_u32_e64 v41, null, s9, v7, vcc_lo
.LBB38_3:
	s_load_dword s8, s[4:5], 0x18
	s_lshl_b64 s[0:1], s[2:3], 3
	s_load_dword s2, s[4:5], 0x0
	s_waitcnt vmcnt(0)
	v_add_co_u32 v50, vcc_lo, v4, s0
	v_lshlrev_b32_e32 v54, 3, v0
	v_add_co_ci_u32_e64 v51, null, s1, v5, vcc_lo
	v_add_co_u32 v8, vcc_lo, v50, v54
	v_add_co_ci_u32_e64 v9, null, 0, v51, vcc_lo
	s_waitcnt lgkmcnt(0)
	v_add3_u32 v6, s8, s8, v0
	s_ashr_i32 s9, s8, 31
	s_max_i32 s0, s2, 20
	s_lshl_b64 s[10:11], s[8:9], 3
	v_mul_lo_u32 v1, s0, v1
	v_add_nc_u32_e32 v4, s8, v6
	v_ashrrev_i32_e32 v7, 31, v6
	v_add_co_u32 v12, vcc_lo, v8, s10
	v_add_co_ci_u32_e64 v13, null, s11, v9, vcc_lo
	v_add_nc_u32_e32 v10, s8, v4
	v_ashrrev_i32_e32 v5, 31, v4
	v_lshlrev_b64 v[6:7], 3, v[6:7]
	s_cmp_lt_i32 s2, 2
	v_add_nc_u32_e32 v14, s8, v10
	v_ashrrev_i32_e32 v11, 31, v10
	v_lshlrev_b64 v[4:5], 3, v[4:5]
	v_add_co_u32 v6, vcc_lo, v50, v6
	v_add_nc_u32_e32 v16, s8, v14
	v_ashrrev_i32_e32 v15, 31, v14
	v_lshlrev_b64 v[10:11], 3, v[10:11]
	v_add_co_ci_u32_e64 v7, null, v51, v7, vcc_lo
	v_add_nc_u32_e32 v18, s8, v16
	v_add_co_u32 v4, vcc_lo, v50, v4
	v_lshlrev_b64 v[14:15], 3, v[14:15]
	v_add_co_ci_u32_e64 v5, null, v51, v5, vcc_lo
	v_ashrrev_i32_e32 v17, 31, v16
	s_clause 0x3
	flat_load_dwordx2 v[32:33], v[8:9]
	flat_load_dwordx2 v[28:29], v[12:13]
	;; [unrolled: 1-line block ×4, first 2 shown]
	v_add_co_u32 v4, vcc_lo, v50, v10
	v_ashrrev_i32_e32 v19, 31, v18
	v_add_nc_u32_e32 v10, s8, v18
	v_add_co_ci_u32_e64 v5, null, v51, v11, vcc_lo
	v_lshlrev_b64 v[8:9], 3, v[16:17]
	v_add_co_u32 v12, vcc_lo, v50, v14
	v_add_co_ci_u32_e64 v13, null, v51, v15, vcc_lo
	v_lshlrev_b64 v[14:15], 3, v[18:19]
	v_add_nc_u32_e32 v16, s8, v10
	v_add_co_u32 v8, vcc_lo, v50, v8
	v_add_co_ci_u32_e64 v9, null, v51, v9, vcc_lo
	v_add_nc_u32_e32 v24, s8, v16
	v_add_co_u32 v14, vcc_lo, v50, v14
	v_add_co_ci_u32_e64 v15, null, v51, v15, vcc_lo
	s_clause 0x3
	flat_load_dwordx2 v[34:35], v[4:5]
	flat_load_dwordx2 v[22:23], v[12:13]
	;; [unrolled: 1-line block ×4, first 2 shown]
	v_add_nc_u32_e32 v8, s8, v24
	v_ashrrev_i32_e32 v11, 31, v10
	v_ashrrev_i32_e32 v17, 31, v16
	;; [unrolled: 1-line block ×4, first 2 shown]
	v_lshlrev_b64 v[10:11], 3, v[10:11]
	v_lshlrev_b64 v[4:5], 3, v[16:17]
	;; [unrolled: 1-line block ×4, first 2 shown]
	v_add_nc_u32_e32 v8, s8, v8
	v_add_co_u32 v10, vcc_lo, v50, v10
	v_add_co_ci_u32_e64 v11, null, v51, v11, vcc_lo
	v_add_nc_u32_e32 v16, s8, v8
	v_add_co_u32 v4, vcc_lo, v50, v4
	v_add_co_ci_u32_e64 v5, null, v51, v5, vcc_lo
	v_add_co_u32 v12, vcc_lo, v50, v12
	v_ashrrev_i32_e32 v9, 31, v8
	v_add_nc_u32_e32 v38, s8, v16
	v_add_co_ci_u32_e64 v13, null, v51, v13, vcc_lo
	v_add_co_u32 v14, vcc_lo, v50, v14
	v_add_co_ci_u32_e64 v15, null, v51, v15, vcc_lo
	v_lshlrev_b64 v[36:37], 3, v[8:9]
	s_clause 0x3
	flat_load_dwordx2 v[26:27], v[10:11]
	flat_load_dwordx2 v[24:25], v[4:5]
	flat_load_dwordx2 v[8:9], v[12:13]
	flat_load_dwordx2 v[4:5], v[14:15]
	v_add_nc_u32_e32 v12, s8, v38
	v_ashrrev_i32_e32 v17, 31, v16
	v_ashrrev_i32_e32 v39, 31, v38
	v_add_co_u32 v14, vcc_lo, v50, v36
	v_add_nc_u32_e32 v36, s8, v12
	v_lshlrev_b64 v[10:11], 3, v[16:17]
	v_lshlrev_b64 v[16:17], 3, v[38:39]
	v_ashrrev_i32_e32 v13, 31, v12
	v_add_co_ci_u32_e64 v15, null, v51, v37, vcc_lo
	v_add_nc_u32_e32 v38, s8, v36
	v_ashrrev_i32_e32 v37, 31, v36
	v_lshlrev_b64 v[12:13], 3, v[12:13]
	v_add_co_u32 v10, vcc_lo, v50, v10
	v_add_nc_u32_e32 v42, s8, v38
	v_ashrrev_i32_e32 v39, 31, v38
	v_lshlrev_b64 v[36:37], 3, v[36:37]
	v_add_co_ci_u32_e64 v11, null, v51, v11, vcc_lo
	v_add_nc_u32_e32 v44, s8, v42
	v_add_co_u32 v16, vcc_lo, v50, v16
	v_lshlrev_b64 v[38:39], 3, v[38:39]
	v_ashrrev_i32_e32 v43, 31, v42
	v_add_co_ci_u32_e64 v17, null, v51, v17, vcc_lo
	v_add_co_u32 v12, vcc_lo, v50, v12
	v_ashrrev_i32_e32 v45, 31, v44
	v_add_co_ci_u32_e64 v13, null, v51, v13, vcc_lo
	v_add_co_u32 v46, vcc_lo, v50, v36
	v_add_co_ci_u32_e64 v47, null, v51, v37, vcc_lo
	v_lshlrev_b64 v[36:37], 3, v[42:43]
	v_add_co_u32 v48, vcc_lo, v50, v38
	v_add_co_ci_u32_e64 v49, null, v51, v39, vcc_lo
	v_lshlrev_b64 v[38:39], 3, v[44:45]
	v_add_co_u32 v44, vcc_lo, v50, v36
	v_add_co_ci_u32_e64 v45, null, v51, v37, vcc_lo
	v_add_co_u32 v52, vcc_lo, v50, v38
	v_add_co_ci_u32_e64 v53, null, v51, v39, vcc_lo
	s_clause 0x7
	flat_load_dwordx2 v[42:43], v[14:15]
	flat_load_dwordx2 v[38:39], v[10:11]
	;; [unrolled: 1-line block ×8, first 2 shown]
	v_lshl_add_u32 v52, v1, 3, 0
	v_mov_b32_e32 v48, 0
	v_lshlrev_b32_e32 v53, 3, v1
	v_add_nc_u32_e32 v46, v52, v54
	s_waitcnt vmcnt(19) lgkmcnt(19)
	ds_write_b64 v46, v[32:33]
	s_waitcnt vmcnt(0) lgkmcnt(0)
	s_barrier
	buffer_gl0_inv
	ds_read_b64 v[46:47], v52
	s_cbranch_scc1 .LBB38_6
; %bb.4:
	v_add3_u32 v1, v53, 0, 8
	v_mov_b32_e32 v48, 0
	s_mov_b32 s0, 1
.LBB38_5:                               ; =>This Inner Loop Header: Depth=1
	ds_read_b64 v[54:55], v1
	v_add_nc_u32_e32 v1, 8, v1
	s_waitcnt lgkmcnt(0)
	v_cmp_lt_f64_e64 vcc_lo, |v[46:47]|, |v[54:55]|
	v_cndmask_b32_e32 v47, v47, v55, vcc_lo
	v_cndmask_b32_e32 v46, v46, v54, vcc_lo
	v_cndmask_b32_e64 v48, v48, s0, vcc_lo
	s_add_i32 s0, s0, 1
	s_cmp_eq_u32 s2, s0
	s_cbranch_scc0 .LBB38_5
.LBB38_6:
	s_mov_b32 s0, exec_lo
                                        ; implicit-def: $vgpr55
	v_cmpx_ne_u32_e64 v0, v48
	s_xor_b32 s0, exec_lo, s0
	s_cbranch_execz .LBB38_12
; %bb.7:
	s_mov_b32 s1, exec_lo
	v_cmpx_eq_u32_e32 0, v0
	s_cbranch_execz .LBB38_11
; %bb.8:
	v_cmp_ne_u32_e32 vcc_lo, 0, v48
	s_xor_b32 s3, s6, -1
	s_and_b32 s7, s3, vcc_lo
	s_and_saveexec_b32 s3, s7
	s_cbranch_execz .LBB38_10
; %bb.9:
	v_ashrrev_i32_e32 v49, 31, v48
	v_lshlrev_b64 v[0:1], 2, v[48:49]
	v_add_co_u32 v0, vcc_lo, v40, v0
	v_add_co_ci_u32_e64 v1, null, v41, v1, vcc_lo
	s_clause 0x1
	global_load_dword v49, v[0:1], off
	global_load_dword v54, v[40:41], off
	s_waitcnt vmcnt(1)
	global_store_dword v[40:41], v49, off
	s_waitcnt vmcnt(0)
	global_store_dword v[0:1], v54, off
.LBB38_10:
	s_or_b32 exec_lo, exec_lo, s3
	v_mov_b32_e32 v0, v48
.LBB38_11:
	s_or_b32 exec_lo, exec_lo, s1
	v_mov_b32_e32 v55, v0
                                        ; implicit-def: $vgpr0
.LBB38_12:
	s_or_saveexec_b32 s0, s0
	v_mov_b32_e32 v49, v55
	s_xor_b32 exec_lo, exec_lo, s0
	s_cbranch_execz .LBB38_14
; %bb.13:
	v_mov_b32_e32 v55, 0
	v_mov_b32_e32 v49, v0
	ds_write2_b64 v52, v[28:29], v[30:31] offset0:1 offset1:2
	ds_write2_b64 v52, v[6:7], v[34:35] offset0:3 offset1:4
	;; [unrolled: 1-line block ×9, first 2 shown]
	ds_write_b64 v52, v[44:45] offset:152
.LBB38_14:
	s_or_b32 exec_lo, exec_lo, s0
	s_waitcnt lgkmcnt(0)
	v_cmp_eq_f64_e64 s0, 0, v[46:47]
	s_mov_b32 s1, exec_lo
	s_waitcnt_vscnt null, 0x0
	s_barrier
	buffer_gl0_inv
	v_cmpx_lt_i32_e32 0, v55
	s_cbranch_execz .LBB38_16
; %bb.15:
	v_div_scale_f64 v[0:1], null, v[46:47], v[46:47], 1.0
	v_div_scale_f64 v[60:61], vcc_lo, 1.0, v[46:47], 1.0
	v_rcp_f64_e32 v[56:57], v[0:1]
	v_fma_f64 v[58:59], -v[0:1], v[56:57], 1.0
	v_fma_f64 v[56:57], v[56:57], v[58:59], v[56:57]
	v_fma_f64 v[58:59], -v[0:1], v[56:57], 1.0
	v_fma_f64 v[56:57], v[56:57], v[58:59], v[56:57]
	v_mul_f64 v[58:59], v[60:61], v[56:57]
	v_fma_f64 v[0:1], -v[0:1], v[58:59], v[60:61]
	v_div_fmas_f64 v[0:1], v[0:1], v[56:57], v[58:59]
	v_div_fixup_f64 v[0:1], v[0:1], v[46:47], 1.0
	v_cndmask_b32_e64 v1, v1, v47, s0
	v_cndmask_b32_e64 v0, v0, v46, s0
	v_mul_f64 v[32:33], v[0:1], v[32:33]
	ds_read2_b64 v[56:59], v52 offset0:1 offset1:2
	ds_read2_b64 v[60:63], v52 offset0:3 offset1:4
	;; [unrolled: 1-line block ×9, first 2 shown]
	ds_read_b64 v[0:1], v52 offset:152
	s_waitcnt lgkmcnt(9)
	v_fma_f64 v[28:29], -v[32:33], v[56:57], v[28:29]
	v_fma_f64 v[30:31], -v[32:33], v[58:59], v[30:31]
	s_waitcnt lgkmcnt(8)
	v_fma_f64 v[6:7], -v[32:33], v[60:61], v[6:7]
	v_fma_f64 v[34:35], -v[32:33], v[62:63], v[34:35]
	;; [unrolled: 3-line block ×9, first 2 shown]
	s_waitcnt lgkmcnt(0)
	v_fma_f64 v[44:45], -v[32:33], v[0:1], v[44:45]
.LBB38_16:
	s_or_b32 exec_lo, exec_lo, s1
	v_lshl_add_u32 v0, v55, 3, v52
	s_barrier
	buffer_gl0_inv
	v_mov_b32_e32 v46, 1
	ds_write_b64 v0, v[28:29]
	s_waitcnt lgkmcnt(0)
	s_barrier
	buffer_gl0_inv
	ds_read_b64 v[0:1], v52 offset:8
	s_cmp_lt_i32 s2, 3
	s_cbranch_scc1 .LBB38_19
; %bb.17:
	v_add3_u32 v47, v53, 0, 16
	v_mov_b32_e32 v46, 1
	s_mov_b32 s1, 2
.LBB38_18:                              ; =>This Inner Loop Header: Depth=1
	ds_read_b64 v[56:57], v47
	v_add_nc_u32_e32 v47, 8, v47
	s_waitcnt lgkmcnt(0)
	v_cmp_lt_f64_e64 vcc_lo, |v[0:1]|, |v[56:57]|
	v_cndmask_b32_e32 v1, v1, v57, vcc_lo
	v_cndmask_b32_e32 v0, v0, v56, vcc_lo
	v_cndmask_b32_e64 v46, v46, s1, vcc_lo
	s_add_i32 s1, s1, 1
	s_cmp_lg_u32 s2, s1
	s_cbranch_scc1 .LBB38_18
.LBB38_19:
	s_mov_b32 s1, exec_lo
	v_cmpx_ne_u32_e64 v55, v46
	s_xor_b32 s1, exec_lo, s1
	s_cbranch_execz .LBB38_25
; %bb.20:
	s_mov_b32 s3, exec_lo
	v_cmpx_eq_u32_e32 1, v55
	s_cbranch_execz .LBB38_24
; %bb.21:
	v_cmp_ne_u32_e32 vcc_lo, 1, v46
	s_xor_b32 s7, s6, -1
	s_and_b32 s9, s7, vcc_lo
	s_and_saveexec_b32 s7, s9
	s_cbranch_execz .LBB38_23
; %bb.22:
	v_ashrrev_i32_e32 v47, 31, v46
	v_lshlrev_b64 v[47:48], 2, v[46:47]
	v_add_co_u32 v47, vcc_lo, v40, v47
	v_add_co_ci_u32_e64 v48, null, v41, v48, vcc_lo
	s_clause 0x1
	global_load_dword v49, v[47:48], off
	global_load_dword v54, v[40:41], off offset:4
	s_waitcnt vmcnt(1)
	global_store_dword v[40:41], v49, off offset:4
	s_waitcnt vmcnt(0)
	global_store_dword v[47:48], v54, off
.LBB38_23:
	s_or_b32 exec_lo, exec_lo, s7
	v_mov_b32_e32 v49, v46
	v_mov_b32_e32 v55, v46
.LBB38_24:
	s_or_b32 exec_lo, exec_lo, s3
.LBB38_25:
	s_andn2_saveexec_b32 s1, s1
	s_cbranch_execz .LBB38_27
; %bb.26:
	v_mov_b32_e32 v46, v30
	v_mov_b32_e32 v47, v31
	;; [unrolled: 1-line block ×20, first 2 shown]
	ds_write2_b64 v52, v[46:47], v[54:55] offset0:2 offset1:3
	ds_write2_b64 v52, v[56:57], v[58:59] offset0:4 offset1:5
	;; [unrolled: 1-line block ×5, first 2 shown]
	v_mov_b32_e32 v46, v42
	v_mov_b32_e32 v47, v43
	;; [unrolled: 1-line block ×15, first 2 shown]
	ds_write2_b64 v52, v[46:47], v[56:57] offset0:12 offset1:13
	ds_write2_b64 v52, v[58:59], v[60:61] offset0:14 offset1:15
	;; [unrolled: 1-line block ×4, first 2 shown]
.LBB38_27:
	s_or_b32 exec_lo, exec_lo, s1
	s_waitcnt lgkmcnt(0)
	v_cmp_neq_f64_e64 s1, 0, v[0:1]
	s_mov_b32 s3, exec_lo
	s_waitcnt_vscnt null, 0x0
	s_barrier
	buffer_gl0_inv
	v_cmpx_lt_i32_e32 1, v55
	s_cbranch_execz .LBB38_29
; %bb.28:
	v_div_scale_f64 v[46:47], null, v[0:1], v[0:1], 1.0
	v_div_scale_f64 v[60:61], vcc_lo, 1.0, v[0:1], 1.0
	v_rcp_f64_e32 v[56:57], v[46:47]
	v_fma_f64 v[58:59], -v[46:47], v[56:57], 1.0
	v_fma_f64 v[56:57], v[56:57], v[58:59], v[56:57]
	v_fma_f64 v[58:59], -v[46:47], v[56:57], 1.0
	v_fma_f64 v[56:57], v[56:57], v[58:59], v[56:57]
	v_mul_f64 v[58:59], v[60:61], v[56:57]
	v_fma_f64 v[46:47], -v[46:47], v[58:59], v[60:61]
	v_div_fmas_f64 v[46:47], v[46:47], v[56:57], v[58:59]
	ds_read2_b64 v[56:59], v52 offset0:2 offset1:3
	ds_read2_b64 v[60:63], v52 offset0:4 offset1:5
	;; [unrolled: 1-line block ×9, first 2 shown]
	v_div_fixup_f64 v[46:47], v[46:47], v[0:1], 1.0
	v_cndmask_b32_e64 v1, v1, v47, s1
	v_cndmask_b32_e64 v0, v0, v46, s1
	v_mul_f64 v[28:29], v[0:1], v[28:29]
	s_waitcnt lgkmcnt(8)
	v_fma_f64 v[30:31], -v[28:29], v[56:57], v[30:31]
	v_fma_f64 v[6:7], -v[28:29], v[58:59], v[6:7]
	s_waitcnt lgkmcnt(7)
	v_fma_f64 v[34:35], -v[28:29], v[60:61], v[34:35]
	v_fma_f64 v[22:23], -v[28:29], v[62:63], v[22:23]
	;; [unrolled: 3-line block ×9, first 2 shown]
.LBB38_29:
	s_or_b32 exec_lo, exec_lo, s3
	v_lshl_add_u32 v0, v55, 3, v52
	s_barrier
	buffer_gl0_inv
	v_mov_b32_e32 v46, 2
	ds_write_b64 v0, v[30:31]
	s_waitcnt lgkmcnt(0)
	s_barrier
	buffer_gl0_inv
	ds_read_b64 v[0:1], v52 offset:16
	s_cmp_lt_i32 s2, 4
	s_mov_b32 s3, 3
	s_cbranch_scc1 .LBB38_32
; %bb.30:
	v_add3_u32 v47, v53, 0, 24
	v_mov_b32_e32 v46, 2
.LBB38_31:                              ; =>This Inner Loop Header: Depth=1
	ds_read_b64 v[56:57], v47
	v_add_nc_u32_e32 v47, 8, v47
	s_waitcnt lgkmcnt(0)
	v_cmp_lt_f64_e64 vcc_lo, |v[0:1]|, |v[56:57]|
	v_cndmask_b32_e32 v1, v1, v57, vcc_lo
	v_cndmask_b32_e32 v0, v0, v56, vcc_lo
	v_cndmask_b32_e64 v46, v46, s3, vcc_lo
	s_add_i32 s3, s3, 1
	s_cmp_lg_u32 s2, s3
	s_cbranch_scc1 .LBB38_31
.LBB38_32:
	v_cndmask_b32_e64 v47, 2, 1, s0
	v_cndmask_b32_e64 v48, 0, 1, s0
	s_mov_b32 s0, exec_lo
	v_cndmask_b32_e64 v54, v47, v48, s1
	s_waitcnt lgkmcnt(0)
	v_cmpx_eq_f64_e32 0, v[0:1]
	s_xor_b32 s0, exec_lo, s0
; %bb.33:
	v_cmp_ne_u32_e32 vcc_lo, 0, v54
	v_cndmask_b32_e32 v54, 3, v54, vcc_lo
; %bb.34:
	s_andn2_saveexec_b32 s0, s0
	s_cbranch_execz .LBB38_36
; %bb.35:
	v_div_scale_f64 v[47:48], null, v[0:1], v[0:1], 1.0
	v_rcp_f64_e32 v[56:57], v[47:48]
	v_fma_f64 v[58:59], -v[47:48], v[56:57], 1.0
	v_fma_f64 v[56:57], v[56:57], v[58:59], v[56:57]
	v_fma_f64 v[58:59], -v[47:48], v[56:57], 1.0
	v_fma_f64 v[56:57], v[56:57], v[58:59], v[56:57]
	v_div_scale_f64 v[58:59], vcc_lo, 1.0, v[0:1], 1.0
	v_mul_f64 v[60:61], v[58:59], v[56:57]
	v_fma_f64 v[47:48], -v[47:48], v[60:61], v[58:59]
	v_div_fmas_f64 v[47:48], v[47:48], v[56:57], v[60:61]
	v_div_fixup_f64 v[0:1], v[47:48], v[0:1], 1.0
.LBB38_36:
	s_or_b32 exec_lo, exec_lo, s0
	s_mov_b32 s0, exec_lo
	v_cmpx_ne_u32_e64 v55, v46
	s_xor_b32 s0, exec_lo, s0
	s_cbranch_execz .LBB38_42
; %bb.37:
	s_mov_b32 s1, exec_lo
	v_cmpx_eq_u32_e32 2, v55
	s_cbranch_execz .LBB38_41
; %bb.38:
	v_cmp_ne_u32_e32 vcc_lo, 2, v46
	s_xor_b32 s3, s6, -1
	s_and_b32 s7, s3, vcc_lo
	s_and_saveexec_b32 s3, s7
	s_cbranch_execz .LBB38_40
; %bb.39:
	v_ashrrev_i32_e32 v47, 31, v46
	v_lshlrev_b64 v[47:48], 2, v[46:47]
	v_add_co_u32 v47, vcc_lo, v40, v47
	v_add_co_ci_u32_e64 v48, null, v41, v48, vcc_lo
	s_clause 0x1
	global_load_dword v49, v[47:48], off
	global_load_dword v55, v[40:41], off offset:8
	s_waitcnt vmcnt(1)
	global_store_dword v[40:41], v49, off offset:8
	s_waitcnt vmcnt(0)
	global_store_dword v[47:48], v55, off
.LBB38_40:
	s_or_b32 exec_lo, exec_lo, s3
	v_mov_b32_e32 v49, v46
	v_mov_b32_e32 v55, v46
.LBB38_41:
	s_or_b32 exec_lo, exec_lo, s1
.LBB38_42:
	s_andn2_saveexec_b32 s0, s0
	s_cbranch_execz .LBB38_44
; %bb.43:
	v_mov_b32_e32 v55, 2
	ds_write2_b64 v52, v[6:7], v[34:35] offset0:3 offset1:4
	ds_write2_b64 v52, v[22:23], v[20:21] offset0:5 offset1:6
	;; [unrolled: 1-line block ×8, first 2 shown]
	ds_write_b64 v52, v[44:45] offset:152
.LBB38_44:
	s_or_b32 exec_lo, exec_lo, s0
	s_mov_b32 s0, exec_lo
	s_waitcnt lgkmcnt(0)
	s_waitcnt_vscnt null, 0x0
	s_barrier
	buffer_gl0_inv
	v_cmpx_lt_i32_e32 2, v55
	s_cbranch_execz .LBB38_46
; %bb.45:
	v_mul_f64 v[30:31], v[0:1], v[30:31]
	ds_read2_b64 v[56:59], v52 offset0:3 offset1:4
	ds_read2_b64 v[60:63], v52 offset0:5 offset1:6
	;; [unrolled: 1-line block ×8, first 2 shown]
	ds_read_b64 v[0:1], v52 offset:152
	s_waitcnt lgkmcnt(8)
	v_fma_f64 v[6:7], -v[30:31], v[56:57], v[6:7]
	v_fma_f64 v[34:35], -v[30:31], v[58:59], v[34:35]
	s_waitcnt lgkmcnt(7)
	v_fma_f64 v[22:23], -v[30:31], v[60:61], v[22:23]
	v_fma_f64 v[20:21], -v[30:31], v[62:63], v[20:21]
	;; [unrolled: 3-line block ×8, first 2 shown]
	s_waitcnt lgkmcnt(0)
	v_fma_f64 v[44:45], -v[30:31], v[0:1], v[44:45]
.LBB38_46:
	s_or_b32 exec_lo, exec_lo, s0
	v_lshl_add_u32 v0, v55, 3, v52
	s_barrier
	buffer_gl0_inv
	v_mov_b32_e32 v46, 3
	ds_write_b64 v0, v[6:7]
	s_waitcnt lgkmcnt(0)
	s_barrier
	buffer_gl0_inv
	ds_read_b64 v[0:1], v52 offset:24
	s_cmp_lt_i32 s2, 5
	s_cbranch_scc1 .LBB38_49
; %bb.47:
	v_mov_b32_e32 v46, 3
	v_add3_u32 v47, v53, 0, 32
	s_mov_b32 s0, 4
.LBB38_48:                              ; =>This Inner Loop Header: Depth=1
	ds_read_b64 v[56:57], v47
	v_add_nc_u32_e32 v47, 8, v47
	s_waitcnt lgkmcnt(0)
	v_cmp_lt_f64_e64 vcc_lo, |v[0:1]|, |v[56:57]|
	v_cndmask_b32_e32 v1, v1, v57, vcc_lo
	v_cndmask_b32_e32 v0, v0, v56, vcc_lo
	v_cndmask_b32_e64 v46, v46, s0, vcc_lo
	s_add_i32 s0, s0, 1
	s_cmp_lg_u32 s2, s0
	s_cbranch_scc1 .LBB38_48
.LBB38_49:
	s_mov_b32 s0, exec_lo
	s_waitcnt lgkmcnt(0)
	v_cmpx_eq_f64_e32 0, v[0:1]
	s_xor_b32 s0, exec_lo, s0
; %bb.50:
	v_cmp_ne_u32_e32 vcc_lo, 0, v54
	v_cndmask_b32_e32 v54, 4, v54, vcc_lo
; %bb.51:
	s_andn2_saveexec_b32 s0, s0
	s_cbranch_execz .LBB38_53
; %bb.52:
	v_div_scale_f64 v[47:48], null, v[0:1], v[0:1], 1.0
	v_rcp_f64_e32 v[56:57], v[47:48]
	v_fma_f64 v[58:59], -v[47:48], v[56:57], 1.0
	v_fma_f64 v[56:57], v[56:57], v[58:59], v[56:57]
	v_fma_f64 v[58:59], -v[47:48], v[56:57], 1.0
	v_fma_f64 v[56:57], v[56:57], v[58:59], v[56:57]
	v_div_scale_f64 v[58:59], vcc_lo, 1.0, v[0:1], 1.0
	v_mul_f64 v[60:61], v[58:59], v[56:57]
	v_fma_f64 v[47:48], -v[47:48], v[60:61], v[58:59]
	v_div_fmas_f64 v[47:48], v[47:48], v[56:57], v[60:61]
	v_div_fixup_f64 v[0:1], v[47:48], v[0:1], 1.0
.LBB38_53:
	s_or_b32 exec_lo, exec_lo, s0
	s_mov_b32 s0, exec_lo
	v_cmpx_ne_u32_e64 v55, v46
	s_xor_b32 s0, exec_lo, s0
	s_cbranch_execz .LBB38_59
; %bb.54:
	s_mov_b32 s1, exec_lo
	v_cmpx_eq_u32_e32 3, v55
	s_cbranch_execz .LBB38_58
; %bb.55:
	v_cmp_ne_u32_e32 vcc_lo, 3, v46
	s_xor_b32 s3, s6, -1
	s_and_b32 s7, s3, vcc_lo
	s_and_saveexec_b32 s3, s7
	s_cbranch_execz .LBB38_57
; %bb.56:
	v_ashrrev_i32_e32 v47, 31, v46
	v_lshlrev_b64 v[47:48], 2, v[46:47]
	v_add_co_u32 v47, vcc_lo, v40, v47
	v_add_co_ci_u32_e64 v48, null, v41, v48, vcc_lo
	s_clause 0x1
	global_load_dword v49, v[47:48], off
	global_load_dword v55, v[40:41], off offset:12
	s_waitcnt vmcnt(1)
	global_store_dword v[40:41], v49, off offset:12
	s_waitcnt vmcnt(0)
	global_store_dword v[47:48], v55, off
.LBB38_57:
	s_or_b32 exec_lo, exec_lo, s3
	v_mov_b32_e32 v49, v46
	v_mov_b32_e32 v55, v46
.LBB38_58:
	s_or_b32 exec_lo, exec_lo, s1
.LBB38_59:
	s_andn2_saveexec_b32 s0, s0
	s_cbranch_execz .LBB38_61
; %bb.60:
	v_mov_b32_e32 v46, v34
	v_mov_b32_e32 v47, v35
	;; [unrolled: 1-line block ×16, first 2 shown]
	ds_write2_b64 v52, v[46:47], v[55:56] offset0:4 offset1:5
	ds_write2_b64 v52, v[57:58], v[59:60] offset0:6 offset1:7
	;; [unrolled: 1-line block ×4, first 2 shown]
	v_mov_b32_e32 v46, v42
	v_mov_b32_e32 v47, v43
	;; [unrolled: 1-line block ×15, first 2 shown]
	ds_write2_b64 v52, v[46:47], v[56:57] offset0:12 offset1:13
	ds_write2_b64 v52, v[58:59], v[60:61] offset0:14 offset1:15
	ds_write2_b64 v52, v[62:63], v[64:65] offset0:16 offset1:17
	ds_write2_b64 v52, v[66:67], v[44:45] offset0:18 offset1:19
.LBB38_61:
	s_or_b32 exec_lo, exec_lo, s0
	s_mov_b32 s0, exec_lo
	s_waitcnt lgkmcnt(0)
	s_waitcnt_vscnt null, 0x0
	s_barrier
	buffer_gl0_inv
	v_cmpx_lt_i32_e32 3, v55
	s_cbranch_execz .LBB38_63
; %bb.62:
	v_mul_f64 v[6:7], v[0:1], v[6:7]
	ds_read2_b64 v[56:59], v52 offset0:4 offset1:5
	ds_read2_b64 v[60:63], v52 offset0:6 offset1:7
	ds_read2_b64 v[64:67], v52 offset0:8 offset1:9
	ds_read2_b64 v[68:71], v52 offset0:10 offset1:11
	ds_read2_b64 v[72:75], v52 offset0:12 offset1:13
	ds_read2_b64 v[76:79], v52 offset0:14 offset1:15
	ds_read2_b64 v[80:83], v52 offset0:16 offset1:17
	ds_read2_b64 v[84:87], v52 offset0:18 offset1:19
	s_waitcnt lgkmcnt(7)
	v_fma_f64 v[34:35], -v[6:7], v[56:57], v[34:35]
	v_fma_f64 v[22:23], -v[6:7], v[58:59], v[22:23]
	s_waitcnt lgkmcnt(6)
	v_fma_f64 v[20:21], -v[6:7], v[60:61], v[20:21]
	v_fma_f64 v[18:19], -v[6:7], v[62:63], v[18:19]
	;; [unrolled: 3-line block ×8, first 2 shown]
.LBB38_63:
	s_or_b32 exec_lo, exec_lo, s0
	v_lshl_add_u32 v0, v55, 3, v52
	s_barrier
	buffer_gl0_inv
	v_mov_b32_e32 v46, 4
	ds_write_b64 v0, v[34:35]
	s_waitcnt lgkmcnt(0)
	s_barrier
	buffer_gl0_inv
	ds_read_b64 v[0:1], v52 offset:32
	s_cmp_lt_i32 s2, 6
	s_cbranch_scc1 .LBB38_66
; %bb.64:
	v_add3_u32 v47, v53, 0, 40
	v_mov_b32_e32 v46, 4
	s_mov_b32 s0, 5
.LBB38_65:                              ; =>This Inner Loop Header: Depth=1
	ds_read_b64 v[56:57], v47
	v_add_nc_u32_e32 v47, 8, v47
	s_waitcnt lgkmcnt(0)
	v_cmp_lt_f64_e64 vcc_lo, |v[0:1]|, |v[56:57]|
	v_cndmask_b32_e32 v1, v1, v57, vcc_lo
	v_cndmask_b32_e32 v0, v0, v56, vcc_lo
	v_cndmask_b32_e64 v46, v46, s0, vcc_lo
	s_add_i32 s0, s0, 1
	s_cmp_lg_u32 s2, s0
	s_cbranch_scc1 .LBB38_65
.LBB38_66:
	s_mov_b32 s0, exec_lo
	s_waitcnt lgkmcnt(0)
	v_cmpx_eq_f64_e32 0, v[0:1]
	s_xor_b32 s0, exec_lo, s0
; %bb.67:
	v_cmp_ne_u32_e32 vcc_lo, 0, v54
	v_cndmask_b32_e32 v54, 5, v54, vcc_lo
; %bb.68:
	s_andn2_saveexec_b32 s0, s0
	s_cbranch_execz .LBB38_70
; %bb.69:
	v_div_scale_f64 v[47:48], null, v[0:1], v[0:1], 1.0
	v_rcp_f64_e32 v[56:57], v[47:48]
	v_fma_f64 v[58:59], -v[47:48], v[56:57], 1.0
	v_fma_f64 v[56:57], v[56:57], v[58:59], v[56:57]
	v_fma_f64 v[58:59], -v[47:48], v[56:57], 1.0
	v_fma_f64 v[56:57], v[56:57], v[58:59], v[56:57]
	v_div_scale_f64 v[58:59], vcc_lo, 1.0, v[0:1], 1.0
	v_mul_f64 v[60:61], v[58:59], v[56:57]
	v_fma_f64 v[47:48], -v[47:48], v[60:61], v[58:59]
	v_div_fmas_f64 v[47:48], v[47:48], v[56:57], v[60:61]
	v_div_fixup_f64 v[0:1], v[47:48], v[0:1], 1.0
.LBB38_70:
	s_or_b32 exec_lo, exec_lo, s0
	s_mov_b32 s0, exec_lo
	v_cmpx_ne_u32_e64 v55, v46
	s_xor_b32 s0, exec_lo, s0
	s_cbranch_execz .LBB38_76
; %bb.71:
	s_mov_b32 s1, exec_lo
	v_cmpx_eq_u32_e32 4, v55
	s_cbranch_execz .LBB38_75
; %bb.72:
	v_cmp_ne_u32_e32 vcc_lo, 4, v46
	s_xor_b32 s3, s6, -1
	s_and_b32 s7, s3, vcc_lo
	s_and_saveexec_b32 s3, s7
	s_cbranch_execz .LBB38_74
; %bb.73:
	v_ashrrev_i32_e32 v47, 31, v46
	v_lshlrev_b64 v[47:48], 2, v[46:47]
	v_add_co_u32 v47, vcc_lo, v40, v47
	v_add_co_ci_u32_e64 v48, null, v41, v48, vcc_lo
	s_clause 0x1
	global_load_dword v49, v[47:48], off
	global_load_dword v55, v[40:41], off offset:16
	s_waitcnt vmcnt(1)
	global_store_dword v[40:41], v49, off offset:16
	s_waitcnt vmcnt(0)
	global_store_dword v[47:48], v55, off
.LBB38_74:
	s_or_b32 exec_lo, exec_lo, s3
	v_mov_b32_e32 v49, v46
	v_mov_b32_e32 v55, v46
.LBB38_75:
	s_or_b32 exec_lo, exec_lo, s1
.LBB38_76:
	s_andn2_saveexec_b32 s0, s0
	s_cbranch_execz .LBB38_78
; %bb.77:
	v_mov_b32_e32 v55, 4
	ds_write2_b64 v52, v[22:23], v[20:21] offset0:5 offset1:6
	ds_write2_b64 v52, v[18:19], v[26:27] offset0:7 offset1:8
	;; [unrolled: 1-line block ×7, first 2 shown]
	ds_write_b64 v52, v[44:45] offset:152
.LBB38_78:
	s_or_b32 exec_lo, exec_lo, s0
	s_mov_b32 s0, exec_lo
	s_waitcnt lgkmcnt(0)
	s_waitcnt_vscnt null, 0x0
	s_barrier
	buffer_gl0_inv
	v_cmpx_lt_i32_e32 4, v55
	s_cbranch_execz .LBB38_80
; %bb.79:
	v_mul_f64 v[34:35], v[0:1], v[34:35]
	ds_read2_b64 v[56:59], v52 offset0:5 offset1:6
	ds_read2_b64 v[60:63], v52 offset0:7 offset1:8
	ds_read2_b64 v[64:67], v52 offset0:9 offset1:10
	ds_read2_b64 v[68:71], v52 offset0:11 offset1:12
	ds_read2_b64 v[72:75], v52 offset0:13 offset1:14
	ds_read2_b64 v[76:79], v52 offset0:15 offset1:16
	ds_read2_b64 v[80:83], v52 offset0:17 offset1:18
	ds_read_b64 v[0:1], v52 offset:152
	s_waitcnt lgkmcnt(7)
	v_fma_f64 v[22:23], -v[34:35], v[56:57], v[22:23]
	v_fma_f64 v[20:21], -v[34:35], v[58:59], v[20:21]
	s_waitcnt lgkmcnt(6)
	v_fma_f64 v[18:19], -v[34:35], v[60:61], v[18:19]
	v_fma_f64 v[26:27], -v[34:35], v[62:63], v[26:27]
	;; [unrolled: 3-line block ×7, first 2 shown]
	s_waitcnt lgkmcnt(0)
	v_fma_f64 v[44:45], -v[34:35], v[0:1], v[44:45]
.LBB38_80:
	s_or_b32 exec_lo, exec_lo, s0
	v_lshl_add_u32 v0, v55, 3, v52
	s_barrier
	buffer_gl0_inv
	v_mov_b32_e32 v46, 5
	ds_write_b64 v0, v[22:23]
	s_waitcnt lgkmcnt(0)
	s_barrier
	buffer_gl0_inv
	ds_read_b64 v[0:1], v52 offset:40
	s_cmp_lt_i32 s2, 7
	s_cbranch_scc1 .LBB38_83
; %bb.81:
	v_add3_u32 v47, v53, 0, 48
	v_mov_b32_e32 v46, 5
	s_mov_b32 s0, 6
.LBB38_82:                              ; =>This Inner Loop Header: Depth=1
	ds_read_b64 v[56:57], v47
	v_add_nc_u32_e32 v47, 8, v47
	s_waitcnt lgkmcnt(0)
	v_cmp_lt_f64_e64 vcc_lo, |v[0:1]|, |v[56:57]|
	v_cndmask_b32_e32 v1, v1, v57, vcc_lo
	v_cndmask_b32_e32 v0, v0, v56, vcc_lo
	v_cndmask_b32_e64 v46, v46, s0, vcc_lo
	s_add_i32 s0, s0, 1
	s_cmp_lg_u32 s2, s0
	s_cbranch_scc1 .LBB38_82
.LBB38_83:
	s_mov_b32 s0, exec_lo
	s_waitcnt lgkmcnt(0)
	v_cmpx_eq_f64_e32 0, v[0:1]
	s_xor_b32 s0, exec_lo, s0
; %bb.84:
	v_cmp_ne_u32_e32 vcc_lo, 0, v54
	v_cndmask_b32_e32 v54, 6, v54, vcc_lo
; %bb.85:
	s_andn2_saveexec_b32 s0, s0
	s_cbranch_execz .LBB38_87
; %bb.86:
	v_div_scale_f64 v[47:48], null, v[0:1], v[0:1], 1.0
	v_rcp_f64_e32 v[56:57], v[47:48]
	v_fma_f64 v[58:59], -v[47:48], v[56:57], 1.0
	v_fma_f64 v[56:57], v[56:57], v[58:59], v[56:57]
	v_fma_f64 v[58:59], -v[47:48], v[56:57], 1.0
	v_fma_f64 v[56:57], v[56:57], v[58:59], v[56:57]
	v_div_scale_f64 v[58:59], vcc_lo, 1.0, v[0:1], 1.0
	v_mul_f64 v[60:61], v[58:59], v[56:57]
	v_fma_f64 v[47:48], -v[47:48], v[60:61], v[58:59]
	v_div_fmas_f64 v[47:48], v[47:48], v[56:57], v[60:61]
	v_div_fixup_f64 v[0:1], v[47:48], v[0:1], 1.0
.LBB38_87:
	s_or_b32 exec_lo, exec_lo, s0
	s_mov_b32 s0, exec_lo
	v_cmpx_ne_u32_e64 v55, v46
	s_xor_b32 s0, exec_lo, s0
	s_cbranch_execz .LBB38_93
; %bb.88:
	s_mov_b32 s1, exec_lo
	v_cmpx_eq_u32_e32 5, v55
	s_cbranch_execz .LBB38_92
; %bb.89:
	v_cmp_ne_u32_e32 vcc_lo, 5, v46
	s_xor_b32 s3, s6, -1
	s_and_b32 s7, s3, vcc_lo
	s_and_saveexec_b32 s3, s7
	s_cbranch_execz .LBB38_91
; %bb.90:
	v_ashrrev_i32_e32 v47, 31, v46
	v_lshlrev_b64 v[47:48], 2, v[46:47]
	v_add_co_u32 v47, vcc_lo, v40, v47
	v_add_co_ci_u32_e64 v48, null, v41, v48, vcc_lo
	s_clause 0x1
	global_load_dword v49, v[47:48], off
	global_load_dword v55, v[40:41], off offset:20
	s_waitcnt vmcnt(1)
	global_store_dword v[40:41], v49, off offset:20
	s_waitcnt vmcnt(0)
	global_store_dword v[47:48], v55, off
.LBB38_91:
	s_or_b32 exec_lo, exec_lo, s3
	v_mov_b32_e32 v49, v46
	v_mov_b32_e32 v55, v46
.LBB38_92:
	s_or_b32 exec_lo, exec_lo, s1
.LBB38_93:
	s_andn2_saveexec_b32 s0, s0
	s_cbranch_execz .LBB38_95
; %bb.94:
	v_mov_b32_e32 v46, v20
	v_mov_b32_e32 v47, v21
	v_mov_b32_e32 v55, v18
	v_mov_b32_e32 v56, v19
	v_mov_b32_e32 v57, v26
	v_mov_b32_e32 v58, v27
	v_mov_b32_e32 v59, v24
	v_mov_b32_e32 v60, v25
	v_mov_b32_e32 v61, v8
	v_mov_b32_e32 v62, v9
	v_mov_b32_e32 v63, v4
	v_mov_b32_e32 v64, v5
	ds_write2_b64 v52, v[46:47], v[55:56] offset0:6 offset1:7
	ds_write2_b64 v52, v[57:58], v[59:60] offset0:8 offset1:9
	;; [unrolled: 1-line block ×3, first 2 shown]
	v_mov_b32_e32 v46, v42
	v_mov_b32_e32 v47, v43
	;; [unrolled: 1-line block ×15, first 2 shown]
	ds_write2_b64 v52, v[46:47], v[56:57] offset0:12 offset1:13
	ds_write2_b64 v52, v[58:59], v[60:61] offset0:14 offset1:15
	;; [unrolled: 1-line block ×4, first 2 shown]
.LBB38_95:
	s_or_b32 exec_lo, exec_lo, s0
	s_mov_b32 s0, exec_lo
	s_waitcnt lgkmcnt(0)
	s_waitcnt_vscnt null, 0x0
	s_barrier
	buffer_gl0_inv
	v_cmpx_lt_i32_e32 5, v55
	s_cbranch_execz .LBB38_97
; %bb.96:
	v_mul_f64 v[22:23], v[0:1], v[22:23]
	ds_read2_b64 v[56:59], v52 offset0:6 offset1:7
	ds_read2_b64 v[60:63], v52 offset0:8 offset1:9
	;; [unrolled: 1-line block ×7, first 2 shown]
	s_waitcnt lgkmcnt(6)
	v_fma_f64 v[20:21], -v[22:23], v[56:57], v[20:21]
	v_fma_f64 v[18:19], -v[22:23], v[58:59], v[18:19]
	s_waitcnt lgkmcnt(5)
	v_fma_f64 v[26:27], -v[22:23], v[60:61], v[26:27]
	v_fma_f64 v[24:25], -v[22:23], v[62:63], v[24:25]
	;; [unrolled: 3-line block ×7, first 2 shown]
.LBB38_97:
	s_or_b32 exec_lo, exec_lo, s0
	v_lshl_add_u32 v0, v55, 3, v52
	s_barrier
	buffer_gl0_inv
	v_mov_b32_e32 v46, 6
	ds_write_b64 v0, v[20:21]
	s_waitcnt lgkmcnt(0)
	s_barrier
	buffer_gl0_inv
	ds_read_b64 v[0:1], v52 offset:48
	s_cmp_lt_i32 s2, 8
	s_cbranch_scc1 .LBB38_100
; %bb.98:
	v_add3_u32 v47, v53, 0, 56
	v_mov_b32_e32 v46, 6
	s_mov_b32 s0, 7
.LBB38_99:                              ; =>This Inner Loop Header: Depth=1
	ds_read_b64 v[56:57], v47
	v_add_nc_u32_e32 v47, 8, v47
	s_waitcnt lgkmcnt(0)
	v_cmp_lt_f64_e64 vcc_lo, |v[0:1]|, |v[56:57]|
	v_cndmask_b32_e32 v1, v1, v57, vcc_lo
	v_cndmask_b32_e32 v0, v0, v56, vcc_lo
	v_cndmask_b32_e64 v46, v46, s0, vcc_lo
	s_add_i32 s0, s0, 1
	s_cmp_lg_u32 s2, s0
	s_cbranch_scc1 .LBB38_99
.LBB38_100:
	s_mov_b32 s0, exec_lo
	s_waitcnt lgkmcnt(0)
	v_cmpx_eq_f64_e32 0, v[0:1]
	s_xor_b32 s0, exec_lo, s0
; %bb.101:
	v_cmp_ne_u32_e32 vcc_lo, 0, v54
	v_cndmask_b32_e32 v54, 7, v54, vcc_lo
; %bb.102:
	s_andn2_saveexec_b32 s0, s0
	s_cbranch_execz .LBB38_104
; %bb.103:
	v_div_scale_f64 v[47:48], null, v[0:1], v[0:1], 1.0
	v_rcp_f64_e32 v[56:57], v[47:48]
	v_fma_f64 v[58:59], -v[47:48], v[56:57], 1.0
	v_fma_f64 v[56:57], v[56:57], v[58:59], v[56:57]
	v_fma_f64 v[58:59], -v[47:48], v[56:57], 1.0
	v_fma_f64 v[56:57], v[56:57], v[58:59], v[56:57]
	v_div_scale_f64 v[58:59], vcc_lo, 1.0, v[0:1], 1.0
	v_mul_f64 v[60:61], v[58:59], v[56:57]
	v_fma_f64 v[47:48], -v[47:48], v[60:61], v[58:59]
	v_div_fmas_f64 v[47:48], v[47:48], v[56:57], v[60:61]
	v_div_fixup_f64 v[0:1], v[47:48], v[0:1], 1.0
.LBB38_104:
	s_or_b32 exec_lo, exec_lo, s0
	s_mov_b32 s0, exec_lo
	v_cmpx_ne_u32_e64 v55, v46
	s_xor_b32 s0, exec_lo, s0
	s_cbranch_execz .LBB38_110
; %bb.105:
	s_mov_b32 s1, exec_lo
	v_cmpx_eq_u32_e32 6, v55
	s_cbranch_execz .LBB38_109
; %bb.106:
	v_cmp_ne_u32_e32 vcc_lo, 6, v46
	s_xor_b32 s3, s6, -1
	s_and_b32 s7, s3, vcc_lo
	s_and_saveexec_b32 s3, s7
	s_cbranch_execz .LBB38_108
; %bb.107:
	v_ashrrev_i32_e32 v47, 31, v46
	v_lshlrev_b64 v[47:48], 2, v[46:47]
	v_add_co_u32 v47, vcc_lo, v40, v47
	v_add_co_ci_u32_e64 v48, null, v41, v48, vcc_lo
	s_clause 0x1
	global_load_dword v49, v[47:48], off
	global_load_dword v55, v[40:41], off offset:24
	s_waitcnt vmcnt(1)
	global_store_dword v[40:41], v49, off offset:24
	s_waitcnt vmcnt(0)
	global_store_dword v[47:48], v55, off
.LBB38_108:
	s_or_b32 exec_lo, exec_lo, s3
	v_mov_b32_e32 v49, v46
	v_mov_b32_e32 v55, v46
.LBB38_109:
	s_or_b32 exec_lo, exec_lo, s1
.LBB38_110:
	s_andn2_saveexec_b32 s0, s0
	s_cbranch_execz .LBB38_112
; %bb.111:
	v_mov_b32_e32 v55, 6
	ds_write2_b64 v52, v[18:19], v[26:27] offset0:7 offset1:8
	ds_write2_b64 v52, v[24:25], v[8:9] offset0:9 offset1:10
	;; [unrolled: 1-line block ×6, first 2 shown]
	ds_write_b64 v52, v[44:45] offset:152
.LBB38_112:
	s_or_b32 exec_lo, exec_lo, s0
	s_mov_b32 s0, exec_lo
	s_waitcnt lgkmcnt(0)
	s_waitcnt_vscnt null, 0x0
	s_barrier
	buffer_gl0_inv
	v_cmpx_lt_i32_e32 6, v55
	s_cbranch_execz .LBB38_114
; %bb.113:
	v_mul_f64 v[20:21], v[0:1], v[20:21]
	ds_read2_b64 v[56:59], v52 offset0:7 offset1:8
	ds_read2_b64 v[60:63], v52 offset0:9 offset1:10
	;; [unrolled: 1-line block ×6, first 2 shown]
	ds_read_b64 v[0:1], v52 offset:152
	s_waitcnt lgkmcnt(6)
	v_fma_f64 v[18:19], -v[20:21], v[56:57], v[18:19]
	v_fma_f64 v[26:27], -v[20:21], v[58:59], v[26:27]
	s_waitcnt lgkmcnt(5)
	v_fma_f64 v[24:25], -v[20:21], v[60:61], v[24:25]
	v_fma_f64 v[8:9], -v[20:21], v[62:63], v[8:9]
	;; [unrolled: 3-line block ×6, first 2 shown]
	s_waitcnt lgkmcnt(0)
	v_fma_f64 v[44:45], -v[20:21], v[0:1], v[44:45]
.LBB38_114:
	s_or_b32 exec_lo, exec_lo, s0
	v_lshl_add_u32 v0, v55, 3, v52
	s_barrier
	buffer_gl0_inv
	v_mov_b32_e32 v46, 7
	ds_write_b64 v0, v[18:19]
	s_waitcnt lgkmcnt(0)
	s_barrier
	buffer_gl0_inv
	ds_read_b64 v[0:1], v52 offset:56
	s_cmp_lt_i32 s2, 9
	s_cbranch_scc1 .LBB38_117
; %bb.115:
	v_add3_u32 v47, v53, 0, 64
	v_mov_b32_e32 v46, 7
	s_mov_b32 s0, 8
.LBB38_116:                             ; =>This Inner Loop Header: Depth=1
	ds_read_b64 v[56:57], v47
	v_add_nc_u32_e32 v47, 8, v47
	s_waitcnt lgkmcnt(0)
	v_cmp_lt_f64_e64 vcc_lo, |v[0:1]|, |v[56:57]|
	v_cndmask_b32_e32 v1, v1, v57, vcc_lo
	v_cndmask_b32_e32 v0, v0, v56, vcc_lo
	v_cndmask_b32_e64 v46, v46, s0, vcc_lo
	s_add_i32 s0, s0, 1
	s_cmp_lg_u32 s2, s0
	s_cbranch_scc1 .LBB38_116
.LBB38_117:
	s_mov_b32 s0, exec_lo
	s_waitcnt lgkmcnt(0)
	v_cmpx_eq_f64_e32 0, v[0:1]
	s_xor_b32 s0, exec_lo, s0
; %bb.118:
	v_cmp_ne_u32_e32 vcc_lo, 0, v54
	v_cndmask_b32_e32 v54, 8, v54, vcc_lo
; %bb.119:
	s_andn2_saveexec_b32 s0, s0
	s_cbranch_execz .LBB38_121
; %bb.120:
	v_div_scale_f64 v[47:48], null, v[0:1], v[0:1], 1.0
	v_rcp_f64_e32 v[56:57], v[47:48]
	v_fma_f64 v[58:59], -v[47:48], v[56:57], 1.0
	v_fma_f64 v[56:57], v[56:57], v[58:59], v[56:57]
	v_fma_f64 v[58:59], -v[47:48], v[56:57], 1.0
	v_fma_f64 v[56:57], v[56:57], v[58:59], v[56:57]
	v_div_scale_f64 v[58:59], vcc_lo, 1.0, v[0:1], 1.0
	v_mul_f64 v[60:61], v[58:59], v[56:57]
	v_fma_f64 v[47:48], -v[47:48], v[60:61], v[58:59]
	v_div_fmas_f64 v[47:48], v[47:48], v[56:57], v[60:61]
	v_div_fixup_f64 v[0:1], v[47:48], v[0:1], 1.0
.LBB38_121:
	s_or_b32 exec_lo, exec_lo, s0
	s_mov_b32 s0, exec_lo
	v_cmpx_ne_u32_e64 v55, v46
	s_xor_b32 s0, exec_lo, s0
	s_cbranch_execz .LBB38_127
; %bb.122:
	s_mov_b32 s1, exec_lo
	v_cmpx_eq_u32_e32 7, v55
	s_cbranch_execz .LBB38_126
; %bb.123:
	v_cmp_ne_u32_e32 vcc_lo, 7, v46
	s_xor_b32 s3, s6, -1
	s_and_b32 s7, s3, vcc_lo
	s_and_saveexec_b32 s3, s7
	s_cbranch_execz .LBB38_125
; %bb.124:
	v_ashrrev_i32_e32 v47, 31, v46
	v_lshlrev_b64 v[47:48], 2, v[46:47]
	v_add_co_u32 v47, vcc_lo, v40, v47
	v_add_co_ci_u32_e64 v48, null, v41, v48, vcc_lo
	s_clause 0x1
	global_load_dword v49, v[47:48], off
	global_load_dword v55, v[40:41], off offset:28
	s_waitcnt vmcnt(1)
	global_store_dword v[40:41], v49, off offset:28
	s_waitcnt vmcnt(0)
	global_store_dword v[47:48], v55, off
.LBB38_125:
	s_or_b32 exec_lo, exec_lo, s3
	v_mov_b32_e32 v49, v46
	v_mov_b32_e32 v55, v46
.LBB38_126:
	s_or_b32 exec_lo, exec_lo, s1
.LBB38_127:
	s_andn2_saveexec_b32 s0, s0
	s_cbranch_execz .LBB38_129
; %bb.128:
	v_mov_b32_e32 v46, v26
	v_mov_b32_e32 v47, v27
	;; [unrolled: 1-line block ×8, first 2 shown]
	ds_write2_b64 v52, v[46:47], v[55:56] offset0:8 offset1:9
	ds_write2_b64 v52, v[57:58], v[59:60] offset0:10 offset1:11
	v_mov_b32_e32 v46, v42
	v_mov_b32_e32 v47, v43
	;; [unrolled: 1-line block ×15, first 2 shown]
	ds_write2_b64 v52, v[46:47], v[56:57] offset0:12 offset1:13
	ds_write2_b64 v52, v[58:59], v[60:61] offset0:14 offset1:15
	;; [unrolled: 1-line block ×4, first 2 shown]
.LBB38_129:
	s_or_b32 exec_lo, exec_lo, s0
	s_mov_b32 s0, exec_lo
	s_waitcnt lgkmcnt(0)
	s_waitcnt_vscnt null, 0x0
	s_barrier
	buffer_gl0_inv
	v_cmpx_lt_i32_e32 7, v55
	s_cbranch_execz .LBB38_131
; %bb.130:
	v_mul_f64 v[18:19], v[0:1], v[18:19]
	ds_read2_b64 v[56:59], v52 offset0:8 offset1:9
	ds_read2_b64 v[60:63], v52 offset0:10 offset1:11
	;; [unrolled: 1-line block ×6, first 2 shown]
	s_waitcnt lgkmcnt(5)
	v_fma_f64 v[26:27], -v[18:19], v[56:57], v[26:27]
	v_fma_f64 v[24:25], -v[18:19], v[58:59], v[24:25]
	s_waitcnt lgkmcnt(4)
	v_fma_f64 v[8:9], -v[18:19], v[60:61], v[8:9]
	v_fma_f64 v[4:5], -v[18:19], v[62:63], v[4:5]
	;; [unrolled: 3-line block ×6, first 2 shown]
.LBB38_131:
	s_or_b32 exec_lo, exec_lo, s0
	v_lshl_add_u32 v0, v55, 3, v52
	s_barrier
	buffer_gl0_inv
	v_mov_b32_e32 v46, 8
	ds_write_b64 v0, v[26:27]
	s_waitcnt lgkmcnt(0)
	s_barrier
	buffer_gl0_inv
	ds_read_b64 v[0:1], v52 offset:64
	s_cmp_lt_i32 s2, 10
	s_cbranch_scc1 .LBB38_134
; %bb.132:
	v_add3_u32 v47, v53, 0, 0x48
	v_mov_b32_e32 v46, 8
	s_mov_b32 s0, 9
.LBB38_133:                             ; =>This Inner Loop Header: Depth=1
	ds_read_b64 v[56:57], v47
	v_add_nc_u32_e32 v47, 8, v47
	s_waitcnt lgkmcnt(0)
	v_cmp_lt_f64_e64 vcc_lo, |v[0:1]|, |v[56:57]|
	v_cndmask_b32_e32 v1, v1, v57, vcc_lo
	v_cndmask_b32_e32 v0, v0, v56, vcc_lo
	v_cndmask_b32_e64 v46, v46, s0, vcc_lo
	s_add_i32 s0, s0, 1
	s_cmp_lg_u32 s2, s0
	s_cbranch_scc1 .LBB38_133
.LBB38_134:
	s_mov_b32 s0, exec_lo
	s_waitcnt lgkmcnt(0)
	v_cmpx_eq_f64_e32 0, v[0:1]
	s_xor_b32 s0, exec_lo, s0
; %bb.135:
	v_cmp_ne_u32_e32 vcc_lo, 0, v54
	v_cndmask_b32_e32 v54, 9, v54, vcc_lo
; %bb.136:
	s_andn2_saveexec_b32 s0, s0
	s_cbranch_execz .LBB38_138
; %bb.137:
	v_div_scale_f64 v[47:48], null, v[0:1], v[0:1], 1.0
	v_rcp_f64_e32 v[56:57], v[47:48]
	v_fma_f64 v[58:59], -v[47:48], v[56:57], 1.0
	v_fma_f64 v[56:57], v[56:57], v[58:59], v[56:57]
	v_fma_f64 v[58:59], -v[47:48], v[56:57], 1.0
	v_fma_f64 v[56:57], v[56:57], v[58:59], v[56:57]
	v_div_scale_f64 v[58:59], vcc_lo, 1.0, v[0:1], 1.0
	v_mul_f64 v[60:61], v[58:59], v[56:57]
	v_fma_f64 v[47:48], -v[47:48], v[60:61], v[58:59]
	v_div_fmas_f64 v[47:48], v[47:48], v[56:57], v[60:61]
	v_div_fixup_f64 v[0:1], v[47:48], v[0:1], 1.0
.LBB38_138:
	s_or_b32 exec_lo, exec_lo, s0
	s_mov_b32 s0, exec_lo
	v_cmpx_ne_u32_e64 v55, v46
	s_xor_b32 s0, exec_lo, s0
	s_cbranch_execz .LBB38_144
; %bb.139:
	s_mov_b32 s1, exec_lo
	v_cmpx_eq_u32_e32 8, v55
	s_cbranch_execz .LBB38_143
; %bb.140:
	v_cmp_ne_u32_e32 vcc_lo, 8, v46
	s_xor_b32 s3, s6, -1
	s_and_b32 s7, s3, vcc_lo
	s_and_saveexec_b32 s3, s7
	s_cbranch_execz .LBB38_142
; %bb.141:
	v_ashrrev_i32_e32 v47, 31, v46
	v_lshlrev_b64 v[47:48], 2, v[46:47]
	v_add_co_u32 v47, vcc_lo, v40, v47
	v_add_co_ci_u32_e64 v48, null, v41, v48, vcc_lo
	s_clause 0x1
	global_load_dword v49, v[47:48], off
	global_load_dword v55, v[40:41], off offset:32
	s_waitcnt vmcnt(1)
	global_store_dword v[40:41], v49, off offset:32
	s_waitcnt vmcnt(0)
	global_store_dword v[47:48], v55, off
.LBB38_142:
	s_or_b32 exec_lo, exec_lo, s3
	v_mov_b32_e32 v49, v46
	v_mov_b32_e32 v55, v46
.LBB38_143:
	s_or_b32 exec_lo, exec_lo, s1
.LBB38_144:
	s_andn2_saveexec_b32 s0, s0
	s_cbranch_execz .LBB38_146
; %bb.145:
	v_mov_b32_e32 v55, 8
	ds_write2_b64 v52, v[24:25], v[8:9] offset0:9 offset1:10
	ds_write2_b64 v52, v[4:5], v[42:43] offset0:11 offset1:12
	;; [unrolled: 1-line block ×5, first 2 shown]
	ds_write_b64 v52, v[44:45] offset:152
.LBB38_146:
	s_or_b32 exec_lo, exec_lo, s0
	s_mov_b32 s0, exec_lo
	s_waitcnt lgkmcnt(0)
	s_waitcnt_vscnt null, 0x0
	s_barrier
	buffer_gl0_inv
	v_cmpx_lt_i32_e32 8, v55
	s_cbranch_execz .LBB38_148
; %bb.147:
	v_mul_f64 v[26:27], v[0:1], v[26:27]
	ds_read2_b64 v[56:59], v52 offset0:9 offset1:10
	ds_read2_b64 v[60:63], v52 offset0:11 offset1:12
	;; [unrolled: 1-line block ×5, first 2 shown]
	ds_read_b64 v[0:1], v52 offset:152
	s_waitcnt lgkmcnt(5)
	v_fma_f64 v[24:25], -v[26:27], v[56:57], v[24:25]
	v_fma_f64 v[8:9], -v[26:27], v[58:59], v[8:9]
	s_waitcnt lgkmcnt(4)
	v_fma_f64 v[4:5], -v[26:27], v[60:61], v[4:5]
	v_fma_f64 v[42:43], -v[26:27], v[62:63], v[42:43]
	;; [unrolled: 3-line block ×5, first 2 shown]
	s_waitcnt lgkmcnt(0)
	v_fma_f64 v[44:45], -v[26:27], v[0:1], v[44:45]
.LBB38_148:
	s_or_b32 exec_lo, exec_lo, s0
	v_lshl_add_u32 v0, v55, 3, v52
	s_barrier
	buffer_gl0_inv
	v_mov_b32_e32 v46, 9
	ds_write_b64 v0, v[24:25]
	s_waitcnt lgkmcnt(0)
	s_barrier
	buffer_gl0_inv
	ds_read_b64 v[0:1], v52 offset:72
	s_cmp_lt_i32 s2, 11
	s_cbranch_scc1 .LBB38_151
; %bb.149:
	v_add3_u32 v47, v53, 0, 0x50
	v_mov_b32_e32 v46, 9
	s_mov_b32 s0, 10
.LBB38_150:                             ; =>This Inner Loop Header: Depth=1
	ds_read_b64 v[56:57], v47
	v_add_nc_u32_e32 v47, 8, v47
	s_waitcnt lgkmcnt(0)
	v_cmp_lt_f64_e64 vcc_lo, |v[0:1]|, |v[56:57]|
	v_cndmask_b32_e32 v1, v1, v57, vcc_lo
	v_cndmask_b32_e32 v0, v0, v56, vcc_lo
	v_cndmask_b32_e64 v46, v46, s0, vcc_lo
	s_add_i32 s0, s0, 1
	s_cmp_lg_u32 s2, s0
	s_cbranch_scc1 .LBB38_150
.LBB38_151:
	s_mov_b32 s0, exec_lo
	s_waitcnt lgkmcnt(0)
	v_cmpx_eq_f64_e32 0, v[0:1]
	s_xor_b32 s0, exec_lo, s0
; %bb.152:
	v_cmp_ne_u32_e32 vcc_lo, 0, v54
	v_cndmask_b32_e32 v54, 10, v54, vcc_lo
; %bb.153:
	s_andn2_saveexec_b32 s0, s0
	s_cbranch_execz .LBB38_155
; %bb.154:
	v_div_scale_f64 v[47:48], null, v[0:1], v[0:1], 1.0
	v_rcp_f64_e32 v[56:57], v[47:48]
	v_fma_f64 v[58:59], -v[47:48], v[56:57], 1.0
	v_fma_f64 v[56:57], v[56:57], v[58:59], v[56:57]
	v_fma_f64 v[58:59], -v[47:48], v[56:57], 1.0
	v_fma_f64 v[56:57], v[56:57], v[58:59], v[56:57]
	v_div_scale_f64 v[58:59], vcc_lo, 1.0, v[0:1], 1.0
	v_mul_f64 v[60:61], v[58:59], v[56:57]
	v_fma_f64 v[47:48], -v[47:48], v[60:61], v[58:59]
	v_div_fmas_f64 v[47:48], v[47:48], v[56:57], v[60:61]
	v_div_fixup_f64 v[0:1], v[47:48], v[0:1], 1.0
.LBB38_155:
	s_or_b32 exec_lo, exec_lo, s0
	s_mov_b32 s0, exec_lo
	v_cmpx_ne_u32_e64 v55, v46
	s_xor_b32 s0, exec_lo, s0
	s_cbranch_execz .LBB38_161
; %bb.156:
	s_mov_b32 s1, exec_lo
	v_cmpx_eq_u32_e32 9, v55
	s_cbranch_execz .LBB38_160
; %bb.157:
	v_cmp_ne_u32_e32 vcc_lo, 9, v46
	s_xor_b32 s3, s6, -1
	s_and_b32 s7, s3, vcc_lo
	s_and_saveexec_b32 s3, s7
	s_cbranch_execz .LBB38_159
; %bb.158:
	v_ashrrev_i32_e32 v47, 31, v46
	v_lshlrev_b64 v[47:48], 2, v[46:47]
	v_add_co_u32 v47, vcc_lo, v40, v47
	v_add_co_ci_u32_e64 v48, null, v41, v48, vcc_lo
	s_clause 0x1
	global_load_dword v49, v[47:48], off
	global_load_dword v55, v[40:41], off offset:36
	s_waitcnt vmcnt(1)
	global_store_dword v[40:41], v49, off offset:36
	s_waitcnt vmcnt(0)
	global_store_dword v[47:48], v55, off
.LBB38_159:
	s_or_b32 exec_lo, exec_lo, s3
	v_mov_b32_e32 v49, v46
	v_mov_b32_e32 v55, v46
.LBB38_160:
	s_or_b32 exec_lo, exec_lo, s1
.LBB38_161:
	s_andn2_saveexec_b32 s0, s0
	s_cbranch_execz .LBB38_163
; %bb.162:
	v_mov_b32_e32 v46, v8
	v_mov_b32_e32 v47, v9
	;; [unrolled: 1-line block ×8, first 2 shown]
	ds_write2_b64 v52, v[46:47], v[55:56] offset0:10 offset1:11
	v_mov_b32_e32 v46, v38
	v_mov_b32_e32 v47, v39
	;; [unrolled: 1-line block ×11, first 2 shown]
	ds_write2_b64 v52, v[57:58], v[46:47] offset0:12 offset1:13
	ds_write2_b64 v52, v[59:60], v[61:62] offset0:14 offset1:15
	;; [unrolled: 1-line block ×4, first 2 shown]
.LBB38_163:
	s_or_b32 exec_lo, exec_lo, s0
	s_mov_b32 s0, exec_lo
	s_waitcnt lgkmcnt(0)
	s_waitcnt_vscnt null, 0x0
	s_barrier
	buffer_gl0_inv
	v_cmpx_lt_i32_e32 9, v55
	s_cbranch_execz .LBB38_165
; %bb.164:
	v_mul_f64 v[24:25], v[0:1], v[24:25]
	ds_read2_b64 v[56:59], v52 offset0:10 offset1:11
	ds_read2_b64 v[60:63], v52 offset0:12 offset1:13
	;; [unrolled: 1-line block ×5, first 2 shown]
	s_waitcnt lgkmcnt(4)
	v_fma_f64 v[8:9], -v[24:25], v[56:57], v[8:9]
	v_fma_f64 v[4:5], -v[24:25], v[58:59], v[4:5]
	s_waitcnt lgkmcnt(3)
	v_fma_f64 v[42:43], -v[24:25], v[60:61], v[42:43]
	v_fma_f64 v[38:39], -v[24:25], v[62:63], v[38:39]
	;; [unrolled: 3-line block ×5, first 2 shown]
.LBB38_165:
	s_or_b32 exec_lo, exec_lo, s0
	v_lshl_add_u32 v0, v55, 3, v52
	s_barrier
	buffer_gl0_inv
	v_mov_b32_e32 v46, 10
	ds_write_b64 v0, v[8:9]
	s_waitcnt lgkmcnt(0)
	s_barrier
	buffer_gl0_inv
	ds_read_b64 v[0:1], v52 offset:80
	s_cmp_lt_i32 s2, 12
	s_cbranch_scc1 .LBB38_168
; %bb.166:
	v_add3_u32 v47, v53, 0, 0x58
	v_mov_b32_e32 v46, 10
	s_mov_b32 s0, 11
.LBB38_167:                             ; =>This Inner Loop Header: Depth=1
	ds_read_b64 v[56:57], v47
	v_add_nc_u32_e32 v47, 8, v47
	s_waitcnt lgkmcnt(0)
	v_cmp_lt_f64_e64 vcc_lo, |v[0:1]|, |v[56:57]|
	v_cndmask_b32_e32 v1, v1, v57, vcc_lo
	v_cndmask_b32_e32 v0, v0, v56, vcc_lo
	v_cndmask_b32_e64 v46, v46, s0, vcc_lo
	s_add_i32 s0, s0, 1
	s_cmp_lg_u32 s2, s0
	s_cbranch_scc1 .LBB38_167
.LBB38_168:
	s_mov_b32 s0, exec_lo
	s_waitcnt lgkmcnt(0)
	v_cmpx_eq_f64_e32 0, v[0:1]
	s_xor_b32 s0, exec_lo, s0
; %bb.169:
	v_cmp_ne_u32_e32 vcc_lo, 0, v54
	v_cndmask_b32_e32 v54, 11, v54, vcc_lo
; %bb.170:
	s_andn2_saveexec_b32 s0, s0
	s_cbranch_execz .LBB38_172
; %bb.171:
	v_div_scale_f64 v[47:48], null, v[0:1], v[0:1], 1.0
	v_rcp_f64_e32 v[56:57], v[47:48]
	v_fma_f64 v[58:59], -v[47:48], v[56:57], 1.0
	v_fma_f64 v[56:57], v[56:57], v[58:59], v[56:57]
	v_fma_f64 v[58:59], -v[47:48], v[56:57], 1.0
	v_fma_f64 v[56:57], v[56:57], v[58:59], v[56:57]
	v_div_scale_f64 v[58:59], vcc_lo, 1.0, v[0:1], 1.0
	v_mul_f64 v[60:61], v[58:59], v[56:57]
	v_fma_f64 v[47:48], -v[47:48], v[60:61], v[58:59]
	v_div_fmas_f64 v[47:48], v[47:48], v[56:57], v[60:61]
	v_div_fixup_f64 v[0:1], v[47:48], v[0:1], 1.0
.LBB38_172:
	s_or_b32 exec_lo, exec_lo, s0
	s_mov_b32 s0, exec_lo
	v_cmpx_ne_u32_e64 v55, v46
	s_xor_b32 s0, exec_lo, s0
	s_cbranch_execz .LBB38_178
; %bb.173:
	s_mov_b32 s1, exec_lo
	v_cmpx_eq_u32_e32 10, v55
	s_cbranch_execz .LBB38_177
; %bb.174:
	v_cmp_ne_u32_e32 vcc_lo, 10, v46
	s_xor_b32 s3, s6, -1
	s_and_b32 s7, s3, vcc_lo
	s_and_saveexec_b32 s3, s7
	s_cbranch_execz .LBB38_176
; %bb.175:
	v_ashrrev_i32_e32 v47, 31, v46
	v_lshlrev_b64 v[47:48], 2, v[46:47]
	v_add_co_u32 v47, vcc_lo, v40, v47
	v_add_co_ci_u32_e64 v48, null, v41, v48, vcc_lo
	s_clause 0x1
	global_load_dword v49, v[47:48], off
	global_load_dword v55, v[40:41], off offset:40
	s_waitcnt vmcnt(1)
	global_store_dword v[40:41], v49, off offset:40
	s_waitcnt vmcnt(0)
	global_store_dword v[47:48], v55, off
.LBB38_176:
	s_or_b32 exec_lo, exec_lo, s3
	v_mov_b32_e32 v49, v46
	v_mov_b32_e32 v55, v46
.LBB38_177:
	s_or_b32 exec_lo, exec_lo, s1
.LBB38_178:
	s_andn2_saveexec_b32 s0, s0
	s_cbranch_execz .LBB38_180
; %bb.179:
	v_mov_b32_e32 v55, 10
	ds_write2_b64 v52, v[4:5], v[42:43] offset0:11 offset1:12
	ds_write2_b64 v52, v[38:39], v[36:37] offset0:13 offset1:14
	;; [unrolled: 1-line block ×4, first 2 shown]
	ds_write_b64 v52, v[44:45] offset:152
.LBB38_180:
	s_or_b32 exec_lo, exec_lo, s0
	s_mov_b32 s0, exec_lo
	s_waitcnt lgkmcnt(0)
	s_waitcnt_vscnt null, 0x0
	s_barrier
	buffer_gl0_inv
	v_cmpx_lt_i32_e32 10, v55
	s_cbranch_execz .LBB38_182
; %bb.181:
	v_mul_f64 v[8:9], v[0:1], v[8:9]
	ds_read2_b64 v[56:59], v52 offset0:11 offset1:12
	ds_read2_b64 v[60:63], v52 offset0:13 offset1:14
	ds_read2_b64 v[64:67], v52 offset0:15 offset1:16
	ds_read2_b64 v[68:71], v52 offset0:17 offset1:18
	ds_read_b64 v[0:1], v52 offset:152
	s_waitcnt lgkmcnt(4)
	v_fma_f64 v[4:5], -v[8:9], v[56:57], v[4:5]
	v_fma_f64 v[42:43], -v[8:9], v[58:59], v[42:43]
	s_waitcnt lgkmcnt(3)
	v_fma_f64 v[38:39], -v[8:9], v[60:61], v[38:39]
	v_fma_f64 v[36:37], -v[8:9], v[62:63], v[36:37]
	;; [unrolled: 3-line block ×4, first 2 shown]
	s_waitcnt lgkmcnt(0)
	v_fma_f64 v[44:45], -v[8:9], v[0:1], v[44:45]
.LBB38_182:
	s_or_b32 exec_lo, exec_lo, s0
	v_lshl_add_u32 v0, v55, 3, v52
	s_barrier
	buffer_gl0_inv
	v_mov_b32_e32 v46, 11
	ds_write_b64 v0, v[4:5]
	s_waitcnt lgkmcnt(0)
	s_barrier
	buffer_gl0_inv
	ds_read_b64 v[0:1], v52 offset:88
	s_cmp_lt_i32 s2, 13
	s_cbranch_scc1 .LBB38_185
; %bb.183:
	v_add3_u32 v47, v53, 0, 0x60
	v_mov_b32_e32 v46, 11
	s_mov_b32 s0, 12
.LBB38_184:                             ; =>This Inner Loop Header: Depth=1
	ds_read_b64 v[56:57], v47
	v_add_nc_u32_e32 v47, 8, v47
	s_waitcnt lgkmcnt(0)
	v_cmp_lt_f64_e64 vcc_lo, |v[0:1]|, |v[56:57]|
	v_cndmask_b32_e32 v1, v1, v57, vcc_lo
	v_cndmask_b32_e32 v0, v0, v56, vcc_lo
	v_cndmask_b32_e64 v46, v46, s0, vcc_lo
	s_add_i32 s0, s0, 1
	s_cmp_lg_u32 s2, s0
	s_cbranch_scc1 .LBB38_184
.LBB38_185:
	s_mov_b32 s0, exec_lo
	s_waitcnt lgkmcnt(0)
	v_cmpx_eq_f64_e32 0, v[0:1]
	s_xor_b32 s0, exec_lo, s0
; %bb.186:
	v_cmp_ne_u32_e32 vcc_lo, 0, v54
	v_cndmask_b32_e32 v54, 12, v54, vcc_lo
; %bb.187:
	s_andn2_saveexec_b32 s0, s0
	s_cbranch_execz .LBB38_189
; %bb.188:
	v_div_scale_f64 v[47:48], null, v[0:1], v[0:1], 1.0
	v_rcp_f64_e32 v[56:57], v[47:48]
	v_fma_f64 v[58:59], -v[47:48], v[56:57], 1.0
	v_fma_f64 v[56:57], v[56:57], v[58:59], v[56:57]
	v_fma_f64 v[58:59], -v[47:48], v[56:57], 1.0
	v_fma_f64 v[56:57], v[56:57], v[58:59], v[56:57]
	v_div_scale_f64 v[58:59], vcc_lo, 1.0, v[0:1], 1.0
	v_mul_f64 v[60:61], v[58:59], v[56:57]
	v_fma_f64 v[47:48], -v[47:48], v[60:61], v[58:59]
	v_div_fmas_f64 v[47:48], v[47:48], v[56:57], v[60:61]
	v_div_fixup_f64 v[0:1], v[47:48], v[0:1], 1.0
.LBB38_189:
	s_or_b32 exec_lo, exec_lo, s0
	s_mov_b32 s0, exec_lo
	v_cmpx_ne_u32_e64 v55, v46
	s_xor_b32 s0, exec_lo, s0
	s_cbranch_execz .LBB38_195
; %bb.190:
	s_mov_b32 s1, exec_lo
	v_cmpx_eq_u32_e32 11, v55
	s_cbranch_execz .LBB38_194
; %bb.191:
	v_cmp_ne_u32_e32 vcc_lo, 11, v46
	s_xor_b32 s3, s6, -1
	s_and_b32 s7, s3, vcc_lo
	s_and_saveexec_b32 s3, s7
	s_cbranch_execz .LBB38_193
; %bb.192:
	v_ashrrev_i32_e32 v47, 31, v46
	v_lshlrev_b64 v[47:48], 2, v[46:47]
	v_add_co_u32 v47, vcc_lo, v40, v47
	v_add_co_ci_u32_e64 v48, null, v41, v48, vcc_lo
	s_clause 0x1
	global_load_dword v49, v[47:48], off
	global_load_dword v55, v[40:41], off offset:44
	s_waitcnt vmcnt(1)
	global_store_dword v[40:41], v49, off offset:44
	s_waitcnt vmcnt(0)
	global_store_dword v[47:48], v55, off
.LBB38_193:
	s_or_b32 exec_lo, exec_lo, s3
	v_mov_b32_e32 v49, v46
	v_mov_b32_e32 v55, v46
.LBB38_194:
	s_or_b32 exec_lo, exec_lo, s1
.LBB38_195:
	s_andn2_saveexec_b32 s0, s0
	s_cbranch_execz .LBB38_197
; %bb.196:
	v_mov_b32_e32 v46, v42
	v_mov_b32_e32 v47, v43
	;; [unrolled: 1-line block ×15, first 2 shown]
	ds_write2_b64 v52, v[46:47], v[56:57] offset0:12 offset1:13
	ds_write2_b64 v52, v[58:59], v[60:61] offset0:14 offset1:15
	;; [unrolled: 1-line block ×4, first 2 shown]
.LBB38_197:
	s_or_b32 exec_lo, exec_lo, s0
	s_mov_b32 s0, exec_lo
	s_waitcnt lgkmcnt(0)
	s_waitcnt_vscnt null, 0x0
	s_barrier
	buffer_gl0_inv
	v_cmpx_lt_i32_e32 11, v55
	s_cbranch_execz .LBB38_199
; %bb.198:
	v_mul_f64 v[4:5], v[0:1], v[4:5]
	ds_read2_b64 v[56:59], v52 offset0:12 offset1:13
	ds_read2_b64 v[60:63], v52 offset0:14 offset1:15
	;; [unrolled: 1-line block ×4, first 2 shown]
	s_waitcnt lgkmcnt(3)
	v_fma_f64 v[42:43], -v[4:5], v[56:57], v[42:43]
	v_fma_f64 v[38:39], -v[4:5], v[58:59], v[38:39]
	s_waitcnt lgkmcnt(2)
	v_fma_f64 v[36:37], -v[4:5], v[60:61], v[36:37]
	v_fma_f64 v[12:13], -v[4:5], v[62:63], v[12:13]
	;; [unrolled: 3-line block ×4, first 2 shown]
.LBB38_199:
	s_or_b32 exec_lo, exec_lo, s0
	v_lshl_add_u32 v0, v55, 3, v52
	s_barrier
	buffer_gl0_inv
	v_mov_b32_e32 v46, 12
	ds_write_b64 v0, v[42:43]
	s_waitcnt lgkmcnt(0)
	s_barrier
	buffer_gl0_inv
	ds_read_b64 v[0:1], v52 offset:96
	s_cmp_lt_i32 s2, 14
	s_cbranch_scc1 .LBB38_202
; %bb.200:
	v_add3_u32 v47, v53, 0, 0x68
	v_mov_b32_e32 v46, 12
	s_mov_b32 s0, 13
.LBB38_201:                             ; =>This Inner Loop Header: Depth=1
	ds_read_b64 v[56:57], v47
	v_add_nc_u32_e32 v47, 8, v47
	s_waitcnt lgkmcnt(0)
	v_cmp_lt_f64_e64 vcc_lo, |v[0:1]|, |v[56:57]|
	v_cndmask_b32_e32 v1, v1, v57, vcc_lo
	v_cndmask_b32_e32 v0, v0, v56, vcc_lo
	v_cndmask_b32_e64 v46, v46, s0, vcc_lo
	s_add_i32 s0, s0, 1
	s_cmp_lg_u32 s2, s0
	s_cbranch_scc1 .LBB38_201
.LBB38_202:
	s_mov_b32 s0, exec_lo
	s_waitcnt lgkmcnt(0)
	v_cmpx_eq_f64_e32 0, v[0:1]
	s_xor_b32 s0, exec_lo, s0
; %bb.203:
	v_cmp_ne_u32_e32 vcc_lo, 0, v54
	v_cndmask_b32_e32 v54, 13, v54, vcc_lo
; %bb.204:
	s_andn2_saveexec_b32 s0, s0
	s_cbranch_execz .LBB38_206
; %bb.205:
	v_div_scale_f64 v[47:48], null, v[0:1], v[0:1], 1.0
	v_rcp_f64_e32 v[56:57], v[47:48]
	v_fma_f64 v[58:59], -v[47:48], v[56:57], 1.0
	v_fma_f64 v[56:57], v[56:57], v[58:59], v[56:57]
	v_fma_f64 v[58:59], -v[47:48], v[56:57], 1.0
	v_fma_f64 v[56:57], v[56:57], v[58:59], v[56:57]
	v_div_scale_f64 v[58:59], vcc_lo, 1.0, v[0:1], 1.0
	v_mul_f64 v[60:61], v[58:59], v[56:57]
	v_fma_f64 v[47:48], -v[47:48], v[60:61], v[58:59]
	v_div_fmas_f64 v[47:48], v[47:48], v[56:57], v[60:61]
	v_div_fixup_f64 v[0:1], v[47:48], v[0:1], 1.0
.LBB38_206:
	s_or_b32 exec_lo, exec_lo, s0
	s_mov_b32 s0, exec_lo
	v_cmpx_ne_u32_e64 v55, v46
	s_xor_b32 s0, exec_lo, s0
	s_cbranch_execz .LBB38_212
; %bb.207:
	s_mov_b32 s1, exec_lo
	v_cmpx_eq_u32_e32 12, v55
	s_cbranch_execz .LBB38_211
; %bb.208:
	v_cmp_ne_u32_e32 vcc_lo, 12, v46
	s_xor_b32 s3, s6, -1
	s_and_b32 s7, s3, vcc_lo
	s_and_saveexec_b32 s3, s7
	s_cbranch_execz .LBB38_210
; %bb.209:
	v_ashrrev_i32_e32 v47, 31, v46
	v_lshlrev_b64 v[47:48], 2, v[46:47]
	v_add_co_u32 v47, vcc_lo, v40, v47
	v_add_co_ci_u32_e64 v48, null, v41, v48, vcc_lo
	s_clause 0x1
	global_load_dword v49, v[47:48], off
	global_load_dword v55, v[40:41], off offset:48
	s_waitcnt vmcnt(1)
	global_store_dword v[40:41], v49, off offset:48
	s_waitcnt vmcnt(0)
	global_store_dword v[47:48], v55, off
.LBB38_210:
	s_or_b32 exec_lo, exec_lo, s3
	v_mov_b32_e32 v49, v46
	v_mov_b32_e32 v55, v46
.LBB38_211:
	s_or_b32 exec_lo, exec_lo, s1
.LBB38_212:
	s_andn2_saveexec_b32 s0, s0
	s_cbranch_execz .LBB38_214
; %bb.213:
	v_mov_b32_e32 v55, 12
	ds_write2_b64 v52, v[38:39], v[36:37] offset0:13 offset1:14
	ds_write2_b64 v52, v[12:13], v[16:17] offset0:15 offset1:16
	ds_write2_b64 v52, v[10:11], v[14:15] offset0:17 offset1:18
	ds_write_b64 v52, v[44:45] offset:152
.LBB38_214:
	s_or_b32 exec_lo, exec_lo, s0
	s_mov_b32 s0, exec_lo
	s_waitcnt lgkmcnt(0)
	s_waitcnt_vscnt null, 0x0
	s_barrier
	buffer_gl0_inv
	v_cmpx_lt_i32_e32 12, v55
	s_cbranch_execz .LBB38_216
; %bb.215:
	v_mul_f64 v[42:43], v[0:1], v[42:43]
	ds_read2_b64 v[56:59], v52 offset0:13 offset1:14
	ds_read2_b64 v[60:63], v52 offset0:15 offset1:16
	;; [unrolled: 1-line block ×3, first 2 shown]
	ds_read_b64 v[0:1], v52 offset:152
	s_waitcnt lgkmcnt(3)
	v_fma_f64 v[38:39], -v[42:43], v[56:57], v[38:39]
	v_fma_f64 v[36:37], -v[42:43], v[58:59], v[36:37]
	s_waitcnt lgkmcnt(2)
	v_fma_f64 v[12:13], -v[42:43], v[60:61], v[12:13]
	v_fma_f64 v[16:17], -v[42:43], v[62:63], v[16:17]
	s_waitcnt lgkmcnt(1)
	v_fma_f64 v[10:11], -v[42:43], v[64:65], v[10:11]
	v_fma_f64 v[14:15], -v[42:43], v[66:67], v[14:15]
	s_waitcnt lgkmcnt(0)
	v_fma_f64 v[44:45], -v[42:43], v[0:1], v[44:45]
.LBB38_216:
	s_or_b32 exec_lo, exec_lo, s0
	v_lshl_add_u32 v0, v55, 3, v52
	s_barrier
	buffer_gl0_inv
	v_mov_b32_e32 v46, 13
	ds_write_b64 v0, v[38:39]
	s_waitcnt lgkmcnt(0)
	s_barrier
	buffer_gl0_inv
	ds_read_b64 v[0:1], v52 offset:104
	s_cmp_lt_i32 s2, 15
	s_cbranch_scc1 .LBB38_219
; %bb.217:
	v_add3_u32 v47, v53, 0, 0x70
	v_mov_b32_e32 v46, 13
	s_mov_b32 s0, 14
.LBB38_218:                             ; =>This Inner Loop Header: Depth=1
	ds_read_b64 v[56:57], v47
	v_add_nc_u32_e32 v47, 8, v47
	s_waitcnt lgkmcnt(0)
	v_cmp_lt_f64_e64 vcc_lo, |v[0:1]|, |v[56:57]|
	v_cndmask_b32_e32 v1, v1, v57, vcc_lo
	v_cndmask_b32_e32 v0, v0, v56, vcc_lo
	v_cndmask_b32_e64 v46, v46, s0, vcc_lo
	s_add_i32 s0, s0, 1
	s_cmp_lg_u32 s2, s0
	s_cbranch_scc1 .LBB38_218
.LBB38_219:
	s_mov_b32 s0, exec_lo
	s_waitcnt lgkmcnt(0)
	v_cmpx_eq_f64_e32 0, v[0:1]
	s_xor_b32 s0, exec_lo, s0
; %bb.220:
	v_cmp_ne_u32_e32 vcc_lo, 0, v54
	v_cndmask_b32_e32 v54, 14, v54, vcc_lo
; %bb.221:
	s_andn2_saveexec_b32 s0, s0
	s_cbranch_execz .LBB38_223
; %bb.222:
	v_div_scale_f64 v[47:48], null, v[0:1], v[0:1], 1.0
	v_rcp_f64_e32 v[56:57], v[47:48]
	v_fma_f64 v[58:59], -v[47:48], v[56:57], 1.0
	v_fma_f64 v[56:57], v[56:57], v[58:59], v[56:57]
	v_fma_f64 v[58:59], -v[47:48], v[56:57], 1.0
	v_fma_f64 v[56:57], v[56:57], v[58:59], v[56:57]
	v_div_scale_f64 v[58:59], vcc_lo, 1.0, v[0:1], 1.0
	v_mul_f64 v[60:61], v[58:59], v[56:57]
	v_fma_f64 v[47:48], -v[47:48], v[60:61], v[58:59]
	v_div_fmas_f64 v[47:48], v[47:48], v[56:57], v[60:61]
	v_div_fixup_f64 v[0:1], v[47:48], v[0:1], 1.0
.LBB38_223:
	s_or_b32 exec_lo, exec_lo, s0
	s_mov_b32 s0, exec_lo
	v_cmpx_ne_u32_e64 v55, v46
	s_xor_b32 s0, exec_lo, s0
	s_cbranch_execz .LBB38_229
; %bb.224:
	s_mov_b32 s1, exec_lo
	v_cmpx_eq_u32_e32 13, v55
	s_cbranch_execz .LBB38_228
; %bb.225:
	v_cmp_ne_u32_e32 vcc_lo, 13, v46
	s_xor_b32 s3, s6, -1
	s_and_b32 s7, s3, vcc_lo
	s_and_saveexec_b32 s3, s7
	s_cbranch_execz .LBB38_227
; %bb.226:
	v_ashrrev_i32_e32 v47, 31, v46
	v_lshlrev_b64 v[47:48], 2, v[46:47]
	v_add_co_u32 v47, vcc_lo, v40, v47
	v_add_co_ci_u32_e64 v48, null, v41, v48, vcc_lo
	s_clause 0x1
	global_load_dword v49, v[47:48], off
	global_load_dword v55, v[40:41], off offset:52
	s_waitcnt vmcnt(1)
	global_store_dword v[40:41], v49, off offset:52
	s_waitcnt vmcnt(0)
	global_store_dword v[47:48], v55, off
.LBB38_227:
	s_or_b32 exec_lo, exec_lo, s3
	v_mov_b32_e32 v49, v46
	v_mov_b32_e32 v55, v46
.LBB38_228:
	s_or_b32 exec_lo, exec_lo, s1
.LBB38_229:
	s_andn2_saveexec_b32 s0, s0
	s_cbranch_execz .LBB38_231
; %bb.230:
	v_mov_b32_e32 v46, v36
	v_mov_b32_e32 v47, v37
	;; [unrolled: 1-line block ×11, first 2 shown]
	ds_write2_b64 v52, v[46:47], v[56:57] offset0:14 offset1:15
	ds_write2_b64 v52, v[58:59], v[60:61] offset0:16 offset1:17
	;; [unrolled: 1-line block ×3, first 2 shown]
.LBB38_231:
	s_or_b32 exec_lo, exec_lo, s0
	s_mov_b32 s0, exec_lo
	s_waitcnt lgkmcnt(0)
	s_waitcnt_vscnt null, 0x0
	s_barrier
	buffer_gl0_inv
	v_cmpx_lt_i32_e32 13, v55
	s_cbranch_execz .LBB38_233
; %bb.232:
	v_mul_f64 v[38:39], v[0:1], v[38:39]
	ds_read2_b64 v[56:59], v52 offset0:14 offset1:15
	ds_read2_b64 v[60:63], v52 offset0:16 offset1:17
	;; [unrolled: 1-line block ×3, first 2 shown]
	s_waitcnt lgkmcnt(2)
	v_fma_f64 v[36:37], -v[38:39], v[56:57], v[36:37]
	v_fma_f64 v[12:13], -v[38:39], v[58:59], v[12:13]
	s_waitcnt lgkmcnt(1)
	v_fma_f64 v[16:17], -v[38:39], v[60:61], v[16:17]
	v_fma_f64 v[10:11], -v[38:39], v[62:63], v[10:11]
	;; [unrolled: 3-line block ×3, first 2 shown]
.LBB38_233:
	s_or_b32 exec_lo, exec_lo, s0
	v_lshl_add_u32 v0, v55, 3, v52
	s_barrier
	buffer_gl0_inv
	v_mov_b32_e32 v46, 14
	ds_write_b64 v0, v[36:37]
	s_waitcnt lgkmcnt(0)
	s_barrier
	buffer_gl0_inv
	ds_read_b64 v[0:1], v52 offset:112
	s_cmp_lt_i32 s2, 16
	s_cbranch_scc1 .LBB38_236
; %bb.234:
	v_add3_u32 v47, v53, 0, 0x78
	v_mov_b32_e32 v46, 14
	s_mov_b32 s0, 15
.LBB38_235:                             ; =>This Inner Loop Header: Depth=1
	ds_read_b64 v[56:57], v47
	v_add_nc_u32_e32 v47, 8, v47
	s_waitcnt lgkmcnt(0)
	v_cmp_lt_f64_e64 vcc_lo, |v[0:1]|, |v[56:57]|
	v_cndmask_b32_e32 v1, v1, v57, vcc_lo
	v_cndmask_b32_e32 v0, v0, v56, vcc_lo
	v_cndmask_b32_e64 v46, v46, s0, vcc_lo
	s_add_i32 s0, s0, 1
	s_cmp_lg_u32 s2, s0
	s_cbranch_scc1 .LBB38_235
.LBB38_236:
	s_mov_b32 s0, exec_lo
	s_waitcnt lgkmcnt(0)
	v_cmpx_eq_f64_e32 0, v[0:1]
	s_xor_b32 s0, exec_lo, s0
; %bb.237:
	v_cmp_ne_u32_e32 vcc_lo, 0, v54
	v_cndmask_b32_e32 v54, 15, v54, vcc_lo
; %bb.238:
	s_andn2_saveexec_b32 s0, s0
	s_cbranch_execz .LBB38_240
; %bb.239:
	v_div_scale_f64 v[47:48], null, v[0:1], v[0:1], 1.0
	v_rcp_f64_e32 v[56:57], v[47:48]
	v_fma_f64 v[58:59], -v[47:48], v[56:57], 1.0
	v_fma_f64 v[56:57], v[56:57], v[58:59], v[56:57]
	v_fma_f64 v[58:59], -v[47:48], v[56:57], 1.0
	v_fma_f64 v[56:57], v[56:57], v[58:59], v[56:57]
	v_div_scale_f64 v[58:59], vcc_lo, 1.0, v[0:1], 1.0
	v_mul_f64 v[60:61], v[58:59], v[56:57]
	v_fma_f64 v[47:48], -v[47:48], v[60:61], v[58:59]
	v_div_fmas_f64 v[47:48], v[47:48], v[56:57], v[60:61]
	v_div_fixup_f64 v[0:1], v[47:48], v[0:1], 1.0
.LBB38_240:
	s_or_b32 exec_lo, exec_lo, s0
	s_mov_b32 s0, exec_lo
	v_cmpx_ne_u32_e64 v55, v46
	s_xor_b32 s0, exec_lo, s0
	s_cbranch_execz .LBB38_246
; %bb.241:
	s_mov_b32 s1, exec_lo
	v_cmpx_eq_u32_e32 14, v55
	s_cbranch_execz .LBB38_245
; %bb.242:
	v_cmp_ne_u32_e32 vcc_lo, 14, v46
	s_xor_b32 s3, s6, -1
	s_and_b32 s7, s3, vcc_lo
	s_and_saveexec_b32 s3, s7
	s_cbranch_execz .LBB38_244
; %bb.243:
	v_ashrrev_i32_e32 v47, 31, v46
	v_lshlrev_b64 v[47:48], 2, v[46:47]
	v_add_co_u32 v47, vcc_lo, v40, v47
	v_add_co_ci_u32_e64 v48, null, v41, v48, vcc_lo
	s_clause 0x1
	global_load_dword v49, v[47:48], off
	global_load_dword v55, v[40:41], off offset:56
	s_waitcnt vmcnt(1)
	global_store_dword v[40:41], v49, off offset:56
	s_waitcnt vmcnt(0)
	global_store_dword v[47:48], v55, off
.LBB38_244:
	s_or_b32 exec_lo, exec_lo, s3
	v_mov_b32_e32 v49, v46
	v_mov_b32_e32 v55, v46
.LBB38_245:
	s_or_b32 exec_lo, exec_lo, s1
.LBB38_246:
	s_andn2_saveexec_b32 s0, s0
	s_cbranch_execz .LBB38_248
; %bb.247:
	v_mov_b32_e32 v55, 14
	ds_write2_b64 v52, v[12:13], v[16:17] offset0:15 offset1:16
	ds_write2_b64 v52, v[10:11], v[14:15] offset0:17 offset1:18
	ds_write_b64 v52, v[44:45] offset:152
.LBB38_248:
	s_or_b32 exec_lo, exec_lo, s0
	s_mov_b32 s0, exec_lo
	s_waitcnt lgkmcnt(0)
	s_waitcnt_vscnt null, 0x0
	s_barrier
	buffer_gl0_inv
	v_cmpx_lt_i32_e32 14, v55
	s_cbranch_execz .LBB38_250
; %bb.249:
	v_mul_f64 v[36:37], v[0:1], v[36:37]
	ds_read2_b64 v[56:59], v52 offset0:15 offset1:16
	ds_read2_b64 v[60:63], v52 offset0:17 offset1:18
	ds_read_b64 v[0:1], v52 offset:152
	s_waitcnt lgkmcnt(2)
	v_fma_f64 v[12:13], -v[36:37], v[56:57], v[12:13]
	v_fma_f64 v[16:17], -v[36:37], v[58:59], v[16:17]
	s_waitcnt lgkmcnt(1)
	v_fma_f64 v[10:11], -v[36:37], v[60:61], v[10:11]
	v_fma_f64 v[14:15], -v[36:37], v[62:63], v[14:15]
	s_waitcnt lgkmcnt(0)
	v_fma_f64 v[44:45], -v[36:37], v[0:1], v[44:45]
.LBB38_250:
	s_or_b32 exec_lo, exec_lo, s0
	v_lshl_add_u32 v0, v55, 3, v52
	s_barrier
	buffer_gl0_inv
	v_mov_b32_e32 v46, 15
	ds_write_b64 v0, v[12:13]
	s_waitcnt lgkmcnt(0)
	s_barrier
	buffer_gl0_inv
	ds_read_b64 v[0:1], v52 offset:120
	s_cmp_lt_i32 s2, 17
	s_cbranch_scc1 .LBB38_253
; %bb.251:
	v_add3_u32 v47, v53, 0, 0x80
	v_mov_b32_e32 v46, 15
	s_mov_b32 s0, 16
.LBB38_252:                             ; =>This Inner Loop Header: Depth=1
	ds_read_b64 v[56:57], v47
	v_add_nc_u32_e32 v47, 8, v47
	s_waitcnt lgkmcnt(0)
	v_cmp_lt_f64_e64 vcc_lo, |v[0:1]|, |v[56:57]|
	v_cndmask_b32_e32 v1, v1, v57, vcc_lo
	v_cndmask_b32_e32 v0, v0, v56, vcc_lo
	v_cndmask_b32_e64 v46, v46, s0, vcc_lo
	s_add_i32 s0, s0, 1
	s_cmp_lg_u32 s2, s0
	s_cbranch_scc1 .LBB38_252
.LBB38_253:
	s_mov_b32 s0, exec_lo
	s_waitcnt lgkmcnt(0)
	v_cmpx_eq_f64_e32 0, v[0:1]
	s_xor_b32 s0, exec_lo, s0
; %bb.254:
	v_cmp_ne_u32_e32 vcc_lo, 0, v54
	v_cndmask_b32_e32 v54, 16, v54, vcc_lo
; %bb.255:
	s_andn2_saveexec_b32 s0, s0
	s_cbranch_execz .LBB38_257
; %bb.256:
	v_div_scale_f64 v[47:48], null, v[0:1], v[0:1], 1.0
	v_rcp_f64_e32 v[56:57], v[47:48]
	v_fma_f64 v[58:59], -v[47:48], v[56:57], 1.0
	v_fma_f64 v[56:57], v[56:57], v[58:59], v[56:57]
	v_fma_f64 v[58:59], -v[47:48], v[56:57], 1.0
	v_fma_f64 v[56:57], v[56:57], v[58:59], v[56:57]
	v_div_scale_f64 v[58:59], vcc_lo, 1.0, v[0:1], 1.0
	v_mul_f64 v[60:61], v[58:59], v[56:57]
	v_fma_f64 v[47:48], -v[47:48], v[60:61], v[58:59]
	v_div_fmas_f64 v[47:48], v[47:48], v[56:57], v[60:61]
	v_div_fixup_f64 v[0:1], v[47:48], v[0:1], 1.0
.LBB38_257:
	s_or_b32 exec_lo, exec_lo, s0
	s_mov_b32 s0, exec_lo
	v_cmpx_ne_u32_e64 v55, v46
	s_xor_b32 s0, exec_lo, s0
	s_cbranch_execz .LBB38_263
; %bb.258:
	s_mov_b32 s1, exec_lo
	v_cmpx_eq_u32_e32 15, v55
	s_cbranch_execz .LBB38_262
; %bb.259:
	v_cmp_ne_u32_e32 vcc_lo, 15, v46
	s_xor_b32 s3, s6, -1
	s_and_b32 s7, s3, vcc_lo
	s_and_saveexec_b32 s3, s7
	s_cbranch_execz .LBB38_261
; %bb.260:
	v_ashrrev_i32_e32 v47, 31, v46
	v_lshlrev_b64 v[47:48], 2, v[46:47]
	v_add_co_u32 v47, vcc_lo, v40, v47
	v_add_co_ci_u32_e64 v48, null, v41, v48, vcc_lo
	s_clause 0x1
	global_load_dword v49, v[47:48], off
	global_load_dword v55, v[40:41], off offset:60
	s_waitcnt vmcnt(1)
	global_store_dword v[40:41], v49, off offset:60
	s_waitcnt vmcnt(0)
	global_store_dword v[47:48], v55, off
.LBB38_261:
	s_or_b32 exec_lo, exec_lo, s3
	v_mov_b32_e32 v49, v46
	v_mov_b32_e32 v55, v46
.LBB38_262:
	s_or_b32 exec_lo, exec_lo, s1
.LBB38_263:
	s_andn2_saveexec_b32 s0, s0
	s_cbranch_execz .LBB38_265
; %bb.264:
	v_mov_b32_e32 v46, v16
	v_mov_b32_e32 v47, v17
	;; [unrolled: 1-line block ×7, first 2 shown]
	ds_write2_b64 v52, v[46:47], v[56:57] offset0:16 offset1:17
	ds_write2_b64 v52, v[58:59], v[44:45] offset0:18 offset1:19
.LBB38_265:
	s_or_b32 exec_lo, exec_lo, s0
	s_mov_b32 s0, exec_lo
	s_waitcnt lgkmcnt(0)
	s_waitcnt_vscnt null, 0x0
	s_barrier
	buffer_gl0_inv
	v_cmpx_lt_i32_e32 15, v55
	s_cbranch_execz .LBB38_267
; %bb.266:
	v_mul_f64 v[12:13], v[0:1], v[12:13]
	ds_read2_b64 v[56:59], v52 offset0:16 offset1:17
	ds_read2_b64 v[60:63], v52 offset0:18 offset1:19
	s_waitcnt lgkmcnt(1)
	v_fma_f64 v[16:17], -v[12:13], v[56:57], v[16:17]
	v_fma_f64 v[10:11], -v[12:13], v[58:59], v[10:11]
	s_waitcnt lgkmcnt(0)
	v_fma_f64 v[14:15], -v[12:13], v[60:61], v[14:15]
	v_fma_f64 v[44:45], -v[12:13], v[62:63], v[44:45]
.LBB38_267:
	s_or_b32 exec_lo, exec_lo, s0
	v_lshl_add_u32 v0, v55, 3, v52
	s_barrier
	buffer_gl0_inv
	v_mov_b32_e32 v46, 16
	ds_write_b64 v0, v[16:17]
	s_waitcnt lgkmcnt(0)
	s_barrier
	buffer_gl0_inv
	ds_read_b64 v[0:1], v52 offset:128
	s_cmp_lt_i32 s2, 18
	s_cbranch_scc1 .LBB38_270
; %bb.268:
	v_add3_u32 v47, v53, 0, 0x88
	v_mov_b32_e32 v46, 16
	s_mov_b32 s0, 17
.LBB38_269:                             ; =>This Inner Loop Header: Depth=1
	ds_read_b64 v[56:57], v47
	v_add_nc_u32_e32 v47, 8, v47
	s_waitcnt lgkmcnt(0)
	v_cmp_lt_f64_e64 vcc_lo, |v[0:1]|, |v[56:57]|
	v_cndmask_b32_e32 v1, v1, v57, vcc_lo
	v_cndmask_b32_e32 v0, v0, v56, vcc_lo
	v_cndmask_b32_e64 v46, v46, s0, vcc_lo
	s_add_i32 s0, s0, 1
	s_cmp_lg_u32 s2, s0
	s_cbranch_scc1 .LBB38_269
.LBB38_270:
	s_mov_b32 s0, exec_lo
	s_waitcnt lgkmcnt(0)
	v_cmpx_eq_f64_e32 0, v[0:1]
	s_xor_b32 s0, exec_lo, s0
; %bb.271:
	v_cmp_ne_u32_e32 vcc_lo, 0, v54
	v_cndmask_b32_e32 v54, 17, v54, vcc_lo
; %bb.272:
	s_andn2_saveexec_b32 s0, s0
	s_cbranch_execz .LBB38_274
; %bb.273:
	v_div_scale_f64 v[47:48], null, v[0:1], v[0:1], 1.0
	v_rcp_f64_e32 v[56:57], v[47:48]
	v_fma_f64 v[58:59], -v[47:48], v[56:57], 1.0
	v_fma_f64 v[56:57], v[56:57], v[58:59], v[56:57]
	v_fma_f64 v[58:59], -v[47:48], v[56:57], 1.0
	v_fma_f64 v[56:57], v[56:57], v[58:59], v[56:57]
	v_div_scale_f64 v[58:59], vcc_lo, 1.0, v[0:1], 1.0
	v_mul_f64 v[60:61], v[58:59], v[56:57]
	v_fma_f64 v[47:48], -v[47:48], v[60:61], v[58:59]
	v_div_fmas_f64 v[47:48], v[47:48], v[56:57], v[60:61]
	v_div_fixup_f64 v[0:1], v[47:48], v[0:1], 1.0
.LBB38_274:
	s_or_b32 exec_lo, exec_lo, s0
	s_mov_b32 s0, exec_lo
	v_cmpx_ne_u32_e64 v55, v46
	s_xor_b32 s0, exec_lo, s0
	s_cbranch_execz .LBB38_280
; %bb.275:
	s_mov_b32 s1, exec_lo
	v_cmpx_eq_u32_e32 16, v55
	s_cbranch_execz .LBB38_279
; %bb.276:
	v_cmp_ne_u32_e32 vcc_lo, 16, v46
	s_xor_b32 s3, s6, -1
	s_and_b32 s7, s3, vcc_lo
	s_and_saveexec_b32 s3, s7
	s_cbranch_execz .LBB38_278
; %bb.277:
	v_ashrrev_i32_e32 v47, 31, v46
	v_lshlrev_b64 v[47:48], 2, v[46:47]
	v_add_co_u32 v47, vcc_lo, v40, v47
	v_add_co_ci_u32_e64 v48, null, v41, v48, vcc_lo
	s_clause 0x1
	global_load_dword v49, v[47:48], off
	global_load_dword v55, v[40:41], off offset:64
	s_waitcnt vmcnt(1)
	global_store_dword v[40:41], v49, off offset:64
	s_waitcnt vmcnt(0)
	global_store_dword v[47:48], v55, off
.LBB38_278:
	s_or_b32 exec_lo, exec_lo, s3
	v_mov_b32_e32 v49, v46
	v_mov_b32_e32 v55, v46
.LBB38_279:
	s_or_b32 exec_lo, exec_lo, s1
.LBB38_280:
	s_andn2_saveexec_b32 s0, s0
	s_cbranch_execz .LBB38_282
; %bb.281:
	v_mov_b32_e32 v55, 16
	ds_write2_b64 v52, v[10:11], v[14:15] offset0:17 offset1:18
	ds_write_b64 v52, v[44:45] offset:152
.LBB38_282:
	s_or_b32 exec_lo, exec_lo, s0
	s_mov_b32 s0, exec_lo
	s_waitcnt lgkmcnt(0)
	s_waitcnt_vscnt null, 0x0
	s_barrier
	buffer_gl0_inv
	v_cmpx_lt_i32_e32 16, v55
	s_cbranch_execz .LBB38_284
; %bb.283:
	v_mul_f64 v[16:17], v[0:1], v[16:17]
	ds_read2_b64 v[56:59], v52 offset0:17 offset1:18
	ds_read_b64 v[0:1], v52 offset:152
	s_waitcnt lgkmcnt(1)
	v_fma_f64 v[10:11], -v[16:17], v[56:57], v[10:11]
	v_fma_f64 v[14:15], -v[16:17], v[58:59], v[14:15]
	s_waitcnt lgkmcnt(0)
	v_fma_f64 v[44:45], -v[16:17], v[0:1], v[44:45]
.LBB38_284:
	s_or_b32 exec_lo, exec_lo, s0
	v_lshl_add_u32 v0, v55, 3, v52
	s_barrier
	buffer_gl0_inv
	v_mov_b32_e32 v46, 17
	ds_write_b64 v0, v[10:11]
	s_waitcnt lgkmcnt(0)
	s_barrier
	buffer_gl0_inv
	ds_read_b64 v[0:1], v52 offset:136
	s_cmp_lt_i32 s2, 19
	s_cbranch_scc1 .LBB38_287
; %bb.285:
	v_add3_u32 v47, v53, 0, 0x90
	v_mov_b32_e32 v46, 17
	s_mov_b32 s0, 18
.LBB38_286:                             ; =>This Inner Loop Header: Depth=1
	ds_read_b64 v[56:57], v47
	v_add_nc_u32_e32 v47, 8, v47
	s_waitcnt lgkmcnt(0)
	v_cmp_lt_f64_e64 vcc_lo, |v[0:1]|, |v[56:57]|
	v_cndmask_b32_e32 v1, v1, v57, vcc_lo
	v_cndmask_b32_e32 v0, v0, v56, vcc_lo
	v_cndmask_b32_e64 v46, v46, s0, vcc_lo
	s_add_i32 s0, s0, 1
	s_cmp_lg_u32 s2, s0
	s_cbranch_scc1 .LBB38_286
.LBB38_287:
	s_mov_b32 s0, exec_lo
	s_waitcnt lgkmcnt(0)
	v_cmpx_eq_f64_e32 0, v[0:1]
	s_xor_b32 s0, exec_lo, s0
; %bb.288:
	v_cmp_ne_u32_e32 vcc_lo, 0, v54
	v_cndmask_b32_e32 v54, 18, v54, vcc_lo
; %bb.289:
	s_andn2_saveexec_b32 s0, s0
	s_cbranch_execz .LBB38_291
; %bb.290:
	v_div_scale_f64 v[47:48], null, v[0:1], v[0:1], 1.0
	v_rcp_f64_e32 v[56:57], v[47:48]
	v_fma_f64 v[58:59], -v[47:48], v[56:57], 1.0
	v_fma_f64 v[56:57], v[56:57], v[58:59], v[56:57]
	v_fma_f64 v[58:59], -v[47:48], v[56:57], 1.0
	v_fma_f64 v[56:57], v[56:57], v[58:59], v[56:57]
	v_div_scale_f64 v[58:59], vcc_lo, 1.0, v[0:1], 1.0
	v_mul_f64 v[60:61], v[58:59], v[56:57]
	v_fma_f64 v[47:48], -v[47:48], v[60:61], v[58:59]
	v_div_fmas_f64 v[47:48], v[47:48], v[56:57], v[60:61]
	v_div_fixup_f64 v[0:1], v[47:48], v[0:1], 1.0
.LBB38_291:
	s_or_b32 exec_lo, exec_lo, s0
	s_mov_b32 s0, exec_lo
	v_cmpx_ne_u32_e64 v55, v46
	s_xor_b32 s0, exec_lo, s0
	s_cbranch_execz .LBB38_297
; %bb.292:
	s_mov_b32 s1, exec_lo
	v_cmpx_eq_u32_e32 17, v55
	s_cbranch_execz .LBB38_296
; %bb.293:
	v_cmp_ne_u32_e32 vcc_lo, 17, v46
	s_xor_b32 s3, s6, -1
	s_and_b32 s7, s3, vcc_lo
	s_and_saveexec_b32 s3, s7
	s_cbranch_execz .LBB38_295
; %bb.294:
	v_ashrrev_i32_e32 v47, 31, v46
	v_lshlrev_b64 v[47:48], 2, v[46:47]
	v_add_co_u32 v47, vcc_lo, v40, v47
	v_add_co_ci_u32_e64 v48, null, v41, v48, vcc_lo
	s_clause 0x1
	global_load_dword v49, v[47:48], off
	global_load_dword v55, v[40:41], off offset:68
	s_waitcnt vmcnt(1)
	global_store_dword v[40:41], v49, off offset:68
	s_waitcnt vmcnt(0)
	global_store_dword v[47:48], v55, off
.LBB38_295:
	s_or_b32 exec_lo, exec_lo, s3
	v_mov_b32_e32 v49, v46
	v_mov_b32_e32 v55, v46
.LBB38_296:
	s_or_b32 exec_lo, exec_lo, s1
.LBB38_297:
	s_andn2_saveexec_b32 s0, s0
	s_cbranch_execz .LBB38_299
; %bb.298:
	v_mov_b32_e32 v46, v14
	v_mov_b32_e32 v47, v15
	;; [unrolled: 1-line block ×3, first 2 shown]
	ds_write2_b64 v52, v[46:47], v[44:45] offset0:18 offset1:19
.LBB38_299:
	s_or_b32 exec_lo, exec_lo, s0
	s_mov_b32 s0, exec_lo
	s_waitcnt lgkmcnt(0)
	s_waitcnt_vscnt null, 0x0
	s_barrier
	buffer_gl0_inv
	v_cmpx_lt_i32_e32 17, v55
	s_cbranch_execz .LBB38_301
; %bb.300:
	v_mul_f64 v[10:11], v[0:1], v[10:11]
	ds_read2_b64 v[56:59], v52 offset0:18 offset1:19
	s_waitcnt lgkmcnt(0)
	v_fma_f64 v[14:15], -v[10:11], v[56:57], v[14:15]
	v_fma_f64 v[44:45], -v[10:11], v[58:59], v[44:45]
.LBB38_301:
	s_or_b32 exec_lo, exec_lo, s0
	v_lshl_add_u32 v0, v55, 3, v52
	s_barrier
	buffer_gl0_inv
	v_mov_b32_e32 v46, 18
	ds_write_b64 v0, v[14:15]
	s_waitcnt lgkmcnt(0)
	s_barrier
	buffer_gl0_inv
	ds_read_b64 v[0:1], v52 offset:144
	s_cmp_lt_i32 s2, 20
	s_cbranch_scc1 .LBB38_304
; %bb.302:
	v_add3_u32 v47, v53, 0, 0x98
	v_mov_b32_e32 v46, 18
	s_mov_b32 s0, 19
.LBB38_303:                             ; =>This Inner Loop Header: Depth=1
	ds_read_b64 v[56:57], v47
	v_add_nc_u32_e32 v47, 8, v47
	s_waitcnt lgkmcnt(0)
	v_cmp_lt_f64_e64 vcc_lo, |v[0:1]|, |v[56:57]|
	v_cndmask_b32_e32 v1, v1, v57, vcc_lo
	v_cndmask_b32_e32 v0, v0, v56, vcc_lo
	v_cndmask_b32_e64 v46, v46, s0, vcc_lo
	s_add_i32 s0, s0, 1
	s_cmp_lg_u32 s2, s0
	s_cbranch_scc1 .LBB38_303
.LBB38_304:
	s_mov_b32 s0, exec_lo
	s_waitcnt lgkmcnt(0)
	v_cmpx_eq_f64_e32 0, v[0:1]
	s_xor_b32 s0, exec_lo, s0
; %bb.305:
	v_cmp_ne_u32_e32 vcc_lo, 0, v54
	v_cndmask_b32_e32 v54, 19, v54, vcc_lo
; %bb.306:
	s_andn2_saveexec_b32 s0, s0
	s_cbranch_execz .LBB38_308
; %bb.307:
	v_div_scale_f64 v[47:48], null, v[0:1], v[0:1], 1.0
	v_rcp_f64_e32 v[56:57], v[47:48]
	v_fma_f64 v[58:59], -v[47:48], v[56:57], 1.0
	v_fma_f64 v[56:57], v[56:57], v[58:59], v[56:57]
	v_fma_f64 v[58:59], -v[47:48], v[56:57], 1.0
	v_fma_f64 v[56:57], v[56:57], v[58:59], v[56:57]
	v_div_scale_f64 v[58:59], vcc_lo, 1.0, v[0:1], 1.0
	v_mul_f64 v[60:61], v[58:59], v[56:57]
	v_fma_f64 v[47:48], -v[47:48], v[60:61], v[58:59]
	v_div_fmas_f64 v[47:48], v[47:48], v[56:57], v[60:61]
	v_div_fixup_f64 v[0:1], v[47:48], v[0:1], 1.0
.LBB38_308:
	s_or_b32 exec_lo, exec_lo, s0
	s_mov_b32 s0, exec_lo
	v_cmpx_ne_u32_e64 v55, v46
	s_xor_b32 s0, exec_lo, s0
	s_cbranch_execz .LBB38_314
; %bb.309:
	s_mov_b32 s1, exec_lo
	v_cmpx_eq_u32_e32 18, v55
	s_cbranch_execz .LBB38_313
; %bb.310:
	v_cmp_ne_u32_e32 vcc_lo, 18, v46
	s_xor_b32 s3, s6, -1
	s_and_b32 s7, s3, vcc_lo
	s_and_saveexec_b32 s3, s7
	s_cbranch_execz .LBB38_312
; %bb.311:
	v_ashrrev_i32_e32 v47, 31, v46
	v_lshlrev_b64 v[47:48], 2, v[46:47]
	v_add_co_u32 v47, vcc_lo, v40, v47
	v_add_co_ci_u32_e64 v48, null, v41, v48, vcc_lo
	s_clause 0x1
	global_load_dword v49, v[47:48], off
	global_load_dword v55, v[40:41], off offset:72
	s_waitcnt vmcnt(1)
	global_store_dword v[40:41], v49, off offset:72
	s_waitcnt vmcnt(0)
	global_store_dword v[47:48], v55, off
.LBB38_312:
	s_or_b32 exec_lo, exec_lo, s3
	v_mov_b32_e32 v49, v46
	v_mov_b32_e32 v55, v46
.LBB38_313:
	s_or_b32 exec_lo, exec_lo, s1
.LBB38_314:
	s_andn2_saveexec_b32 s0, s0
; %bb.315:
	v_mov_b32_e32 v55, 18
	ds_write_b64 v52, v[44:45] offset:152
; %bb.316:
	s_or_b32 exec_lo, exec_lo, s0
	s_mov_b32 s0, exec_lo
	s_waitcnt lgkmcnt(0)
	s_waitcnt_vscnt null, 0x0
	s_barrier
	buffer_gl0_inv
	v_cmpx_lt_i32_e32 18, v55
	s_cbranch_execz .LBB38_318
; %bb.317:
	v_mul_f64 v[14:15], v[0:1], v[14:15]
	ds_read_b64 v[0:1], v52 offset:152
	s_waitcnt lgkmcnt(0)
	v_fma_f64 v[44:45], -v[14:15], v[0:1], v[44:45]
.LBB38_318:
	s_or_b32 exec_lo, exec_lo, s0
	v_lshl_add_u32 v0, v55, 3, v52
	s_barrier
	buffer_gl0_inv
	v_mov_b32_e32 v46, 19
	ds_write_b64 v0, v[44:45]
	s_waitcnt lgkmcnt(0)
	s_barrier
	buffer_gl0_inv
	ds_read_b64 v[0:1], v52 offset:152
	s_cmp_lt_i32 s2, 21
	s_cbranch_scc1 .LBB38_321
; %bb.319:
	v_add3_u32 v47, v53, 0, 0xa0
	v_mov_b32_e32 v46, 19
	s_mov_b32 s0, 20
.LBB38_320:                             ; =>This Inner Loop Header: Depth=1
	ds_read_b64 v[52:53], v47
	v_add_nc_u32_e32 v47, 8, v47
	s_waitcnt lgkmcnt(0)
	v_cmp_lt_f64_e64 vcc_lo, |v[0:1]|, |v[52:53]|
	v_cndmask_b32_e32 v1, v1, v53, vcc_lo
	v_cndmask_b32_e32 v0, v0, v52, vcc_lo
	v_cndmask_b32_e64 v46, v46, s0, vcc_lo
	s_add_i32 s0, s0, 1
	s_cmp_lg_u32 s2, s0
	s_cbranch_scc1 .LBB38_320
.LBB38_321:
	s_mov_b32 s0, exec_lo
	s_waitcnt lgkmcnt(0)
	v_cmpx_eq_f64_e32 0, v[0:1]
	s_xor_b32 s0, exec_lo, s0
; %bb.322:
	v_cmp_ne_u32_e32 vcc_lo, 0, v54
	v_cndmask_b32_e32 v54, 20, v54, vcc_lo
; %bb.323:
	s_andn2_saveexec_b32 s0, s0
	s_cbranch_execz .LBB38_325
; %bb.324:
	v_div_scale_f64 v[47:48], null, v[0:1], v[0:1], 1.0
	v_rcp_f64_e32 v[52:53], v[47:48]
	v_fma_f64 v[56:57], -v[47:48], v[52:53], 1.0
	v_fma_f64 v[52:53], v[52:53], v[56:57], v[52:53]
	v_fma_f64 v[56:57], -v[47:48], v[52:53], 1.0
	v_fma_f64 v[52:53], v[52:53], v[56:57], v[52:53]
	v_div_scale_f64 v[56:57], vcc_lo, 1.0, v[0:1], 1.0
	v_mul_f64 v[58:59], v[56:57], v[52:53]
	v_fma_f64 v[47:48], -v[47:48], v[58:59], v[56:57]
	v_div_fmas_f64 v[47:48], v[47:48], v[52:53], v[58:59]
	v_div_fixup_f64 v[0:1], v[47:48], v[0:1], 1.0
.LBB38_325:
	s_or_b32 exec_lo, exec_lo, s0
	v_mov_b32_e32 v47, 19
	s_mov_b32 s0, exec_lo
	v_cmpx_ne_u32_e64 v55, v46
	s_cbranch_execz .LBB38_331
; %bb.326:
	s_mov_b32 s1, exec_lo
	v_cmpx_eq_u32_e32 19, v55
	s_cbranch_execz .LBB38_330
; %bb.327:
	v_cmp_ne_u32_e32 vcc_lo, 19, v46
	s_xor_b32 s2, s6, -1
	s_and_b32 s3, s2, vcc_lo
	s_and_saveexec_b32 s2, s3
	s_cbranch_execz .LBB38_329
; %bb.328:
	v_ashrrev_i32_e32 v47, 31, v46
	v_lshlrev_b64 v[47:48], 2, v[46:47]
	v_add_co_u32 v47, vcc_lo, v40, v47
	v_add_co_ci_u32_e64 v48, null, v41, v48, vcc_lo
	s_clause 0x1
	global_load_dword v49, v[47:48], off
	global_load_dword v52, v[40:41], off offset:76
	s_waitcnt vmcnt(1)
	global_store_dword v[40:41], v49, off offset:76
	s_waitcnt vmcnt(0)
	global_store_dword v[47:48], v52, off
.LBB38_329:
	s_or_b32 exec_lo, exec_lo, s2
	v_mov_b32_e32 v49, v46
	v_mov_b32_e32 v55, v46
.LBB38_330:
	s_or_b32 exec_lo, exec_lo, s1
	v_mov_b32_e32 v47, v55
.LBB38_331:
	s_or_b32 exec_lo, exec_lo, s0
	s_load_dwordx8 s[0:7], s[4:5], 0x28
	v_ashrrev_i32_e32 v48, 31, v47
	s_mov_b32 s9, exec_lo
	s_waitcnt lgkmcnt(0)
	s_waitcnt_vscnt null, 0x0
	s_barrier
	buffer_gl0_inv
	s_barrier
	buffer_gl0_inv
	v_cmpx_gt_i32_e32 20, v47
	s_cbranch_execz .LBB38_333
; %bb.332:
	v_mul_lo_u32 v46, s5, v2
	v_mul_lo_u32 v52, s4, v3
	v_mad_u64_u32 v[40:41], null, s4, v2, 0
	s_lshl_b64 s[2:3], s[2:3], 2
	v_add3_u32 v41, v41, v52, v46
	v_lshlrev_b64 v[40:41], 2, v[40:41]
	v_add_co_u32 v46, vcc_lo, s0, v40
	v_add_co_ci_u32_e64 v52, null, s1, v41, vcc_lo
	v_lshlrev_b64 v[40:41], 2, v[47:48]
	v_add_co_u32 v46, vcc_lo, v46, s2
	v_add_co_ci_u32_e64 v52, null, s3, v52, vcc_lo
	v_add_co_u32 v40, vcc_lo, v46, v40
	v_add_co_ci_u32_e64 v41, null, v52, v41, vcc_lo
	v_add3_u32 v46, v49, s13, 1
	global_store_dword v[40:41], v46, off
.LBB38_333:
	s_or_b32 exec_lo, exec_lo, s9
	s_mov_b32 s1, exec_lo
	v_cmpx_eq_u32_e32 0, v47
	s_cbranch_execz .LBB38_336
; %bb.334:
	v_lshlrev_b64 v[2:3], 2, v[2:3]
	v_cmp_ne_u32_e64 s0, 0, v54
	v_add_co_u32 v2, vcc_lo, s6, v2
	v_add_co_ci_u32_e64 v3, null, s7, v3, vcc_lo
	global_load_dword v40, v[2:3], off
	s_waitcnt vmcnt(0)
	v_cmp_eq_u32_e32 vcc_lo, 0, v40
	s_and_b32 s0, vcc_lo, s0
	s_and_b32 exec_lo, exec_lo, s0
	s_cbranch_execz .LBB38_336
; %bb.335:
	v_add_nc_u32_e32 v40, s13, v54
	global_store_dword v[2:3], v40, off
.LBB38_336:
	s_or_b32 exec_lo, exec_lo, s1
	v_add3_u32 v2, s8, s8, v47
	v_lshlrev_b64 v[40:41], 3, v[47:48]
	v_mul_f64 v[0:1], v[0:1], v[44:45]
	v_cmp_lt_i32_e32 vcc_lo, 19, v47
	v_ashrrev_i32_e32 v3, 31, v2
	v_add_nc_u32_e32 v46, s8, v2
	v_add_co_u32 v40, s0, v50, v40
	v_add_co_ci_u32_e64 v41, null, v51, v41, s0
	v_lshlrev_b64 v[2:3], 3, v[2:3]
	v_add_co_u32 v52, s0, v40, s10
	v_ashrrev_i32_e32 v47, 31, v46
	v_add_co_ci_u32_e64 v53, null, s11, v41, s0
	v_add_co_u32 v2, s0, v50, v2
	v_add_nc_u32_e32 v48, s8, v46
	v_add_co_ci_u32_e64 v3, null, v51, v3, s0
	flat_store_dwordx2 v[40:41], v[32:33]
	v_lshlrev_b64 v[32:33], 3, v[46:47]
	flat_store_dwordx2 v[52:53], v[28:29]
	flat_store_dwordx2 v[2:3], v[30:31]
	v_add_nc_u32_e32 v28, s8, v48
	v_ashrrev_i32_e32 v49, 31, v48
	v_cndmask_b32_e32 v1, v45, v1, vcc_lo
	v_cndmask_b32_e32 v0, v44, v0, vcc_lo
	v_add_co_u32 v30, vcc_lo, v50, v32
	v_add_nc_u32_e32 v32, s8, v28
	v_lshlrev_b64 v[2:3], 3, v[48:49]
	v_ashrrev_i32_e32 v29, 31, v28
	v_add_co_ci_u32_e64 v31, null, v51, v33, vcc_lo
	v_add_nc_u32_e32 v40, s8, v32
	v_ashrrev_i32_e32 v33, 31, v32
	v_add_co_u32 v2, vcc_lo, v50, v2
	v_lshlrev_b64 v[28:29], 3, v[28:29]
	v_add_co_ci_u32_e64 v3, null, v51, v3, vcc_lo
	v_ashrrev_i32_e32 v41, 31, v40
	flat_store_dwordx2 v[30:31], v[6:7]
	flat_store_dwordx2 v[2:3], v[34:35]
	v_lshlrev_b64 v[2:3], 3, v[32:33]
	v_add_co_u32 v6, vcc_lo, v50, v28
	v_add_co_ci_u32_e64 v7, null, v51, v29, vcc_lo
	v_lshlrev_b64 v[28:29], 3, v[40:41]
	v_add_nc_u32_e32 v30, s8, v40
	v_add_co_u32 v2, vcc_lo, v50, v2
	v_add_co_ci_u32_e64 v3, null, v51, v3, vcc_lo
	v_add_co_u32 v28, vcc_lo, v50, v28
	v_add_nc_u32_e32 v32, s8, v30
	v_add_co_ci_u32_e64 v29, null, v51, v29, vcc_lo
	v_ashrrev_i32_e32 v31, 31, v30
	flat_store_dwordx2 v[6:7], v[22:23]
	flat_store_dwordx2 v[2:3], v[20:21]
	;; [unrolled: 1-line block ×3, first 2 shown]
	v_add_nc_u32_e32 v18, s8, v32
	v_ashrrev_i32_e32 v33, 31, v32
	v_lshlrev_b64 v[6:7], 3, v[30:31]
	v_add_nc_u32_e32 v20, s8, v18
	v_lshlrev_b64 v[2:3], 3, v[32:33]
	v_ashrrev_i32_e32 v19, 31, v18
	v_add_co_u32 v6, vcc_lo, v50, v6
	v_add_nc_u32_e32 v22, s8, v20
	v_add_co_ci_u32_e64 v7, null, v51, v7, vcc_lo
	v_add_co_u32 v2, vcc_lo, v50, v2
	v_lshlrev_b64 v[18:19], 3, v[18:19]
	v_ashrrev_i32_e32 v21, 31, v20
	v_add_co_ci_u32_e64 v3, null, v51, v3, vcc_lo
	v_ashrrev_i32_e32 v23, 31, v22
	flat_store_dwordx2 v[6:7], v[26:27]
	flat_store_dwordx2 v[2:3], v[24:25]
	v_lshlrev_b64 v[2:3], 3, v[20:21]
	v_add_co_u32 v6, vcc_lo, v50, v18
	v_add_co_ci_u32_e64 v7, null, v51, v19, vcc_lo
	v_lshlrev_b64 v[18:19], 3, v[22:23]
	v_add_nc_u32_e32 v20, s8, v22
	v_add_co_u32 v2, vcc_lo, v50, v2
	v_add_co_ci_u32_e64 v3, null, v51, v3, vcc_lo
	v_add_co_u32 v18, vcc_lo, v50, v18
	v_add_nc_u32_e32 v22, s8, v20
	v_add_co_ci_u32_e64 v19, null, v51, v19, vcc_lo
	v_ashrrev_i32_e32 v21, 31, v20
	flat_store_dwordx2 v[6:7], v[8:9]
	flat_store_dwordx2 v[2:3], v[4:5]
	;; [unrolled: 1-line block ×3, first 2 shown]
	v_add_nc_u32_e32 v4, s8, v22
	v_ashrrev_i32_e32 v23, 31, v22
	v_lshlrev_b64 v[6:7], 3, v[20:21]
	v_add_nc_u32_e32 v8, s8, v4
	v_lshlrev_b64 v[2:3], 3, v[22:23]
	v_ashrrev_i32_e32 v5, 31, v4
	v_add_co_u32 v6, vcc_lo, v50, v6
	v_add_co_ci_u32_e64 v7, null, v51, v7, vcc_lo
	v_add_nc_u32_e32 v18, s8, v8
	v_add_co_u32 v2, vcc_lo, v50, v2
	v_add_co_ci_u32_e64 v3, null, v51, v3, vcc_lo
	v_ashrrev_i32_e32 v9, 31, v8
	flat_store_dwordx2 v[6:7], v[38:39]
	v_ashrrev_i32_e32 v19, 31, v18
	v_add_nc_u32_e32 v6, s8, v18
	flat_store_dwordx2 v[2:3], v[36:37]
	v_lshlrev_b64 v[2:3], 3, v[8:9]
	v_lshlrev_b64 v[4:5], 3, v[4:5]
	;; [unrolled: 1-line block ×3, first 2 shown]
	v_add_nc_u32_e32 v18, s8, v6
	v_ashrrev_i32_e32 v7, 31, v6
	v_add_co_u32 v4, vcc_lo, v50, v4
	v_ashrrev_i32_e32 v19, 31, v18
	v_lshlrev_b64 v[6:7], 3, v[6:7]
	v_add_co_ci_u32_e64 v5, null, v51, v5, vcc_lo
	v_add_co_u32 v2, vcc_lo, v50, v2
	v_lshlrev_b64 v[18:19], 3, v[18:19]
	v_add_co_ci_u32_e64 v3, null, v51, v3, vcc_lo
	v_add_co_u32 v8, vcc_lo, v50, v8
	v_add_co_ci_u32_e64 v9, null, v51, v9, vcc_lo
	v_add_co_u32 v6, vcc_lo, v50, v6
	v_add_co_ci_u32_e64 v7, null, v51, v7, vcc_lo
	v_add_co_u32 v18, vcc_lo, v50, v18
	v_add_co_ci_u32_e64 v19, null, v51, v19, vcc_lo
	flat_store_dwordx2 v[4:5], v[12:13]
	flat_store_dwordx2 v[2:3], v[16:17]
	;; [unrolled: 1-line block ×5, first 2 shown]
.LBB38_337:
	s_endpgm
	.section	.rodata,"a",@progbits
	.p2align	6, 0x0
	.amdhsa_kernel _ZN9rocsolver6v33100L18getf2_small_kernelILi20EdiiPKPdEEvT1_T3_lS5_lPS5_llPT2_S5_S5_S7_l
		.amdhsa_group_segment_fixed_size 0
		.amdhsa_private_segment_fixed_size 0
		.amdhsa_kernarg_size 352
		.amdhsa_user_sgpr_count 6
		.amdhsa_user_sgpr_private_segment_buffer 1
		.amdhsa_user_sgpr_dispatch_ptr 0
		.amdhsa_user_sgpr_queue_ptr 0
		.amdhsa_user_sgpr_kernarg_segment_ptr 1
		.amdhsa_user_sgpr_dispatch_id 0
		.amdhsa_user_sgpr_flat_scratch_init 0
		.amdhsa_user_sgpr_private_segment_size 0
		.amdhsa_wavefront_size32 1
		.amdhsa_uses_dynamic_stack 0
		.amdhsa_system_sgpr_private_segment_wavefront_offset 0
		.amdhsa_system_sgpr_workgroup_id_x 1
		.amdhsa_system_sgpr_workgroup_id_y 1
		.amdhsa_system_sgpr_workgroup_id_z 0
		.amdhsa_system_sgpr_workgroup_info 0
		.amdhsa_system_vgpr_workitem_id 1
		.amdhsa_next_free_vgpr 92
		.amdhsa_next_free_sgpr 14
		.amdhsa_reserve_vcc 1
		.amdhsa_reserve_flat_scratch 1
		.amdhsa_float_round_mode_32 0
		.amdhsa_float_round_mode_16_64 0
		.amdhsa_float_denorm_mode_32 3
		.amdhsa_float_denorm_mode_16_64 3
		.amdhsa_dx10_clamp 1
		.amdhsa_ieee_mode 1
		.amdhsa_fp16_overflow 0
		.amdhsa_workgroup_processor_mode 1
		.amdhsa_memory_ordered 1
		.amdhsa_forward_progress 1
		.amdhsa_shared_vgpr_count 0
		.amdhsa_exception_fp_ieee_invalid_op 0
		.amdhsa_exception_fp_denorm_src 0
		.amdhsa_exception_fp_ieee_div_zero 0
		.amdhsa_exception_fp_ieee_overflow 0
		.amdhsa_exception_fp_ieee_underflow 0
		.amdhsa_exception_fp_ieee_inexact 0
		.amdhsa_exception_int_div_zero 0
	.end_amdhsa_kernel
	.section	.text._ZN9rocsolver6v33100L18getf2_small_kernelILi20EdiiPKPdEEvT1_T3_lS5_lPS5_llPT2_S5_S5_S7_l,"axG",@progbits,_ZN9rocsolver6v33100L18getf2_small_kernelILi20EdiiPKPdEEvT1_T3_lS5_lPS5_llPT2_S5_S5_S7_l,comdat
.Lfunc_end38:
	.size	_ZN9rocsolver6v33100L18getf2_small_kernelILi20EdiiPKPdEEvT1_T3_lS5_lPS5_llPT2_S5_S5_S7_l, .Lfunc_end38-_ZN9rocsolver6v33100L18getf2_small_kernelILi20EdiiPKPdEEvT1_T3_lS5_lPS5_llPT2_S5_S5_S7_l
                                        ; -- End function
	.set _ZN9rocsolver6v33100L18getf2_small_kernelILi20EdiiPKPdEEvT1_T3_lS5_lPS5_llPT2_S5_S5_S7_l.num_vgpr, 92
	.set _ZN9rocsolver6v33100L18getf2_small_kernelILi20EdiiPKPdEEvT1_T3_lS5_lPS5_llPT2_S5_S5_S7_l.num_agpr, 0
	.set _ZN9rocsolver6v33100L18getf2_small_kernelILi20EdiiPKPdEEvT1_T3_lS5_lPS5_llPT2_S5_S5_S7_l.numbered_sgpr, 14
	.set _ZN9rocsolver6v33100L18getf2_small_kernelILi20EdiiPKPdEEvT1_T3_lS5_lPS5_llPT2_S5_S5_S7_l.num_named_barrier, 0
	.set _ZN9rocsolver6v33100L18getf2_small_kernelILi20EdiiPKPdEEvT1_T3_lS5_lPS5_llPT2_S5_S5_S7_l.private_seg_size, 0
	.set _ZN9rocsolver6v33100L18getf2_small_kernelILi20EdiiPKPdEEvT1_T3_lS5_lPS5_llPT2_S5_S5_S7_l.uses_vcc, 1
	.set _ZN9rocsolver6v33100L18getf2_small_kernelILi20EdiiPKPdEEvT1_T3_lS5_lPS5_llPT2_S5_S5_S7_l.uses_flat_scratch, 1
	.set _ZN9rocsolver6v33100L18getf2_small_kernelILi20EdiiPKPdEEvT1_T3_lS5_lPS5_llPT2_S5_S5_S7_l.has_dyn_sized_stack, 0
	.set _ZN9rocsolver6v33100L18getf2_small_kernelILi20EdiiPKPdEEvT1_T3_lS5_lPS5_llPT2_S5_S5_S7_l.has_recursion, 0
	.set _ZN9rocsolver6v33100L18getf2_small_kernelILi20EdiiPKPdEEvT1_T3_lS5_lPS5_llPT2_S5_S5_S7_l.has_indirect_call, 0
	.section	.AMDGPU.csdata,"",@progbits
; Kernel info:
; codeLenInByte = 15328
; TotalNumSgprs: 16
; NumVgprs: 92
; ScratchSize: 0
; MemoryBound: 0
; FloatMode: 240
; IeeeMode: 1
; LDSByteSize: 0 bytes/workgroup (compile time only)
; SGPRBlocks: 0
; VGPRBlocks: 11
; NumSGPRsForWavesPerEU: 16
; NumVGPRsForWavesPerEU: 92
; Occupancy: 10
; WaveLimiterHint : 1
; COMPUTE_PGM_RSRC2:SCRATCH_EN: 0
; COMPUTE_PGM_RSRC2:USER_SGPR: 6
; COMPUTE_PGM_RSRC2:TRAP_HANDLER: 0
; COMPUTE_PGM_RSRC2:TGID_X_EN: 1
; COMPUTE_PGM_RSRC2:TGID_Y_EN: 1
; COMPUTE_PGM_RSRC2:TGID_Z_EN: 0
; COMPUTE_PGM_RSRC2:TIDIG_COMP_CNT: 1
	.section	.text._ZN9rocsolver6v33100L23getf2_npvt_small_kernelILi20EdiiPKPdEEvT1_T3_lS5_lPT2_S5_S5_,"axG",@progbits,_ZN9rocsolver6v33100L23getf2_npvt_small_kernelILi20EdiiPKPdEEvT1_T3_lS5_lPT2_S5_S5_,comdat
	.globl	_ZN9rocsolver6v33100L23getf2_npvt_small_kernelILi20EdiiPKPdEEvT1_T3_lS5_lPT2_S5_S5_ ; -- Begin function _ZN9rocsolver6v33100L23getf2_npvt_small_kernelILi20EdiiPKPdEEvT1_T3_lS5_lPT2_S5_S5_
	.p2align	8
	.type	_ZN9rocsolver6v33100L23getf2_npvt_small_kernelILi20EdiiPKPdEEvT1_T3_lS5_lPT2_S5_S5_,@function
_ZN9rocsolver6v33100L23getf2_npvt_small_kernelILi20EdiiPKPdEEvT1_T3_lS5_lPT2_S5_S5_: ; @_ZN9rocsolver6v33100L23getf2_npvt_small_kernelILi20EdiiPKPdEEvT1_T3_lS5_lPT2_S5_S5_
; %bb.0:
	s_clause 0x1
	s_load_dword s0, s[4:5], 0x44
	s_load_dwordx2 s[8:9], s[4:5], 0x30
	s_waitcnt lgkmcnt(0)
	s_lshr_b32 s10, s0, 16
	s_mov_b32 s0, exec_lo
	v_mad_u64_u32 v[2:3], null, s7, s10, v[1:2]
	v_cmpx_gt_i32_e64 s8, v2
	s_cbranch_execz .LBB39_103
; %bb.1:
	s_clause 0x1
	s_load_dwordx4 s[0:3], s[4:5], 0x8
	s_load_dword s6, s[4:5], 0x18
	v_ashrrev_i32_e32 v3, 31, v2
	v_lshlrev_b32_e32 v44, 3, v0
	v_lshlrev_b32_e32 v84, 3, v1
	s_mulk_i32 s10, 0xa0
	v_mad_u32_u24 v122, 0xa0, v1, 0
	v_lshlrev_b64 v[4:5], 3, v[2:3]
	v_add3_u32 v1, 0, s10, v84
	s_waitcnt lgkmcnt(0)
	v_add_co_u32 v4, vcc_lo, s0, v4
	v_add_co_ci_u32_e64 v5, null, s1, v5, vcc_lo
	v_add3_u32 v6, s6, s6, v0
	s_lshl_b64 s[0:1], s[2:3], 3
	s_ashr_i32 s7, s6, 31
	global_load_dwordx2 v[4:5], v[4:5], off
	s_lshl_b64 s[2:3], s[6:7], 3
	v_add_nc_u32_e32 v8, s6, v6
	v_ashrrev_i32_e32 v7, 31, v6
	v_add_nc_u32_e32 v10, s6, v8
	v_ashrrev_i32_e32 v9, 31, v8
	v_lshlrev_b64 v[6:7], 3, v[6:7]
	v_add_nc_u32_e32 v12, s6, v10
	v_ashrrev_i32_e32 v11, 31, v10
	v_lshlrev_b64 v[8:9], 3, v[8:9]
	;; [unrolled: 3-line block ×12, first 2 shown]
	v_add_nc_u32_e32 v34, s6, v32
	v_lshlrev_b64 v[40:41], 3, v[30:31]
	v_ashrrev_i32_e32 v33, 31, v32
	v_add_nc_u32_e32 v36, s6, v34
	v_ashrrev_i32_e32 v35, 31, v34
	v_lshlrev_b64 v[32:33], 3, v[32:33]
	v_add_nc_u32_e32 v38, s6, v36
	v_ashrrev_i32_e32 v37, 31, v36
	v_lshlrev_b64 v[34:35], 3, v[34:35]
	;; [unrolled: 3-line block ×3, first 2 shown]
	v_ashrrev_i32_e32 v31, 31, v30
	v_lshlrev_b64 v[38:39], 3, v[38:39]
	v_lshlrev_b64 v[42:43], 3, v[30:31]
	s_waitcnt vmcnt(0)
	v_add_co_u32 v45, vcc_lo, v4, s0
	v_add_co_ci_u32_e64 v46, null, s1, v5, vcc_lo
	v_cmp_ne_u32_e64 s1, 0, v0
	v_add_co_u32 v4, vcc_lo, v45, v44
	v_add_co_ci_u32_e64 v5, null, 0, v46, vcc_lo
	v_add_co_u32 v6, vcc_lo, v45, v6
	v_add_co_ci_u32_e64 v7, null, v46, v7, vcc_lo
	;; [unrolled: 2-line block ×20, first 2 shown]
	s_clause 0x13
	flat_load_dwordx2 v[64:65], v[10:11]
	flat_load_dwordx2 v[54:55], v[12:13]
	;; [unrolled: 1-line block ×20, first 2 shown]
	v_cmp_eq_u32_e64 s0, 0, v0
	s_and_saveexec_b32 s2, s0
	s_cbranch_execz .LBB39_4
; %bb.2:
	s_waitcnt vmcnt(7) lgkmcnt(7)
	ds_write_b64 v1, v[76:77]
	s_waitcnt vmcnt(5) lgkmcnt(6)
	ds_write2_b64 v122, v[80:81], v[82:83] offset0:1 offset1:2
	s_waitcnt vmcnt(4) lgkmcnt(6)
	ds_write2_b64 v122, v[78:79], v[64:65] offset0:3 offset1:4
	ds_write2_b64 v122, v[54:55], v[62:63] offset0:5 offset1:6
	ds_write2_b64 v122, v[52:53], v[60:61] offset0:7 offset1:8
	ds_write2_b64 v122, v[50:51], v[58:59] offset0:9 offset1:10
	ds_write2_b64 v122, v[48:49], v[56:57] offset0:11 offset1:12
	ds_write2_b64 v122, v[46:47], v[44:45] offset0:13 offset1:14
	s_waitcnt vmcnt(3) lgkmcnt(11)
	ds_write2_b64 v122, v[42:43], v[72:73] offset0:15 offset1:16
	s_waitcnt vmcnt(1) lgkmcnt(10)
	ds_write2_b64 v122, v[68:69], v[70:71] offset0:17 offset1:18
	s_waitcnt vmcnt(0) lgkmcnt(10)
	ds_write_b64 v122, v[74:75] offset:152
	ds_read_b64 v[84:85], v1
	s_waitcnt lgkmcnt(0)
	v_cmp_neq_f64_e32 vcc_lo, 0, v[84:85]
	s_and_b32 exec_lo, exec_lo, vcc_lo
	s_cbranch_execz .LBB39_4
; %bb.3:
	v_div_scale_f64 v[86:87], null, v[84:85], v[84:85], 1.0
	v_rcp_f64_e32 v[88:89], v[86:87]
	v_fma_f64 v[90:91], -v[86:87], v[88:89], 1.0
	v_fma_f64 v[88:89], v[88:89], v[90:91], v[88:89]
	v_fma_f64 v[90:91], -v[86:87], v[88:89], 1.0
	v_fma_f64 v[88:89], v[88:89], v[90:91], v[88:89]
	v_div_scale_f64 v[90:91], vcc_lo, 1.0, v[84:85], 1.0
	v_mul_f64 v[92:93], v[90:91], v[88:89]
	v_fma_f64 v[86:87], -v[86:87], v[92:93], v[90:91]
	v_div_fmas_f64 v[86:87], v[86:87], v[88:89], v[92:93]
	v_div_fixup_f64 v[84:85], v[86:87], v[84:85], 1.0
	ds_write_b64 v1, v[84:85]
.LBB39_4:
	s_or_b32 exec_lo, exec_lo, s2
	s_waitcnt vmcnt(0) lgkmcnt(0)
	s_barrier
	buffer_gl0_inv
	ds_read_b64 v[84:85], v1
	s_and_saveexec_b32 s2, s1
	s_cbranch_execz .LBB39_6
; %bb.5:
	s_waitcnt lgkmcnt(0)
	v_mul_f64 v[76:77], v[84:85], v[76:77]
	ds_read2_b64 v[86:89], v122 offset0:1 offset1:2
	ds_read2_b64 v[90:93], v122 offset0:3 offset1:4
	;; [unrolled: 1-line block ×9, first 2 shown]
	ds_read_b64 v[123:124], v122 offset:152
	s_waitcnt lgkmcnt(9)
	v_fma_f64 v[80:81], -v[76:77], v[86:87], v[80:81]
	v_fma_f64 v[82:83], -v[76:77], v[88:89], v[82:83]
	s_waitcnt lgkmcnt(8)
	v_fma_f64 v[78:79], -v[76:77], v[90:91], v[78:79]
	v_fma_f64 v[64:65], -v[76:77], v[92:93], v[64:65]
	;; [unrolled: 3-line block ×9, first 2 shown]
	s_waitcnt lgkmcnt(0)
	v_fma_f64 v[74:75], -v[76:77], v[123:124], v[74:75]
.LBB39_6:
	s_or_b32 exec_lo, exec_lo, s2
	s_mov_b32 s1, exec_lo
	s_waitcnt lgkmcnt(0)
	s_barrier
	buffer_gl0_inv
	v_cmpx_eq_u32_e32 1, v0
	s_cbranch_execz .LBB39_9
; %bb.7:
	v_mov_b32_e32 v86, v82
	v_mov_b32_e32 v87, v83
	;; [unrolled: 1-line block ×16, first 2 shown]
	ds_write_b64 v1, v[80:81]
	ds_write2_b64 v122, v[86:87], v[88:89] offset0:2 offset1:3
	ds_write2_b64 v122, v[90:91], v[92:93] offset0:4 offset1:5
	;; [unrolled: 1-line block ×4, first 2 shown]
	v_mov_b32_e32 v86, v58
	v_mov_b32_e32 v87, v59
	v_mov_b32_e32 v88, v48
	v_mov_b32_e32 v89, v49
	v_mov_b32_e32 v90, v56
	v_mov_b32_e32 v91, v57
	v_mov_b32_e32 v92, v46
	v_mov_b32_e32 v93, v47
	v_mov_b32_e32 v94, v44
	v_mov_b32_e32 v95, v45
	v_mov_b32_e32 v96, v42
	v_mov_b32_e32 v97, v43
	v_mov_b32_e32 v98, v72
	v_mov_b32_e32 v99, v73
	v_mov_b32_e32 v100, v68
	v_mov_b32_e32 v101, v69
	v_mov_b32_e32 v102, v70
	v_mov_b32_e32 v103, v71
	ds_write2_b64 v122, v[86:87], v[88:89] offset0:10 offset1:11
	ds_write2_b64 v122, v[90:91], v[92:93] offset0:12 offset1:13
	;; [unrolled: 1-line block ×5, first 2 shown]
	ds_read_b64 v[86:87], v1
	s_waitcnt lgkmcnt(0)
	v_cmp_neq_f64_e32 vcc_lo, 0, v[86:87]
	s_and_b32 exec_lo, exec_lo, vcc_lo
	s_cbranch_execz .LBB39_9
; %bb.8:
	v_div_scale_f64 v[88:89], null, v[86:87], v[86:87], 1.0
	v_rcp_f64_e32 v[90:91], v[88:89]
	v_fma_f64 v[92:93], -v[88:89], v[90:91], 1.0
	v_fma_f64 v[90:91], v[90:91], v[92:93], v[90:91]
	v_fma_f64 v[92:93], -v[88:89], v[90:91], 1.0
	v_fma_f64 v[90:91], v[90:91], v[92:93], v[90:91]
	v_div_scale_f64 v[92:93], vcc_lo, 1.0, v[86:87], 1.0
	v_mul_f64 v[94:95], v[92:93], v[90:91]
	v_fma_f64 v[88:89], -v[88:89], v[94:95], v[92:93]
	v_div_fmas_f64 v[88:89], v[88:89], v[90:91], v[94:95]
	v_div_fixup_f64 v[86:87], v[88:89], v[86:87], 1.0
	ds_write_b64 v1, v[86:87]
.LBB39_9:
	s_or_b32 exec_lo, exec_lo, s1
	s_waitcnt lgkmcnt(0)
	s_barrier
	buffer_gl0_inv
	ds_read_b64 v[86:87], v1
	s_mov_b32 s1, exec_lo
	v_cmpx_lt_u32_e32 1, v0
	s_cbranch_execz .LBB39_11
; %bb.10:
	s_waitcnt lgkmcnt(0)
	v_mul_f64 v[80:81], v[86:87], v[80:81]
	ds_read2_b64 v[88:91], v122 offset0:2 offset1:3
	ds_read2_b64 v[92:95], v122 offset0:4 offset1:5
	;; [unrolled: 1-line block ×9, first 2 shown]
	s_waitcnt lgkmcnt(8)
	v_fma_f64 v[82:83], -v[80:81], v[88:89], v[82:83]
	v_fma_f64 v[78:79], -v[80:81], v[90:91], v[78:79]
	s_waitcnt lgkmcnt(7)
	v_fma_f64 v[64:65], -v[80:81], v[92:93], v[64:65]
	v_fma_f64 v[54:55], -v[80:81], v[94:95], v[54:55]
	;; [unrolled: 3-line block ×9, first 2 shown]
.LBB39_11:
	s_or_b32 exec_lo, exec_lo, s1
	s_mov_b32 s1, exec_lo
	s_waitcnt lgkmcnt(0)
	s_barrier
	buffer_gl0_inv
	v_cmpx_eq_u32_e32 2, v0
	s_cbranch_execz .LBB39_14
; %bb.12:
	ds_write_b64 v1, v[82:83]
	ds_write2_b64 v122, v[78:79], v[64:65] offset0:3 offset1:4
	ds_write2_b64 v122, v[54:55], v[62:63] offset0:5 offset1:6
	;; [unrolled: 1-line block ×8, first 2 shown]
	ds_write_b64 v122, v[74:75] offset:152
	ds_read_b64 v[88:89], v1
	s_waitcnt lgkmcnt(0)
	v_cmp_neq_f64_e32 vcc_lo, 0, v[88:89]
	s_and_b32 exec_lo, exec_lo, vcc_lo
	s_cbranch_execz .LBB39_14
; %bb.13:
	v_div_scale_f64 v[90:91], null, v[88:89], v[88:89], 1.0
	v_rcp_f64_e32 v[92:93], v[90:91]
	v_fma_f64 v[94:95], -v[90:91], v[92:93], 1.0
	v_fma_f64 v[92:93], v[92:93], v[94:95], v[92:93]
	v_fma_f64 v[94:95], -v[90:91], v[92:93], 1.0
	v_fma_f64 v[92:93], v[92:93], v[94:95], v[92:93]
	v_div_scale_f64 v[94:95], vcc_lo, 1.0, v[88:89], 1.0
	v_mul_f64 v[96:97], v[94:95], v[92:93]
	v_fma_f64 v[90:91], -v[90:91], v[96:97], v[94:95]
	v_div_fmas_f64 v[90:91], v[90:91], v[92:93], v[96:97]
	v_div_fixup_f64 v[88:89], v[90:91], v[88:89], 1.0
	ds_write_b64 v1, v[88:89]
.LBB39_14:
	s_or_b32 exec_lo, exec_lo, s1
	s_waitcnt lgkmcnt(0)
	s_barrier
	buffer_gl0_inv
	ds_read_b64 v[88:89], v1
	s_mov_b32 s1, exec_lo
	v_cmpx_lt_u32_e32 2, v0
	s_cbranch_execz .LBB39_16
; %bb.15:
	s_waitcnt lgkmcnt(0)
	v_mul_f64 v[82:83], v[88:89], v[82:83]
	ds_read2_b64 v[90:93], v122 offset0:3 offset1:4
	ds_read2_b64 v[94:97], v122 offset0:5 offset1:6
	;; [unrolled: 1-line block ×8, first 2 shown]
	ds_read_b64 v[123:124], v122 offset:152
	s_waitcnt lgkmcnt(8)
	v_fma_f64 v[78:79], -v[82:83], v[90:91], v[78:79]
	v_fma_f64 v[64:65], -v[82:83], v[92:93], v[64:65]
	s_waitcnt lgkmcnt(7)
	v_fma_f64 v[54:55], -v[82:83], v[94:95], v[54:55]
	v_fma_f64 v[62:63], -v[82:83], v[96:97], v[62:63]
	;; [unrolled: 3-line block ×8, first 2 shown]
	s_waitcnt lgkmcnt(0)
	v_fma_f64 v[74:75], -v[82:83], v[123:124], v[74:75]
.LBB39_16:
	s_or_b32 exec_lo, exec_lo, s1
	s_mov_b32 s1, exec_lo
	s_waitcnt lgkmcnt(0)
	s_barrier
	buffer_gl0_inv
	v_cmpx_eq_u32_e32 3, v0
	s_cbranch_execz .LBB39_19
; %bb.17:
	v_mov_b32_e32 v90, v64
	v_mov_b32_e32 v91, v65
	;; [unrolled: 1-line block ×12, first 2 shown]
	ds_write_b64 v1, v[78:79]
	ds_write2_b64 v122, v[90:91], v[92:93] offset0:4 offset1:5
	ds_write2_b64 v122, v[94:95], v[96:97] offset0:6 offset1:7
	ds_write2_b64 v122, v[98:99], v[100:101] offset0:8 offset1:9
	v_mov_b32_e32 v90, v58
	v_mov_b32_e32 v91, v59
	;; [unrolled: 1-line block ×18, first 2 shown]
	ds_write2_b64 v122, v[90:91], v[92:93] offset0:10 offset1:11
	ds_write2_b64 v122, v[94:95], v[96:97] offset0:12 offset1:13
	;; [unrolled: 1-line block ×5, first 2 shown]
	ds_read_b64 v[90:91], v1
	s_waitcnt lgkmcnt(0)
	v_cmp_neq_f64_e32 vcc_lo, 0, v[90:91]
	s_and_b32 exec_lo, exec_lo, vcc_lo
	s_cbranch_execz .LBB39_19
; %bb.18:
	v_div_scale_f64 v[92:93], null, v[90:91], v[90:91], 1.0
	v_rcp_f64_e32 v[94:95], v[92:93]
	v_fma_f64 v[96:97], -v[92:93], v[94:95], 1.0
	v_fma_f64 v[94:95], v[94:95], v[96:97], v[94:95]
	v_fma_f64 v[96:97], -v[92:93], v[94:95], 1.0
	v_fma_f64 v[94:95], v[94:95], v[96:97], v[94:95]
	v_div_scale_f64 v[96:97], vcc_lo, 1.0, v[90:91], 1.0
	v_mul_f64 v[98:99], v[96:97], v[94:95]
	v_fma_f64 v[92:93], -v[92:93], v[98:99], v[96:97]
	v_div_fmas_f64 v[92:93], v[92:93], v[94:95], v[98:99]
	v_div_fixup_f64 v[90:91], v[92:93], v[90:91], 1.0
	ds_write_b64 v1, v[90:91]
.LBB39_19:
	s_or_b32 exec_lo, exec_lo, s1
	s_waitcnt lgkmcnt(0)
	s_barrier
	buffer_gl0_inv
	ds_read_b64 v[90:91], v1
	s_mov_b32 s1, exec_lo
	v_cmpx_lt_u32_e32 3, v0
	s_cbranch_execz .LBB39_21
; %bb.20:
	s_waitcnt lgkmcnt(0)
	v_mul_f64 v[78:79], v[90:91], v[78:79]
	ds_read2_b64 v[92:95], v122 offset0:4 offset1:5
	ds_read2_b64 v[96:99], v122 offset0:6 offset1:7
	;; [unrolled: 1-line block ×8, first 2 shown]
	s_waitcnt lgkmcnt(7)
	v_fma_f64 v[64:65], -v[78:79], v[92:93], v[64:65]
	v_fma_f64 v[54:55], -v[78:79], v[94:95], v[54:55]
	s_waitcnt lgkmcnt(6)
	v_fma_f64 v[62:63], -v[78:79], v[96:97], v[62:63]
	v_fma_f64 v[52:53], -v[78:79], v[98:99], v[52:53]
	;; [unrolled: 3-line block ×8, first 2 shown]
.LBB39_21:
	s_or_b32 exec_lo, exec_lo, s1
	s_mov_b32 s1, exec_lo
	s_waitcnt lgkmcnt(0)
	s_barrier
	buffer_gl0_inv
	v_cmpx_eq_u32_e32 4, v0
	s_cbranch_execz .LBB39_24
; %bb.22:
	ds_write_b64 v1, v[64:65]
	ds_write2_b64 v122, v[54:55], v[62:63] offset0:5 offset1:6
	ds_write2_b64 v122, v[52:53], v[60:61] offset0:7 offset1:8
	;; [unrolled: 1-line block ×7, first 2 shown]
	ds_write_b64 v122, v[74:75] offset:152
	ds_read_b64 v[92:93], v1
	s_waitcnt lgkmcnt(0)
	v_cmp_neq_f64_e32 vcc_lo, 0, v[92:93]
	s_and_b32 exec_lo, exec_lo, vcc_lo
	s_cbranch_execz .LBB39_24
; %bb.23:
	v_div_scale_f64 v[94:95], null, v[92:93], v[92:93], 1.0
	v_rcp_f64_e32 v[96:97], v[94:95]
	v_fma_f64 v[98:99], -v[94:95], v[96:97], 1.0
	v_fma_f64 v[96:97], v[96:97], v[98:99], v[96:97]
	v_fma_f64 v[98:99], -v[94:95], v[96:97], 1.0
	v_fma_f64 v[96:97], v[96:97], v[98:99], v[96:97]
	v_div_scale_f64 v[98:99], vcc_lo, 1.0, v[92:93], 1.0
	v_mul_f64 v[100:101], v[98:99], v[96:97]
	v_fma_f64 v[94:95], -v[94:95], v[100:101], v[98:99]
	v_div_fmas_f64 v[94:95], v[94:95], v[96:97], v[100:101]
	v_div_fixup_f64 v[92:93], v[94:95], v[92:93], 1.0
	ds_write_b64 v1, v[92:93]
.LBB39_24:
	s_or_b32 exec_lo, exec_lo, s1
	s_waitcnt lgkmcnt(0)
	s_barrier
	buffer_gl0_inv
	ds_read_b64 v[92:93], v1
	s_mov_b32 s1, exec_lo
	v_cmpx_lt_u32_e32 4, v0
	s_cbranch_execz .LBB39_26
; %bb.25:
	s_waitcnt lgkmcnt(0)
	v_mul_f64 v[64:65], v[92:93], v[64:65]
	ds_read2_b64 v[94:97], v122 offset0:5 offset1:6
	ds_read2_b64 v[98:101], v122 offset0:7 offset1:8
	;; [unrolled: 1-line block ×7, first 2 shown]
	ds_read_b64 v[123:124], v122 offset:152
	s_waitcnt lgkmcnt(7)
	v_fma_f64 v[54:55], -v[64:65], v[94:95], v[54:55]
	v_fma_f64 v[62:63], -v[64:65], v[96:97], v[62:63]
	s_waitcnt lgkmcnt(6)
	v_fma_f64 v[52:53], -v[64:65], v[98:99], v[52:53]
	v_fma_f64 v[60:61], -v[64:65], v[100:101], v[60:61]
	;; [unrolled: 3-line block ×7, first 2 shown]
	s_waitcnt lgkmcnt(0)
	v_fma_f64 v[74:75], -v[64:65], v[123:124], v[74:75]
.LBB39_26:
	s_or_b32 exec_lo, exec_lo, s1
	s_mov_b32 s1, exec_lo
	s_waitcnt lgkmcnt(0)
	s_barrier
	buffer_gl0_inv
	v_cmpx_eq_u32_e32 5, v0
	s_cbranch_execz .LBB39_29
; %bb.27:
	v_mov_b32_e32 v94, v62
	v_mov_b32_e32 v95, v63
	;; [unrolled: 1-line block ×8, first 2 shown]
	ds_write_b64 v1, v[54:55]
	ds_write2_b64 v122, v[94:95], v[96:97] offset0:6 offset1:7
	ds_write2_b64 v122, v[98:99], v[100:101] offset0:8 offset1:9
	v_mov_b32_e32 v94, v58
	v_mov_b32_e32 v95, v59
	;; [unrolled: 1-line block ×18, first 2 shown]
	ds_write2_b64 v122, v[94:95], v[96:97] offset0:10 offset1:11
	ds_write2_b64 v122, v[98:99], v[100:101] offset0:12 offset1:13
	;; [unrolled: 1-line block ×5, first 2 shown]
	ds_read_b64 v[94:95], v1
	s_waitcnt lgkmcnt(0)
	v_cmp_neq_f64_e32 vcc_lo, 0, v[94:95]
	s_and_b32 exec_lo, exec_lo, vcc_lo
	s_cbranch_execz .LBB39_29
; %bb.28:
	v_div_scale_f64 v[96:97], null, v[94:95], v[94:95], 1.0
	v_rcp_f64_e32 v[98:99], v[96:97]
	v_fma_f64 v[100:101], -v[96:97], v[98:99], 1.0
	v_fma_f64 v[98:99], v[98:99], v[100:101], v[98:99]
	v_fma_f64 v[100:101], -v[96:97], v[98:99], 1.0
	v_fma_f64 v[98:99], v[98:99], v[100:101], v[98:99]
	v_div_scale_f64 v[100:101], vcc_lo, 1.0, v[94:95], 1.0
	v_mul_f64 v[102:103], v[100:101], v[98:99]
	v_fma_f64 v[96:97], -v[96:97], v[102:103], v[100:101]
	v_div_fmas_f64 v[96:97], v[96:97], v[98:99], v[102:103]
	v_div_fixup_f64 v[94:95], v[96:97], v[94:95], 1.0
	ds_write_b64 v1, v[94:95]
.LBB39_29:
	s_or_b32 exec_lo, exec_lo, s1
	s_waitcnt lgkmcnt(0)
	s_barrier
	buffer_gl0_inv
	ds_read_b64 v[94:95], v1
	s_mov_b32 s1, exec_lo
	v_cmpx_lt_u32_e32 5, v0
	s_cbranch_execz .LBB39_31
; %bb.30:
	s_waitcnt lgkmcnt(0)
	v_mul_f64 v[54:55], v[94:95], v[54:55]
	ds_read2_b64 v[96:99], v122 offset0:6 offset1:7
	ds_read2_b64 v[100:103], v122 offset0:8 offset1:9
	;; [unrolled: 1-line block ×7, first 2 shown]
	s_waitcnt lgkmcnt(6)
	v_fma_f64 v[62:63], -v[54:55], v[96:97], v[62:63]
	v_fma_f64 v[52:53], -v[54:55], v[98:99], v[52:53]
	s_waitcnt lgkmcnt(5)
	v_fma_f64 v[60:61], -v[54:55], v[100:101], v[60:61]
	v_fma_f64 v[50:51], -v[54:55], v[102:103], v[50:51]
	;; [unrolled: 3-line block ×7, first 2 shown]
.LBB39_31:
	s_or_b32 exec_lo, exec_lo, s1
	s_mov_b32 s1, exec_lo
	s_waitcnt lgkmcnt(0)
	s_barrier
	buffer_gl0_inv
	v_cmpx_eq_u32_e32 6, v0
	s_cbranch_execz .LBB39_34
; %bb.32:
	ds_write_b64 v1, v[62:63]
	ds_write2_b64 v122, v[52:53], v[60:61] offset0:7 offset1:8
	ds_write2_b64 v122, v[50:51], v[58:59] offset0:9 offset1:10
	;; [unrolled: 1-line block ×6, first 2 shown]
	ds_write_b64 v122, v[74:75] offset:152
	ds_read_b64 v[96:97], v1
	s_waitcnt lgkmcnt(0)
	v_cmp_neq_f64_e32 vcc_lo, 0, v[96:97]
	s_and_b32 exec_lo, exec_lo, vcc_lo
	s_cbranch_execz .LBB39_34
; %bb.33:
	v_div_scale_f64 v[98:99], null, v[96:97], v[96:97], 1.0
	v_rcp_f64_e32 v[100:101], v[98:99]
	v_fma_f64 v[102:103], -v[98:99], v[100:101], 1.0
	v_fma_f64 v[100:101], v[100:101], v[102:103], v[100:101]
	v_fma_f64 v[102:103], -v[98:99], v[100:101], 1.0
	v_fma_f64 v[100:101], v[100:101], v[102:103], v[100:101]
	v_div_scale_f64 v[102:103], vcc_lo, 1.0, v[96:97], 1.0
	v_mul_f64 v[104:105], v[102:103], v[100:101]
	v_fma_f64 v[98:99], -v[98:99], v[104:105], v[102:103]
	v_div_fmas_f64 v[98:99], v[98:99], v[100:101], v[104:105]
	v_div_fixup_f64 v[96:97], v[98:99], v[96:97], 1.0
	ds_write_b64 v1, v[96:97]
.LBB39_34:
	s_or_b32 exec_lo, exec_lo, s1
	s_waitcnt lgkmcnt(0)
	s_barrier
	buffer_gl0_inv
	ds_read_b64 v[96:97], v1
	s_mov_b32 s1, exec_lo
	v_cmpx_lt_u32_e32 6, v0
	s_cbranch_execz .LBB39_36
; %bb.35:
	s_waitcnt lgkmcnt(0)
	v_mul_f64 v[62:63], v[96:97], v[62:63]
	ds_read2_b64 v[98:101], v122 offset0:7 offset1:8
	ds_read2_b64 v[102:105], v122 offset0:9 offset1:10
	;; [unrolled: 1-line block ×6, first 2 shown]
	ds_read_b64 v[123:124], v122 offset:152
	s_waitcnt lgkmcnt(6)
	v_fma_f64 v[52:53], -v[62:63], v[98:99], v[52:53]
	v_fma_f64 v[60:61], -v[62:63], v[100:101], v[60:61]
	s_waitcnt lgkmcnt(5)
	v_fma_f64 v[50:51], -v[62:63], v[102:103], v[50:51]
	v_fma_f64 v[58:59], -v[62:63], v[104:105], v[58:59]
	;; [unrolled: 3-line block ×6, first 2 shown]
	s_waitcnt lgkmcnt(0)
	v_fma_f64 v[74:75], -v[62:63], v[123:124], v[74:75]
.LBB39_36:
	s_or_b32 exec_lo, exec_lo, s1
	s_mov_b32 s1, exec_lo
	s_waitcnt lgkmcnt(0)
	s_barrier
	buffer_gl0_inv
	v_cmpx_eq_u32_e32 7, v0
	s_cbranch_execz .LBB39_39
; %bb.37:
	v_mov_b32_e32 v98, v60
	v_mov_b32_e32 v99, v61
	;; [unrolled: 1-line block ×4, first 2 shown]
	ds_write_b64 v1, v[52:53]
	ds_write2_b64 v122, v[98:99], v[100:101] offset0:8 offset1:9
	v_mov_b32_e32 v98, v58
	v_mov_b32_e32 v99, v59
	v_mov_b32_e32 v100, v48
	v_mov_b32_e32 v101, v49
	v_mov_b32_e32 v102, v56
	v_mov_b32_e32 v103, v57
	v_mov_b32_e32 v104, v46
	v_mov_b32_e32 v105, v47
	v_mov_b32_e32 v106, v44
	v_mov_b32_e32 v107, v45
	v_mov_b32_e32 v108, v42
	v_mov_b32_e32 v109, v43
	v_mov_b32_e32 v110, v72
	v_mov_b32_e32 v111, v73
	v_mov_b32_e32 v112, v68
	v_mov_b32_e32 v113, v69
	v_mov_b32_e32 v114, v70
	v_mov_b32_e32 v115, v71
	ds_write2_b64 v122, v[98:99], v[100:101] offset0:10 offset1:11
	ds_write2_b64 v122, v[102:103], v[104:105] offset0:12 offset1:13
	;; [unrolled: 1-line block ×5, first 2 shown]
	ds_read_b64 v[98:99], v1
	s_waitcnt lgkmcnt(0)
	v_cmp_neq_f64_e32 vcc_lo, 0, v[98:99]
	s_and_b32 exec_lo, exec_lo, vcc_lo
	s_cbranch_execz .LBB39_39
; %bb.38:
	v_div_scale_f64 v[100:101], null, v[98:99], v[98:99], 1.0
	v_rcp_f64_e32 v[102:103], v[100:101]
	v_fma_f64 v[104:105], -v[100:101], v[102:103], 1.0
	v_fma_f64 v[102:103], v[102:103], v[104:105], v[102:103]
	v_fma_f64 v[104:105], -v[100:101], v[102:103], 1.0
	v_fma_f64 v[102:103], v[102:103], v[104:105], v[102:103]
	v_div_scale_f64 v[104:105], vcc_lo, 1.0, v[98:99], 1.0
	v_mul_f64 v[106:107], v[104:105], v[102:103]
	v_fma_f64 v[100:101], -v[100:101], v[106:107], v[104:105]
	v_div_fmas_f64 v[100:101], v[100:101], v[102:103], v[106:107]
	v_div_fixup_f64 v[98:99], v[100:101], v[98:99], 1.0
	ds_write_b64 v1, v[98:99]
.LBB39_39:
	s_or_b32 exec_lo, exec_lo, s1
	s_waitcnt lgkmcnt(0)
	s_barrier
	buffer_gl0_inv
	ds_read_b64 v[98:99], v1
	s_mov_b32 s1, exec_lo
	v_cmpx_lt_u32_e32 7, v0
	s_cbranch_execz .LBB39_41
; %bb.40:
	s_waitcnt lgkmcnt(0)
	v_mul_f64 v[52:53], v[98:99], v[52:53]
	ds_read2_b64 v[100:103], v122 offset0:8 offset1:9
	ds_read2_b64 v[104:107], v122 offset0:10 offset1:11
	;; [unrolled: 1-line block ×6, first 2 shown]
	s_waitcnt lgkmcnt(5)
	v_fma_f64 v[60:61], -v[52:53], v[100:101], v[60:61]
	v_fma_f64 v[50:51], -v[52:53], v[102:103], v[50:51]
	s_waitcnt lgkmcnt(4)
	v_fma_f64 v[58:59], -v[52:53], v[104:105], v[58:59]
	v_fma_f64 v[48:49], -v[52:53], v[106:107], v[48:49]
	;; [unrolled: 3-line block ×6, first 2 shown]
.LBB39_41:
	s_or_b32 exec_lo, exec_lo, s1
	s_mov_b32 s1, exec_lo
	s_waitcnt lgkmcnt(0)
	s_barrier
	buffer_gl0_inv
	v_cmpx_eq_u32_e32 8, v0
	s_cbranch_execz .LBB39_44
; %bb.42:
	ds_write_b64 v1, v[60:61]
	ds_write2_b64 v122, v[50:51], v[58:59] offset0:9 offset1:10
	ds_write2_b64 v122, v[48:49], v[56:57] offset0:11 offset1:12
	;; [unrolled: 1-line block ×5, first 2 shown]
	ds_write_b64 v122, v[74:75] offset:152
	ds_read_b64 v[100:101], v1
	s_waitcnt lgkmcnt(0)
	v_cmp_neq_f64_e32 vcc_lo, 0, v[100:101]
	s_and_b32 exec_lo, exec_lo, vcc_lo
	s_cbranch_execz .LBB39_44
; %bb.43:
	v_div_scale_f64 v[102:103], null, v[100:101], v[100:101], 1.0
	v_rcp_f64_e32 v[104:105], v[102:103]
	v_fma_f64 v[106:107], -v[102:103], v[104:105], 1.0
	v_fma_f64 v[104:105], v[104:105], v[106:107], v[104:105]
	v_fma_f64 v[106:107], -v[102:103], v[104:105], 1.0
	v_fma_f64 v[104:105], v[104:105], v[106:107], v[104:105]
	v_div_scale_f64 v[106:107], vcc_lo, 1.0, v[100:101], 1.0
	v_mul_f64 v[108:109], v[106:107], v[104:105]
	v_fma_f64 v[102:103], -v[102:103], v[108:109], v[106:107]
	v_div_fmas_f64 v[102:103], v[102:103], v[104:105], v[108:109]
	v_div_fixup_f64 v[100:101], v[102:103], v[100:101], 1.0
	ds_write_b64 v1, v[100:101]
.LBB39_44:
	s_or_b32 exec_lo, exec_lo, s1
	s_waitcnt lgkmcnt(0)
	s_barrier
	buffer_gl0_inv
	ds_read_b64 v[100:101], v1
	s_mov_b32 s1, exec_lo
	v_cmpx_lt_u32_e32 8, v0
	s_cbranch_execz .LBB39_46
; %bb.45:
	s_waitcnt lgkmcnt(0)
	v_mul_f64 v[60:61], v[100:101], v[60:61]
	ds_read2_b64 v[102:105], v122 offset0:9 offset1:10
	ds_read2_b64 v[106:109], v122 offset0:11 offset1:12
	;; [unrolled: 1-line block ×5, first 2 shown]
	ds_read_b64 v[123:124], v122 offset:152
	s_waitcnt lgkmcnt(5)
	v_fma_f64 v[50:51], -v[60:61], v[102:103], v[50:51]
	v_fma_f64 v[58:59], -v[60:61], v[104:105], v[58:59]
	s_waitcnt lgkmcnt(4)
	v_fma_f64 v[48:49], -v[60:61], v[106:107], v[48:49]
	v_fma_f64 v[56:57], -v[60:61], v[108:109], v[56:57]
	;; [unrolled: 3-line block ×5, first 2 shown]
	s_waitcnt lgkmcnt(0)
	v_fma_f64 v[74:75], -v[60:61], v[123:124], v[74:75]
.LBB39_46:
	s_or_b32 exec_lo, exec_lo, s1
	s_mov_b32 s1, exec_lo
	s_waitcnt lgkmcnt(0)
	s_barrier
	buffer_gl0_inv
	v_cmpx_eq_u32_e32 9, v0
	s_cbranch_execz .LBB39_49
; %bb.47:
	v_mov_b32_e32 v102, v58
	v_mov_b32_e32 v103, v59
	;; [unrolled: 1-line block ×18, first 2 shown]
	ds_write_b64 v1, v[50:51]
	ds_write2_b64 v122, v[102:103], v[104:105] offset0:10 offset1:11
	ds_write2_b64 v122, v[106:107], v[108:109] offset0:12 offset1:13
	;; [unrolled: 1-line block ×5, first 2 shown]
	ds_read_b64 v[102:103], v1
	s_waitcnt lgkmcnt(0)
	v_cmp_neq_f64_e32 vcc_lo, 0, v[102:103]
	s_and_b32 exec_lo, exec_lo, vcc_lo
	s_cbranch_execz .LBB39_49
; %bb.48:
	v_div_scale_f64 v[104:105], null, v[102:103], v[102:103], 1.0
	v_rcp_f64_e32 v[106:107], v[104:105]
	v_fma_f64 v[108:109], -v[104:105], v[106:107], 1.0
	v_fma_f64 v[106:107], v[106:107], v[108:109], v[106:107]
	v_fma_f64 v[108:109], -v[104:105], v[106:107], 1.0
	v_fma_f64 v[106:107], v[106:107], v[108:109], v[106:107]
	v_div_scale_f64 v[108:109], vcc_lo, 1.0, v[102:103], 1.0
	v_mul_f64 v[110:111], v[108:109], v[106:107]
	v_fma_f64 v[104:105], -v[104:105], v[110:111], v[108:109]
	v_div_fmas_f64 v[104:105], v[104:105], v[106:107], v[110:111]
	v_div_fixup_f64 v[102:103], v[104:105], v[102:103], 1.0
	ds_write_b64 v1, v[102:103]
.LBB39_49:
	s_or_b32 exec_lo, exec_lo, s1
	s_waitcnt lgkmcnt(0)
	s_barrier
	buffer_gl0_inv
	ds_read_b64 v[102:103], v1
	s_mov_b32 s1, exec_lo
	v_cmpx_lt_u32_e32 9, v0
	s_cbranch_execz .LBB39_51
; %bb.50:
	s_waitcnt lgkmcnt(0)
	v_mul_f64 v[50:51], v[102:103], v[50:51]
	ds_read2_b64 v[104:107], v122 offset0:10 offset1:11
	ds_read2_b64 v[108:111], v122 offset0:12 offset1:13
	;; [unrolled: 1-line block ×5, first 2 shown]
	s_waitcnt lgkmcnt(4)
	v_fma_f64 v[58:59], -v[50:51], v[104:105], v[58:59]
	v_fma_f64 v[48:49], -v[50:51], v[106:107], v[48:49]
	s_waitcnt lgkmcnt(3)
	v_fma_f64 v[56:57], -v[50:51], v[108:109], v[56:57]
	v_fma_f64 v[46:47], -v[50:51], v[110:111], v[46:47]
	s_waitcnt lgkmcnt(2)
	v_fma_f64 v[44:45], -v[50:51], v[112:113], v[44:45]
	v_fma_f64 v[42:43], -v[50:51], v[114:115], v[42:43]
	s_waitcnt lgkmcnt(1)
	v_fma_f64 v[72:73], -v[50:51], v[116:117], v[72:73]
	v_fma_f64 v[68:69], -v[50:51], v[118:119], v[68:69]
	s_waitcnt lgkmcnt(0)
	v_fma_f64 v[70:71], -v[50:51], v[123:124], v[70:71]
	v_fma_f64 v[74:75], -v[50:51], v[125:126], v[74:75]
.LBB39_51:
	s_or_b32 exec_lo, exec_lo, s1
	s_mov_b32 s1, exec_lo
	s_waitcnt lgkmcnt(0)
	s_barrier
	buffer_gl0_inv
	v_cmpx_eq_u32_e32 10, v0
	s_cbranch_execz .LBB39_54
; %bb.52:
	ds_write_b64 v1, v[58:59]
	ds_write2_b64 v122, v[48:49], v[56:57] offset0:11 offset1:12
	ds_write2_b64 v122, v[46:47], v[44:45] offset0:13 offset1:14
	;; [unrolled: 1-line block ×4, first 2 shown]
	ds_write_b64 v122, v[74:75] offset:152
	ds_read_b64 v[104:105], v1
	s_waitcnt lgkmcnt(0)
	v_cmp_neq_f64_e32 vcc_lo, 0, v[104:105]
	s_and_b32 exec_lo, exec_lo, vcc_lo
	s_cbranch_execz .LBB39_54
; %bb.53:
	v_div_scale_f64 v[106:107], null, v[104:105], v[104:105], 1.0
	v_rcp_f64_e32 v[108:109], v[106:107]
	v_fma_f64 v[110:111], -v[106:107], v[108:109], 1.0
	v_fma_f64 v[108:109], v[108:109], v[110:111], v[108:109]
	v_fma_f64 v[110:111], -v[106:107], v[108:109], 1.0
	v_fma_f64 v[108:109], v[108:109], v[110:111], v[108:109]
	v_div_scale_f64 v[110:111], vcc_lo, 1.0, v[104:105], 1.0
	v_mul_f64 v[112:113], v[110:111], v[108:109]
	v_fma_f64 v[106:107], -v[106:107], v[112:113], v[110:111]
	v_div_fmas_f64 v[106:107], v[106:107], v[108:109], v[112:113]
	v_div_fixup_f64 v[104:105], v[106:107], v[104:105], 1.0
	ds_write_b64 v1, v[104:105]
.LBB39_54:
	s_or_b32 exec_lo, exec_lo, s1
	s_waitcnt lgkmcnt(0)
	s_barrier
	buffer_gl0_inv
	ds_read_b64 v[104:105], v1
	s_mov_b32 s1, exec_lo
	v_cmpx_lt_u32_e32 10, v0
	s_cbranch_execz .LBB39_56
; %bb.55:
	s_waitcnt lgkmcnt(0)
	v_mul_f64 v[58:59], v[104:105], v[58:59]
	ds_read2_b64 v[106:109], v122 offset0:11 offset1:12
	ds_read2_b64 v[110:113], v122 offset0:13 offset1:14
	;; [unrolled: 1-line block ×4, first 2 shown]
	ds_read_b64 v[123:124], v122 offset:152
	s_waitcnt lgkmcnt(4)
	v_fma_f64 v[48:49], -v[58:59], v[106:107], v[48:49]
	v_fma_f64 v[56:57], -v[58:59], v[108:109], v[56:57]
	s_waitcnt lgkmcnt(3)
	v_fma_f64 v[46:47], -v[58:59], v[110:111], v[46:47]
	v_fma_f64 v[44:45], -v[58:59], v[112:113], v[44:45]
	;; [unrolled: 3-line block ×4, first 2 shown]
	s_waitcnt lgkmcnt(0)
	v_fma_f64 v[74:75], -v[58:59], v[123:124], v[74:75]
.LBB39_56:
	s_or_b32 exec_lo, exec_lo, s1
	s_mov_b32 s1, exec_lo
	s_waitcnt lgkmcnt(0)
	s_barrier
	buffer_gl0_inv
	v_cmpx_eq_u32_e32 11, v0
	s_cbranch_execz .LBB39_59
; %bb.57:
	v_mov_b32_e32 v106, v56
	v_mov_b32_e32 v107, v57
	;; [unrolled: 1-line block ×14, first 2 shown]
	ds_write_b64 v1, v[48:49]
	ds_write2_b64 v122, v[106:107], v[108:109] offset0:12 offset1:13
	ds_write2_b64 v122, v[110:111], v[112:113] offset0:14 offset1:15
	;; [unrolled: 1-line block ×4, first 2 shown]
	ds_read_b64 v[106:107], v1
	s_waitcnt lgkmcnt(0)
	v_cmp_neq_f64_e32 vcc_lo, 0, v[106:107]
	s_and_b32 exec_lo, exec_lo, vcc_lo
	s_cbranch_execz .LBB39_59
; %bb.58:
	v_div_scale_f64 v[108:109], null, v[106:107], v[106:107], 1.0
	v_rcp_f64_e32 v[110:111], v[108:109]
	v_fma_f64 v[112:113], -v[108:109], v[110:111], 1.0
	v_fma_f64 v[110:111], v[110:111], v[112:113], v[110:111]
	v_fma_f64 v[112:113], -v[108:109], v[110:111], 1.0
	v_fma_f64 v[110:111], v[110:111], v[112:113], v[110:111]
	v_div_scale_f64 v[112:113], vcc_lo, 1.0, v[106:107], 1.0
	v_mul_f64 v[114:115], v[112:113], v[110:111]
	v_fma_f64 v[108:109], -v[108:109], v[114:115], v[112:113]
	v_div_fmas_f64 v[108:109], v[108:109], v[110:111], v[114:115]
	v_div_fixup_f64 v[106:107], v[108:109], v[106:107], 1.0
	ds_write_b64 v1, v[106:107]
.LBB39_59:
	s_or_b32 exec_lo, exec_lo, s1
	s_waitcnt lgkmcnt(0)
	s_barrier
	buffer_gl0_inv
	ds_read_b64 v[106:107], v1
	s_mov_b32 s1, exec_lo
	v_cmpx_lt_u32_e32 11, v0
	s_cbranch_execz .LBB39_61
; %bb.60:
	s_waitcnt lgkmcnt(0)
	v_mul_f64 v[48:49], v[106:107], v[48:49]
	ds_read2_b64 v[108:111], v122 offset0:12 offset1:13
	ds_read2_b64 v[112:115], v122 offset0:14 offset1:15
	;; [unrolled: 1-line block ×4, first 2 shown]
	s_waitcnt lgkmcnt(3)
	v_fma_f64 v[56:57], -v[48:49], v[108:109], v[56:57]
	v_fma_f64 v[46:47], -v[48:49], v[110:111], v[46:47]
	s_waitcnt lgkmcnt(2)
	v_fma_f64 v[44:45], -v[48:49], v[112:113], v[44:45]
	v_fma_f64 v[42:43], -v[48:49], v[114:115], v[42:43]
	;; [unrolled: 3-line block ×4, first 2 shown]
.LBB39_61:
	s_or_b32 exec_lo, exec_lo, s1
	s_mov_b32 s1, exec_lo
	s_waitcnt lgkmcnt(0)
	s_barrier
	buffer_gl0_inv
	v_cmpx_eq_u32_e32 12, v0
	s_cbranch_execz .LBB39_64
; %bb.62:
	ds_write_b64 v1, v[56:57]
	ds_write2_b64 v122, v[46:47], v[44:45] offset0:13 offset1:14
	ds_write2_b64 v122, v[42:43], v[72:73] offset0:15 offset1:16
	;; [unrolled: 1-line block ×3, first 2 shown]
	ds_write_b64 v122, v[74:75] offset:152
	ds_read_b64 v[108:109], v1
	s_waitcnt lgkmcnt(0)
	v_cmp_neq_f64_e32 vcc_lo, 0, v[108:109]
	s_and_b32 exec_lo, exec_lo, vcc_lo
	s_cbranch_execz .LBB39_64
; %bb.63:
	v_div_scale_f64 v[110:111], null, v[108:109], v[108:109], 1.0
	v_rcp_f64_e32 v[112:113], v[110:111]
	v_fma_f64 v[114:115], -v[110:111], v[112:113], 1.0
	v_fma_f64 v[112:113], v[112:113], v[114:115], v[112:113]
	v_fma_f64 v[114:115], -v[110:111], v[112:113], 1.0
	v_fma_f64 v[112:113], v[112:113], v[114:115], v[112:113]
	v_div_scale_f64 v[114:115], vcc_lo, 1.0, v[108:109], 1.0
	v_mul_f64 v[116:117], v[114:115], v[112:113]
	v_fma_f64 v[110:111], -v[110:111], v[116:117], v[114:115]
	v_div_fmas_f64 v[110:111], v[110:111], v[112:113], v[116:117]
	v_div_fixup_f64 v[108:109], v[110:111], v[108:109], 1.0
	ds_write_b64 v1, v[108:109]
.LBB39_64:
	s_or_b32 exec_lo, exec_lo, s1
	s_waitcnt lgkmcnt(0)
	s_barrier
	buffer_gl0_inv
	ds_read_b64 v[108:109], v1
	s_mov_b32 s1, exec_lo
	v_cmpx_lt_u32_e32 12, v0
	s_cbranch_execz .LBB39_66
; %bb.65:
	s_waitcnt lgkmcnt(0)
	v_mul_f64 v[56:57], v[108:109], v[56:57]
	ds_read2_b64 v[110:113], v122 offset0:13 offset1:14
	ds_read2_b64 v[114:117], v122 offset0:15 offset1:16
	ds_read2_b64 v[118:121], v122 offset0:17 offset1:18
	ds_read_b64 v[123:124], v122 offset:152
	s_waitcnt lgkmcnt(3)
	v_fma_f64 v[46:47], -v[56:57], v[110:111], v[46:47]
	v_fma_f64 v[44:45], -v[56:57], v[112:113], v[44:45]
	s_waitcnt lgkmcnt(2)
	v_fma_f64 v[42:43], -v[56:57], v[114:115], v[42:43]
	v_fma_f64 v[72:73], -v[56:57], v[116:117], v[72:73]
	;; [unrolled: 3-line block ×3, first 2 shown]
	s_waitcnt lgkmcnt(0)
	v_fma_f64 v[74:75], -v[56:57], v[123:124], v[74:75]
.LBB39_66:
	s_or_b32 exec_lo, exec_lo, s1
	s_mov_b32 s1, exec_lo
	s_waitcnt lgkmcnt(0)
	s_barrier
	buffer_gl0_inv
	v_cmpx_eq_u32_e32 13, v0
	s_cbranch_execz .LBB39_69
; %bb.67:
	v_mov_b32_e32 v110, v44
	v_mov_b32_e32 v111, v45
	;; [unrolled: 1-line block ×10, first 2 shown]
	ds_write_b64 v1, v[46:47]
	ds_write2_b64 v122, v[110:111], v[112:113] offset0:14 offset1:15
	ds_write2_b64 v122, v[114:115], v[116:117] offset0:16 offset1:17
	;; [unrolled: 1-line block ×3, first 2 shown]
	ds_read_b64 v[110:111], v1
	s_waitcnt lgkmcnt(0)
	v_cmp_neq_f64_e32 vcc_lo, 0, v[110:111]
	s_and_b32 exec_lo, exec_lo, vcc_lo
	s_cbranch_execz .LBB39_69
; %bb.68:
	v_div_scale_f64 v[112:113], null, v[110:111], v[110:111], 1.0
	v_rcp_f64_e32 v[114:115], v[112:113]
	v_fma_f64 v[116:117], -v[112:113], v[114:115], 1.0
	v_fma_f64 v[114:115], v[114:115], v[116:117], v[114:115]
	v_fma_f64 v[116:117], -v[112:113], v[114:115], 1.0
	v_fma_f64 v[114:115], v[114:115], v[116:117], v[114:115]
	v_div_scale_f64 v[116:117], vcc_lo, 1.0, v[110:111], 1.0
	v_mul_f64 v[118:119], v[116:117], v[114:115]
	v_fma_f64 v[112:113], -v[112:113], v[118:119], v[116:117]
	v_div_fmas_f64 v[112:113], v[112:113], v[114:115], v[118:119]
	v_div_fixup_f64 v[110:111], v[112:113], v[110:111], 1.0
	ds_write_b64 v1, v[110:111]
.LBB39_69:
	s_or_b32 exec_lo, exec_lo, s1
	s_waitcnt lgkmcnt(0)
	s_barrier
	buffer_gl0_inv
	ds_read_b64 v[110:111], v1
	s_mov_b32 s1, exec_lo
	v_cmpx_lt_u32_e32 13, v0
	s_cbranch_execz .LBB39_71
; %bb.70:
	s_waitcnt lgkmcnt(0)
	v_mul_f64 v[46:47], v[110:111], v[46:47]
	ds_read2_b64 v[112:115], v122 offset0:14 offset1:15
	ds_read2_b64 v[116:119], v122 offset0:16 offset1:17
	ds_read2_b64 v[123:126], v122 offset0:18 offset1:19
	s_waitcnt lgkmcnt(2)
	v_fma_f64 v[44:45], -v[46:47], v[112:113], v[44:45]
	v_fma_f64 v[42:43], -v[46:47], v[114:115], v[42:43]
	s_waitcnt lgkmcnt(1)
	v_fma_f64 v[72:73], -v[46:47], v[116:117], v[72:73]
	v_fma_f64 v[68:69], -v[46:47], v[118:119], v[68:69]
	;; [unrolled: 3-line block ×3, first 2 shown]
.LBB39_71:
	s_or_b32 exec_lo, exec_lo, s1
	s_mov_b32 s1, exec_lo
	s_waitcnt lgkmcnt(0)
	s_barrier
	buffer_gl0_inv
	v_cmpx_eq_u32_e32 14, v0
	s_cbranch_execz .LBB39_74
; %bb.72:
	ds_write_b64 v1, v[44:45]
	ds_write2_b64 v122, v[42:43], v[72:73] offset0:15 offset1:16
	ds_write2_b64 v122, v[68:69], v[70:71] offset0:17 offset1:18
	ds_write_b64 v122, v[74:75] offset:152
	ds_read_b64 v[112:113], v1
	s_waitcnt lgkmcnt(0)
	v_cmp_neq_f64_e32 vcc_lo, 0, v[112:113]
	s_and_b32 exec_lo, exec_lo, vcc_lo
	s_cbranch_execz .LBB39_74
; %bb.73:
	v_div_scale_f64 v[114:115], null, v[112:113], v[112:113], 1.0
	v_rcp_f64_e32 v[116:117], v[114:115]
	v_fma_f64 v[118:119], -v[114:115], v[116:117], 1.0
	v_fma_f64 v[116:117], v[116:117], v[118:119], v[116:117]
	v_fma_f64 v[118:119], -v[114:115], v[116:117], 1.0
	v_fma_f64 v[116:117], v[116:117], v[118:119], v[116:117]
	v_div_scale_f64 v[118:119], vcc_lo, 1.0, v[112:113], 1.0
	v_mul_f64 v[120:121], v[118:119], v[116:117]
	v_fma_f64 v[114:115], -v[114:115], v[120:121], v[118:119]
	v_div_fmas_f64 v[114:115], v[114:115], v[116:117], v[120:121]
	v_div_fixup_f64 v[112:113], v[114:115], v[112:113], 1.0
	ds_write_b64 v1, v[112:113]
.LBB39_74:
	s_or_b32 exec_lo, exec_lo, s1
	s_waitcnt lgkmcnt(0)
	s_barrier
	buffer_gl0_inv
	ds_read_b64 v[112:113], v1
	s_mov_b32 s1, exec_lo
	v_cmpx_lt_u32_e32 14, v0
	s_cbranch_execz .LBB39_76
; %bb.75:
	s_waitcnt lgkmcnt(0)
	v_mul_f64 v[44:45], v[112:113], v[44:45]
	ds_read2_b64 v[114:117], v122 offset0:15 offset1:16
	ds_read2_b64 v[118:121], v122 offset0:17 offset1:18
	ds_read_b64 v[123:124], v122 offset:152
	s_waitcnt lgkmcnt(2)
	v_fma_f64 v[42:43], -v[44:45], v[114:115], v[42:43]
	v_fma_f64 v[72:73], -v[44:45], v[116:117], v[72:73]
	s_waitcnt lgkmcnt(1)
	v_fma_f64 v[68:69], -v[44:45], v[118:119], v[68:69]
	v_fma_f64 v[70:71], -v[44:45], v[120:121], v[70:71]
	s_waitcnt lgkmcnt(0)
	v_fma_f64 v[74:75], -v[44:45], v[123:124], v[74:75]
.LBB39_76:
	s_or_b32 exec_lo, exec_lo, s1
	s_mov_b32 s1, exec_lo
	s_waitcnt lgkmcnt(0)
	s_barrier
	buffer_gl0_inv
	v_cmpx_eq_u32_e32 15, v0
	s_cbranch_execz .LBB39_79
; %bb.77:
	v_mov_b32_e32 v114, v72
	v_mov_b32_e32 v115, v73
	v_mov_b32_e32 v116, v68
	v_mov_b32_e32 v117, v69
	v_mov_b32_e32 v118, v70
	v_mov_b32_e32 v119, v71
	ds_write_b64 v1, v[42:43]
	ds_write2_b64 v122, v[114:115], v[116:117] offset0:16 offset1:17
	ds_write2_b64 v122, v[118:119], v[74:75] offset0:18 offset1:19
	ds_read_b64 v[114:115], v1
	s_waitcnt lgkmcnt(0)
	v_cmp_neq_f64_e32 vcc_lo, 0, v[114:115]
	s_and_b32 exec_lo, exec_lo, vcc_lo
	s_cbranch_execz .LBB39_79
; %bb.78:
	v_div_scale_f64 v[116:117], null, v[114:115], v[114:115], 1.0
	v_rcp_f64_e32 v[118:119], v[116:117]
	v_fma_f64 v[120:121], -v[116:117], v[118:119], 1.0
	v_fma_f64 v[118:119], v[118:119], v[120:121], v[118:119]
	v_fma_f64 v[120:121], -v[116:117], v[118:119], 1.0
	v_fma_f64 v[118:119], v[118:119], v[120:121], v[118:119]
	v_div_scale_f64 v[120:121], vcc_lo, 1.0, v[114:115], 1.0
	v_mul_f64 v[123:124], v[120:121], v[118:119]
	v_fma_f64 v[116:117], -v[116:117], v[123:124], v[120:121]
	v_div_fmas_f64 v[116:117], v[116:117], v[118:119], v[123:124]
	v_div_fixup_f64 v[114:115], v[116:117], v[114:115], 1.0
	ds_write_b64 v1, v[114:115]
.LBB39_79:
	s_or_b32 exec_lo, exec_lo, s1
	s_waitcnt lgkmcnt(0)
	s_barrier
	buffer_gl0_inv
	ds_read_b64 v[114:115], v1
	s_mov_b32 s1, exec_lo
	v_cmpx_lt_u32_e32 15, v0
	s_cbranch_execz .LBB39_81
; %bb.80:
	s_waitcnt lgkmcnt(0)
	v_mul_f64 v[42:43], v[114:115], v[42:43]
	ds_read2_b64 v[116:119], v122 offset0:16 offset1:17
	ds_read2_b64 v[123:126], v122 offset0:18 offset1:19
	s_waitcnt lgkmcnt(1)
	v_fma_f64 v[72:73], -v[42:43], v[116:117], v[72:73]
	v_fma_f64 v[68:69], -v[42:43], v[118:119], v[68:69]
	s_waitcnt lgkmcnt(0)
	v_fma_f64 v[70:71], -v[42:43], v[123:124], v[70:71]
	v_fma_f64 v[74:75], -v[42:43], v[125:126], v[74:75]
.LBB39_81:
	s_or_b32 exec_lo, exec_lo, s1
	s_mov_b32 s1, exec_lo
	s_waitcnt lgkmcnt(0)
	s_barrier
	buffer_gl0_inv
	v_cmpx_eq_u32_e32 16, v0
	s_cbranch_execz .LBB39_84
; %bb.82:
	ds_write_b64 v1, v[72:73]
	ds_write2_b64 v122, v[68:69], v[70:71] offset0:17 offset1:18
	ds_write_b64 v122, v[74:75] offset:152
	ds_read_b64 v[116:117], v1
	s_waitcnt lgkmcnt(0)
	v_cmp_neq_f64_e32 vcc_lo, 0, v[116:117]
	s_and_b32 exec_lo, exec_lo, vcc_lo
	s_cbranch_execz .LBB39_84
; %bb.83:
	v_div_scale_f64 v[118:119], null, v[116:117], v[116:117], 1.0
	v_rcp_f64_e32 v[120:121], v[118:119]
	v_fma_f64 v[123:124], -v[118:119], v[120:121], 1.0
	v_fma_f64 v[120:121], v[120:121], v[123:124], v[120:121]
	v_fma_f64 v[123:124], -v[118:119], v[120:121], 1.0
	v_fma_f64 v[120:121], v[120:121], v[123:124], v[120:121]
	v_div_scale_f64 v[123:124], vcc_lo, 1.0, v[116:117], 1.0
	v_mul_f64 v[125:126], v[123:124], v[120:121]
	v_fma_f64 v[118:119], -v[118:119], v[125:126], v[123:124]
	v_div_fmas_f64 v[118:119], v[118:119], v[120:121], v[125:126]
	v_div_fixup_f64 v[116:117], v[118:119], v[116:117], 1.0
	ds_write_b64 v1, v[116:117]
.LBB39_84:
	s_or_b32 exec_lo, exec_lo, s1
	s_waitcnt lgkmcnt(0)
	s_barrier
	buffer_gl0_inv
	ds_read_b64 v[116:117], v1
	s_mov_b32 s1, exec_lo
	v_cmpx_lt_u32_e32 16, v0
	s_cbranch_execz .LBB39_86
; %bb.85:
	s_waitcnt lgkmcnt(0)
	v_mul_f64 v[72:73], v[116:117], v[72:73]
	ds_read2_b64 v[118:121], v122 offset0:17 offset1:18
	ds_read_b64 v[123:124], v122 offset:152
	s_waitcnt lgkmcnt(1)
	v_fma_f64 v[68:69], -v[72:73], v[118:119], v[68:69]
	v_fma_f64 v[70:71], -v[72:73], v[120:121], v[70:71]
	s_waitcnt lgkmcnt(0)
	v_fma_f64 v[74:75], -v[72:73], v[123:124], v[74:75]
.LBB39_86:
	s_or_b32 exec_lo, exec_lo, s1
	s_mov_b32 s1, exec_lo
	s_waitcnt lgkmcnt(0)
	s_barrier
	buffer_gl0_inv
	v_cmpx_eq_u32_e32 17, v0
	s_cbranch_execz .LBB39_89
; %bb.87:
	v_mov_b32_e32 v118, v70
	v_mov_b32_e32 v119, v71
	ds_write_b64 v1, v[68:69]
	ds_write2_b64 v122, v[118:119], v[74:75] offset0:18 offset1:19
	ds_read_b64 v[118:119], v1
	s_waitcnt lgkmcnt(0)
	v_cmp_neq_f64_e32 vcc_lo, 0, v[118:119]
	s_and_b32 exec_lo, exec_lo, vcc_lo
	s_cbranch_execz .LBB39_89
; %bb.88:
	v_div_scale_f64 v[120:121], null, v[118:119], v[118:119], 1.0
	v_rcp_f64_e32 v[123:124], v[120:121]
	v_fma_f64 v[125:126], -v[120:121], v[123:124], 1.0
	v_fma_f64 v[123:124], v[123:124], v[125:126], v[123:124]
	v_fma_f64 v[125:126], -v[120:121], v[123:124], 1.0
	v_fma_f64 v[123:124], v[123:124], v[125:126], v[123:124]
	v_div_scale_f64 v[125:126], vcc_lo, 1.0, v[118:119], 1.0
	v_mul_f64 v[127:128], v[125:126], v[123:124]
	v_fma_f64 v[120:121], -v[120:121], v[127:128], v[125:126]
	v_div_fmas_f64 v[120:121], v[120:121], v[123:124], v[127:128]
	v_div_fixup_f64 v[118:119], v[120:121], v[118:119], 1.0
	ds_write_b64 v1, v[118:119]
.LBB39_89:
	s_or_b32 exec_lo, exec_lo, s1
	s_waitcnt lgkmcnt(0)
	s_barrier
	buffer_gl0_inv
	ds_read_b64 v[118:119], v1
	s_mov_b32 s1, exec_lo
	v_cmpx_lt_u32_e32 17, v0
	s_cbranch_execz .LBB39_91
; %bb.90:
	s_waitcnt lgkmcnt(0)
	v_mul_f64 v[68:69], v[118:119], v[68:69]
	ds_read2_b64 v[123:126], v122 offset0:18 offset1:19
	s_waitcnt lgkmcnt(0)
	v_fma_f64 v[70:71], -v[68:69], v[123:124], v[70:71]
	v_fma_f64 v[74:75], -v[68:69], v[125:126], v[74:75]
.LBB39_91:
	s_or_b32 exec_lo, exec_lo, s1
	s_mov_b32 s1, exec_lo
	s_waitcnt lgkmcnt(0)
	s_barrier
	buffer_gl0_inv
	v_cmpx_eq_u32_e32 18, v0
	s_cbranch_execz .LBB39_94
; %bb.92:
	ds_write_b64 v1, v[70:71]
	ds_write_b64 v122, v[74:75] offset:152
	ds_read_b64 v[120:121], v1
	s_waitcnt lgkmcnt(0)
	v_cmp_neq_f64_e32 vcc_lo, 0, v[120:121]
	s_and_b32 exec_lo, exec_lo, vcc_lo
	s_cbranch_execz .LBB39_94
; %bb.93:
	v_div_scale_f64 v[123:124], null, v[120:121], v[120:121], 1.0
	v_rcp_f64_e32 v[125:126], v[123:124]
	v_fma_f64 v[127:128], -v[123:124], v[125:126], 1.0
	v_fma_f64 v[125:126], v[125:126], v[127:128], v[125:126]
	v_fma_f64 v[127:128], -v[123:124], v[125:126], 1.0
	v_fma_f64 v[125:126], v[125:126], v[127:128], v[125:126]
	v_div_scale_f64 v[127:128], vcc_lo, 1.0, v[120:121], 1.0
	v_mul_f64 v[129:130], v[127:128], v[125:126]
	v_fma_f64 v[123:124], -v[123:124], v[129:130], v[127:128]
	v_div_fmas_f64 v[123:124], v[123:124], v[125:126], v[129:130]
	v_div_fixup_f64 v[120:121], v[123:124], v[120:121], 1.0
	ds_write_b64 v1, v[120:121]
.LBB39_94:
	s_or_b32 exec_lo, exec_lo, s1
	s_waitcnt lgkmcnt(0)
	s_barrier
	buffer_gl0_inv
	ds_read_b64 v[120:121], v1
	s_mov_b32 s1, exec_lo
	v_cmpx_lt_u32_e32 18, v0
	s_cbranch_execz .LBB39_96
; %bb.95:
	s_waitcnt lgkmcnt(0)
	v_mul_f64 v[70:71], v[120:121], v[70:71]
	ds_read_b64 v[122:123], v122 offset:152
	s_waitcnt lgkmcnt(0)
	v_fma_f64 v[74:75], -v[70:71], v[122:123], v[74:75]
.LBB39_96:
	s_or_b32 exec_lo, exec_lo, s1
	s_mov_b32 s1, exec_lo
	s_waitcnt lgkmcnt(0)
	s_barrier
	buffer_gl0_inv
	v_cmpx_eq_u32_e32 19, v0
	s_cbranch_execz .LBB39_99
; %bb.97:
	v_cmp_neq_f64_e32 vcc_lo, 0, v[74:75]
	ds_write_b64 v1, v[74:75]
	s_and_b32 exec_lo, exec_lo, vcc_lo
	s_cbranch_execz .LBB39_99
; %bb.98:
	v_div_scale_f64 v[122:123], null, v[74:75], v[74:75], 1.0
	v_rcp_f64_e32 v[124:125], v[122:123]
	v_fma_f64 v[126:127], -v[122:123], v[124:125], 1.0
	v_fma_f64 v[124:125], v[124:125], v[126:127], v[124:125]
	v_fma_f64 v[126:127], -v[122:123], v[124:125], 1.0
	v_fma_f64 v[124:125], v[124:125], v[126:127], v[124:125]
	v_div_scale_f64 v[126:127], vcc_lo, 1.0, v[74:75], 1.0
	v_mul_f64 v[128:129], v[126:127], v[124:125]
	v_fma_f64 v[122:123], -v[122:123], v[128:129], v[126:127]
	v_div_fmas_f64 v[122:123], v[122:123], v[124:125], v[128:129]
	v_div_fixup_f64 v[122:123], v[122:123], v[74:75], 1.0
	ds_write_b64 v1, v[122:123]
.LBB39_99:
	s_or_b32 exec_lo, exec_lo, s1
	s_waitcnt lgkmcnt(0)
	s_barrier
	buffer_gl0_inv
	ds_read_b64 v[122:123], v1
	s_waitcnt lgkmcnt(0)
	s_barrier
	buffer_gl0_inv
	s_and_saveexec_b32 s3, s0
	s_cbranch_execz .LBB39_102
; %bb.100:
	s_load_dwordx2 s[0:1], s[4:5], 0x28
	v_lshlrev_b64 v[1:2], 2, v[2:3]
	v_cmp_eq_f64_e64 s2, 0, v[90:91]
	s_waitcnt lgkmcnt(0)
	v_add_co_u32 v1, vcc_lo, s0, v1
	v_add_co_ci_u32_e64 v2, null, s1, v2, vcc_lo
	v_cmp_eq_f64_e32 vcc_lo, 0, v[84:85]
	v_cmp_neq_f64_e64 s0, 0, v[86:87]
	v_cmp_eq_f64_e64 s1, 0, v[88:89]
	global_load_dword v124, v[1:2], off
	v_cndmask_b32_e64 v3, 0, 1, vcc_lo
	s_or_b32 vcc_lo, s0, vcc_lo
	v_cmp_eq_f64_e64 s0, 0, v[92:93]
	v_cndmask_b32_e32 v3, 2, v3, vcc_lo
	v_cmp_eq_u32_e32 vcc_lo, 0, v3
	s_and_b32 s1, s1, vcc_lo
	v_cndmask_b32_e64 v3, v3, 3, s1
	v_cmp_eq_f64_e64 s1, 0, v[94:95]
	v_cmp_eq_u32_e32 vcc_lo, 0, v3
	s_and_b32 s2, s2, vcc_lo
	v_cndmask_b32_e64 v3, v3, 4, s2
	v_cmp_eq_f64_e64 s2, 0, v[96:97]
	;; [unrolled: 4-line block ×15, first 2 shown]
	v_cmp_eq_u32_e32 vcc_lo, 0, v3
	s_and_b32 s1, s1, vcc_lo
	v_cndmask_b32_e64 v3, v3, 18, s1
	v_cmp_eq_u32_e32 vcc_lo, 0, v3
	s_and_b32 s1, s2, vcc_lo
	v_cndmask_b32_e64 v3, v3, 19, s1
	;; [unrolled: 3-line block ×3, first 2 shown]
	v_cmp_ne_u32_e64 s0, 0, v3
	s_waitcnt vmcnt(0)
	v_cmp_eq_u32_e32 vcc_lo, 0, v124
	s_and_b32 s0, vcc_lo, s0
	s_and_b32 exec_lo, exec_lo, s0
	s_cbranch_execz .LBB39_102
; %bb.101:
	v_add_nc_u32_e32 v3, s9, v3
	global_store_dword v[1:2], v3, off
.LBB39_102:
	s_or_b32 exec_lo, exec_lo, s3
	v_mul_f64 v[1:2], v[122:123], v[74:75]
	v_cmp_lt_u32_e32 vcc_lo, 19, v0
	flat_store_dwordx2 v[4:5], v[76:77]
	flat_store_dwordx2 v[66:67], v[80:81]
	;; [unrolled: 1-line block ×14, first 2 shown]
	v_cndmask_b32_e32 v2, v75, v2, vcc_lo
	v_cndmask_b32_e32 v1, v74, v1, vcc_lo
	flat_store_dwordx2 v[28:29], v[44:45]
	flat_store_dwordx2 v[32:33], v[42:43]
	;; [unrolled: 1-line block ×6, first 2 shown]
.LBB39_103:
	s_endpgm
	.section	.rodata,"a",@progbits
	.p2align	6, 0x0
	.amdhsa_kernel _ZN9rocsolver6v33100L23getf2_npvt_small_kernelILi20EdiiPKPdEEvT1_T3_lS5_lPT2_S5_S5_
		.amdhsa_group_segment_fixed_size 0
		.amdhsa_private_segment_fixed_size 0
		.amdhsa_kernarg_size 312
		.amdhsa_user_sgpr_count 6
		.amdhsa_user_sgpr_private_segment_buffer 1
		.amdhsa_user_sgpr_dispatch_ptr 0
		.amdhsa_user_sgpr_queue_ptr 0
		.amdhsa_user_sgpr_kernarg_segment_ptr 1
		.amdhsa_user_sgpr_dispatch_id 0
		.amdhsa_user_sgpr_flat_scratch_init 0
		.amdhsa_user_sgpr_private_segment_size 0
		.amdhsa_wavefront_size32 1
		.amdhsa_uses_dynamic_stack 0
		.amdhsa_system_sgpr_private_segment_wavefront_offset 0
		.amdhsa_system_sgpr_workgroup_id_x 1
		.amdhsa_system_sgpr_workgroup_id_y 1
		.amdhsa_system_sgpr_workgroup_id_z 0
		.amdhsa_system_sgpr_workgroup_info 0
		.amdhsa_system_vgpr_workitem_id 1
		.amdhsa_next_free_vgpr 131
		.amdhsa_next_free_sgpr 11
		.amdhsa_reserve_vcc 1
		.amdhsa_reserve_flat_scratch 1
		.amdhsa_float_round_mode_32 0
		.amdhsa_float_round_mode_16_64 0
		.amdhsa_float_denorm_mode_32 3
		.amdhsa_float_denorm_mode_16_64 3
		.amdhsa_dx10_clamp 1
		.amdhsa_ieee_mode 1
		.amdhsa_fp16_overflow 0
		.amdhsa_workgroup_processor_mode 1
		.amdhsa_memory_ordered 1
		.amdhsa_forward_progress 1
		.amdhsa_shared_vgpr_count 0
		.amdhsa_exception_fp_ieee_invalid_op 0
		.amdhsa_exception_fp_denorm_src 0
		.amdhsa_exception_fp_ieee_div_zero 0
		.amdhsa_exception_fp_ieee_overflow 0
		.amdhsa_exception_fp_ieee_underflow 0
		.amdhsa_exception_fp_ieee_inexact 0
		.amdhsa_exception_int_div_zero 0
	.end_amdhsa_kernel
	.section	.text._ZN9rocsolver6v33100L23getf2_npvt_small_kernelILi20EdiiPKPdEEvT1_T3_lS5_lPT2_S5_S5_,"axG",@progbits,_ZN9rocsolver6v33100L23getf2_npvt_small_kernelILi20EdiiPKPdEEvT1_T3_lS5_lPT2_S5_S5_,comdat
.Lfunc_end39:
	.size	_ZN9rocsolver6v33100L23getf2_npvt_small_kernelILi20EdiiPKPdEEvT1_T3_lS5_lPT2_S5_S5_, .Lfunc_end39-_ZN9rocsolver6v33100L23getf2_npvt_small_kernelILi20EdiiPKPdEEvT1_T3_lS5_lPT2_S5_S5_
                                        ; -- End function
	.set _ZN9rocsolver6v33100L23getf2_npvt_small_kernelILi20EdiiPKPdEEvT1_T3_lS5_lPT2_S5_S5_.num_vgpr, 131
	.set _ZN9rocsolver6v33100L23getf2_npvt_small_kernelILi20EdiiPKPdEEvT1_T3_lS5_lPT2_S5_S5_.num_agpr, 0
	.set _ZN9rocsolver6v33100L23getf2_npvt_small_kernelILi20EdiiPKPdEEvT1_T3_lS5_lPT2_S5_S5_.numbered_sgpr, 11
	.set _ZN9rocsolver6v33100L23getf2_npvt_small_kernelILi20EdiiPKPdEEvT1_T3_lS5_lPT2_S5_S5_.num_named_barrier, 0
	.set _ZN9rocsolver6v33100L23getf2_npvt_small_kernelILi20EdiiPKPdEEvT1_T3_lS5_lPT2_S5_S5_.private_seg_size, 0
	.set _ZN9rocsolver6v33100L23getf2_npvt_small_kernelILi20EdiiPKPdEEvT1_T3_lS5_lPT2_S5_S5_.uses_vcc, 1
	.set _ZN9rocsolver6v33100L23getf2_npvt_small_kernelILi20EdiiPKPdEEvT1_T3_lS5_lPT2_S5_S5_.uses_flat_scratch, 1
	.set _ZN9rocsolver6v33100L23getf2_npvt_small_kernelILi20EdiiPKPdEEvT1_T3_lS5_lPT2_S5_S5_.has_dyn_sized_stack, 0
	.set _ZN9rocsolver6v33100L23getf2_npvt_small_kernelILi20EdiiPKPdEEvT1_T3_lS5_lPT2_S5_S5_.has_recursion, 0
	.set _ZN9rocsolver6v33100L23getf2_npvt_small_kernelILi20EdiiPKPdEEvT1_T3_lS5_lPT2_S5_S5_.has_indirect_call, 0
	.section	.AMDGPU.csdata,"",@progbits
; Kernel info:
; codeLenInByte = 10012
; TotalNumSgprs: 13
; NumVgprs: 131
; ScratchSize: 0
; MemoryBound: 0
; FloatMode: 240
; IeeeMode: 1
; LDSByteSize: 0 bytes/workgroup (compile time only)
; SGPRBlocks: 0
; VGPRBlocks: 16
; NumSGPRsForWavesPerEU: 13
; NumVGPRsForWavesPerEU: 131
; Occupancy: 7
; WaveLimiterHint : 1
; COMPUTE_PGM_RSRC2:SCRATCH_EN: 0
; COMPUTE_PGM_RSRC2:USER_SGPR: 6
; COMPUTE_PGM_RSRC2:TRAP_HANDLER: 0
; COMPUTE_PGM_RSRC2:TGID_X_EN: 1
; COMPUTE_PGM_RSRC2:TGID_Y_EN: 1
; COMPUTE_PGM_RSRC2:TGID_Z_EN: 0
; COMPUTE_PGM_RSRC2:TIDIG_COMP_CNT: 1
	.section	.text._ZN9rocsolver6v33100L18getf2_small_kernelILi21EdiiPKPdEEvT1_T3_lS5_lPS5_llPT2_S5_S5_S7_l,"axG",@progbits,_ZN9rocsolver6v33100L18getf2_small_kernelILi21EdiiPKPdEEvT1_T3_lS5_lPS5_llPT2_S5_S5_S7_l,comdat
	.globl	_ZN9rocsolver6v33100L18getf2_small_kernelILi21EdiiPKPdEEvT1_T3_lS5_lPS5_llPT2_S5_S5_S7_l ; -- Begin function _ZN9rocsolver6v33100L18getf2_small_kernelILi21EdiiPKPdEEvT1_T3_lS5_lPS5_llPT2_S5_S5_S7_l
	.p2align	8
	.type	_ZN9rocsolver6v33100L18getf2_small_kernelILi21EdiiPKPdEEvT1_T3_lS5_lPS5_llPT2_S5_S5_S7_l,@function
_ZN9rocsolver6v33100L18getf2_small_kernelILi21EdiiPKPdEEvT1_T3_lS5_lPS5_llPT2_S5_S5_S7_l: ; @_ZN9rocsolver6v33100L18getf2_small_kernelILi21EdiiPKPdEEvT1_T3_lS5_lPS5_llPT2_S5_S5_S7_l
; %bb.0:
	s_clause 0x1
	s_load_dword s0, s[4:5], 0x6c
	s_load_dwordx2 s[12:13], s[4:5], 0x48
	s_waitcnt lgkmcnt(0)
	s_lshr_b32 s0, s0, 16
	v_mad_u64_u32 v[2:3], null, s7, s0, v[1:2]
	s_mov_b32 s0, exec_lo
	v_cmpx_gt_i32_e64 s12, v2
	s_cbranch_execz .LBB40_354
; %bb.1:
	s_clause 0x1
	s_load_dwordx4 s[0:3], s[4:5], 0x8
	s_load_dwordx4 s[8:11], s[4:5], 0x50
	v_ashrrev_i32_e32 v3, 31, v2
	v_mov_b32_e32 v44, 0
	v_mov_b32_e32 v45, 0
	v_lshlrev_b64 v[4:5], 3, v[2:3]
	s_waitcnt lgkmcnt(0)
	v_add_co_u32 v4, vcc_lo, s0, v4
	v_add_co_ci_u32_e64 v5, null, s1, v5, vcc_lo
	s_cmp_eq_u64 s[8:9], 0
	s_cselect_b32 s6, -1, 0
	global_load_dwordx2 v[4:5], v[4:5], off
	s_and_b32 vcc_lo, exec_lo, s6
	s_cbranch_vccnz .LBB40_3
; %bb.2:
	v_mul_lo_u32 v8, s11, v2
	v_mul_lo_u32 v9, s10, v3
	v_mad_u64_u32 v[6:7], null, s10, v2, 0
	v_add3_u32 v7, v7, v9, v8
	v_lshlrev_b64 v[6:7], 2, v[6:7]
	v_add_co_u32 v44, vcc_lo, s8, v6
	v_add_co_ci_u32_e64 v45, null, s9, v7, vcc_lo
.LBB40_3:
	s_load_dword s8, s[4:5], 0x18
	s_lshl_b64 s[0:1], s[2:3], 3
	s_load_dword s2, s[4:5], 0x0
	s_waitcnt vmcnt(0)
	v_add_co_u32 v52, vcc_lo, v4, s0
	v_lshlrev_b32_e32 v55, 3, v0
	v_add_co_ci_u32_e64 v53, null, s1, v5, vcc_lo
	v_add_co_u32 v8, vcc_lo, v52, v55
	v_add_co_ci_u32_e64 v9, null, 0, v53, vcc_lo
	s_waitcnt lgkmcnt(0)
	v_add3_u32 v6, s8, s8, v0
	s_ashr_i32 s9, s8, 31
	s_max_i32 s0, s2, 21
	s_lshl_b64 s[10:11], s[8:9], 3
	v_mul_lo_u32 v1, s0, v1
	v_add_nc_u32_e32 v4, s8, v6
	v_ashrrev_i32_e32 v7, 31, v6
	v_add_co_u32 v12, vcc_lo, v8, s10
	v_add_co_ci_u32_e64 v13, null, s11, v9, vcc_lo
	v_add_nc_u32_e32 v10, s8, v4
	v_ashrrev_i32_e32 v5, 31, v4
	v_lshlrev_b64 v[6:7], 3, v[6:7]
	v_lshl_add_u32 v54, v1, 3, 0
	s_cmp_lt_i32 s2, 2
	v_add_nc_u32_e32 v14, s8, v10
	v_lshlrev_b64 v[4:5], 3, v[4:5]
	v_ashrrev_i32_e32 v11, 31, v10
	v_add_co_u32 v6, vcc_lo, v52, v6
	v_add_nc_u32_e32 v16, s8, v14
	v_ashrrev_i32_e32 v15, 31, v14
	v_add_co_ci_u32_e64 v7, null, v53, v7, vcc_lo
	v_add_co_u32 v4, vcc_lo, v52, v4
	v_add_nc_u32_e32 v18, s8, v16
	v_lshlrev_b64 v[10:11], 3, v[10:11]
	v_add_co_ci_u32_e64 v5, null, v53, v5, vcc_lo
	v_ashrrev_i32_e32 v17, 31, v16
	v_lshlrev_b64 v[14:15], 3, v[14:15]
	s_clause 0x3
	flat_load_dwordx2 v[40:41], v[8:9]
	flat_load_dwordx2 v[30:31], v[12:13]
	;; [unrolled: 1-line block ×4, first 2 shown]
	v_ashrrev_i32_e32 v19, 31, v18
	v_add_nc_u32_e32 v8, s8, v18
	v_add_co_u32 v4, vcc_lo, v52, v10
	v_lshlrev_b64 v[6:7], 3, v[16:17]
	v_add_co_ci_u32_e64 v5, null, v53, v11, vcc_lo
	v_add_co_u32 v10, vcc_lo, v52, v14
	v_lshlrev_b64 v[12:13], 3, v[18:19]
	v_add_nc_u32_e32 v14, s8, v8
	v_add_co_ci_u32_e64 v11, null, v53, v15, vcc_lo
	v_add_co_u32 v6, vcc_lo, v52, v6
	v_ashrrev_i32_e32 v9, 31, v8
	v_add_nc_u32_e32 v18, s8, v14
	v_add_co_ci_u32_e64 v7, null, v53, v7, vcc_lo
	v_add_co_u32 v12, vcc_lo, v52, v12
	v_add_co_ci_u32_e64 v13, null, v53, v13, vcc_lo
	v_lshlrev_b64 v[16:17], 3, v[8:9]
	s_clause 0x3
	flat_load_dwordx2 v[34:35], v[4:5]
	flat_load_dwordx2 v[32:33], v[10:11]
	;; [unrolled: 1-line block ×4, first 2 shown]
	v_add_nc_u32_e32 v10, s8, v18
	v_ashrrev_i32_e32 v15, 31, v14
	v_ashrrev_i32_e32 v19, 31, v18
	v_add_co_u32 v12, vcc_lo, v52, v16
	v_ashrrev_i32_e32 v11, 31, v10
	v_add_co_ci_u32_e64 v13, null, v53, v17, vcc_lo
	v_lshlrev_b64 v[4:5], 3, v[14:15]
	v_lshlrev_b64 v[14:15], 3, v[18:19]
	;; [unrolled: 1-line block ×3, first 2 shown]
	v_add_nc_u32_e32 v10, s8, v10
	v_add_co_u32 v4, vcc_lo, v52, v4
	v_add_nc_u32_e32 v18, s8, v10
	v_add_co_ci_u32_e64 v5, null, v53, v5, vcc_lo
	v_add_co_u32 v14, vcc_lo, v52, v14
	v_add_nc_u32_e32 v20, s8, v18
	v_add_co_ci_u32_e64 v15, null, v53, v15, vcc_lo
	v_add_co_u32 v16, vcc_lo, v52, v16
	v_add_co_ci_u32_e64 v17, null, v53, v17, vcc_lo
	s_clause 0x3
	flat_load_dwordx2 v[42:43], v[12:13]
	flat_load_dwordx2 v[22:23], v[4:5]
	;; [unrolled: 1-line block ×4, first 2 shown]
	v_add_nc_u32_e32 v14, s8, v20
	v_ashrrev_i32_e32 v11, 31, v10
	v_ashrrev_i32_e32 v19, 31, v18
	;; [unrolled: 1-line block ×4, first 2 shown]
	v_lshlrev_b64 v[10:11], 3, v[10:11]
	v_lshlrev_b64 v[12:13], 3, v[18:19]
	;; [unrolled: 1-line block ×4, first 2 shown]
	v_add_nc_u32_e32 v14, s8, v14
	v_add_co_u32 v10, vcc_lo, v52, v10
	v_add_co_ci_u32_e64 v11, null, v53, v11, vcc_lo
	v_add_nc_u32_e32 v46, s8, v14
	v_add_co_u32 v12, vcc_lo, v52, v12
	v_add_co_ci_u32_e64 v13, null, v53, v13, vcc_lo
	v_add_co_u32 v16, vcc_lo, v52, v16
	v_ashrrev_i32_e32 v15, 31, v14
	v_add_nc_u32_e32 v50, s8, v46
	v_add_co_ci_u32_e64 v17, null, v53, v17, vcc_lo
	v_add_co_u32 v18, vcc_lo, v52, v18
	v_add_co_ci_u32_e64 v19, null, v53, v19, vcc_lo
	v_lshlrev_b64 v[48:49], 3, v[14:15]
	v_ashrrev_i32_e32 v47, 31, v46
	s_clause 0x3
	flat_load_dwordx2 v[38:39], v[10:11]
	flat_load_dwordx2 v[36:37], v[12:13]
	;; [unrolled: 1-line block ×4, first 2 shown]
	v_add_nc_u32_e32 v12, s8, v50
	v_ashrrev_i32_e32 v51, 31, v50
	v_lshlrev_b64 v[10:11], 3, v[46:47]
	v_add_co_u32 v16, vcc_lo, v52, v48
	v_add_nc_u32_e32 v46, s8, v12
	v_lshlrev_b64 v[18:19], 3, v[50:51]
	v_ashrrev_i32_e32 v13, 31, v12
	v_add_co_ci_u32_e64 v17, null, v53, v49, vcc_lo
	v_ashrrev_i32_e32 v47, 31, v46
	v_add_co_u32 v10, vcc_lo, v52, v10
	v_add_co_ci_u32_e64 v11, null, v53, v11, vcc_lo
	v_lshlrev_b64 v[12:13], 3, v[12:13]
	v_add_co_u32 v48, vcc_lo, v52, v18
	v_add_co_ci_u32_e64 v49, null, v53, v19, vcc_lo
	v_lshlrev_b64 v[18:19], 3, v[46:47]
	v_add_co_u32 v46, vcc_lo, v52, v12
	v_add_co_ci_u32_e64 v47, null, v53, v13, vcc_lo
	v_add_co_u32 v50, vcc_lo, v52, v18
	v_add_co_ci_u32_e64 v51, null, v53, v19, vcc_lo
	s_clause 0x4
	flat_load_dwordx2 v[18:19], v[16:17]
	flat_load_dwordx2 v[12:13], v[10:11]
	;; [unrolled: 1-line block ×5, first 2 shown]
	v_add_nc_u32_e32 v48, v54, v55
	v_mov_b32_e32 v50, 0
	v_lshlrev_b32_e32 v55, 3, v1
	s_waitcnt vmcnt(20) lgkmcnt(20)
	ds_write_b64 v48, v[40:41]
	s_waitcnt vmcnt(0) lgkmcnt(0)
	s_barrier
	buffer_gl0_inv
	ds_read_b64 v[48:49], v54
	s_cbranch_scc1 .LBB40_6
; %bb.4:
	v_add3_u32 v1, v55, 0, 8
	v_mov_b32_e32 v50, 0
	s_mov_b32 s0, 1
.LBB40_5:                               ; =>This Inner Loop Header: Depth=1
	ds_read_b64 v[56:57], v1
	v_add_nc_u32_e32 v1, 8, v1
	s_waitcnt lgkmcnt(0)
	v_cmp_lt_f64_e64 vcc_lo, |v[48:49]|, |v[56:57]|
	v_cndmask_b32_e32 v49, v49, v57, vcc_lo
	v_cndmask_b32_e32 v48, v48, v56, vcc_lo
	v_cndmask_b32_e64 v50, v50, s0, vcc_lo
	s_add_i32 s0, s0, 1
	s_cmp_eq_u32 s2, s0
	s_cbranch_scc0 .LBB40_5
.LBB40_6:
	s_mov_b32 s0, exec_lo
                                        ; implicit-def: $vgpr57
	v_cmpx_ne_u32_e64 v0, v50
	s_xor_b32 s0, exec_lo, s0
	s_cbranch_execz .LBB40_12
; %bb.7:
	s_mov_b32 s1, exec_lo
	v_cmpx_eq_u32_e32 0, v0
	s_cbranch_execz .LBB40_11
; %bb.8:
	v_cmp_ne_u32_e32 vcc_lo, 0, v50
	s_xor_b32 s3, s6, -1
	s_and_b32 s7, s3, vcc_lo
	s_and_saveexec_b32 s3, s7
	s_cbranch_execz .LBB40_10
; %bb.9:
	v_ashrrev_i32_e32 v51, 31, v50
	v_lshlrev_b64 v[0:1], 2, v[50:51]
	v_add_co_u32 v0, vcc_lo, v44, v0
	v_add_co_ci_u32_e64 v1, null, v45, v1, vcc_lo
	s_clause 0x1
	global_load_dword v51, v[0:1], off
	global_load_dword v56, v[44:45], off
	s_waitcnt vmcnt(1)
	global_store_dword v[44:45], v51, off
	s_waitcnt vmcnt(0)
	global_store_dword v[0:1], v56, off
.LBB40_10:
	s_or_b32 exec_lo, exec_lo, s3
	v_mov_b32_e32 v0, v50
.LBB40_11:
	s_or_b32 exec_lo, exec_lo, s1
	v_mov_b32_e32 v57, v0
                                        ; implicit-def: $vgpr0
.LBB40_12:
	s_or_saveexec_b32 s0, s0
	v_mov_b32_e32 v51, v57
	s_xor_b32 exec_lo, exec_lo, s0
	s_cbranch_execz .LBB40_14
; %bb.13:
	v_mov_b32_e32 v57, 0
	v_mov_b32_e32 v51, v0
	ds_write2_b64 v54, v[30:31], v[28:29] offset0:1 offset1:2
	ds_write2_b64 v54, v[26:27], v[34:35] offset0:3 offset1:4
	;; [unrolled: 1-line block ×10, first 2 shown]
.LBB40_14:
	s_or_b32 exec_lo, exec_lo, s0
	s_waitcnt lgkmcnt(0)
	v_cmp_eq_f64_e64 s0, 0, v[48:49]
	s_mov_b32 s1, exec_lo
	s_waitcnt_vscnt null, 0x0
	s_barrier
	buffer_gl0_inv
	v_cmpx_lt_i32_e32 0, v57
	s_cbranch_execz .LBB40_16
; %bb.15:
	v_div_scale_f64 v[0:1], null, v[48:49], v[48:49], 1.0
	v_div_scale_f64 v[62:63], vcc_lo, 1.0, v[48:49], 1.0
	v_rcp_f64_e32 v[58:59], v[0:1]
	v_fma_f64 v[60:61], -v[0:1], v[58:59], 1.0
	v_fma_f64 v[58:59], v[58:59], v[60:61], v[58:59]
	v_fma_f64 v[60:61], -v[0:1], v[58:59], 1.0
	v_fma_f64 v[58:59], v[58:59], v[60:61], v[58:59]
	v_mul_f64 v[60:61], v[62:63], v[58:59]
	v_fma_f64 v[0:1], -v[0:1], v[60:61], v[62:63]
	v_div_fmas_f64 v[0:1], v[0:1], v[58:59], v[60:61]
	ds_read2_b64 v[58:61], v54 offset0:1 offset1:2
	ds_read2_b64 v[62:65], v54 offset0:3 offset1:4
	;; [unrolled: 1-line block ×10, first 2 shown]
	v_div_fixup_f64 v[0:1], v[0:1], v[48:49], 1.0
	v_cndmask_b32_e64 v1, v1, v49, s0
	v_cndmask_b32_e64 v0, v0, v48, s0
	v_mul_f64 v[40:41], v[0:1], v[40:41]
	s_waitcnt lgkmcnt(9)
	v_fma_f64 v[30:31], -v[40:41], v[58:59], v[30:31]
	v_fma_f64 v[28:29], -v[40:41], v[60:61], v[28:29]
	s_waitcnt lgkmcnt(8)
	v_fma_f64 v[26:27], -v[40:41], v[62:63], v[26:27]
	v_fma_f64 v[34:35], -v[40:41], v[64:65], v[34:35]
	;; [unrolled: 3-line block ×10, first 2 shown]
.LBB40_16:
	s_or_b32 exec_lo, exec_lo, s1
	v_lshl_add_u32 v0, v57, 3, v54
	s_barrier
	buffer_gl0_inv
	v_mov_b32_e32 v48, 1
	ds_write_b64 v0, v[30:31]
	s_waitcnt lgkmcnt(0)
	s_barrier
	buffer_gl0_inv
	ds_read_b64 v[0:1], v54 offset:8
	s_cmp_lt_i32 s2, 3
	s_cbranch_scc1 .LBB40_19
; %bb.17:
	v_add3_u32 v49, v55, 0, 16
	v_mov_b32_e32 v48, 1
	s_mov_b32 s1, 2
.LBB40_18:                              ; =>This Inner Loop Header: Depth=1
	ds_read_b64 v[58:59], v49
	v_add_nc_u32_e32 v49, 8, v49
	s_waitcnt lgkmcnt(0)
	v_cmp_lt_f64_e64 vcc_lo, |v[0:1]|, |v[58:59]|
	v_cndmask_b32_e32 v1, v1, v59, vcc_lo
	v_cndmask_b32_e32 v0, v0, v58, vcc_lo
	v_cndmask_b32_e64 v48, v48, s1, vcc_lo
	s_add_i32 s1, s1, 1
	s_cmp_lg_u32 s2, s1
	s_cbranch_scc1 .LBB40_18
.LBB40_19:
	s_mov_b32 s1, exec_lo
	v_cmpx_ne_u32_e64 v57, v48
	s_xor_b32 s1, exec_lo, s1
	s_cbranch_execz .LBB40_25
; %bb.20:
	s_mov_b32 s3, exec_lo
	v_cmpx_eq_u32_e32 1, v57
	s_cbranch_execz .LBB40_24
; %bb.21:
	v_cmp_ne_u32_e32 vcc_lo, 1, v48
	s_xor_b32 s7, s6, -1
	s_and_b32 s9, s7, vcc_lo
	s_and_saveexec_b32 s7, s9
	s_cbranch_execz .LBB40_23
; %bb.22:
	v_ashrrev_i32_e32 v49, 31, v48
	v_lshlrev_b64 v[49:50], 2, v[48:49]
	v_add_co_u32 v49, vcc_lo, v44, v49
	v_add_co_ci_u32_e64 v50, null, v45, v50, vcc_lo
	s_clause 0x1
	global_load_dword v51, v[49:50], off
	global_load_dword v56, v[44:45], off offset:4
	s_waitcnt vmcnt(1)
	global_store_dword v[44:45], v51, off offset:4
	s_waitcnt vmcnt(0)
	global_store_dword v[49:50], v56, off
.LBB40_23:
	s_or_b32 exec_lo, exec_lo, s7
	v_mov_b32_e32 v51, v48
	v_mov_b32_e32 v57, v48
.LBB40_24:
	s_or_b32 exec_lo, exec_lo, s3
.LBB40_25:
	s_andn2_saveexec_b32 s1, s1
	s_cbranch_execz .LBB40_27
; %bb.26:
	v_mov_b32_e32 v48, v28
	v_mov_b32_e32 v49, v29
	;; [unrolled: 1-line block ×20, first 2 shown]
	ds_write2_b64 v54, v[48:49], v[56:57] offset0:2 offset1:3
	ds_write2_b64 v54, v[58:59], v[60:61] offset0:4 offset1:5
	;; [unrolled: 1-line block ×5, first 2 shown]
	v_mov_b32_e32 v48, v38
	v_mov_b32_e32 v49, v39
	;; [unrolled: 1-line block ×8, first 2 shown]
	ds_write2_b64 v54, v[48:49], v[56:57] offset0:12 offset1:13
	v_mov_b32_e32 v57, 1
	v_mov_b32_e32 v62, v18
	;; [unrolled: 1-line block ×9, first 2 shown]
	ds_write2_b64 v54, v[58:59], v[60:61] offset0:14 offset1:15
	ds_write2_b64 v54, v[62:63], v[64:65] offset0:16 offset1:17
	;; [unrolled: 1-line block ×3, first 2 shown]
	ds_write_b64 v54, v[46:47] offset:160
.LBB40_27:
	s_or_b32 exec_lo, exec_lo, s1
	s_waitcnt lgkmcnt(0)
	v_cmp_neq_f64_e64 s1, 0, v[0:1]
	s_mov_b32 s3, exec_lo
	s_waitcnt_vscnt null, 0x0
	s_barrier
	buffer_gl0_inv
	v_cmpx_lt_i32_e32 1, v57
	s_cbranch_execz .LBB40_29
; %bb.28:
	v_div_scale_f64 v[48:49], null, v[0:1], v[0:1], 1.0
	v_div_scale_f64 v[62:63], vcc_lo, 1.0, v[0:1], 1.0
	v_rcp_f64_e32 v[58:59], v[48:49]
	v_fma_f64 v[60:61], -v[48:49], v[58:59], 1.0
	v_fma_f64 v[58:59], v[58:59], v[60:61], v[58:59]
	v_fma_f64 v[60:61], -v[48:49], v[58:59], 1.0
	v_fma_f64 v[58:59], v[58:59], v[60:61], v[58:59]
	v_mul_f64 v[60:61], v[62:63], v[58:59]
	v_fma_f64 v[48:49], -v[48:49], v[60:61], v[62:63]
	v_div_fmas_f64 v[48:49], v[48:49], v[58:59], v[60:61]
	v_div_fixup_f64 v[48:49], v[48:49], v[0:1], 1.0
	v_cndmask_b32_e64 v1, v1, v49, s1
	v_cndmask_b32_e64 v0, v0, v48, s1
	v_mul_f64 v[30:31], v[0:1], v[30:31]
	ds_read2_b64 v[58:61], v54 offset0:2 offset1:3
	ds_read2_b64 v[62:65], v54 offset0:4 offset1:5
	;; [unrolled: 1-line block ×9, first 2 shown]
	ds_read_b64 v[0:1], v54 offset:160
	s_waitcnt lgkmcnt(9)
	v_fma_f64 v[28:29], -v[30:31], v[58:59], v[28:29]
	v_fma_f64 v[26:27], -v[30:31], v[60:61], v[26:27]
	s_waitcnt lgkmcnt(8)
	v_fma_f64 v[34:35], -v[30:31], v[62:63], v[34:35]
	v_fma_f64 v[32:33], -v[30:31], v[64:65], v[32:33]
	;; [unrolled: 3-line block ×9, first 2 shown]
	s_waitcnt lgkmcnt(0)
	v_fma_f64 v[46:47], -v[30:31], v[0:1], v[46:47]
.LBB40_29:
	s_or_b32 exec_lo, exec_lo, s3
	v_lshl_add_u32 v0, v57, 3, v54
	s_barrier
	buffer_gl0_inv
	v_mov_b32_e32 v48, 2
	ds_write_b64 v0, v[28:29]
	s_waitcnt lgkmcnt(0)
	s_barrier
	buffer_gl0_inv
	ds_read_b64 v[0:1], v54 offset:16
	s_cmp_lt_i32 s2, 4
	s_mov_b32 s3, 3
	s_cbranch_scc1 .LBB40_32
; %bb.30:
	v_add3_u32 v49, v55, 0, 24
	v_mov_b32_e32 v48, 2
.LBB40_31:                              ; =>This Inner Loop Header: Depth=1
	ds_read_b64 v[58:59], v49
	v_add_nc_u32_e32 v49, 8, v49
	s_waitcnt lgkmcnt(0)
	v_cmp_lt_f64_e64 vcc_lo, |v[0:1]|, |v[58:59]|
	v_cndmask_b32_e32 v1, v1, v59, vcc_lo
	v_cndmask_b32_e32 v0, v0, v58, vcc_lo
	v_cndmask_b32_e64 v48, v48, s3, vcc_lo
	s_add_i32 s3, s3, 1
	s_cmp_lg_u32 s2, s3
	s_cbranch_scc1 .LBB40_31
.LBB40_32:
	v_cndmask_b32_e64 v49, 2, 1, s0
	v_cndmask_b32_e64 v50, 0, 1, s0
	s_mov_b32 s0, exec_lo
	v_cndmask_b32_e64 v56, v49, v50, s1
	s_waitcnt lgkmcnt(0)
	v_cmpx_eq_f64_e32 0, v[0:1]
	s_xor_b32 s0, exec_lo, s0
; %bb.33:
	v_cmp_ne_u32_e32 vcc_lo, 0, v56
	v_cndmask_b32_e32 v56, 3, v56, vcc_lo
; %bb.34:
	s_andn2_saveexec_b32 s0, s0
	s_cbranch_execz .LBB40_36
; %bb.35:
	v_div_scale_f64 v[49:50], null, v[0:1], v[0:1], 1.0
	v_rcp_f64_e32 v[58:59], v[49:50]
	v_fma_f64 v[60:61], -v[49:50], v[58:59], 1.0
	v_fma_f64 v[58:59], v[58:59], v[60:61], v[58:59]
	v_fma_f64 v[60:61], -v[49:50], v[58:59], 1.0
	v_fma_f64 v[58:59], v[58:59], v[60:61], v[58:59]
	v_div_scale_f64 v[60:61], vcc_lo, 1.0, v[0:1], 1.0
	v_mul_f64 v[62:63], v[60:61], v[58:59]
	v_fma_f64 v[49:50], -v[49:50], v[62:63], v[60:61]
	v_div_fmas_f64 v[49:50], v[49:50], v[58:59], v[62:63]
	v_div_fixup_f64 v[0:1], v[49:50], v[0:1], 1.0
.LBB40_36:
	s_or_b32 exec_lo, exec_lo, s0
	s_mov_b32 s0, exec_lo
	v_cmpx_ne_u32_e64 v57, v48
	s_xor_b32 s0, exec_lo, s0
	s_cbranch_execz .LBB40_42
; %bb.37:
	s_mov_b32 s1, exec_lo
	v_cmpx_eq_u32_e32 2, v57
	s_cbranch_execz .LBB40_41
; %bb.38:
	v_cmp_ne_u32_e32 vcc_lo, 2, v48
	s_xor_b32 s3, s6, -1
	s_and_b32 s7, s3, vcc_lo
	s_and_saveexec_b32 s3, s7
	s_cbranch_execz .LBB40_40
; %bb.39:
	v_ashrrev_i32_e32 v49, 31, v48
	v_lshlrev_b64 v[49:50], 2, v[48:49]
	v_add_co_u32 v49, vcc_lo, v44, v49
	v_add_co_ci_u32_e64 v50, null, v45, v50, vcc_lo
	s_clause 0x1
	global_load_dword v51, v[49:50], off
	global_load_dword v57, v[44:45], off offset:8
	s_waitcnt vmcnt(1)
	global_store_dword v[44:45], v51, off offset:8
	s_waitcnt vmcnt(0)
	global_store_dword v[49:50], v57, off
.LBB40_40:
	s_or_b32 exec_lo, exec_lo, s3
	v_mov_b32_e32 v51, v48
	v_mov_b32_e32 v57, v48
.LBB40_41:
	s_or_b32 exec_lo, exec_lo, s1
.LBB40_42:
	s_andn2_saveexec_b32 s0, s0
	s_cbranch_execz .LBB40_44
; %bb.43:
	v_mov_b32_e32 v57, 2
	ds_write2_b64 v54, v[26:27], v[34:35] offset0:3 offset1:4
	ds_write2_b64 v54, v[32:33], v[8:9] offset0:5 offset1:6
	;; [unrolled: 1-line block ×9, first 2 shown]
.LBB40_44:
	s_or_b32 exec_lo, exec_lo, s0
	s_mov_b32 s0, exec_lo
	s_waitcnt lgkmcnt(0)
	s_waitcnt_vscnt null, 0x0
	s_barrier
	buffer_gl0_inv
	v_cmpx_lt_i32_e32 2, v57
	s_cbranch_execz .LBB40_46
; %bb.45:
	v_mul_f64 v[28:29], v[0:1], v[28:29]
	ds_read2_b64 v[58:61], v54 offset0:3 offset1:4
	ds_read2_b64 v[62:65], v54 offset0:5 offset1:6
	;; [unrolled: 1-line block ×9, first 2 shown]
	s_waitcnt lgkmcnt(8)
	v_fma_f64 v[26:27], -v[28:29], v[58:59], v[26:27]
	v_fma_f64 v[34:35], -v[28:29], v[60:61], v[34:35]
	s_waitcnt lgkmcnt(7)
	v_fma_f64 v[32:33], -v[28:29], v[62:63], v[32:33]
	v_fma_f64 v[8:9], -v[28:29], v[64:65], v[8:9]
	;; [unrolled: 3-line block ×9, first 2 shown]
.LBB40_46:
	s_or_b32 exec_lo, exec_lo, s0
	v_lshl_add_u32 v0, v57, 3, v54
	s_barrier
	buffer_gl0_inv
	v_mov_b32_e32 v48, 3
	ds_write_b64 v0, v[26:27]
	s_waitcnt lgkmcnt(0)
	s_barrier
	buffer_gl0_inv
	ds_read_b64 v[0:1], v54 offset:24
	s_cmp_lt_i32 s2, 5
	s_cbranch_scc1 .LBB40_49
; %bb.47:
	v_mov_b32_e32 v48, 3
	v_add3_u32 v49, v55, 0, 32
	s_mov_b32 s0, 4
.LBB40_48:                              ; =>This Inner Loop Header: Depth=1
	ds_read_b64 v[58:59], v49
	v_add_nc_u32_e32 v49, 8, v49
	s_waitcnt lgkmcnt(0)
	v_cmp_lt_f64_e64 vcc_lo, |v[0:1]|, |v[58:59]|
	v_cndmask_b32_e32 v1, v1, v59, vcc_lo
	v_cndmask_b32_e32 v0, v0, v58, vcc_lo
	v_cndmask_b32_e64 v48, v48, s0, vcc_lo
	s_add_i32 s0, s0, 1
	s_cmp_lg_u32 s2, s0
	s_cbranch_scc1 .LBB40_48
.LBB40_49:
	s_mov_b32 s0, exec_lo
	s_waitcnt lgkmcnt(0)
	v_cmpx_eq_f64_e32 0, v[0:1]
	s_xor_b32 s0, exec_lo, s0
; %bb.50:
	v_cmp_ne_u32_e32 vcc_lo, 0, v56
	v_cndmask_b32_e32 v56, 4, v56, vcc_lo
; %bb.51:
	s_andn2_saveexec_b32 s0, s0
	s_cbranch_execz .LBB40_53
; %bb.52:
	v_div_scale_f64 v[49:50], null, v[0:1], v[0:1], 1.0
	v_rcp_f64_e32 v[58:59], v[49:50]
	v_fma_f64 v[60:61], -v[49:50], v[58:59], 1.0
	v_fma_f64 v[58:59], v[58:59], v[60:61], v[58:59]
	v_fma_f64 v[60:61], -v[49:50], v[58:59], 1.0
	v_fma_f64 v[58:59], v[58:59], v[60:61], v[58:59]
	v_div_scale_f64 v[60:61], vcc_lo, 1.0, v[0:1], 1.0
	v_mul_f64 v[62:63], v[60:61], v[58:59]
	v_fma_f64 v[49:50], -v[49:50], v[62:63], v[60:61]
	v_div_fmas_f64 v[49:50], v[49:50], v[58:59], v[62:63]
	v_div_fixup_f64 v[0:1], v[49:50], v[0:1], 1.0
.LBB40_53:
	s_or_b32 exec_lo, exec_lo, s0
	s_mov_b32 s0, exec_lo
	v_cmpx_ne_u32_e64 v57, v48
	s_xor_b32 s0, exec_lo, s0
	s_cbranch_execz .LBB40_59
; %bb.54:
	s_mov_b32 s1, exec_lo
	v_cmpx_eq_u32_e32 3, v57
	s_cbranch_execz .LBB40_58
; %bb.55:
	v_cmp_ne_u32_e32 vcc_lo, 3, v48
	s_xor_b32 s3, s6, -1
	s_and_b32 s7, s3, vcc_lo
	s_and_saveexec_b32 s3, s7
	s_cbranch_execz .LBB40_57
; %bb.56:
	v_ashrrev_i32_e32 v49, 31, v48
	v_lshlrev_b64 v[49:50], 2, v[48:49]
	v_add_co_u32 v49, vcc_lo, v44, v49
	v_add_co_ci_u32_e64 v50, null, v45, v50, vcc_lo
	s_clause 0x1
	global_load_dword v51, v[49:50], off
	global_load_dword v57, v[44:45], off offset:12
	s_waitcnt vmcnt(1)
	global_store_dword v[44:45], v51, off offset:12
	s_waitcnt vmcnt(0)
	global_store_dword v[49:50], v57, off
.LBB40_57:
	s_or_b32 exec_lo, exec_lo, s3
	v_mov_b32_e32 v51, v48
	v_mov_b32_e32 v57, v48
.LBB40_58:
	s_or_b32 exec_lo, exec_lo, s1
.LBB40_59:
	s_andn2_saveexec_b32 s0, s0
	s_cbranch_execz .LBB40_61
; %bb.60:
	v_mov_b32_e32 v48, v34
	v_mov_b32_e32 v49, v35
	;; [unrolled: 1-line block ×16, first 2 shown]
	ds_write2_b64 v54, v[48:49], v[57:58] offset0:4 offset1:5
	ds_write2_b64 v54, v[59:60], v[61:62] offset0:6 offset1:7
	ds_write2_b64 v54, v[63:64], v[65:66] offset0:8 offset1:9
	ds_write2_b64 v54, v[67:68], v[69:70] offset0:10 offset1:11
	v_mov_b32_e32 v48, v38
	v_mov_b32_e32 v49, v39
	v_mov_b32_e32 v57, v36
	v_mov_b32_e32 v58, v37
	v_mov_b32_e32 v59, v20
	v_mov_b32_e32 v60, v21
	v_mov_b32_e32 v61, v14
	v_mov_b32_e32 v62, v15
	ds_write2_b64 v54, v[48:49], v[57:58] offset0:12 offset1:13
	v_mov_b32_e32 v57, 3
	v_mov_b32_e32 v63, v18
	;; [unrolled: 1-line block ×9, first 2 shown]
	ds_write2_b64 v54, v[59:60], v[61:62] offset0:14 offset1:15
	ds_write2_b64 v54, v[63:64], v[65:66] offset0:16 offset1:17
	;; [unrolled: 1-line block ×3, first 2 shown]
	ds_write_b64 v54, v[46:47] offset:160
.LBB40_61:
	s_or_b32 exec_lo, exec_lo, s0
	s_mov_b32 s0, exec_lo
	s_waitcnt lgkmcnt(0)
	s_waitcnt_vscnt null, 0x0
	s_barrier
	buffer_gl0_inv
	v_cmpx_lt_i32_e32 3, v57
	s_cbranch_execz .LBB40_63
; %bb.62:
	v_mul_f64 v[26:27], v[0:1], v[26:27]
	ds_read2_b64 v[58:61], v54 offset0:4 offset1:5
	ds_read2_b64 v[62:65], v54 offset0:6 offset1:7
	;; [unrolled: 1-line block ×8, first 2 shown]
	ds_read_b64 v[0:1], v54 offset:160
	s_waitcnt lgkmcnt(8)
	v_fma_f64 v[34:35], -v[26:27], v[58:59], v[34:35]
	v_fma_f64 v[32:33], -v[26:27], v[60:61], v[32:33]
	s_waitcnt lgkmcnt(7)
	v_fma_f64 v[8:9], -v[26:27], v[62:63], v[8:9]
	v_fma_f64 v[6:7], -v[26:27], v[64:65], v[6:7]
	;; [unrolled: 3-line block ×8, first 2 shown]
	s_waitcnt lgkmcnt(0)
	v_fma_f64 v[46:47], -v[26:27], v[0:1], v[46:47]
.LBB40_63:
	s_or_b32 exec_lo, exec_lo, s0
	v_lshl_add_u32 v0, v57, 3, v54
	s_barrier
	buffer_gl0_inv
	v_mov_b32_e32 v48, 4
	ds_write_b64 v0, v[34:35]
	s_waitcnt lgkmcnt(0)
	s_barrier
	buffer_gl0_inv
	ds_read_b64 v[0:1], v54 offset:32
	s_cmp_lt_i32 s2, 6
	s_cbranch_scc1 .LBB40_66
; %bb.64:
	v_add3_u32 v49, v55, 0, 40
	v_mov_b32_e32 v48, 4
	s_mov_b32 s0, 5
.LBB40_65:                              ; =>This Inner Loop Header: Depth=1
	ds_read_b64 v[58:59], v49
	v_add_nc_u32_e32 v49, 8, v49
	s_waitcnt lgkmcnt(0)
	v_cmp_lt_f64_e64 vcc_lo, |v[0:1]|, |v[58:59]|
	v_cndmask_b32_e32 v1, v1, v59, vcc_lo
	v_cndmask_b32_e32 v0, v0, v58, vcc_lo
	v_cndmask_b32_e64 v48, v48, s0, vcc_lo
	s_add_i32 s0, s0, 1
	s_cmp_lg_u32 s2, s0
	s_cbranch_scc1 .LBB40_65
.LBB40_66:
	s_mov_b32 s0, exec_lo
	s_waitcnt lgkmcnt(0)
	v_cmpx_eq_f64_e32 0, v[0:1]
	s_xor_b32 s0, exec_lo, s0
; %bb.67:
	v_cmp_ne_u32_e32 vcc_lo, 0, v56
	v_cndmask_b32_e32 v56, 5, v56, vcc_lo
; %bb.68:
	s_andn2_saveexec_b32 s0, s0
	s_cbranch_execz .LBB40_70
; %bb.69:
	v_div_scale_f64 v[49:50], null, v[0:1], v[0:1], 1.0
	v_rcp_f64_e32 v[58:59], v[49:50]
	v_fma_f64 v[60:61], -v[49:50], v[58:59], 1.0
	v_fma_f64 v[58:59], v[58:59], v[60:61], v[58:59]
	v_fma_f64 v[60:61], -v[49:50], v[58:59], 1.0
	v_fma_f64 v[58:59], v[58:59], v[60:61], v[58:59]
	v_div_scale_f64 v[60:61], vcc_lo, 1.0, v[0:1], 1.0
	v_mul_f64 v[62:63], v[60:61], v[58:59]
	v_fma_f64 v[49:50], -v[49:50], v[62:63], v[60:61]
	v_div_fmas_f64 v[49:50], v[49:50], v[58:59], v[62:63]
	v_div_fixup_f64 v[0:1], v[49:50], v[0:1], 1.0
.LBB40_70:
	s_or_b32 exec_lo, exec_lo, s0
	s_mov_b32 s0, exec_lo
	v_cmpx_ne_u32_e64 v57, v48
	s_xor_b32 s0, exec_lo, s0
	s_cbranch_execz .LBB40_76
; %bb.71:
	s_mov_b32 s1, exec_lo
	v_cmpx_eq_u32_e32 4, v57
	s_cbranch_execz .LBB40_75
; %bb.72:
	v_cmp_ne_u32_e32 vcc_lo, 4, v48
	s_xor_b32 s3, s6, -1
	s_and_b32 s7, s3, vcc_lo
	s_and_saveexec_b32 s3, s7
	s_cbranch_execz .LBB40_74
; %bb.73:
	v_ashrrev_i32_e32 v49, 31, v48
	v_lshlrev_b64 v[49:50], 2, v[48:49]
	v_add_co_u32 v49, vcc_lo, v44, v49
	v_add_co_ci_u32_e64 v50, null, v45, v50, vcc_lo
	s_clause 0x1
	global_load_dword v51, v[49:50], off
	global_load_dword v57, v[44:45], off offset:16
	s_waitcnt vmcnt(1)
	global_store_dword v[44:45], v51, off offset:16
	s_waitcnt vmcnt(0)
	global_store_dword v[49:50], v57, off
.LBB40_74:
	s_or_b32 exec_lo, exec_lo, s3
	v_mov_b32_e32 v51, v48
	v_mov_b32_e32 v57, v48
.LBB40_75:
	s_or_b32 exec_lo, exec_lo, s1
.LBB40_76:
	s_andn2_saveexec_b32 s0, s0
	s_cbranch_execz .LBB40_78
; %bb.77:
	v_mov_b32_e32 v57, 4
	ds_write2_b64 v54, v[32:33], v[8:9] offset0:5 offset1:6
	ds_write2_b64 v54, v[6:7], v[42:43] offset0:7 offset1:8
	;; [unrolled: 1-line block ×8, first 2 shown]
.LBB40_78:
	s_or_b32 exec_lo, exec_lo, s0
	s_mov_b32 s0, exec_lo
	s_waitcnt lgkmcnt(0)
	s_waitcnt_vscnt null, 0x0
	s_barrier
	buffer_gl0_inv
	v_cmpx_lt_i32_e32 4, v57
	s_cbranch_execz .LBB40_80
; %bb.79:
	v_mul_f64 v[34:35], v[0:1], v[34:35]
	ds_read2_b64 v[58:61], v54 offset0:5 offset1:6
	ds_read2_b64 v[62:65], v54 offset0:7 offset1:8
	;; [unrolled: 1-line block ×8, first 2 shown]
	s_waitcnt lgkmcnt(7)
	v_fma_f64 v[32:33], -v[34:35], v[58:59], v[32:33]
	v_fma_f64 v[8:9], -v[34:35], v[60:61], v[8:9]
	s_waitcnt lgkmcnt(6)
	v_fma_f64 v[6:7], -v[34:35], v[62:63], v[6:7]
	v_fma_f64 v[42:43], -v[34:35], v[64:65], v[42:43]
	s_waitcnt lgkmcnt(5)
	v_fma_f64 v[22:23], -v[34:35], v[66:67], v[22:23]
	v_fma_f64 v[24:25], -v[34:35], v[68:69], v[24:25]
	s_waitcnt lgkmcnt(4)
	v_fma_f64 v[4:5], -v[34:35], v[70:71], v[4:5]
	v_fma_f64 v[38:39], -v[34:35], v[72:73], v[38:39]
	s_waitcnt lgkmcnt(3)
	v_fma_f64 v[36:37], -v[34:35], v[74:75], v[36:37]
	v_fma_f64 v[20:21], -v[34:35], v[76:77], v[20:21]
	s_waitcnt lgkmcnt(2)
	v_fma_f64 v[14:15], -v[34:35], v[78:79], v[14:15]
	v_fma_f64 v[18:19], -v[34:35], v[80:81], v[18:19]
	s_waitcnt lgkmcnt(1)
	v_fma_f64 v[12:13], -v[34:35], v[82:83], v[12:13]
	v_fma_f64 v[16:17], -v[34:35], v[84:85], v[16:17]
	s_waitcnt lgkmcnt(0)
	v_fma_f64 v[10:11], -v[34:35], v[86:87], v[10:11]
	v_fma_f64 v[46:47], -v[34:35], v[88:89], v[46:47]
.LBB40_80:
	s_or_b32 exec_lo, exec_lo, s0
	v_lshl_add_u32 v0, v57, 3, v54
	s_barrier
	buffer_gl0_inv
	v_mov_b32_e32 v48, 5
	ds_write_b64 v0, v[32:33]
	s_waitcnt lgkmcnt(0)
	s_barrier
	buffer_gl0_inv
	ds_read_b64 v[0:1], v54 offset:40
	s_cmp_lt_i32 s2, 7
	s_cbranch_scc1 .LBB40_83
; %bb.81:
	v_add3_u32 v49, v55, 0, 48
	v_mov_b32_e32 v48, 5
	s_mov_b32 s0, 6
.LBB40_82:                              ; =>This Inner Loop Header: Depth=1
	ds_read_b64 v[58:59], v49
	v_add_nc_u32_e32 v49, 8, v49
	s_waitcnt lgkmcnt(0)
	v_cmp_lt_f64_e64 vcc_lo, |v[0:1]|, |v[58:59]|
	v_cndmask_b32_e32 v1, v1, v59, vcc_lo
	v_cndmask_b32_e32 v0, v0, v58, vcc_lo
	v_cndmask_b32_e64 v48, v48, s0, vcc_lo
	s_add_i32 s0, s0, 1
	s_cmp_lg_u32 s2, s0
	s_cbranch_scc1 .LBB40_82
.LBB40_83:
	s_mov_b32 s0, exec_lo
	s_waitcnt lgkmcnt(0)
	v_cmpx_eq_f64_e32 0, v[0:1]
	s_xor_b32 s0, exec_lo, s0
; %bb.84:
	v_cmp_ne_u32_e32 vcc_lo, 0, v56
	v_cndmask_b32_e32 v56, 6, v56, vcc_lo
; %bb.85:
	s_andn2_saveexec_b32 s0, s0
	s_cbranch_execz .LBB40_87
; %bb.86:
	v_div_scale_f64 v[49:50], null, v[0:1], v[0:1], 1.0
	v_rcp_f64_e32 v[58:59], v[49:50]
	v_fma_f64 v[60:61], -v[49:50], v[58:59], 1.0
	v_fma_f64 v[58:59], v[58:59], v[60:61], v[58:59]
	v_fma_f64 v[60:61], -v[49:50], v[58:59], 1.0
	v_fma_f64 v[58:59], v[58:59], v[60:61], v[58:59]
	v_div_scale_f64 v[60:61], vcc_lo, 1.0, v[0:1], 1.0
	v_mul_f64 v[62:63], v[60:61], v[58:59]
	v_fma_f64 v[49:50], -v[49:50], v[62:63], v[60:61]
	v_div_fmas_f64 v[49:50], v[49:50], v[58:59], v[62:63]
	v_div_fixup_f64 v[0:1], v[49:50], v[0:1], 1.0
.LBB40_87:
	s_or_b32 exec_lo, exec_lo, s0
	s_mov_b32 s0, exec_lo
	v_cmpx_ne_u32_e64 v57, v48
	s_xor_b32 s0, exec_lo, s0
	s_cbranch_execz .LBB40_93
; %bb.88:
	s_mov_b32 s1, exec_lo
	v_cmpx_eq_u32_e32 5, v57
	s_cbranch_execz .LBB40_92
; %bb.89:
	v_cmp_ne_u32_e32 vcc_lo, 5, v48
	s_xor_b32 s3, s6, -1
	s_and_b32 s7, s3, vcc_lo
	s_and_saveexec_b32 s3, s7
	s_cbranch_execz .LBB40_91
; %bb.90:
	v_ashrrev_i32_e32 v49, 31, v48
	v_lshlrev_b64 v[49:50], 2, v[48:49]
	v_add_co_u32 v49, vcc_lo, v44, v49
	v_add_co_ci_u32_e64 v50, null, v45, v50, vcc_lo
	s_clause 0x1
	global_load_dword v51, v[49:50], off
	global_load_dword v57, v[44:45], off offset:20
	s_waitcnt vmcnt(1)
	global_store_dword v[44:45], v51, off offset:20
	s_waitcnt vmcnt(0)
	global_store_dword v[49:50], v57, off
.LBB40_91:
	s_or_b32 exec_lo, exec_lo, s3
	v_mov_b32_e32 v51, v48
	v_mov_b32_e32 v57, v48
.LBB40_92:
	s_or_b32 exec_lo, exec_lo, s1
.LBB40_93:
	s_andn2_saveexec_b32 s0, s0
	s_cbranch_execz .LBB40_95
; %bb.94:
	v_mov_b32_e32 v48, v8
	v_mov_b32_e32 v49, v9
	;; [unrolled: 1-line block ×12, first 2 shown]
	ds_write2_b64 v54, v[48:49], v[57:58] offset0:6 offset1:7
	ds_write2_b64 v54, v[59:60], v[61:62] offset0:8 offset1:9
	;; [unrolled: 1-line block ×3, first 2 shown]
	v_mov_b32_e32 v48, v38
	v_mov_b32_e32 v49, v39
	v_mov_b32_e32 v57, v36
	v_mov_b32_e32 v58, v37
	v_mov_b32_e32 v59, v20
	v_mov_b32_e32 v60, v21
	v_mov_b32_e32 v61, v14
	v_mov_b32_e32 v62, v15
	ds_write2_b64 v54, v[48:49], v[57:58] offset0:12 offset1:13
	v_mov_b32_e32 v57, 5
	v_mov_b32_e32 v63, v18
	;; [unrolled: 1-line block ×9, first 2 shown]
	ds_write2_b64 v54, v[59:60], v[61:62] offset0:14 offset1:15
	ds_write2_b64 v54, v[63:64], v[65:66] offset0:16 offset1:17
	;; [unrolled: 1-line block ×3, first 2 shown]
	ds_write_b64 v54, v[46:47] offset:160
.LBB40_95:
	s_or_b32 exec_lo, exec_lo, s0
	s_mov_b32 s0, exec_lo
	s_waitcnt lgkmcnt(0)
	s_waitcnt_vscnt null, 0x0
	s_barrier
	buffer_gl0_inv
	v_cmpx_lt_i32_e32 5, v57
	s_cbranch_execz .LBB40_97
; %bb.96:
	v_mul_f64 v[32:33], v[0:1], v[32:33]
	ds_read2_b64 v[58:61], v54 offset0:6 offset1:7
	ds_read2_b64 v[62:65], v54 offset0:8 offset1:9
	;; [unrolled: 1-line block ×7, first 2 shown]
	ds_read_b64 v[0:1], v54 offset:160
	s_waitcnt lgkmcnt(7)
	v_fma_f64 v[8:9], -v[32:33], v[58:59], v[8:9]
	v_fma_f64 v[6:7], -v[32:33], v[60:61], v[6:7]
	s_waitcnt lgkmcnt(6)
	v_fma_f64 v[42:43], -v[32:33], v[62:63], v[42:43]
	v_fma_f64 v[22:23], -v[32:33], v[64:65], v[22:23]
	;; [unrolled: 3-line block ×7, first 2 shown]
	s_waitcnt lgkmcnt(0)
	v_fma_f64 v[46:47], -v[32:33], v[0:1], v[46:47]
.LBB40_97:
	s_or_b32 exec_lo, exec_lo, s0
	v_lshl_add_u32 v0, v57, 3, v54
	s_barrier
	buffer_gl0_inv
	v_mov_b32_e32 v48, 6
	ds_write_b64 v0, v[8:9]
	s_waitcnt lgkmcnt(0)
	s_barrier
	buffer_gl0_inv
	ds_read_b64 v[0:1], v54 offset:48
	s_cmp_lt_i32 s2, 8
	s_cbranch_scc1 .LBB40_100
; %bb.98:
	v_add3_u32 v49, v55, 0, 56
	v_mov_b32_e32 v48, 6
	s_mov_b32 s0, 7
.LBB40_99:                              ; =>This Inner Loop Header: Depth=1
	ds_read_b64 v[58:59], v49
	v_add_nc_u32_e32 v49, 8, v49
	s_waitcnt lgkmcnt(0)
	v_cmp_lt_f64_e64 vcc_lo, |v[0:1]|, |v[58:59]|
	v_cndmask_b32_e32 v1, v1, v59, vcc_lo
	v_cndmask_b32_e32 v0, v0, v58, vcc_lo
	v_cndmask_b32_e64 v48, v48, s0, vcc_lo
	s_add_i32 s0, s0, 1
	s_cmp_lg_u32 s2, s0
	s_cbranch_scc1 .LBB40_99
.LBB40_100:
	s_mov_b32 s0, exec_lo
	s_waitcnt lgkmcnt(0)
	v_cmpx_eq_f64_e32 0, v[0:1]
	s_xor_b32 s0, exec_lo, s0
; %bb.101:
	v_cmp_ne_u32_e32 vcc_lo, 0, v56
	v_cndmask_b32_e32 v56, 7, v56, vcc_lo
; %bb.102:
	s_andn2_saveexec_b32 s0, s0
	s_cbranch_execz .LBB40_104
; %bb.103:
	v_div_scale_f64 v[49:50], null, v[0:1], v[0:1], 1.0
	v_rcp_f64_e32 v[58:59], v[49:50]
	v_fma_f64 v[60:61], -v[49:50], v[58:59], 1.0
	v_fma_f64 v[58:59], v[58:59], v[60:61], v[58:59]
	v_fma_f64 v[60:61], -v[49:50], v[58:59], 1.0
	v_fma_f64 v[58:59], v[58:59], v[60:61], v[58:59]
	v_div_scale_f64 v[60:61], vcc_lo, 1.0, v[0:1], 1.0
	v_mul_f64 v[62:63], v[60:61], v[58:59]
	v_fma_f64 v[49:50], -v[49:50], v[62:63], v[60:61]
	v_div_fmas_f64 v[49:50], v[49:50], v[58:59], v[62:63]
	v_div_fixup_f64 v[0:1], v[49:50], v[0:1], 1.0
.LBB40_104:
	s_or_b32 exec_lo, exec_lo, s0
	s_mov_b32 s0, exec_lo
	v_cmpx_ne_u32_e64 v57, v48
	s_xor_b32 s0, exec_lo, s0
	s_cbranch_execz .LBB40_110
; %bb.105:
	s_mov_b32 s1, exec_lo
	v_cmpx_eq_u32_e32 6, v57
	s_cbranch_execz .LBB40_109
; %bb.106:
	v_cmp_ne_u32_e32 vcc_lo, 6, v48
	s_xor_b32 s3, s6, -1
	s_and_b32 s7, s3, vcc_lo
	s_and_saveexec_b32 s3, s7
	s_cbranch_execz .LBB40_108
; %bb.107:
	v_ashrrev_i32_e32 v49, 31, v48
	v_lshlrev_b64 v[49:50], 2, v[48:49]
	v_add_co_u32 v49, vcc_lo, v44, v49
	v_add_co_ci_u32_e64 v50, null, v45, v50, vcc_lo
	s_clause 0x1
	global_load_dword v51, v[49:50], off
	global_load_dword v57, v[44:45], off offset:24
	s_waitcnt vmcnt(1)
	global_store_dword v[44:45], v51, off offset:24
	s_waitcnt vmcnt(0)
	global_store_dword v[49:50], v57, off
.LBB40_108:
	s_or_b32 exec_lo, exec_lo, s3
	v_mov_b32_e32 v51, v48
	v_mov_b32_e32 v57, v48
.LBB40_109:
	s_or_b32 exec_lo, exec_lo, s1
.LBB40_110:
	s_andn2_saveexec_b32 s0, s0
	s_cbranch_execz .LBB40_112
; %bb.111:
	v_mov_b32_e32 v57, 6
	ds_write2_b64 v54, v[6:7], v[42:43] offset0:7 offset1:8
	ds_write2_b64 v54, v[22:23], v[24:25] offset0:9 offset1:10
	;; [unrolled: 1-line block ×7, first 2 shown]
.LBB40_112:
	s_or_b32 exec_lo, exec_lo, s0
	s_mov_b32 s0, exec_lo
	s_waitcnt lgkmcnt(0)
	s_waitcnt_vscnt null, 0x0
	s_barrier
	buffer_gl0_inv
	v_cmpx_lt_i32_e32 6, v57
	s_cbranch_execz .LBB40_114
; %bb.113:
	v_mul_f64 v[8:9], v[0:1], v[8:9]
	ds_read2_b64 v[58:61], v54 offset0:7 offset1:8
	ds_read2_b64 v[62:65], v54 offset0:9 offset1:10
	;; [unrolled: 1-line block ×7, first 2 shown]
	s_waitcnt lgkmcnt(6)
	v_fma_f64 v[6:7], -v[8:9], v[58:59], v[6:7]
	v_fma_f64 v[42:43], -v[8:9], v[60:61], v[42:43]
	s_waitcnt lgkmcnt(5)
	v_fma_f64 v[22:23], -v[8:9], v[62:63], v[22:23]
	v_fma_f64 v[24:25], -v[8:9], v[64:65], v[24:25]
	;; [unrolled: 3-line block ×7, first 2 shown]
.LBB40_114:
	s_or_b32 exec_lo, exec_lo, s0
	v_lshl_add_u32 v0, v57, 3, v54
	s_barrier
	buffer_gl0_inv
	v_mov_b32_e32 v48, 7
	ds_write_b64 v0, v[6:7]
	s_waitcnt lgkmcnt(0)
	s_barrier
	buffer_gl0_inv
	ds_read_b64 v[0:1], v54 offset:56
	s_cmp_lt_i32 s2, 9
	s_cbranch_scc1 .LBB40_117
; %bb.115:
	v_add3_u32 v49, v55, 0, 64
	v_mov_b32_e32 v48, 7
	s_mov_b32 s0, 8
.LBB40_116:                             ; =>This Inner Loop Header: Depth=1
	ds_read_b64 v[58:59], v49
	v_add_nc_u32_e32 v49, 8, v49
	s_waitcnt lgkmcnt(0)
	v_cmp_lt_f64_e64 vcc_lo, |v[0:1]|, |v[58:59]|
	v_cndmask_b32_e32 v1, v1, v59, vcc_lo
	v_cndmask_b32_e32 v0, v0, v58, vcc_lo
	v_cndmask_b32_e64 v48, v48, s0, vcc_lo
	s_add_i32 s0, s0, 1
	s_cmp_lg_u32 s2, s0
	s_cbranch_scc1 .LBB40_116
.LBB40_117:
	s_mov_b32 s0, exec_lo
	s_waitcnt lgkmcnt(0)
	v_cmpx_eq_f64_e32 0, v[0:1]
	s_xor_b32 s0, exec_lo, s0
; %bb.118:
	v_cmp_ne_u32_e32 vcc_lo, 0, v56
	v_cndmask_b32_e32 v56, 8, v56, vcc_lo
; %bb.119:
	s_andn2_saveexec_b32 s0, s0
	s_cbranch_execz .LBB40_121
; %bb.120:
	v_div_scale_f64 v[49:50], null, v[0:1], v[0:1], 1.0
	v_rcp_f64_e32 v[58:59], v[49:50]
	v_fma_f64 v[60:61], -v[49:50], v[58:59], 1.0
	v_fma_f64 v[58:59], v[58:59], v[60:61], v[58:59]
	v_fma_f64 v[60:61], -v[49:50], v[58:59], 1.0
	v_fma_f64 v[58:59], v[58:59], v[60:61], v[58:59]
	v_div_scale_f64 v[60:61], vcc_lo, 1.0, v[0:1], 1.0
	v_mul_f64 v[62:63], v[60:61], v[58:59]
	v_fma_f64 v[49:50], -v[49:50], v[62:63], v[60:61]
	v_div_fmas_f64 v[49:50], v[49:50], v[58:59], v[62:63]
	v_div_fixup_f64 v[0:1], v[49:50], v[0:1], 1.0
.LBB40_121:
	s_or_b32 exec_lo, exec_lo, s0
	s_mov_b32 s0, exec_lo
	v_cmpx_ne_u32_e64 v57, v48
	s_xor_b32 s0, exec_lo, s0
	s_cbranch_execz .LBB40_127
; %bb.122:
	s_mov_b32 s1, exec_lo
	v_cmpx_eq_u32_e32 7, v57
	s_cbranch_execz .LBB40_126
; %bb.123:
	v_cmp_ne_u32_e32 vcc_lo, 7, v48
	s_xor_b32 s3, s6, -1
	s_and_b32 s7, s3, vcc_lo
	s_and_saveexec_b32 s3, s7
	s_cbranch_execz .LBB40_125
; %bb.124:
	v_ashrrev_i32_e32 v49, 31, v48
	v_lshlrev_b64 v[49:50], 2, v[48:49]
	v_add_co_u32 v49, vcc_lo, v44, v49
	v_add_co_ci_u32_e64 v50, null, v45, v50, vcc_lo
	s_clause 0x1
	global_load_dword v51, v[49:50], off
	global_load_dword v57, v[44:45], off offset:28
	s_waitcnt vmcnt(1)
	global_store_dword v[44:45], v51, off offset:28
	s_waitcnt vmcnt(0)
	global_store_dword v[49:50], v57, off
.LBB40_125:
	s_or_b32 exec_lo, exec_lo, s3
	v_mov_b32_e32 v51, v48
	v_mov_b32_e32 v57, v48
.LBB40_126:
	s_or_b32 exec_lo, exec_lo, s1
.LBB40_127:
	s_andn2_saveexec_b32 s0, s0
	s_cbranch_execz .LBB40_129
; %bb.128:
	v_mov_b32_e32 v48, v42
	v_mov_b32_e32 v49, v43
	;; [unrolled: 1-line block ×8, first 2 shown]
	ds_write2_b64 v54, v[48:49], v[57:58] offset0:8 offset1:9
	ds_write2_b64 v54, v[59:60], v[61:62] offset0:10 offset1:11
	v_mov_b32_e32 v48, v38
	v_mov_b32_e32 v49, v39
	;; [unrolled: 1-line block ×8, first 2 shown]
	ds_write2_b64 v54, v[48:49], v[57:58] offset0:12 offset1:13
	v_mov_b32_e32 v57, 7
	v_mov_b32_e32 v63, v18
	;; [unrolled: 1-line block ×9, first 2 shown]
	ds_write2_b64 v54, v[59:60], v[61:62] offset0:14 offset1:15
	ds_write2_b64 v54, v[63:64], v[65:66] offset0:16 offset1:17
	;; [unrolled: 1-line block ×3, first 2 shown]
	ds_write_b64 v54, v[46:47] offset:160
.LBB40_129:
	s_or_b32 exec_lo, exec_lo, s0
	s_mov_b32 s0, exec_lo
	s_waitcnt lgkmcnt(0)
	s_waitcnt_vscnt null, 0x0
	s_barrier
	buffer_gl0_inv
	v_cmpx_lt_i32_e32 7, v57
	s_cbranch_execz .LBB40_131
; %bb.130:
	v_mul_f64 v[6:7], v[0:1], v[6:7]
	ds_read2_b64 v[58:61], v54 offset0:8 offset1:9
	ds_read2_b64 v[62:65], v54 offset0:10 offset1:11
	;; [unrolled: 1-line block ×6, first 2 shown]
	ds_read_b64 v[0:1], v54 offset:160
	s_waitcnt lgkmcnt(6)
	v_fma_f64 v[42:43], -v[6:7], v[58:59], v[42:43]
	v_fma_f64 v[22:23], -v[6:7], v[60:61], v[22:23]
	s_waitcnt lgkmcnt(5)
	v_fma_f64 v[24:25], -v[6:7], v[62:63], v[24:25]
	v_fma_f64 v[4:5], -v[6:7], v[64:65], v[4:5]
	s_waitcnt lgkmcnt(4)
	v_fma_f64 v[38:39], -v[6:7], v[66:67], v[38:39]
	v_fma_f64 v[36:37], -v[6:7], v[68:69], v[36:37]
	s_waitcnt lgkmcnt(3)
	v_fma_f64 v[20:21], -v[6:7], v[70:71], v[20:21]
	v_fma_f64 v[14:15], -v[6:7], v[72:73], v[14:15]
	s_waitcnt lgkmcnt(2)
	v_fma_f64 v[18:19], -v[6:7], v[74:75], v[18:19]
	v_fma_f64 v[12:13], -v[6:7], v[76:77], v[12:13]
	s_waitcnt lgkmcnt(1)
	v_fma_f64 v[16:17], -v[6:7], v[78:79], v[16:17]
	v_fma_f64 v[10:11], -v[6:7], v[80:81], v[10:11]
	s_waitcnt lgkmcnt(0)
	v_fma_f64 v[46:47], -v[6:7], v[0:1], v[46:47]
.LBB40_131:
	s_or_b32 exec_lo, exec_lo, s0
	v_lshl_add_u32 v0, v57, 3, v54
	s_barrier
	buffer_gl0_inv
	v_mov_b32_e32 v48, 8
	ds_write_b64 v0, v[42:43]
	s_waitcnt lgkmcnt(0)
	s_barrier
	buffer_gl0_inv
	ds_read_b64 v[0:1], v54 offset:64
	s_cmp_lt_i32 s2, 10
	s_cbranch_scc1 .LBB40_134
; %bb.132:
	v_add3_u32 v49, v55, 0, 0x48
	v_mov_b32_e32 v48, 8
	s_mov_b32 s0, 9
.LBB40_133:                             ; =>This Inner Loop Header: Depth=1
	ds_read_b64 v[58:59], v49
	v_add_nc_u32_e32 v49, 8, v49
	s_waitcnt lgkmcnt(0)
	v_cmp_lt_f64_e64 vcc_lo, |v[0:1]|, |v[58:59]|
	v_cndmask_b32_e32 v1, v1, v59, vcc_lo
	v_cndmask_b32_e32 v0, v0, v58, vcc_lo
	v_cndmask_b32_e64 v48, v48, s0, vcc_lo
	s_add_i32 s0, s0, 1
	s_cmp_lg_u32 s2, s0
	s_cbranch_scc1 .LBB40_133
.LBB40_134:
	s_mov_b32 s0, exec_lo
	s_waitcnt lgkmcnt(0)
	v_cmpx_eq_f64_e32 0, v[0:1]
	s_xor_b32 s0, exec_lo, s0
; %bb.135:
	v_cmp_ne_u32_e32 vcc_lo, 0, v56
	v_cndmask_b32_e32 v56, 9, v56, vcc_lo
; %bb.136:
	s_andn2_saveexec_b32 s0, s0
	s_cbranch_execz .LBB40_138
; %bb.137:
	v_div_scale_f64 v[49:50], null, v[0:1], v[0:1], 1.0
	v_rcp_f64_e32 v[58:59], v[49:50]
	v_fma_f64 v[60:61], -v[49:50], v[58:59], 1.0
	v_fma_f64 v[58:59], v[58:59], v[60:61], v[58:59]
	v_fma_f64 v[60:61], -v[49:50], v[58:59], 1.0
	v_fma_f64 v[58:59], v[58:59], v[60:61], v[58:59]
	v_div_scale_f64 v[60:61], vcc_lo, 1.0, v[0:1], 1.0
	v_mul_f64 v[62:63], v[60:61], v[58:59]
	v_fma_f64 v[49:50], -v[49:50], v[62:63], v[60:61]
	v_div_fmas_f64 v[49:50], v[49:50], v[58:59], v[62:63]
	v_div_fixup_f64 v[0:1], v[49:50], v[0:1], 1.0
.LBB40_138:
	s_or_b32 exec_lo, exec_lo, s0
	s_mov_b32 s0, exec_lo
	v_cmpx_ne_u32_e64 v57, v48
	s_xor_b32 s0, exec_lo, s0
	s_cbranch_execz .LBB40_144
; %bb.139:
	s_mov_b32 s1, exec_lo
	v_cmpx_eq_u32_e32 8, v57
	s_cbranch_execz .LBB40_143
; %bb.140:
	v_cmp_ne_u32_e32 vcc_lo, 8, v48
	s_xor_b32 s3, s6, -1
	s_and_b32 s7, s3, vcc_lo
	s_and_saveexec_b32 s3, s7
	s_cbranch_execz .LBB40_142
; %bb.141:
	v_ashrrev_i32_e32 v49, 31, v48
	v_lshlrev_b64 v[49:50], 2, v[48:49]
	v_add_co_u32 v49, vcc_lo, v44, v49
	v_add_co_ci_u32_e64 v50, null, v45, v50, vcc_lo
	s_clause 0x1
	global_load_dword v51, v[49:50], off
	global_load_dword v57, v[44:45], off offset:32
	s_waitcnt vmcnt(1)
	global_store_dword v[44:45], v51, off offset:32
	s_waitcnt vmcnt(0)
	global_store_dword v[49:50], v57, off
.LBB40_142:
	s_or_b32 exec_lo, exec_lo, s3
	v_mov_b32_e32 v51, v48
	v_mov_b32_e32 v57, v48
.LBB40_143:
	s_or_b32 exec_lo, exec_lo, s1
.LBB40_144:
	s_andn2_saveexec_b32 s0, s0
	s_cbranch_execz .LBB40_146
; %bb.145:
	v_mov_b32_e32 v57, 8
	ds_write2_b64 v54, v[22:23], v[24:25] offset0:9 offset1:10
	ds_write2_b64 v54, v[4:5], v[38:39] offset0:11 offset1:12
	ds_write2_b64 v54, v[36:37], v[20:21] offset0:13 offset1:14
	ds_write2_b64 v54, v[14:15], v[18:19] offset0:15 offset1:16
	ds_write2_b64 v54, v[12:13], v[16:17] offset0:17 offset1:18
	ds_write2_b64 v54, v[10:11], v[46:47] offset0:19 offset1:20
.LBB40_146:
	s_or_b32 exec_lo, exec_lo, s0
	s_mov_b32 s0, exec_lo
	s_waitcnt lgkmcnt(0)
	s_waitcnt_vscnt null, 0x0
	s_barrier
	buffer_gl0_inv
	v_cmpx_lt_i32_e32 8, v57
	s_cbranch_execz .LBB40_148
; %bb.147:
	v_mul_f64 v[42:43], v[0:1], v[42:43]
	ds_read2_b64 v[58:61], v54 offset0:9 offset1:10
	ds_read2_b64 v[62:65], v54 offset0:11 offset1:12
	;; [unrolled: 1-line block ×6, first 2 shown]
	s_waitcnt lgkmcnt(5)
	v_fma_f64 v[22:23], -v[42:43], v[58:59], v[22:23]
	v_fma_f64 v[24:25], -v[42:43], v[60:61], v[24:25]
	s_waitcnt lgkmcnt(4)
	v_fma_f64 v[4:5], -v[42:43], v[62:63], v[4:5]
	v_fma_f64 v[38:39], -v[42:43], v[64:65], v[38:39]
	;; [unrolled: 3-line block ×6, first 2 shown]
.LBB40_148:
	s_or_b32 exec_lo, exec_lo, s0
	v_lshl_add_u32 v0, v57, 3, v54
	s_barrier
	buffer_gl0_inv
	v_mov_b32_e32 v48, 9
	ds_write_b64 v0, v[22:23]
	s_waitcnt lgkmcnt(0)
	s_barrier
	buffer_gl0_inv
	ds_read_b64 v[0:1], v54 offset:72
	s_cmp_lt_i32 s2, 11
	s_cbranch_scc1 .LBB40_151
; %bb.149:
	v_add3_u32 v49, v55, 0, 0x50
	v_mov_b32_e32 v48, 9
	s_mov_b32 s0, 10
.LBB40_150:                             ; =>This Inner Loop Header: Depth=1
	ds_read_b64 v[58:59], v49
	v_add_nc_u32_e32 v49, 8, v49
	s_waitcnt lgkmcnt(0)
	v_cmp_lt_f64_e64 vcc_lo, |v[0:1]|, |v[58:59]|
	v_cndmask_b32_e32 v1, v1, v59, vcc_lo
	v_cndmask_b32_e32 v0, v0, v58, vcc_lo
	v_cndmask_b32_e64 v48, v48, s0, vcc_lo
	s_add_i32 s0, s0, 1
	s_cmp_lg_u32 s2, s0
	s_cbranch_scc1 .LBB40_150
.LBB40_151:
	s_mov_b32 s0, exec_lo
	s_waitcnt lgkmcnt(0)
	v_cmpx_eq_f64_e32 0, v[0:1]
	s_xor_b32 s0, exec_lo, s0
; %bb.152:
	v_cmp_ne_u32_e32 vcc_lo, 0, v56
	v_cndmask_b32_e32 v56, 10, v56, vcc_lo
; %bb.153:
	s_andn2_saveexec_b32 s0, s0
	s_cbranch_execz .LBB40_155
; %bb.154:
	v_div_scale_f64 v[49:50], null, v[0:1], v[0:1], 1.0
	v_rcp_f64_e32 v[58:59], v[49:50]
	v_fma_f64 v[60:61], -v[49:50], v[58:59], 1.0
	v_fma_f64 v[58:59], v[58:59], v[60:61], v[58:59]
	v_fma_f64 v[60:61], -v[49:50], v[58:59], 1.0
	v_fma_f64 v[58:59], v[58:59], v[60:61], v[58:59]
	v_div_scale_f64 v[60:61], vcc_lo, 1.0, v[0:1], 1.0
	v_mul_f64 v[62:63], v[60:61], v[58:59]
	v_fma_f64 v[49:50], -v[49:50], v[62:63], v[60:61]
	v_div_fmas_f64 v[49:50], v[49:50], v[58:59], v[62:63]
	v_div_fixup_f64 v[0:1], v[49:50], v[0:1], 1.0
.LBB40_155:
	s_or_b32 exec_lo, exec_lo, s0
	s_mov_b32 s0, exec_lo
	v_cmpx_ne_u32_e64 v57, v48
	s_xor_b32 s0, exec_lo, s0
	s_cbranch_execz .LBB40_161
; %bb.156:
	s_mov_b32 s1, exec_lo
	v_cmpx_eq_u32_e32 9, v57
	s_cbranch_execz .LBB40_160
; %bb.157:
	v_cmp_ne_u32_e32 vcc_lo, 9, v48
	s_xor_b32 s3, s6, -1
	s_and_b32 s7, s3, vcc_lo
	s_and_saveexec_b32 s3, s7
	s_cbranch_execz .LBB40_159
; %bb.158:
	v_ashrrev_i32_e32 v49, 31, v48
	v_lshlrev_b64 v[49:50], 2, v[48:49]
	v_add_co_u32 v49, vcc_lo, v44, v49
	v_add_co_ci_u32_e64 v50, null, v45, v50, vcc_lo
	s_clause 0x1
	global_load_dword v51, v[49:50], off
	global_load_dword v57, v[44:45], off offset:36
	s_waitcnt vmcnt(1)
	global_store_dword v[44:45], v51, off offset:36
	s_waitcnt vmcnt(0)
	global_store_dword v[49:50], v57, off
.LBB40_159:
	s_or_b32 exec_lo, exec_lo, s3
	v_mov_b32_e32 v51, v48
	v_mov_b32_e32 v57, v48
.LBB40_160:
	s_or_b32 exec_lo, exec_lo, s1
.LBB40_161:
	s_andn2_saveexec_b32 s0, s0
	s_cbranch_execz .LBB40_163
; %bb.162:
	v_mov_b32_e32 v48, v24
	v_mov_b32_e32 v49, v25
	v_mov_b32_e32 v57, v4
	v_mov_b32_e32 v58, v5
	v_mov_b32_e32 v59, v38
	v_mov_b32_e32 v60, v39
	v_mov_b32_e32 v61, v20
	v_mov_b32_e32 v62, v21
	ds_write2_b64 v54, v[48:49], v[57:58] offset0:10 offset1:11
	v_mov_b32_e32 v48, v36
	v_mov_b32_e32 v49, v37
	v_mov_b32_e32 v63, v14
	v_mov_b32_e32 v64, v15
	v_mov_b32_e32 v57, 9
	v_mov_b32_e32 v65, v18
	v_mov_b32_e32 v66, v19
	v_mov_b32_e32 v67, v12
	v_mov_b32_e32 v68, v13
	v_mov_b32_e32 v69, v16
	v_mov_b32_e32 v70, v17
	v_mov_b32_e32 v71, v10
	v_mov_b32_e32 v72, v11
	ds_write2_b64 v54, v[59:60], v[48:49] offset0:12 offset1:13
	ds_write2_b64 v54, v[61:62], v[63:64] offset0:14 offset1:15
	;; [unrolled: 1-line block ×4, first 2 shown]
	ds_write_b64 v54, v[46:47] offset:160
.LBB40_163:
	s_or_b32 exec_lo, exec_lo, s0
	s_mov_b32 s0, exec_lo
	s_waitcnt lgkmcnt(0)
	s_waitcnt_vscnt null, 0x0
	s_barrier
	buffer_gl0_inv
	v_cmpx_lt_i32_e32 9, v57
	s_cbranch_execz .LBB40_165
; %bb.164:
	v_mul_f64 v[22:23], v[0:1], v[22:23]
	ds_read2_b64 v[58:61], v54 offset0:10 offset1:11
	ds_read2_b64 v[62:65], v54 offset0:12 offset1:13
	;; [unrolled: 1-line block ×5, first 2 shown]
	ds_read_b64 v[0:1], v54 offset:160
	s_waitcnt lgkmcnt(5)
	v_fma_f64 v[24:25], -v[22:23], v[58:59], v[24:25]
	v_fma_f64 v[4:5], -v[22:23], v[60:61], v[4:5]
	s_waitcnt lgkmcnt(4)
	v_fma_f64 v[38:39], -v[22:23], v[62:63], v[38:39]
	v_fma_f64 v[36:37], -v[22:23], v[64:65], v[36:37]
	;; [unrolled: 3-line block ×5, first 2 shown]
	s_waitcnt lgkmcnt(0)
	v_fma_f64 v[46:47], -v[22:23], v[0:1], v[46:47]
.LBB40_165:
	s_or_b32 exec_lo, exec_lo, s0
	v_lshl_add_u32 v0, v57, 3, v54
	s_barrier
	buffer_gl0_inv
	v_mov_b32_e32 v48, 10
	ds_write_b64 v0, v[24:25]
	s_waitcnt lgkmcnt(0)
	s_barrier
	buffer_gl0_inv
	ds_read_b64 v[0:1], v54 offset:80
	s_cmp_lt_i32 s2, 12
	s_cbranch_scc1 .LBB40_168
; %bb.166:
	v_add3_u32 v49, v55, 0, 0x58
	v_mov_b32_e32 v48, 10
	s_mov_b32 s0, 11
.LBB40_167:                             ; =>This Inner Loop Header: Depth=1
	ds_read_b64 v[58:59], v49
	v_add_nc_u32_e32 v49, 8, v49
	s_waitcnt lgkmcnt(0)
	v_cmp_lt_f64_e64 vcc_lo, |v[0:1]|, |v[58:59]|
	v_cndmask_b32_e32 v1, v1, v59, vcc_lo
	v_cndmask_b32_e32 v0, v0, v58, vcc_lo
	v_cndmask_b32_e64 v48, v48, s0, vcc_lo
	s_add_i32 s0, s0, 1
	s_cmp_lg_u32 s2, s0
	s_cbranch_scc1 .LBB40_167
.LBB40_168:
	s_mov_b32 s0, exec_lo
	s_waitcnt lgkmcnt(0)
	v_cmpx_eq_f64_e32 0, v[0:1]
	s_xor_b32 s0, exec_lo, s0
; %bb.169:
	v_cmp_ne_u32_e32 vcc_lo, 0, v56
	v_cndmask_b32_e32 v56, 11, v56, vcc_lo
; %bb.170:
	s_andn2_saveexec_b32 s0, s0
	s_cbranch_execz .LBB40_172
; %bb.171:
	v_div_scale_f64 v[49:50], null, v[0:1], v[0:1], 1.0
	v_rcp_f64_e32 v[58:59], v[49:50]
	v_fma_f64 v[60:61], -v[49:50], v[58:59], 1.0
	v_fma_f64 v[58:59], v[58:59], v[60:61], v[58:59]
	v_fma_f64 v[60:61], -v[49:50], v[58:59], 1.0
	v_fma_f64 v[58:59], v[58:59], v[60:61], v[58:59]
	v_div_scale_f64 v[60:61], vcc_lo, 1.0, v[0:1], 1.0
	v_mul_f64 v[62:63], v[60:61], v[58:59]
	v_fma_f64 v[49:50], -v[49:50], v[62:63], v[60:61]
	v_div_fmas_f64 v[49:50], v[49:50], v[58:59], v[62:63]
	v_div_fixup_f64 v[0:1], v[49:50], v[0:1], 1.0
.LBB40_172:
	s_or_b32 exec_lo, exec_lo, s0
	s_mov_b32 s0, exec_lo
	v_cmpx_ne_u32_e64 v57, v48
	s_xor_b32 s0, exec_lo, s0
	s_cbranch_execz .LBB40_178
; %bb.173:
	s_mov_b32 s1, exec_lo
	v_cmpx_eq_u32_e32 10, v57
	s_cbranch_execz .LBB40_177
; %bb.174:
	v_cmp_ne_u32_e32 vcc_lo, 10, v48
	s_xor_b32 s3, s6, -1
	s_and_b32 s7, s3, vcc_lo
	s_and_saveexec_b32 s3, s7
	s_cbranch_execz .LBB40_176
; %bb.175:
	v_ashrrev_i32_e32 v49, 31, v48
	v_lshlrev_b64 v[49:50], 2, v[48:49]
	v_add_co_u32 v49, vcc_lo, v44, v49
	v_add_co_ci_u32_e64 v50, null, v45, v50, vcc_lo
	s_clause 0x1
	global_load_dword v51, v[49:50], off
	global_load_dword v57, v[44:45], off offset:40
	s_waitcnt vmcnt(1)
	global_store_dword v[44:45], v51, off offset:40
	s_waitcnt vmcnt(0)
	global_store_dword v[49:50], v57, off
.LBB40_176:
	s_or_b32 exec_lo, exec_lo, s3
	v_mov_b32_e32 v51, v48
	v_mov_b32_e32 v57, v48
.LBB40_177:
	s_or_b32 exec_lo, exec_lo, s1
.LBB40_178:
	s_andn2_saveexec_b32 s0, s0
	s_cbranch_execz .LBB40_180
; %bb.179:
	v_mov_b32_e32 v57, 10
	ds_write2_b64 v54, v[4:5], v[38:39] offset0:11 offset1:12
	ds_write2_b64 v54, v[36:37], v[20:21] offset0:13 offset1:14
	;; [unrolled: 1-line block ×5, first 2 shown]
.LBB40_180:
	s_or_b32 exec_lo, exec_lo, s0
	s_mov_b32 s0, exec_lo
	s_waitcnt lgkmcnt(0)
	s_waitcnt_vscnt null, 0x0
	s_barrier
	buffer_gl0_inv
	v_cmpx_lt_i32_e32 10, v57
	s_cbranch_execz .LBB40_182
; %bb.181:
	v_mul_f64 v[24:25], v[0:1], v[24:25]
	ds_read2_b64 v[58:61], v54 offset0:11 offset1:12
	ds_read2_b64 v[62:65], v54 offset0:13 offset1:14
	;; [unrolled: 1-line block ×5, first 2 shown]
	s_waitcnt lgkmcnt(4)
	v_fma_f64 v[4:5], -v[24:25], v[58:59], v[4:5]
	v_fma_f64 v[38:39], -v[24:25], v[60:61], v[38:39]
	s_waitcnt lgkmcnt(3)
	v_fma_f64 v[36:37], -v[24:25], v[62:63], v[36:37]
	v_fma_f64 v[20:21], -v[24:25], v[64:65], v[20:21]
	;; [unrolled: 3-line block ×5, first 2 shown]
.LBB40_182:
	s_or_b32 exec_lo, exec_lo, s0
	v_lshl_add_u32 v0, v57, 3, v54
	s_barrier
	buffer_gl0_inv
	v_mov_b32_e32 v48, 11
	ds_write_b64 v0, v[4:5]
	s_waitcnt lgkmcnt(0)
	s_barrier
	buffer_gl0_inv
	ds_read_b64 v[0:1], v54 offset:88
	s_cmp_lt_i32 s2, 13
	s_cbranch_scc1 .LBB40_185
; %bb.183:
	v_add3_u32 v49, v55, 0, 0x60
	v_mov_b32_e32 v48, 11
	s_mov_b32 s0, 12
.LBB40_184:                             ; =>This Inner Loop Header: Depth=1
	ds_read_b64 v[58:59], v49
	v_add_nc_u32_e32 v49, 8, v49
	s_waitcnt lgkmcnt(0)
	v_cmp_lt_f64_e64 vcc_lo, |v[0:1]|, |v[58:59]|
	v_cndmask_b32_e32 v1, v1, v59, vcc_lo
	v_cndmask_b32_e32 v0, v0, v58, vcc_lo
	v_cndmask_b32_e64 v48, v48, s0, vcc_lo
	s_add_i32 s0, s0, 1
	s_cmp_lg_u32 s2, s0
	s_cbranch_scc1 .LBB40_184
.LBB40_185:
	s_mov_b32 s0, exec_lo
	s_waitcnt lgkmcnt(0)
	v_cmpx_eq_f64_e32 0, v[0:1]
	s_xor_b32 s0, exec_lo, s0
; %bb.186:
	v_cmp_ne_u32_e32 vcc_lo, 0, v56
	v_cndmask_b32_e32 v56, 12, v56, vcc_lo
; %bb.187:
	s_andn2_saveexec_b32 s0, s0
	s_cbranch_execz .LBB40_189
; %bb.188:
	v_div_scale_f64 v[49:50], null, v[0:1], v[0:1], 1.0
	v_rcp_f64_e32 v[58:59], v[49:50]
	v_fma_f64 v[60:61], -v[49:50], v[58:59], 1.0
	v_fma_f64 v[58:59], v[58:59], v[60:61], v[58:59]
	v_fma_f64 v[60:61], -v[49:50], v[58:59], 1.0
	v_fma_f64 v[58:59], v[58:59], v[60:61], v[58:59]
	v_div_scale_f64 v[60:61], vcc_lo, 1.0, v[0:1], 1.0
	v_mul_f64 v[62:63], v[60:61], v[58:59]
	v_fma_f64 v[49:50], -v[49:50], v[62:63], v[60:61]
	v_div_fmas_f64 v[49:50], v[49:50], v[58:59], v[62:63]
	v_div_fixup_f64 v[0:1], v[49:50], v[0:1], 1.0
.LBB40_189:
	s_or_b32 exec_lo, exec_lo, s0
	s_mov_b32 s0, exec_lo
	v_cmpx_ne_u32_e64 v57, v48
	s_xor_b32 s0, exec_lo, s0
	s_cbranch_execz .LBB40_195
; %bb.190:
	s_mov_b32 s1, exec_lo
	v_cmpx_eq_u32_e32 11, v57
	s_cbranch_execz .LBB40_194
; %bb.191:
	v_cmp_ne_u32_e32 vcc_lo, 11, v48
	s_xor_b32 s3, s6, -1
	s_and_b32 s7, s3, vcc_lo
	s_and_saveexec_b32 s3, s7
	s_cbranch_execz .LBB40_193
; %bb.192:
	v_ashrrev_i32_e32 v49, 31, v48
	v_lshlrev_b64 v[49:50], 2, v[48:49]
	v_add_co_u32 v49, vcc_lo, v44, v49
	v_add_co_ci_u32_e64 v50, null, v45, v50, vcc_lo
	s_clause 0x1
	global_load_dword v51, v[49:50], off
	global_load_dword v57, v[44:45], off offset:44
	s_waitcnt vmcnt(1)
	global_store_dword v[44:45], v51, off offset:44
	s_waitcnt vmcnt(0)
	global_store_dword v[49:50], v57, off
.LBB40_193:
	s_or_b32 exec_lo, exec_lo, s3
	v_mov_b32_e32 v51, v48
	v_mov_b32_e32 v57, v48
.LBB40_194:
	s_or_b32 exec_lo, exec_lo, s1
.LBB40_195:
	s_andn2_saveexec_b32 s0, s0
	s_cbranch_execz .LBB40_197
; %bb.196:
	v_mov_b32_e32 v48, v38
	v_mov_b32_e32 v49, v39
	;; [unrolled: 1-line block ×8, first 2 shown]
	ds_write2_b64 v54, v[48:49], v[57:58] offset0:12 offset1:13
	v_mov_b32_e32 v57, 11
	v_mov_b32_e32 v63, v18
	;; [unrolled: 1-line block ×9, first 2 shown]
	ds_write2_b64 v54, v[59:60], v[61:62] offset0:14 offset1:15
	ds_write2_b64 v54, v[63:64], v[65:66] offset0:16 offset1:17
	;; [unrolled: 1-line block ×3, first 2 shown]
	ds_write_b64 v54, v[46:47] offset:160
.LBB40_197:
	s_or_b32 exec_lo, exec_lo, s0
	s_mov_b32 s0, exec_lo
	s_waitcnt lgkmcnt(0)
	s_waitcnt_vscnt null, 0x0
	s_barrier
	buffer_gl0_inv
	v_cmpx_lt_i32_e32 11, v57
	s_cbranch_execz .LBB40_199
; %bb.198:
	v_mul_f64 v[4:5], v[0:1], v[4:5]
	ds_read2_b64 v[58:61], v54 offset0:12 offset1:13
	ds_read2_b64 v[62:65], v54 offset0:14 offset1:15
	;; [unrolled: 1-line block ×4, first 2 shown]
	ds_read_b64 v[0:1], v54 offset:160
	s_waitcnt lgkmcnt(4)
	v_fma_f64 v[38:39], -v[4:5], v[58:59], v[38:39]
	v_fma_f64 v[36:37], -v[4:5], v[60:61], v[36:37]
	s_waitcnt lgkmcnt(3)
	v_fma_f64 v[20:21], -v[4:5], v[62:63], v[20:21]
	v_fma_f64 v[14:15], -v[4:5], v[64:65], v[14:15]
	;; [unrolled: 3-line block ×4, first 2 shown]
	s_waitcnt lgkmcnt(0)
	v_fma_f64 v[46:47], -v[4:5], v[0:1], v[46:47]
.LBB40_199:
	s_or_b32 exec_lo, exec_lo, s0
	v_lshl_add_u32 v0, v57, 3, v54
	s_barrier
	buffer_gl0_inv
	v_mov_b32_e32 v48, 12
	ds_write_b64 v0, v[38:39]
	s_waitcnt lgkmcnt(0)
	s_barrier
	buffer_gl0_inv
	ds_read_b64 v[0:1], v54 offset:96
	s_cmp_lt_i32 s2, 14
	s_cbranch_scc1 .LBB40_202
; %bb.200:
	v_add3_u32 v49, v55, 0, 0x68
	v_mov_b32_e32 v48, 12
	s_mov_b32 s0, 13
.LBB40_201:                             ; =>This Inner Loop Header: Depth=1
	ds_read_b64 v[58:59], v49
	v_add_nc_u32_e32 v49, 8, v49
	s_waitcnt lgkmcnt(0)
	v_cmp_lt_f64_e64 vcc_lo, |v[0:1]|, |v[58:59]|
	v_cndmask_b32_e32 v1, v1, v59, vcc_lo
	v_cndmask_b32_e32 v0, v0, v58, vcc_lo
	v_cndmask_b32_e64 v48, v48, s0, vcc_lo
	s_add_i32 s0, s0, 1
	s_cmp_lg_u32 s2, s0
	s_cbranch_scc1 .LBB40_201
.LBB40_202:
	s_mov_b32 s0, exec_lo
	s_waitcnt lgkmcnt(0)
	v_cmpx_eq_f64_e32 0, v[0:1]
	s_xor_b32 s0, exec_lo, s0
; %bb.203:
	v_cmp_ne_u32_e32 vcc_lo, 0, v56
	v_cndmask_b32_e32 v56, 13, v56, vcc_lo
; %bb.204:
	s_andn2_saveexec_b32 s0, s0
	s_cbranch_execz .LBB40_206
; %bb.205:
	v_div_scale_f64 v[49:50], null, v[0:1], v[0:1], 1.0
	v_rcp_f64_e32 v[58:59], v[49:50]
	v_fma_f64 v[60:61], -v[49:50], v[58:59], 1.0
	v_fma_f64 v[58:59], v[58:59], v[60:61], v[58:59]
	v_fma_f64 v[60:61], -v[49:50], v[58:59], 1.0
	v_fma_f64 v[58:59], v[58:59], v[60:61], v[58:59]
	v_div_scale_f64 v[60:61], vcc_lo, 1.0, v[0:1], 1.0
	v_mul_f64 v[62:63], v[60:61], v[58:59]
	v_fma_f64 v[49:50], -v[49:50], v[62:63], v[60:61]
	v_div_fmas_f64 v[49:50], v[49:50], v[58:59], v[62:63]
	v_div_fixup_f64 v[0:1], v[49:50], v[0:1], 1.0
.LBB40_206:
	s_or_b32 exec_lo, exec_lo, s0
	s_mov_b32 s0, exec_lo
	v_cmpx_ne_u32_e64 v57, v48
	s_xor_b32 s0, exec_lo, s0
	s_cbranch_execz .LBB40_212
; %bb.207:
	s_mov_b32 s1, exec_lo
	v_cmpx_eq_u32_e32 12, v57
	s_cbranch_execz .LBB40_211
; %bb.208:
	v_cmp_ne_u32_e32 vcc_lo, 12, v48
	s_xor_b32 s3, s6, -1
	s_and_b32 s7, s3, vcc_lo
	s_and_saveexec_b32 s3, s7
	s_cbranch_execz .LBB40_210
; %bb.209:
	v_ashrrev_i32_e32 v49, 31, v48
	v_lshlrev_b64 v[49:50], 2, v[48:49]
	v_add_co_u32 v49, vcc_lo, v44, v49
	v_add_co_ci_u32_e64 v50, null, v45, v50, vcc_lo
	s_clause 0x1
	global_load_dword v51, v[49:50], off
	global_load_dword v57, v[44:45], off offset:48
	s_waitcnt vmcnt(1)
	global_store_dword v[44:45], v51, off offset:48
	s_waitcnt vmcnt(0)
	global_store_dword v[49:50], v57, off
.LBB40_210:
	s_or_b32 exec_lo, exec_lo, s3
	v_mov_b32_e32 v51, v48
	v_mov_b32_e32 v57, v48
.LBB40_211:
	s_or_b32 exec_lo, exec_lo, s1
.LBB40_212:
	s_andn2_saveexec_b32 s0, s0
	s_cbranch_execz .LBB40_214
; %bb.213:
	v_mov_b32_e32 v57, 12
	ds_write2_b64 v54, v[36:37], v[20:21] offset0:13 offset1:14
	ds_write2_b64 v54, v[14:15], v[18:19] offset0:15 offset1:16
	;; [unrolled: 1-line block ×4, first 2 shown]
.LBB40_214:
	s_or_b32 exec_lo, exec_lo, s0
	s_mov_b32 s0, exec_lo
	s_waitcnt lgkmcnt(0)
	s_waitcnt_vscnt null, 0x0
	s_barrier
	buffer_gl0_inv
	v_cmpx_lt_i32_e32 12, v57
	s_cbranch_execz .LBB40_216
; %bb.215:
	v_mul_f64 v[38:39], v[0:1], v[38:39]
	ds_read2_b64 v[58:61], v54 offset0:13 offset1:14
	ds_read2_b64 v[62:65], v54 offset0:15 offset1:16
	;; [unrolled: 1-line block ×4, first 2 shown]
	s_waitcnt lgkmcnt(3)
	v_fma_f64 v[36:37], -v[38:39], v[58:59], v[36:37]
	v_fma_f64 v[20:21], -v[38:39], v[60:61], v[20:21]
	s_waitcnt lgkmcnt(2)
	v_fma_f64 v[14:15], -v[38:39], v[62:63], v[14:15]
	v_fma_f64 v[18:19], -v[38:39], v[64:65], v[18:19]
	;; [unrolled: 3-line block ×4, first 2 shown]
.LBB40_216:
	s_or_b32 exec_lo, exec_lo, s0
	v_lshl_add_u32 v0, v57, 3, v54
	s_barrier
	buffer_gl0_inv
	v_mov_b32_e32 v48, 13
	ds_write_b64 v0, v[36:37]
	s_waitcnt lgkmcnt(0)
	s_barrier
	buffer_gl0_inv
	ds_read_b64 v[0:1], v54 offset:104
	s_cmp_lt_i32 s2, 15
	s_cbranch_scc1 .LBB40_219
; %bb.217:
	v_add3_u32 v49, v55, 0, 0x70
	v_mov_b32_e32 v48, 13
	s_mov_b32 s0, 14
.LBB40_218:                             ; =>This Inner Loop Header: Depth=1
	ds_read_b64 v[58:59], v49
	v_add_nc_u32_e32 v49, 8, v49
	s_waitcnt lgkmcnt(0)
	v_cmp_lt_f64_e64 vcc_lo, |v[0:1]|, |v[58:59]|
	v_cndmask_b32_e32 v1, v1, v59, vcc_lo
	v_cndmask_b32_e32 v0, v0, v58, vcc_lo
	v_cndmask_b32_e64 v48, v48, s0, vcc_lo
	s_add_i32 s0, s0, 1
	s_cmp_lg_u32 s2, s0
	s_cbranch_scc1 .LBB40_218
.LBB40_219:
	s_mov_b32 s0, exec_lo
	s_waitcnt lgkmcnt(0)
	v_cmpx_eq_f64_e32 0, v[0:1]
	s_xor_b32 s0, exec_lo, s0
; %bb.220:
	v_cmp_ne_u32_e32 vcc_lo, 0, v56
	v_cndmask_b32_e32 v56, 14, v56, vcc_lo
; %bb.221:
	s_andn2_saveexec_b32 s0, s0
	s_cbranch_execz .LBB40_223
; %bb.222:
	v_div_scale_f64 v[49:50], null, v[0:1], v[0:1], 1.0
	v_rcp_f64_e32 v[58:59], v[49:50]
	v_fma_f64 v[60:61], -v[49:50], v[58:59], 1.0
	v_fma_f64 v[58:59], v[58:59], v[60:61], v[58:59]
	v_fma_f64 v[60:61], -v[49:50], v[58:59], 1.0
	v_fma_f64 v[58:59], v[58:59], v[60:61], v[58:59]
	v_div_scale_f64 v[60:61], vcc_lo, 1.0, v[0:1], 1.0
	v_mul_f64 v[62:63], v[60:61], v[58:59]
	v_fma_f64 v[49:50], -v[49:50], v[62:63], v[60:61]
	v_div_fmas_f64 v[49:50], v[49:50], v[58:59], v[62:63]
	v_div_fixup_f64 v[0:1], v[49:50], v[0:1], 1.0
.LBB40_223:
	s_or_b32 exec_lo, exec_lo, s0
	s_mov_b32 s0, exec_lo
	v_cmpx_ne_u32_e64 v57, v48
	s_xor_b32 s0, exec_lo, s0
	s_cbranch_execz .LBB40_229
; %bb.224:
	s_mov_b32 s1, exec_lo
	v_cmpx_eq_u32_e32 13, v57
	s_cbranch_execz .LBB40_228
; %bb.225:
	v_cmp_ne_u32_e32 vcc_lo, 13, v48
	s_xor_b32 s3, s6, -1
	s_and_b32 s7, s3, vcc_lo
	s_and_saveexec_b32 s3, s7
	s_cbranch_execz .LBB40_227
; %bb.226:
	v_ashrrev_i32_e32 v49, 31, v48
	v_lshlrev_b64 v[49:50], 2, v[48:49]
	v_add_co_u32 v49, vcc_lo, v44, v49
	v_add_co_ci_u32_e64 v50, null, v45, v50, vcc_lo
	s_clause 0x1
	global_load_dword v51, v[49:50], off
	global_load_dword v57, v[44:45], off offset:52
	s_waitcnt vmcnt(1)
	global_store_dword v[44:45], v51, off offset:52
	s_waitcnt vmcnt(0)
	global_store_dword v[49:50], v57, off
.LBB40_227:
	s_or_b32 exec_lo, exec_lo, s3
	v_mov_b32_e32 v51, v48
	v_mov_b32_e32 v57, v48
.LBB40_228:
	s_or_b32 exec_lo, exec_lo, s1
.LBB40_229:
	s_andn2_saveexec_b32 s0, s0
	s_cbranch_execz .LBB40_231
; %bb.230:
	v_mov_b32_e32 v48, v20
	v_mov_b32_e32 v49, v21
	;; [unrolled: 1-line block ×13, first 2 shown]
	ds_write2_b64 v54, v[48:49], v[58:59] offset0:14 offset1:15
	ds_write2_b64 v54, v[60:61], v[62:63] offset0:16 offset1:17
	;; [unrolled: 1-line block ×3, first 2 shown]
	ds_write_b64 v54, v[46:47] offset:160
.LBB40_231:
	s_or_b32 exec_lo, exec_lo, s0
	s_mov_b32 s0, exec_lo
	s_waitcnt lgkmcnt(0)
	s_waitcnt_vscnt null, 0x0
	s_barrier
	buffer_gl0_inv
	v_cmpx_lt_i32_e32 13, v57
	s_cbranch_execz .LBB40_233
; %bb.232:
	v_mul_f64 v[36:37], v[0:1], v[36:37]
	ds_read2_b64 v[58:61], v54 offset0:14 offset1:15
	ds_read2_b64 v[62:65], v54 offset0:16 offset1:17
	;; [unrolled: 1-line block ×3, first 2 shown]
	ds_read_b64 v[0:1], v54 offset:160
	s_waitcnt lgkmcnt(3)
	v_fma_f64 v[20:21], -v[36:37], v[58:59], v[20:21]
	v_fma_f64 v[14:15], -v[36:37], v[60:61], v[14:15]
	s_waitcnt lgkmcnt(2)
	v_fma_f64 v[18:19], -v[36:37], v[62:63], v[18:19]
	v_fma_f64 v[12:13], -v[36:37], v[64:65], v[12:13]
	;; [unrolled: 3-line block ×3, first 2 shown]
	s_waitcnt lgkmcnt(0)
	v_fma_f64 v[46:47], -v[36:37], v[0:1], v[46:47]
.LBB40_233:
	s_or_b32 exec_lo, exec_lo, s0
	v_lshl_add_u32 v0, v57, 3, v54
	s_barrier
	buffer_gl0_inv
	v_mov_b32_e32 v48, 14
	ds_write_b64 v0, v[20:21]
	s_waitcnt lgkmcnt(0)
	s_barrier
	buffer_gl0_inv
	ds_read_b64 v[0:1], v54 offset:112
	s_cmp_lt_i32 s2, 16
	s_cbranch_scc1 .LBB40_236
; %bb.234:
	v_add3_u32 v49, v55, 0, 0x78
	v_mov_b32_e32 v48, 14
	s_mov_b32 s0, 15
.LBB40_235:                             ; =>This Inner Loop Header: Depth=1
	ds_read_b64 v[58:59], v49
	v_add_nc_u32_e32 v49, 8, v49
	s_waitcnt lgkmcnt(0)
	v_cmp_lt_f64_e64 vcc_lo, |v[0:1]|, |v[58:59]|
	v_cndmask_b32_e32 v1, v1, v59, vcc_lo
	v_cndmask_b32_e32 v0, v0, v58, vcc_lo
	v_cndmask_b32_e64 v48, v48, s0, vcc_lo
	s_add_i32 s0, s0, 1
	s_cmp_lg_u32 s2, s0
	s_cbranch_scc1 .LBB40_235
.LBB40_236:
	s_mov_b32 s0, exec_lo
	s_waitcnt lgkmcnt(0)
	v_cmpx_eq_f64_e32 0, v[0:1]
	s_xor_b32 s0, exec_lo, s0
; %bb.237:
	v_cmp_ne_u32_e32 vcc_lo, 0, v56
	v_cndmask_b32_e32 v56, 15, v56, vcc_lo
; %bb.238:
	s_andn2_saveexec_b32 s0, s0
	s_cbranch_execz .LBB40_240
; %bb.239:
	v_div_scale_f64 v[49:50], null, v[0:1], v[0:1], 1.0
	v_rcp_f64_e32 v[58:59], v[49:50]
	v_fma_f64 v[60:61], -v[49:50], v[58:59], 1.0
	v_fma_f64 v[58:59], v[58:59], v[60:61], v[58:59]
	v_fma_f64 v[60:61], -v[49:50], v[58:59], 1.0
	v_fma_f64 v[58:59], v[58:59], v[60:61], v[58:59]
	v_div_scale_f64 v[60:61], vcc_lo, 1.0, v[0:1], 1.0
	v_mul_f64 v[62:63], v[60:61], v[58:59]
	v_fma_f64 v[49:50], -v[49:50], v[62:63], v[60:61]
	v_div_fmas_f64 v[49:50], v[49:50], v[58:59], v[62:63]
	v_div_fixup_f64 v[0:1], v[49:50], v[0:1], 1.0
.LBB40_240:
	s_or_b32 exec_lo, exec_lo, s0
	s_mov_b32 s0, exec_lo
	v_cmpx_ne_u32_e64 v57, v48
	s_xor_b32 s0, exec_lo, s0
	s_cbranch_execz .LBB40_246
; %bb.241:
	s_mov_b32 s1, exec_lo
	v_cmpx_eq_u32_e32 14, v57
	s_cbranch_execz .LBB40_245
; %bb.242:
	v_cmp_ne_u32_e32 vcc_lo, 14, v48
	s_xor_b32 s3, s6, -1
	s_and_b32 s7, s3, vcc_lo
	s_and_saveexec_b32 s3, s7
	s_cbranch_execz .LBB40_244
; %bb.243:
	v_ashrrev_i32_e32 v49, 31, v48
	v_lshlrev_b64 v[49:50], 2, v[48:49]
	v_add_co_u32 v49, vcc_lo, v44, v49
	v_add_co_ci_u32_e64 v50, null, v45, v50, vcc_lo
	s_clause 0x1
	global_load_dword v51, v[49:50], off
	global_load_dword v57, v[44:45], off offset:56
	s_waitcnt vmcnt(1)
	global_store_dword v[44:45], v51, off offset:56
	s_waitcnt vmcnt(0)
	global_store_dword v[49:50], v57, off
.LBB40_244:
	s_or_b32 exec_lo, exec_lo, s3
	v_mov_b32_e32 v51, v48
	v_mov_b32_e32 v57, v48
.LBB40_245:
	s_or_b32 exec_lo, exec_lo, s1
.LBB40_246:
	s_andn2_saveexec_b32 s0, s0
	s_cbranch_execz .LBB40_248
; %bb.247:
	v_mov_b32_e32 v57, 14
	ds_write2_b64 v54, v[14:15], v[18:19] offset0:15 offset1:16
	ds_write2_b64 v54, v[12:13], v[16:17] offset0:17 offset1:18
	;; [unrolled: 1-line block ×3, first 2 shown]
.LBB40_248:
	s_or_b32 exec_lo, exec_lo, s0
	s_mov_b32 s0, exec_lo
	s_waitcnt lgkmcnt(0)
	s_waitcnt_vscnt null, 0x0
	s_barrier
	buffer_gl0_inv
	v_cmpx_lt_i32_e32 14, v57
	s_cbranch_execz .LBB40_250
; %bb.249:
	v_mul_f64 v[20:21], v[0:1], v[20:21]
	ds_read2_b64 v[58:61], v54 offset0:15 offset1:16
	ds_read2_b64 v[62:65], v54 offset0:17 offset1:18
	;; [unrolled: 1-line block ×3, first 2 shown]
	s_waitcnt lgkmcnt(2)
	v_fma_f64 v[14:15], -v[20:21], v[58:59], v[14:15]
	v_fma_f64 v[18:19], -v[20:21], v[60:61], v[18:19]
	s_waitcnt lgkmcnt(1)
	v_fma_f64 v[12:13], -v[20:21], v[62:63], v[12:13]
	v_fma_f64 v[16:17], -v[20:21], v[64:65], v[16:17]
	;; [unrolled: 3-line block ×3, first 2 shown]
.LBB40_250:
	s_or_b32 exec_lo, exec_lo, s0
	v_lshl_add_u32 v0, v57, 3, v54
	s_barrier
	buffer_gl0_inv
	v_mov_b32_e32 v48, 15
	ds_write_b64 v0, v[14:15]
	s_waitcnt lgkmcnt(0)
	s_barrier
	buffer_gl0_inv
	ds_read_b64 v[0:1], v54 offset:120
	s_cmp_lt_i32 s2, 17
	s_cbranch_scc1 .LBB40_253
; %bb.251:
	v_add3_u32 v49, v55, 0, 0x80
	v_mov_b32_e32 v48, 15
	s_mov_b32 s0, 16
.LBB40_252:                             ; =>This Inner Loop Header: Depth=1
	ds_read_b64 v[58:59], v49
	v_add_nc_u32_e32 v49, 8, v49
	s_waitcnt lgkmcnt(0)
	v_cmp_lt_f64_e64 vcc_lo, |v[0:1]|, |v[58:59]|
	v_cndmask_b32_e32 v1, v1, v59, vcc_lo
	v_cndmask_b32_e32 v0, v0, v58, vcc_lo
	v_cndmask_b32_e64 v48, v48, s0, vcc_lo
	s_add_i32 s0, s0, 1
	s_cmp_lg_u32 s2, s0
	s_cbranch_scc1 .LBB40_252
.LBB40_253:
	s_mov_b32 s0, exec_lo
	s_waitcnt lgkmcnt(0)
	v_cmpx_eq_f64_e32 0, v[0:1]
	s_xor_b32 s0, exec_lo, s0
; %bb.254:
	v_cmp_ne_u32_e32 vcc_lo, 0, v56
	v_cndmask_b32_e32 v56, 16, v56, vcc_lo
; %bb.255:
	s_andn2_saveexec_b32 s0, s0
	s_cbranch_execz .LBB40_257
; %bb.256:
	v_div_scale_f64 v[49:50], null, v[0:1], v[0:1], 1.0
	v_rcp_f64_e32 v[58:59], v[49:50]
	v_fma_f64 v[60:61], -v[49:50], v[58:59], 1.0
	v_fma_f64 v[58:59], v[58:59], v[60:61], v[58:59]
	v_fma_f64 v[60:61], -v[49:50], v[58:59], 1.0
	v_fma_f64 v[58:59], v[58:59], v[60:61], v[58:59]
	v_div_scale_f64 v[60:61], vcc_lo, 1.0, v[0:1], 1.0
	v_mul_f64 v[62:63], v[60:61], v[58:59]
	v_fma_f64 v[49:50], -v[49:50], v[62:63], v[60:61]
	v_div_fmas_f64 v[49:50], v[49:50], v[58:59], v[62:63]
	v_div_fixup_f64 v[0:1], v[49:50], v[0:1], 1.0
.LBB40_257:
	s_or_b32 exec_lo, exec_lo, s0
	s_mov_b32 s0, exec_lo
	v_cmpx_ne_u32_e64 v57, v48
	s_xor_b32 s0, exec_lo, s0
	s_cbranch_execz .LBB40_263
; %bb.258:
	s_mov_b32 s1, exec_lo
	v_cmpx_eq_u32_e32 15, v57
	s_cbranch_execz .LBB40_262
; %bb.259:
	v_cmp_ne_u32_e32 vcc_lo, 15, v48
	s_xor_b32 s3, s6, -1
	s_and_b32 s7, s3, vcc_lo
	s_and_saveexec_b32 s3, s7
	s_cbranch_execz .LBB40_261
; %bb.260:
	v_ashrrev_i32_e32 v49, 31, v48
	v_lshlrev_b64 v[49:50], 2, v[48:49]
	v_add_co_u32 v49, vcc_lo, v44, v49
	v_add_co_ci_u32_e64 v50, null, v45, v50, vcc_lo
	s_clause 0x1
	global_load_dword v51, v[49:50], off
	global_load_dword v57, v[44:45], off offset:60
	s_waitcnt vmcnt(1)
	global_store_dword v[44:45], v51, off offset:60
	s_waitcnt vmcnt(0)
	global_store_dword v[49:50], v57, off
.LBB40_261:
	s_or_b32 exec_lo, exec_lo, s3
	v_mov_b32_e32 v51, v48
	v_mov_b32_e32 v57, v48
.LBB40_262:
	s_or_b32 exec_lo, exec_lo, s1
.LBB40_263:
	s_andn2_saveexec_b32 s0, s0
	s_cbranch_execz .LBB40_265
; %bb.264:
	v_mov_b32_e32 v48, v18
	v_mov_b32_e32 v49, v19
	v_mov_b32_e32 v58, v12
	v_mov_b32_e32 v59, v13
	v_mov_b32_e32 v57, 15
	v_mov_b32_e32 v60, v16
	v_mov_b32_e32 v61, v17
	v_mov_b32_e32 v62, v10
	v_mov_b32_e32 v63, v11
	ds_write2_b64 v54, v[48:49], v[58:59] offset0:16 offset1:17
	ds_write2_b64 v54, v[60:61], v[62:63] offset0:18 offset1:19
	ds_write_b64 v54, v[46:47] offset:160
.LBB40_265:
	s_or_b32 exec_lo, exec_lo, s0
	s_mov_b32 s0, exec_lo
	s_waitcnt lgkmcnt(0)
	s_waitcnt_vscnt null, 0x0
	s_barrier
	buffer_gl0_inv
	v_cmpx_lt_i32_e32 15, v57
	s_cbranch_execz .LBB40_267
; %bb.266:
	v_mul_f64 v[14:15], v[0:1], v[14:15]
	ds_read2_b64 v[58:61], v54 offset0:16 offset1:17
	ds_read2_b64 v[62:65], v54 offset0:18 offset1:19
	ds_read_b64 v[0:1], v54 offset:160
	s_waitcnt lgkmcnt(2)
	v_fma_f64 v[18:19], -v[14:15], v[58:59], v[18:19]
	v_fma_f64 v[12:13], -v[14:15], v[60:61], v[12:13]
	s_waitcnt lgkmcnt(1)
	v_fma_f64 v[16:17], -v[14:15], v[62:63], v[16:17]
	v_fma_f64 v[10:11], -v[14:15], v[64:65], v[10:11]
	s_waitcnt lgkmcnt(0)
	v_fma_f64 v[46:47], -v[14:15], v[0:1], v[46:47]
.LBB40_267:
	s_or_b32 exec_lo, exec_lo, s0
	v_lshl_add_u32 v0, v57, 3, v54
	s_barrier
	buffer_gl0_inv
	v_mov_b32_e32 v48, 16
	ds_write_b64 v0, v[18:19]
	s_waitcnt lgkmcnt(0)
	s_barrier
	buffer_gl0_inv
	ds_read_b64 v[0:1], v54 offset:128
	s_cmp_lt_i32 s2, 18
	s_cbranch_scc1 .LBB40_270
; %bb.268:
	v_add3_u32 v49, v55, 0, 0x88
	v_mov_b32_e32 v48, 16
	s_mov_b32 s0, 17
.LBB40_269:                             ; =>This Inner Loop Header: Depth=1
	ds_read_b64 v[58:59], v49
	v_add_nc_u32_e32 v49, 8, v49
	s_waitcnt lgkmcnt(0)
	v_cmp_lt_f64_e64 vcc_lo, |v[0:1]|, |v[58:59]|
	v_cndmask_b32_e32 v1, v1, v59, vcc_lo
	v_cndmask_b32_e32 v0, v0, v58, vcc_lo
	v_cndmask_b32_e64 v48, v48, s0, vcc_lo
	s_add_i32 s0, s0, 1
	s_cmp_lg_u32 s2, s0
	s_cbranch_scc1 .LBB40_269
.LBB40_270:
	s_mov_b32 s0, exec_lo
	s_waitcnt lgkmcnt(0)
	v_cmpx_eq_f64_e32 0, v[0:1]
	s_xor_b32 s0, exec_lo, s0
; %bb.271:
	v_cmp_ne_u32_e32 vcc_lo, 0, v56
	v_cndmask_b32_e32 v56, 17, v56, vcc_lo
; %bb.272:
	s_andn2_saveexec_b32 s0, s0
	s_cbranch_execz .LBB40_274
; %bb.273:
	v_div_scale_f64 v[49:50], null, v[0:1], v[0:1], 1.0
	v_rcp_f64_e32 v[58:59], v[49:50]
	v_fma_f64 v[60:61], -v[49:50], v[58:59], 1.0
	v_fma_f64 v[58:59], v[58:59], v[60:61], v[58:59]
	v_fma_f64 v[60:61], -v[49:50], v[58:59], 1.0
	v_fma_f64 v[58:59], v[58:59], v[60:61], v[58:59]
	v_div_scale_f64 v[60:61], vcc_lo, 1.0, v[0:1], 1.0
	v_mul_f64 v[62:63], v[60:61], v[58:59]
	v_fma_f64 v[49:50], -v[49:50], v[62:63], v[60:61]
	v_div_fmas_f64 v[49:50], v[49:50], v[58:59], v[62:63]
	v_div_fixup_f64 v[0:1], v[49:50], v[0:1], 1.0
.LBB40_274:
	s_or_b32 exec_lo, exec_lo, s0
	s_mov_b32 s0, exec_lo
	v_cmpx_ne_u32_e64 v57, v48
	s_xor_b32 s0, exec_lo, s0
	s_cbranch_execz .LBB40_280
; %bb.275:
	s_mov_b32 s1, exec_lo
	v_cmpx_eq_u32_e32 16, v57
	s_cbranch_execz .LBB40_279
; %bb.276:
	v_cmp_ne_u32_e32 vcc_lo, 16, v48
	s_xor_b32 s3, s6, -1
	s_and_b32 s7, s3, vcc_lo
	s_and_saveexec_b32 s3, s7
	s_cbranch_execz .LBB40_278
; %bb.277:
	v_ashrrev_i32_e32 v49, 31, v48
	v_lshlrev_b64 v[49:50], 2, v[48:49]
	v_add_co_u32 v49, vcc_lo, v44, v49
	v_add_co_ci_u32_e64 v50, null, v45, v50, vcc_lo
	s_clause 0x1
	global_load_dword v51, v[49:50], off
	global_load_dword v57, v[44:45], off offset:64
	s_waitcnt vmcnt(1)
	global_store_dword v[44:45], v51, off offset:64
	s_waitcnt vmcnt(0)
	global_store_dword v[49:50], v57, off
.LBB40_278:
	s_or_b32 exec_lo, exec_lo, s3
	v_mov_b32_e32 v51, v48
	v_mov_b32_e32 v57, v48
.LBB40_279:
	s_or_b32 exec_lo, exec_lo, s1
.LBB40_280:
	s_andn2_saveexec_b32 s0, s0
	s_cbranch_execz .LBB40_282
; %bb.281:
	v_mov_b32_e32 v57, 16
	ds_write2_b64 v54, v[12:13], v[16:17] offset0:17 offset1:18
	ds_write2_b64 v54, v[10:11], v[46:47] offset0:19 offset1:20
.LBB40_282:
	s_or_b32 exec_lo, exec_lo, s0
	s_mov_b32 s0, exec_lo
	s_waitcnt lgkmcnt(0)
	s_waitcnt_vscnt null, 0x0
	s_barrier
	buffer_gl0_inv
	v_cmpx_lt_i32_e32 16, v57
	s_cbranch_execz .LBB40_284
; %bb.283:
	v_mul_f64 v[18:19], v[0:1], v[18:19]
	ds_read2_b64 v[58:61], v54 offset0:17 offset1:18
	ds_read2_b64 v[62:65], v54 offset0:19 offset1:20
	s_waitcnt lgkmcnt(1)
	v_fma_f64 v[12:13], -v[18:19], v[58:59], v[12:13]
	v_fma_f64 v[16:17], -v[18:19], v[60:61], v[16:17]
	s_waitcnt lgkmcnt(0)
	v_fma_f64 v[10:11], -v[18:19], v[62:63], v[10:11]
	v_fma_f64 v[46:47], -v[18:19], v[64:65], v[46:47]
.LBB40_284:
	s_or_b32 exec_lo, exec_lo, s0
	v_lshl_add_u32 v0, v57, 3, v54
	s_barrier
	buffer_gl0_inv
	v_mov_b32_e32 v48, 17
	ds_write_b64 v0, v[12:13]
	s_waitcnt lgkmcnt(0)
	s_barrier
	buffer_gl0_inv
	ds_read_b64 v[0:1], v54 offset:136
	s_cmp_lt_i32 s2, 19
	s_cbranch_scc1 .LBB40_287
; %bb.285:
	v_add3_u32 v49, v55, 0, 0x90
	v_mov_b32_e32 v48, 17
	s_mov_b32 s0, 18
.LBB40_286:                             ; =>This Inner Loop Header: Depth=1
	ds_read_b64 v[58:59], v49
	v_add_nc_u32_e32 v49, 8, v49
	s_waitcnt lgkmcnt(0)
	v_cmp_lt_f64_e64 vcc_lo, |v[0:1]|, |v[58:59]|
	v_cndmask_b32_e32 v1, v1, v59, vcc_lo
	v_cndmask_b32_e32 v0, v0, v58, vcc_lo
	v_cndmask_b32_e64 v48, v48, s0, vcc_lo
	s_add_i32 s0, s0, 1
	s_cmp_lg_u32 s2, s0
	s_cbranch_scc1 .LBB40_286
.LBB40_287:
	s_mov_b32 s0, exec_lo
	s_waitcnt lgkmcnt(0)
	v_cmpx_eq_f64_e32 0, v[0:1]
	s_xor_b32 s0, exec_lo, s0
; %bb.288:
	v_cmp_ne_u32_e32 vcc_lo, 0, v56
	v_cndmask_b32_e32 v56, 18, v56, vcc_lo
; %bb.289:
	s_andn2_saveexec_b32 s0, s0
	s_cbranch_execz .LBB40_291
; %bb.290:
	v_div_scale_f64 v[49:50], null, v[0:1], v[0:1], 1.0
	v_rcp_f64_e32 v[58:59], v[49:50]
	v_fma_f64 v[60:61], -v[49:50], v[58:59], 1.0
	v_fma_f64 v[58:59], v[58:59], v[60:61], v[58:59]
	v_fma_f64 v[60:61], -v[49:50], v[58:59], 1.0
	v_fma_f64 v[58:59], v[58:59], v[60:61], v[58:59]
	v_div_scale_f64 v[60:61], vcc_lo, 1.0, v[0:1], 1.0
	v_mul_f64 v[62:63], v[60:61], v[58:59]
	v_fma_f64 v[49:50], -v[49:50], v[62:63], v[60:61]
	v_div_fmas_f64 v[49:50], v[49:50], v[58:59], v[62:63]
	v_div_fixup_f64 v[0:1], v[49:50], v[0:1], 1.0
.LBB40_291:
	s_or_b32 exec_lo, exec_lo, s0
	s_mov_b32 s0, exec_lo
	v_cmpx_ne_u32_e64 v57, v48
	s_xor_b32 s0, exec_lo, s0
	s_cbranch_execz .LBB40_297
; %bb.292:
	s_mov_b32 s1, exec_lo
	v_cmpx_eq_u32_e32 17, v57
	s_cbranch_execz .LBB40_296
; %bb.293:
	v_cmp_ne_u32_e32 vcc_lo, 17, v48
	s_xor_b32 s3, s6, -1
	s_and_b32 s7, s3, vcc_lo
	s_and_saveexec_b32 s3, s7
	s_cbranch_execz .LBB40_295
; %bb.294:
	v_ashrrev_i32_e32 v49, 31, v48
	v_lshlrev_b64 v[49:50], 2, v[48:49]
	v_add_co_u32 v49, vcc_lo, v44, v49
	v_add_co_ci_u32_e64 v50, null, v45, v50, vcc_lo
	s_clause 0x1
	global_load_dword v51, v[49:50], off
	global_load_dword v57, v[44:45], off offset:68
	s_waitcnt vmcnt(1)
	global_store_dword v[44:45], v51, off offset:68
	s_waitcnt vmcnt(0)
	global_store_dword v[49:50], v57, off
.LBB40_295:
	s_or_b32 exec_lo, exec_lo, s3
	v_mov_b32_e32 v51, v48
	v_mov_b32_e32 v57, v48
.LBB40_296:
	s_or_b32 exec_lo, exec_lo, s1
.LBB40_297:
	s_andn2_saveexec_b32 s0, s0
	s_cbranch_execz .LBB40_299
; %bb.298:
	v_mov_b32_e32 v48, v16
	v_mov_b32_e32 v49, v17
	;; [unrolled: 1-line block ×5, first 2 shown]
	ds_write2_b64 v54, v[48:49], v[58:59] offset0:18 offset1:19
	ds_write_b64 v54, v[46:47] offset:160
.LBB40_299:
	s_or_b32 exec_lo, exec_lo, s0
	s_mov_b32 s0, exec_lo
	s_waitcnt lgkmcnt(0)
	s_waitcnt_vscnt null, 0x0
	s_barrier
	buffer_gl0_inv
	v_cmpx_lt_i32_e32 17, v57
	s_cbranch_execz .LBB40_301
; %bb.300:
	v_mul_f64 v[12:13], v[0:1], v[12:13]
	ds_read2_b64 v[58:61], v54 offset0:18 offset1:19
	ds_read_b64 v[0:1], v54 offset:160
	s_waitcnt lgkmcnt(1)
	v_fma_f64 v[16:17], -v[12:13], v[58:59], v[16:17]
	v_fma_f64 v[10:11], -v[12:13], v[60:61], v[10:11]
	s_waitcnt lgkmcnt(0)
	v_fma_f64 v[46:47], -v[12:13], v[0:1], v[46:47]
.LBB40_301:
	s_or_b32 exec_lo, exec_lo, s0
	v_lshl_add_u32 v0, v57, 3, v54
	s_barrier
	buffer_gl0_inv
	v_mov_b32_e32 v48, 18
	ds_write_b64 v0, v[16:17]
	s_waitcnt lgkmcnt(0)
	s_barrier
	buffer_gl0_inv
	ds_read_b64 v[0:1], v54 offset:144
	s_cmp_lt_i32 s2, 20
	s_cbranch_scc1 .LBB40_304
; %bb.302:
	v_add3_u32 v49, v55, 0, 0x98
	v_mov_b32_e32 v48, 18
	s_mov_b32 s0, 19
.LBB40_303:                             ; =>This Inner Loop Header: Depth=1
	ds_read_b64 v[58:59], v49
	v_add_nc_u32_e32 v49, 8, v49
	s_waitcnt lgkmcnt(0)
	v_cmp_lt_f64_e64 vcc_lo, |v[0:1]|, |v[58:59]|
	v_cndmask_b32_e32 v1, v1, v59, vcc_lo
	v_cndmask_b32_e32 v0, v0, v58, vcc_lo
	v_cndmask_b32_e64 v48, v48, s0, vcc_lo
	s_add_i32 s0, s0, 1
	s_cmp_lg_u32 s2, s0
	s_cbranch_scc1 .LBB40_303
.LBB40_304:
	s_mov_b32 s0, exec_lo
	s_waitcnt lgkmcnt(0)
	v_cmpx_eq_f64_e32 0, v[0:1]
	s_xor_b32 s0, exec_lo, s0
; %bb.305:
	v_cmp_ne_u32_e32 vcc_lo, 0, v56
	v_cndmask_b32_e32 v56, 19, v56, vcc_lo
; %bb.306:
	s_andn2_saveexec_b32 s0, s0
	s_cbranch_execz .LBB40_308
; %bb.307:
	v_div_scale_f64 v[49:50], null, v[0:1], v[0:1], 1.0
	v_rcp_f64_e32 v[58:59], v[49:50]
	v_fma_f64 v[60:61], -v[49:50], v[58:59], 1.0
	v_fma_f64 v[58:59], v[58:59], v[60:61], v[58:59]
	v_fma_f64 v[60:61], -v[49:50], v[58:59], 1.0
	v_fma_f64 v[58:59], v[58:59], v[60:61], v[58:59]
	v_div_scale_f64 v[60:61], vcc_lo, 1.0, v[0:1], 1.0
	v_mul_f64 v[62:63], v[60:61], v[58:59]
	v_fma_f64 v[49:50], -v[49:50], v[62:63], v[60:61]
	v_div_fmas_f64 v[49:50], v[49:50], v[58:59], v[62:63]
	v_div_fixup_f64 v[0:1], v[49:50], v[0:1], 1.0
.LBB40_308:
	s_or_b32 exec_lo, exec_lo, s0
	s_mov_b32 s0, exec_lo
	v_cmpx_ne_u32_e64 v57, v48
	s_xor_b32 s0, exec_lo, s0
	s_cbranch_execz .LBB40_314
; %bb.309:
	s_mov_b32 s1, exec_lo
	v_cmpx_eq_u32_e32 18, v57
	s_cbranch_execz .LBB40_313
; %bb.310:
	v_cmp_ne_u32_e32 vcc_lo, 18, v48
	s_xor_b32 s3, s6, -1
	s_and_b32 s7, s3, vcc_lo
	s_and_saveexec_b32 s3, s7
	s_cbranch_execz .LBB40_312
; %bb.311:
	v_ashrrev_i32_e32 v49, 31, v48
	v_lshlrev_b64 v[49:50], 2, v[48:49]
	v_add_co_u32 v49, vcc_lo, v44, v49
	v_add_co_ci_u32_e64 v50, null, v45, v50, vcc_lo
	s_clause 0x1
	global_load_dword v51, v[49:50], off
	global_load_dword v57, v[44:45], off offset:72
	s_waitcnt vmcnt(1)
	global_store_dword v[44:45], v51, off offset:72
	s_waitcnt vmcnt(0)
	global_store_dword v[49:50], v57, off
.LBB40_312:
	s_or_b32 exec_lo, exec_lo, s3
	v_mov_b32_e32 v51, v48
	v_mov_b32_e32 v57, v48
.LBB40_313:
	s_or_b32 exec_lo, exec_lo, s1
.LBB40_314:
	s_andn2_saveexec_b32 s0, s0
; %bb.315:
	v_mov_b32_e32 v57, 18
	ds_write2_b64 v54, v[10:11], v[46:47] offset0:19 offset1:20
; %bb.316:
	s_or_b32 exec_lo, exec_lo, s0
	s_mov_b32 s0, exec_lo
	s_waitcnt lgkmcnt(0)
	s_waitcnt_vscnt null, 0x0
	s_barrier
	buffer_gl0_inv
	v_cmpx_lt_i32_e32 18, v57
	s_cbranch_execz .LBB40_318
; %bb.317:
	v_mul_f64 v[16:17], v[0:1], v[16:17]
	ds_read2_b64 v[58:61], v54 offset0:19 offset1:20
	s_waitcnt lgkmcnt(0)
	v_fma_f64 v[10:11], -v[16:17], v[58:59], v[10:11]
	v_fma_f64 v[46:47], -v[16:17], v[60:61], v[46:47]
.LBB40_318:
	s_or_b32 exec_lo, exec_lo, s0
	v_lshl_add_u32 v0, v57, 3, v54
	s_barrier
	buffer_gl0_inv
	v_mov_b32_e32 v48, 19
	ds_write_b64 v0, v[10:11]
	s_waitcnt lgkmcnt(0)
	s_barrier
	buffer_gl0_inv
	ds_read_b64 v[0:1], v54 offset:152
	s_cmp_lt_i32 s2, 21
	s_cbranch_scc1 .LBB40_321
; %bb.319:
	v_add3_u32 v49, v55, 0, 0xa0
	v_mov_b32_e32 v48, 19
	s_mov_b32 s0, 20
.LBB40_320:                             ; =>This Inner Loop Header: Depth=1
	ds_read_b64 v[58:59], v49
	v_add_nc_u32_e32 v49, 8, v49
	s_waitcnt lgkmcnt(0)
	v_cmp_lt_f64_e64 vcc_lo, |v[0:1]|, |v[58:59]|
	v_cndmask_b32_e32 v1, v1, v59, vcc_lo
	v_cndmask_b32_e32 v0, v0, v58, vcc_lo
	v_cndmask_b32_e64 v48, v48, s0, vcc_lo
	s_add_i32 s0, s0, 1
	s_cmp_lg_u32 s2, s0
	s_cbranch_scc1 .LBB40_320
.LBB40_321:
	s_mov_b32 s0, exec_lo
	s_waitcnt lgkmcnt(0)
	v_cmpx_eq_f64_e32 0, v[0:1]
	s_xor_b32 s0, exec_lo, s0
; %bb.322:
	v_cmp_ne_u32_e32 vcc_lo, 0, v56
	v_cndmask_b32_e32 v56, 20, v56, vcc_lo
; %bb.323:
	s_andn2_saveexec_b32 s0, s0
	s_cbranch_execz .LBB40_325
; %bb.324:
	v_div_scale_f64 v[49:50], null, v[0:1], v[0:1], 1.0
	v_rcp_f64_e32 v[58:59], v[49:50]
	v_fma_f64 v[60:61], -v[49:50], v[58:59], 1.0
	v_fma_f64 v[58:59], v[58:59], v[60:61], v[58:59]
	v_fma_f64 v[60:61], -v[49:50], v[58:59], 1.0
	v_fma_f64 v[58:59], v[58:59], v[60:61], v[58:59]
	v_div_scale_f64 v[60:61], vcc_lo, 1.0, v[0:1], 1.0
	v_mul_f64 v[62:63], v[60:61], v[58:59]
	v_fma_f64 v[49:50], -v[49:50], v[62:63], v[60:61]
	v_div_fmas_f64 v[49:50], v[49:50], v[58:59], v[62:63]
	v_div_fixup_f64 v[0:1], v[49:50], v[0:1], 1.0
.LBB40_325:
	s_or_b32 exec_lo, exec_lo, s0
	s_mov_b32 s0, exec_lo
	v_cmpx_ne_u32_e64 v57, v48
	s_xor_b32 s0, exec_lo, s0
	s_cbranch_execz .LBB40_331
; %bb.326:
	s_mov_b32 s1, exec_lo
	v_cmpx_eq_u32_e32 19, v57
	s_cbranch_execz .LBB40_330
; %bb.327:
	v_cmp_ne_u32_e32 vcc_lo, 19, v48
	s_xor_b32 s3, s6, -1
	s_and_b32 s7, s3, vcc_lo
	s_and_saveexec_b32 s3, s7
	s_cbranch_execz .LBB40_329
; %bb.328:
	v_ashrrev_i32_e32 v49, 31, v48
	v_lshlrev_b64 v[49:50], 2, v[48:49]
	v_add_co_u32 v49, vcc_lo, v44, v49
	v_add_co_ci_u32_e64 v50, null, v45, v50, vcc_lo
	s_clause 0x1
	global_load_dword v51, v[49:50], off
	global_load_dword v57, v[44:45], off offset:76
	s_waitcnt vmcnt(1)
	global_store_dword v[44:45], v51, off offset:76
	s_waitcnt vmcnt(0)
	global_store_dword v[49:50], v57, off
.LBB40_329:
	s_or_b32 exec_lo, exec_lo, s3
	v_mov_b32_e32 v51, v48
	v_mov_b32_e32 v57, v48
.LBB40_330:
	s_or_b32 exec_lo, exec_lo, s1
.LBB40_331:
	s_andn2_saveexec_b32 s0, s0
; %bb.332:
	v_mov_b32_e32 v57, 19
	ds_write_b64 v54, v[46:47] offset:160
; %bb.333:
	s_or_b32 exec_lo, exec_lo, s0
	s_mov_b32 s0, exec_lo
	s_waitcnt lgkmcnt(0)
	s_waitcnt_vscnt null, 0x0
	s_barrier
	buffer_gl0_inv
	v_cmpx_lt_i32_e32 19, v57
	s_cbranch_execz .LBB40_335
; %bb.334:
	v_mul_f64 v[10:11], v[0:1], v[10:11]
	ds_read_b64 v[0:1], v54 offset:160
	s_waitcnt lgkmcnt(0)
	v_fma_f64 v[46:47], -v[10:11], v[0:1], v[46:47]
.LBB40_335:
	s_or_b32 exec_lo, exec_lo, s0
	v_lshl_add_u32 v0, v57, 3, v54
	s_barrier
	buffer_gl0_inv
	v_mov_b32_e32 v48, 20
	ds_write_b64 v0, v[46:47]
	s_waitcnt lgkmcnt(0)
	s_barrier
	buffer_gl0_inv
	ds_read_b64 v[0:1], v54 offset:160
	s_cmp_lt_i32 s2, 22
	s_cbranch_scc1 .LBB40_338
; %bb.336:
	v_add3_u32 v49, v55, 0, 0xa8
	v_mov_b32_e32 v48, 20
	s_mov_b32 s0, 21
.LBB40_337:                             ; =>This Inner Loop Header: Depth=1
	ds_read_b64 v[54:55], v49
	v_add_nc_u32_e32 v49, 8, v49
	s_waitcnt lgkmcnt(0)
	v_cmp_lt_f64_e64 vcc_lo, |v[0:1]|, |v[54:55]|
	v_cndmask_b32_e32 v1, v1, v55, vcc_lo
	v_cndmask_b32_e32 v0, v0, v54, vcc_lo
	v_cndmask_b32_e64 v48, v48, s0, vcc_lo
	s_add_i32 s0, s0, 1
	s_cmp_lg_u32 s2, s0
	s_cbranch_scc1 .LBB40_337
.LBB40_338:
	s_mov_b32 s0, exec_lo
	s_waitcnt lgkmcnt(0)
	v_cmpx_eq_f64_e32 0, v[0:1]
	s_xor_b32 s0, exec_lo, s0
; %bb.339:
	v_cmp_ne_u32_e32 vcc_lo, 0, v56
	v_cndmask_b32_e32 v56, 21, v56, vcc_lo
; %bb.340:
	s_andn2_saveexec_b32 s0, s0
	s_cbranch_execz .LBB40_342
; %bb.341:
	v_div_scale_f64 v[49:50], null, v[0:1], v[0:1], 1.0
	v_rcp_f64_e32 v[54:55], v[49:50]
	v_fma_f64 v[58:59], -v[49:50], v[54:55], 1.0
	v_fma_f64 v[54:55], v[54:55], v[58:59], v[54:55]
	v_fma_f64 v[58:59], -v[49:50], v[54:55], 1.0
	v_fma_f64 v[54:55], v[54:55], v[58:59], v[54:55]
	v_div_scale_f64 v[58:59], vcc_lo, 1.0, v[0:1], 1.0
	v_mul_f64 v[60:61], v[58:59], v[54:55]
	v_fma_f64 v[49:50], -v[49:50], v[60:61], v[58:59]
	v_div_fmas_f64 v[49:50], v[49:50], v[54:55], v[60:61]
	v_div_fixup_f64 v[0:1], v[49:50], v[0:1], 1.0
.LBB40_342:
	s_or_b32 exec_lo, exec_lo, s0
	v_mov_b32_e32 v49, 20
	s_mov_b32 s0, exec_lo
	v_cmpx_ne_u32_e64 v57, v48
	s_cbranch_execz .LBB40_348
; %bb.343:
	s_mov_b32 s1, exec_lo
	v_cmpx_eq_u32_e32 20, v57
	s_cbranch_execz .LBB40_347
; %bb.344:
	v_cmp_ne_u32_e32 vcc_lo, 20, v48
	s_xor_b32 s2, s6, -1
	s_and_b32 s3, s2, vcc_lo
	s_and_saveexec_b32 s2, s3
	s_cbranch_execz .LBB40_346
; %bb.345:
	v_ashrrev_i32_e32 v49, 31, v48
	v_lshlrev_b64 v[49:50], 2, v[48:49]
	v_add_co_u32 v49, vcc_lo, v44, v49
	v_add_co_ci_u32_e64 v50, null, v45, v50, vcc_lo
	s_clause 0x1
	global_load_dword v51, v[49:50], off
	global_load_dword v54, v[44:45], off offset:80
	s_waitcnt vmcnt(1)
	global_store_dword v[44:45], v51, off offset:80
	s_waitcnt vmcnt(0)
	global_store_dword v[49:50], v54, off
.LBB40_346:
	s_or_b32 exec_lo, exec_lo, s2
	v_mov_b32_e32 v51, v48
	v_mov_b32_e32 v57, v48
.LBB40_347:
	s_or_b32 exec_lo, exec_lo, s1
	v_mov_b32_e32 v49, v57
.LBB40_348:
	s_or_b32 exec_lo, exec_lo, s0
	s_load_dwordx8 s[0:7], s[4:5], 0x28
	v_ashrrev_i32_e32 v50, 31, v49
	s_mov_b32 s9, exec_lo
	s_waitcnt lgkmcnt(0)
	s_waitcnt_vscnt null, 0x0
	s_barrier
	buffer_gl0_inv
	s_barrier
	buffer_gl0_inv
	v_cmpx_gt_i32_e32 21, v49
	s_cbranch_execz .LBB40_350
; %bb.349:
	v_mul_lo_u32 v48, s5, v2
	v_mul_lo_u32 v54, s4, v3
	v_mad_u64_u32 v[44:45], null, s4, v2, 0
	s_lshl_b64 s[2:3], s[2:3], 2
	v_add3_u32 v45, v45, v54, v48
	v_lshlrev_b64 v[44:45], 2, v[44:45]
	v_add_co_u32 v48, vcc_lo, s0, v44
	v_add_co_ci_u32_e64 v54, null, s1, v45, vcc_lo
	v_lshlrev_b64 v[44:45], 2, v[49:50]
	v_add_co_u32 v48, vcc_lo, v48, s2
	v_add_co_ci_u32_e64 v54, null, s3, v54, vcc_lo
	v_add_co_u32 v44, vcc_lo, v48, v44
	v_add_co_ci_u32_e64 v45, null, v54, v45, vcc_lo
	v_add3_u32 v48, v51, s13, 1
	global_store_dword v[44:45], v48, off
.LBB40_350:
	s_or_b32 exec_lo, exec_lo, s9
	s_mov_b32 s1, exec_lo
	v_cmpx_eq_u32_e32 0, v49
	s_cbranch_execz .LBB40_353
; %bb.351:
	v_lshlrev_b64 v[2:3], 2, v[2:3]
	v_cmp_ne_u32_e64 s0, 0, v56
	v_add_co_u32 v2, vcc_lo, s6, v2
	v_add_co_ci_u32_e64 v3, null, s7, v3, vcc_lo
	global_load_dword v44, v[2:3], off
	s_waitcnt vmcnt(0)
	v_cmp_eq_u32_e32 vcc_lo, 0, v44
	s_and_b32 s0, vcc_lo, s0
	s_and_b32 exec_lo, exec_lo, s0
	s_cbranch_execz .LBB40_353
; %bb.352:
	v_add_nc_u32_e32 v44, s13, v56
	global_store_dword v[2:3], v44, off
.LBB40_353:
	s_or_b32 exec_lo, exec_lo, s1
	v_mul_f64 v[0:1], v[0:1], v[46:47]
	v_add3_u32 v2, s8, s8, v49
	v_lshlrev_b64 v[44:45], 3, v[49:50]
	v_add_nc_u32_e32 v48, s8, v2
	v_ashrrev_i32_e32 v3, 31, v2
	v_add_co_u32 v44, vcc_lo, v52, v44
	v_add_co_ci_u32_e64 v45, null, v53, v45, vcc_lo
	v_cmp_lt_i32_e32 vcc_lo, 20, v49
	v_ashrrev_i32_e32 v49, 31, v48
	v_lshlrev_b64 v[2:3], 3, v[2:3]
	flat_store_dwordx2 v[44:45], v[40:41]
	v_add_co_u32 v40, s0, v44, s10
	v_add_co_ci_u32_e64 v41, null, s11, v45, s0
	v_lshlrev_b64 v[44:45], 3, v[48:49]
	v_add_nc_u32_e32 v50, s8, v48
	v_cndmask_b32_e32 v1, v47, v1, vcc_lo
	v_cndmask_b32_e32 v0, v46, v0, vcc_lo
	v_add_co_u32 v2, vcc_lo, v52, v2
	v_add_co_ci_u32_e64 v3, null, v53, v3, vcc_lo
	v_ashrrev_i32_e32 v51, 31, v50
	v_add_co_u32 v44, vcc_lo, v52, v44
	v_add_nc_u32_e32 v46, s8, v50
	v_add_co_ci_u32_e64 v45, null, v53, v45, vcc_lo
	flat_store_dwordx2 v[40:41], v[30:31]
	v_lshlrev_b64 v[30:31], 3, v[50:51]
	flat_store_dwordx2 v[2:3], v[28:29]
	flat_store_dwordx2 v[44:45], v[26:27]
	v_add_nc_u32_e32 v26, s8, v46
	v_ashrrev_i32_e32 v47, 31, v46
	v_add_co_u32 v28, vcc_lo, v52, v30
	v_add_nc_u32_e32 v30, s8, v26
	v_lshlrev_b64 v[2:3], 3, v[46:47]
	v_ashrrev_i32_e32 v27, 31, v26
	v_add_co_ci_u32_e64 v29, null, v53, v31, vcc_lo
	v_add_nc_u32_e32 v40, s8, v30
	v_ashrrev_i32_e32 v31, 31, v30
	v_add_co_u32 v2, vcc_lo, v52, v2
	v_add_co_ci_u32_e64 v3, null, v53, v3, vcc_lo
	v_ashrrev_i32_e32 v41, 31, v40
	v_lshlrev_b64 v[26:27], 3, v[26:27]
	flat_store_dwordx2 v[28:29], v[34:35]
	flat_store_dwordx2 v[2:3], v[32:33]
	v_lshlrev_b64 v[2:3], 3, v[30:31]
	v_add_nc_u32_e32 v30, s8, v40
	v_lshlrev_b64 v[28:29], 3, v[40:41]
	v_add_co_u32 v26, vcc_lo, v52, v26
	v_add_co_ci_u32_e64 v27, null, v53, v27, vcc_lo
	v_add_co_u32 v2, vcc_lo, v52, v2
	v_add_co_ci_u32_e64 v3, null, v53, v3, vcc_lo
	v_add_co_u32 v28, vcc_lo, v52, v28
	v_add_nc_u32_e32 v32, s8, v30
	v_add_co_ci_u32_e64 v29, null, v53, v29, vcc_lo
	v_ashrrev_i32_e32 v31, 31, v30
	flat_store_dwordx2 v[26:27], v[8:9]
	v_ashrrev_i32_e32 v33, 31, v32
	flat_store_dwordx2 v[2:3], v[6:7]
	flat_store_dwordx2 v[28:29], v[42:43]
	v_add_nc_u32_e32 v6, s8, v32
	v_lshlrev_b64 v[8:9], 3, v[30:31]
	v_lshlrev_b64 v[2:3], 3, v[32:33]
	v_add_nc_u32_e32 v26, s8, v6
	v_ashrrev_i32_e32 v7, 31, v6
	v_add_co_u32 v8, vcc_lo, v52, v8
	v_add_co_ci_u32_e64 v9, null, v53, v9, vcc_lo
	v_add_nc_u32_e32 v28, s8, v26
	v_add_co_u32 v2, vcc_lo, v52, v2
	v_add_co_ci_u32_e64 v3, null, v53, v3, vcc_lo
	v_ashrrev_i32_e32 v27, 31, v26
	v_lshlrev_b64 v[6:7], 3, v[6:7]
	v_ashrrev_i32_e32 v29, 31, v28
	flat_store_dwordx2 v[8:9], v[22:23]
	flat_store_dwordx2 v[2:3], v[24:25]
	v_add_nc_u32_e32 v22, s8, v28
	v_lshlrev_b64 v[2:3], 3, v[26:27]
	v_add_co_u32 v6, vcc_lo, v52, v6
	v_lshlrev_b64 v[8:9], 3, v[28:29]
	v_add_co_ci_u32_e64 v7, null, v53, v7, vcc_lo
	v_add_nc_u32_e32 v24, s8, v22
	v_add_co_u32 v2, vcc_lo, v52, v2
	v_ashrrev_i32_e32 v23, 31, v22
	v_add_co_ci_u32_e64 v3, null, v53, v3, vcc_lo
	v_add_co_u32 v8, vcc_lo, v52, v8
	flat_store_dwordx2 v[6:7], v[4:5]
	v_add_nc_u32_e32 v6, s8, v24
	v_add_co_ci_u32_e64 v9, null, v53, v9, vcc_lo
	v_ashrrev_i32_e32 v25, 31, v24
	v_lshlrev_b64 v[4:5], 3, v[22:23]
	flat_store_dwordx2 v[2:3], v[38:39]
	flat_store_dwordx2 v[8:9], v[36:37]
	v_add_nc_u32_e32 v8, s8, v6
	v_ashrrev_i32_e32 v7, 31, v6
	v_lshlrev_b64 v[2:3], 3, v[24:25]
	v_add_co_u32 v4, vcc_lo, v52, v4
	v_add_co_ci_u32_e64 v5, null, v53, v5, vcc_lo
	v_add_nc_u32_e32 v22, s8, v8
	v_add_co_u32 v2, vcc_lo, v52, v2
	v_add_co_ci_u32_e64 v3, null, v53, v3, vcc_lo
	flat_store_dwordx2 v[4:5], v[20:21]
	v_lshlrev_b64 v[4:5], 3, v[6:7]
	v_add_nc_u32_e32 v6, s8, v22
	v_ashrrev_i32_e32 v9, 31, v8
	flat_store_dwordx2 v[2:3], v[14:15]
	v_ashrrev_i32_e32 v23, 31, v22
	v_add_nc_u32_e32 v14, s8, v6
	v_ashrrev_i32_e32 v7, 31, v6
	v_lshlrev_b64 v[2:3], 3, v[8:9]
	v_lshlrev_b64 v[8:9], 3, v[22:23]
	v_add_co_u32 v4, vcc_lo, v52, v4
	v_ashrrev_i32_e32 v15, 31, v14
	v_lshlrev_b64 v[6:7], 3, v[6:7]
	v_add_co_ci_u32_e64 v5, null, v53, v5, vcc_lo
	v_add_co_u32 v2, vcc_lo, v52, v2
	v_lshlrev_b64 v[14:15], 3, v[14:15]
	v_add_co_ci_u32_e64 v3, null, v53, v3, vcc_lo
	v_add_co_u32 v8, vcc_lo, v52, v8
	v_add_co_ci_u32_e64 v9, null, v53, v9, vcc_lo
	v_add_co_u32 v6, vcc_lo, v52, v6
	;; [unrolled: 2-line block ×3, first 2 shown]
	v_add_co_ci_u32_e64 v15, null, v53, v15, vcc_lo
	flat_store_dwordx2 v[4:5], v[18:19]
	flat_store_dwordx2 v[2:3], v[12:13]
	;; [unrolled: 1-line block ×5, first 2 shown]
.LBB40_354:
	s_endpgm
	.section	.rodata,"a",@progbits
	.p2align	6, 0x0
	.amdhsa_kernel _ZN9rocsolver6v33100L18getf2_small_kernelILi21EdiiPKPdEEvT1_T3_lS5_lPS5_llPT2_S5_S5_S7_l
		.amdhsa_group_segment_fixed_size 0
		.amdhsa_private_segment_fixed_size 0
		.amdhsa_kernarg_size 352
		.amdhsa_user_sgpr_count 6
		.amdhsa_user_sgpr_private_segment_buffer 1
		.amdhsa_user_sgpr_dispatch_ptr 0
		.amdhsa_user_sgpr_queue_ptr 0
		.amdhsa_user_sgpr_kernarg_segment_ptr 1
		.amdhsa_user_sgpr_dispatch_id 0
		.amdhsa_user_sgpr_flat_scratch_init 0
		.amdhsa_user_sgpr_private_segment_size 0
		.amdhsa_wavefront_size32 1
		.amdhsa_uses_dynamic_stack 0
		.amdhsa_system_sgpr_private_segment_wavefront_offset 0
		.amdhsa_system_sgpr_workgroup_id_x 1
		.amdhsa_system_sgpr_workgroup_id_y 1
		.amdhsa_system_sgpr_workgroup_id_z 0
		.amdhsa_system_sgpr_workgroup_info 0
		.amdhsa_system_vgpr_workitem_id 1
		.amdhsa_next_free_vgpr 98
		.amdhsa_next_free_sgpr 14
		.amdhsa_reserve_vcc 1
		.amdhsa_reserve_flat_scratch 1
		.amdhsa_float_round_mode_32 0
		.amdhsa_float_round_mode_16_64 0
		.amdhsa_float_denorm_mode_32 3
		.amdhsa_float_denorm_mode_16_64 3
		.amdhsa_dx10_clamp 1
		.amdhsa_ieee_mode 1
		.amdhsa_fp16_overflow 0
		.amdhsa_workgroup_processor_mode 1
		.amdhsa_memory_ordered 1
		.amdhsa_forward_progress 1
		.amdhsa_shared_vgpr_count 0
		.amdhsa_exception_fp_ieee_invalid_op 0
		.amdhsa_exception_fp_denorm_src 0
		.amdhsa_exception_fp_ieee_div_zero 0
		.amdhsa_exception_fp_ieee_overflow 0
		.amdhsa_exception_fp_ieee_underflow 0
		.amdhsa_exception_fp_ieee_inexact 0
		.amdhsa_exception_int_div_zero 0
	.end_amdhsa_kernel
	.section	.text._ZN9rocsolver6v33100L18getf2_small_kernelILi21EdiiPKPdEEvT1_T3_lS5_lPS5_llPT2_S5_S5_S7_l,"axG",@progbits,_ZN9rocsolver6v33100L18getf2_small_kernelILi21EdiiPKPdEEvT1_T3_lS5_lPS5_llPT2_S5_S5_S7_l,comdat
.Lfunc_end40:
	.size	_ZN9rocsolver6v33100L18getf2_small_kernelILi21EdiiPKPdEEvT1_T3_lS5_lPS5_llPT2_S5_S5_S7_l, .Lfunc_end40-_ZN9rocsolver6v33100L18getf2_small_kernelILi21EdiiPKPdEEvT1_T3_lS5_lPS5_llPT2_S5_S5_S7_l
                                        ; -- End function
	.set _ZN9rocsolver6v33100L18getf2_small_kernelILi21EdiiPKPdEEvT1_T3_lS5_lPS5_llPT2_S5_S5_S7_l.num_vgpr, 98
	.set _ZN9rocsolver6v33100L18getf2_small_kernelILi21EdiiPKPdEEvT1_T3_lS5_lPS5_llPT2_S5_S5_S7_l.num_agpr, 0
	.set _ZN9rocsolver6v33100L18getf2_small_kernelILi21EdiiPKPdEEvT1_T3_lS5_lPS5_llPT2_S5_S5_S7_l.numbered_sgpr, 14
	.set _ZN9rocsolver6v33100L18getf2_small_kernelILi21EdiiPKPdEEvT1_T3_lS5_lPS5_llPT2_S5_S5_S7_l.num_named_barrier, 0
	.set _ZN9rocsolver6v33100L18getf2_small_kernelILi21EdiiPKPdEEvT1_T3_lS5_lPS5_llPT2_S5_S5_S7_l.private_seg_size, 0
	.set _ZN9rocsolver6v33100L18getf2_small_kernelILi21EdiiPKPdEEvT1_T3_lS5_lPS5_llPT2_S5_S5_S7_l.uses_vcc, 1
	.set _ZN9rocsolver6v33100L18getf2_small_kernelILi21EdiiPKPdEEvT1_T3_lS5_lPS5_llPT2_S5_S5_S7_l.uses_flat_scratch, 1
	.set _ZN9rocsolver6v33100L18getf2_small_kernelILi21EdiiPKPdEEvT1_T3_lS5_lPS5_llPT2_S5_S5_S7_l.has_dyn_sized_stack, 0
	.set _ZN9rocsolver6v33100L18getf2_small_kernelILi21EdiiPKPdEEvT1_T3_lS5_lPS5_llPT2_S5_S5_S7_l.has_recursion, 0
	.set _ZN9rocsolver6v33100L18getf2_small_kernelILi21EdiiPKPdEEvT1_T3_lS5_lPS5_llPT2_S5_S5_S7_l.has_indirect_call, 0
	.section	.AMDGPU.csdata,"",@progbits
; Kernel info:
; codeLenInByte = 16296
; TotalNumSgprs: 16
; NumVgprs: 98
; ScratchSize: 0
; MemoryBound: 0
; FloatMode: 240
; IeeeMode: 1
; LDSByteSize: 0 bytes/workgroup (compile time only)
; SGPRBlocks: 0
; VGPRBlocks: 12
; NumSGPRsForWavesPerEU: 16
; NumVGPRsForWavesPerEU: 98
; Occupancy: 9
; WaveLimiterHint : 1
; COMPUTE_PGM_RSRC2:SCRATCH_EN: 0
; COMPUTE_PGM_RSRC2:USER_SGPR: 6
; COMPUTE_PGM_RSRC2:TRAP_HANDLER: 0
; COMPUTE_PGM_RSRC2:TGID_X_EN: 1
; COMPUTE_PGM_RSRC2:TGID_Y_EN: 1
; COMPUTE_PGM_RSRC2:TGID_Z_EN: 0
; COMPUTE_PGM_RSRC2:TIDIG_COMP_CNT: 1
	.section	.text._ZN9rocsolver6v33100L23getf2_npvt_small_kernelILi21EdiiPKPdEEvT1_T3_lS5_lPT2_S5_S5_,"axG",@progbits,_ZN9rocsolver6v33100L23getf2_npvt_small_kernelILi21EdiiPKPdEEvT1_T3_lS5_lPT2_S5_S5_,comdat
	.globl	_ZN9rocsolver6v33100L23getf2_npvt_small_kernelILi21EdiiPKPdEEvT1_T3_lS5_lPT2_S5_S5_ ; -- Begin function _ZN9rocsolver6v33100L23getf2_npvt_small_kernelILi21EdiiPKPdEEvT1_T3_lS5_lPT2_S5_S5_
	.p2align	8
	.type	_ZN9rocsolver6v33100L23getf2_npvt_small_kernelILi21EdiiPKPdEEvT1_T3_lS5_lPT2_S5_S5_,@function
_ZN9rocsolver6v33100L23getf2_npvt_small_kernelILi21EdiiPKPdEEvT1_T3_lS5_lPT2_S5_S5_: ; @_ZN9rocsolver6v33100L23getf2_npvt_small_kernelILi21EdiiPKPdEEvT1_T3_lS5_lPT2_S5_S5_
; %bb.0:
	s_clause 0x1
	s_load_dword s0, s[4:5], 0x44
	s_load_dwordx2 s[8:9], s[4:5], 0x30
	s_waitcnt lgkmcnt(0)
	s_lshr_b32 s10, s0, 16
	s_mov_b32 s0, exec_lo
	v_mad_u64_u32 v[2:3], null, s7, s10, v[1:2]
	v_cmpx_gt_i32_e64 s8, v2
	s_cbranch_execz .LBB41_108
; %bb.1:
	s_clause 0x1
	s_load_dwordx4 s[0:3], s[4:5], 0x8
	s_load_dword s6, s[4:5], 0x18
	v_ashrrev_i32_e32 v3, 31, v2
	v_lshlrev_b32_e32 v46, 3, v0
	v_lshlrev_b32_e32 v88, 3, v1
	s_mulk_i32 s10, 0xa8
	v_mad_u32_u24 v128, 0xa8, v1, 0
	v_lshlrev_b64 v[4:5], 3, v[2:3]
	v_add3_u32 v1, 0, s10, v88
	s_waitcnt lgkmcnt(0)
	v_add_co_u32 v4, vcc_lo, s0, v4
	v_add_co_ci_u32_e64 v5, null, s1, v5, vcc_lo
	v_add3_u32 v6, s6, s6, v0
	s_lshl_b64 s[0:1], s[2:3], 3
	s_ashr_i32 s7, s6, 31
	global_load_dwordx2 v[4:5], v[4:5], off
	s_lshl_b64 s[2:3], s[6:7], 3
	v_add_nc_u32_e32 v8, s6, v6
	v_ashrrev_i32_e32 v7, 31, v6
	v_add_nc_u32_e32 v10, s6, v8
	v_ashrrev_i32_e32 v9, 31, v8
	v_lshlrev_b64 v[6:7], 3, v[6:7]
	v_add_nc_u32_e32 v12, s6, v10
	v_ashrrev_i32_e32 v11, 31, v10
	v_lshlrev_b64 v[8:9], 3, v[8:9]
	v_add_nc_u32_e32 v14, s6, v12
	v_ashrrev_i32_e32 v13, 31, v12
	v_lshlrev_b64 v[10:11], 3, v[10:11]
	v_add_nc_u32_e32 v16, s6, v14
	v_ashrrev_i32_e32 v15, 31, v14
	v_lshlrev_b64 v[12:13], 3, v[12:13]
	v_add_nc_u32_e32 v18, s6, v16
	v_ashrrev_i32_e32 v17, 31, v16
	v_lshlrev_b64 v[14:15], 3, v[14:15]
	v_add_nc_u32_e32 v20, s6, v18
	v_ashrrev_i32_e32 v19, 31, v18
	v_lshlrev_b64 v[16:17], 3, v[16:17]
	v_add_nc_u32_e32 v22, s6, v20
	v_ashrrev_i32_e32 v21, 31, v20
	v_lshlrev_b64 v[18:19], 3, v[18:19]
	v_add_nc_u32_e32 v24, s6, v22
	v_ashrrev_i32_e32 v23, 31, v22
	v_lshlrev_b64 v[20:21], 3, v[20:21]
	v_add_nc_u32_e32 v26, s6, v24
	v_ashrrev_i32_e32 v25, 31, v24
	v_lshlrev_b64 v[22:23], 3, v[22:23]
	v_add_nc_u32_e32 v28, s6, v26
	v_ashrrev_i32_e32 v27, 31, v26
	v_lshlrev_b64 v[24:25], 3, v[24:25]
	v_add_nc_u32_e32 v30, s6, v28
	v_ashrrev_i32_e32 v29, 31, v28
	v_lshlrev_b64 v[26:27], 3, v[26:27]
	v_add_nc_u32_e32 v32, s6, v30
	v_ashrrev_i32_e32 v31, 31, v30
	v_lshlrev_b64 v[28:29], 3, v[28:29]
	v_add_nc_u32_e32 v34, s6, v32
	v_ashrrev_i32_e32 v33, 31, v32
	v_lshlrev_b64 v[30:31], 3, v[30:31]
	v_add_nc_u32_e32 v36, s6, v34
	v_lshlrev_b64 v[42:43], 3, v[32:33]
	v_ashrrev_i32_e32 v35, 31, v34
	v_add_nc_u32_e32 v38, s6, v36
	v_ashrrev_i32_e32 v37, 31, v36
	v_lshlrev_b64 v[34:35], 3, v[34:35]
	v_add_nc_u32_e32 v40, s6, v38
	v_ashrrev_i32_e32 v39, 31, v38
	v_lshlrev_b64 v[36:37], 3, v[36:37]
	;; [unrolled: 3-line block ×3, first 2 shown]
	v_ashrrev_i32_e32 v33, 31, v32
	v_lshlrev_b64 v[40:41], 3, v[40:41]
	v_lshlrev_b64 v[44:45], 3, v[32:33]
	s_waitcnt vmcnt(0)
	v_add_co_u32 v47, vcc_lo, v4, s0
	v_add_co_ci_u32_e64 v48, null, s1, v5, vcc_lo
	v_cmp_ne_u32_e64 s1, 0, v0
	v_add_co_u32 v4, vcc_lo, v47, v46
	v_add_co_ci_u32_e64 v5, null, 0, v48, vcc_lo
	v_add_co_u32 v6, vcc_lo, v47, v6
	v_add_co_ci_u32_e64 v7, null, v48, v7, vcc_lo
	;; [unrolled: 2-line block ×21, first 2 shown]
	s_clause 0x14
	flat_load_dwordx2 v[74:75], v[10:11]
	flat_load_dwordx2 v[62:63], v[12:13]
	;; [unrolled: 1-line block ×21, first 2 shown]
	v_cmp_eq_u32_e64 s0, 0, v0
	s_and_saveexec_b32 s2, s0
	s_cbranch_execz .LBB41_4
; %bb.2:
	s_waitcnt vmcnt(4) lgkmcnt(4)
	ds_write_b64 v1, v[80:81]
	s_waitcnt vmcnt(2) lgkmcnt(3)
	ds_write2_b64 v128, v[84:85], v[86:87] offset0:1 offset1:2
	s_waitcnt vmcnt(1) lgkmcnt(3)
	ds_write2_b64 v128, v[82:83], v[74:75] offset0:3 offset1:4
	ds_write2_b64 v128, v[62:63], v[72:73] offset0:5 offset1:6
	;; [unrolled: 1-line block ×8, first 2 shown]
	s_waitcnt vmcnt(0) lgkmcnt(10)
	ds_write2_b64 v128, v[44:45], v[78:79] offset0:19 offset1:20
	ds_read_b64 v[88:89], v1
	s_waitcnt lgkmcnt(0)
	v_cmp_neq_f64_e32 vcc_lo, 0, v[88:89]
	s_and_b32 exec_lo, exec_lo, vcc_lo
	s_cbranch_execz .LBB41_4
; %bb.3:
	v_div_scale_f64 v[90:91], null, v[88:89], v[88:89], 1.0
	v_rcp_f64_e32 v[92:93], v[90:91]
	v_fma_f64 v[94:95], -v[90:91], v[92:93], 1.0
	v_fma_f64 v[92:93], v[92:93], v[94:95], v[92:93]
	v_fma_f64 v[94:95], -v[90:91], v[92:93], 1.0
	v_fma_f64 v[92:93], v[92:93], v[94:95], v[92:93]
	v_div_scale_f64 v[94:95], vcc_lo, 1.0, v[88:89], 1.0
	v_mul_f64 v[96:97], v[94:95], v[92:93]
	v_fma_f64 v[90:91], -v[90:91], v[96:97], v[94:95]
	v_div_fmas_f64 v[90:91], v[90:91], v[92:93], v[96:97]
	v_div_fixup_f64 v[88:89], v[90:91], v[88:89], 1.0
	ds_write_b64 v1, v[88:89]
.LBB41_4:
	s_or_b32 exec_lo, exec_lo, s2
	s_waitcnt vmcnt(0) lgkmcnt(0)
	s_barrier
	buffer_gl0_inv
	ds_read_b64 v[88:89], v1
	s_and_saveexec_b32 s2, s1
	s_cbranch_execz .LBB41_6
; %bb.5:
	s_waitcnt lgkmcnt(0)
	v_mul_f64 v[80:81], v[88:89], v[80:81]
	ds_read2_b64 v[90:93], v128 offset0:1 offset1:2
	ds_read2_b64 v[94:97], v128 offset0:3 offset1:4
	;; [unrolled: 1-line block ×10, first 2 shown]
	s_waitcnt lgkmcnt(9)
	v_fma_f64 v[84:85], -v[80:81], v[90:91], v[84:85]
	v_fma_f64 v[86:87], -v[80:81], v[92:93], v[86:87]
	s_waitcnt lgkmcnt(8)
	v_fma_f64 v[82:83], -v[80:81], v[94:95], v[82:83]
	v_fma_f64 v[74:75], -v[80:81], v[96:97], v[74:75]
	;; [unrolled: 3-line block ×10, first 2 shown]
.LBB41_6:
	s_or_b32 exec_lo, exec_lo, s2
	s_mov_b32 s1, exec_lo
	s_waitcnt lgkmcnt(0)
	s_barrier
	buffer_gl0_inv
	v_cmpx_eq_u32_e32 1, v0
	s_cbranch_execz .LBB41_9
; %bb.7:
	v_mov_b32_e32 v90, v86
	v_mov_b32_e32 v91, v87
	;; [unrolled: 1-line block ×16, first 2 shown]
	ds_write_b64 v1, v[84:85]
	ds_write2_b64 v128, v[90:91], v[92:93] offset0:2 offset1:3
	ds_write2_b64 v128, v[94:95], v[96:97] offset0:4 offset1:5
	ds_write2_b64 v128, v[98:99], v[100:101] offset0:6 offset1:7
	ds_write2_b64 v128, v[102:103], v[104:105] offset0:8 offset1:9
	v_mov_b32_e32 v90, v68
	v_mov_b32_e32 v91, v69
	;; [unrolled: 1-line block ×20, first 2 shown]
	ds_write2_b64 v128, v[90:91], v[92:93] offset0:10 offset1:11
	ds_write2_b64 v128, v[94:95], v[96:97] offset0:12 offset1:13
	;; [unrolled: 1-line block ×5, first 2 shown]
	ds_write_b64 v128, v[78:79] offset:160
	ds_read_b64 v[90:91], v1
	s_waitcnt lgkmcnt(0)
	v_cmp_neq_f64_e32 vcc_lo, 0, v[90:91]
	s_and_b32 exec_lo, exec_lo, vcc_lo
	s_cbranch_execz .LBB41_9
; %bb.8:
	v_div_scale_f64 v[92:93], null, v[90:91], v[90:91], 1.0
	v_rcp_f64_e32 v[94:95], v[92:93]
	v_fma_f64 v[96:97], -v[92:93], v[94:95], 1.0
	v_fma_f64 v[94:95], v[94:95], v[96:97], v[94:95]
	v_fma_f64 v[96:97], -v[92:93], v[94:95], 1.0
	v_fma_f64 v[94:95], v[94:95], v[96:97], v[94:95]
	v_div_scale_f64 v[96:97], vcc_lo, 1.0, v[90:91], 1.0
	v_mul_f64 v[98:99], v[96:97], v[94:95]
	v_fma_f64 v[92:93], -v[92:93], v[98:99], v[96:97]
	v_div_fmas_f64 v[92:93], v[92:93], v[94:95], v[98:99]
	v_div_fixup_f64 v[90:91], v[92:93], v[90:91], 1.0
	ds_write_b64 v1, v[90:91]
.LBB41_9:
	s_or_b32 exec_lo, exec_lo, s1
	s_waitcnt lgkmcnt(0)
	s_barrier
	buffer_gl0_inv
	ds_read_b64 v[90:91], v1
	s_mov_b32 s1, exec_lo
	v_cmpx_lt_u32_e32 1, v0
	s_cbranch_execz .LBB41_11
; %bb.10:
	s_waitcnt lgkmcnt(0)
	v_mul_f64 v[84:85], v[90:91], v[84:85]
	ds_read2_b64 v[92:95], v128 offset0:2 offset1:3
	ds_read2_b64 v[96:99], v128 offset0:4 offset1:5
	;; [unrolled: 1-line block ×9, first 2 shown]
	ds_read_b64 v[129:130], v128 offset:160
	s_waitcnt lgkmcnt(9)
	v_fma_f64 v[86:87], -v[84:85], v[92:93], v[86:87]
	v_fma_f64 v[82:83], -v[84:85], v[94:95], v[82:83]
	s_waitcnt lgkmcnt(8)
	v_fma_f64 v[74:75], -v[84:85], v[96:97], v[74:75]
	v_fma_f64 v[62:63], -v[84:85], v[98:99], v[62:63]
	;; [unrolled: 3-line block ×9, first 2 shown]
	s_waitcnt lgkmcnt(0)
	v_fma_f64 v[78:79], -v[84:85], v[129:130], v[78:79]
.LBB41_11:
	s_or_b32 exec_lo, exec_lo, s1
	s_mov_b32 s1, exec_lo
	s_waitcnt lgkmcnt(0)
	s_barrier
	buffer_gl0_inv
	v_cmpx_eq_u32_e32 2, v0
	s_cbranch_execz .LBB41_14
; %bb.12:
	ds_write_b64 v1, v[86:87]
	ds_write2_b64 v128, v[82:83], v[74:75] offset0:3 offset1:4
	ds_write2_b64 v128, v[62:63], v[72:73] offset0:5 offset1:6
	;; [unrolled: 1-line block ×9, first 2 shown]
	ds_read_b64 v[92:93], v1
	s_waitcnt lgkmcnt(0)
	v_cmp_neq_f64_e32 vcc_lo, 0, v[92:93]
	s_and_b32 exec_lo, exec_lo, vcc_lo
	s_cbranch_execz .LBB41_14
; %bb.13:
	v_div_scale_f64 v[94:95], null, v[92:93], v[92:93], 1.0
	v_rcp_f64_e32 v[96:97], v[94:95]
	v_fma_f64 v[98:99], -v[94:95], v[96:97], 1.0
	v_fma_f64 v[96:97], v[96:97], v[98:99], v[96:97]
	v_fma_f64 v[98:99], -v[94:95], v[96:97], 1.0
	v_fma_f64 v[96:97], v[96:97], v[98:99], v[96:97]
	v_div_scale_f64 v[98:99], vcc_lo, 1.0, v[92:93], 1.0
	v_mul_f64 v[100:101], v[98:99], v[96:97]
	v_fma_f64 v[94:95], -v[94:95], v[100:101], v[98:99]
	v_div_fmas_f64 v[94:95], v[94:95], v[96:97], v[100:101]
	v_div_fixup_f64 v[92:93], v[94:95], v[92:93], 1.0
	ds_write_b64 v1, v[92:93]
.LBB41_14:
	s_or_b32 exec_lo, exec_lo, s1
	s_waitcnt lgkmcnt(0)
	s_barrier
	buffer_gl0_inv
	ds_read_b64 v[92:93], v1
	s_mov_b32 s1, exec_lo
	v_cmpx_lt_u32_e32 2, v0
	s_cbranch_execz .LBB41_16
; %bb.15:
	s_waitcnt lgkmcnt(0)
	v_mul_f64 v[86:87], v[92:93], v[86:87]
	ds_read2_b64 v[94:97], v128 offset0:3 offset1:4
	ds_read2_b64 v[98:101], v128 offset0:5 offset1:6
	;; [unrolled: 1-line block ×9, first 2 shown]
	s_waitcnt lgkmcnt(8)
	v_fma_f64 v[82:83], -v[86:87], v[94:95], v[82:83]
	v_fma_f64 v[74:75], -v[86:87], v[96:97], v[74:75]
	s_waitcnt lgkmcnt(7)
	v_fma_f64 v[62:63], -v[86:87], v[98:99], v[62:63]
	v_fma_f64 v[72:73], -v[86:87], v[100:101], v[72:73]
	;; [unrolled: 3-line block ×9, first 2 shown]
.LBB41_16:
	s_or_b32 exec_lo, exec_lo, s1
	s_mov_b32 s1, exec_lo
	s_waitcnt lgkmcnt(0)
	s_barrier
	buffer_gl0_inv
	v_cmpx_eq_u32_e32 3, v0
	s_cbranch_execz .LBB41_19
; %bb.17:
	v_mov_b32_e32 v94, v74
	v_mov_b32_e32 v95, v75
	;; [unrolled: 1-line block ×12, first 2 shown]
	ds_write_b64 v1, v[82:83]
	ds_write2_b64 v128, v[94:95], v[96:97] offset0:4 offset1:5
	ds_write2_b64 v128, v[98:99], v[100:101] offset0:6 offset1:7
	;; [unrolled: 1-line block ×3, first 2 shown]
	v_mov_b32_e32 v94, v68
	v_mov_b32_e32 v95, v69
	v_mov_b32_e32 v96, v56
	v_mov_b32_e32 v97, v57
	v_mov_b32_e32 v98, v66
	v_mov_b32_e32 v99, v67
	v_mov_b32_e32 v100, v54
	v_mov_b32_e32 v101, v55
	v_mov_b32_e32 v102, v64
	v_mov_b32_e32 v103, v65
	v_mov_b32_e32 v104, v48
	v_mov_b32_e32 v105, v49
	v_mov_b32_e32 v106, v52
	v_mov_b32_e32 v107, v53
	v_mov_b32_e32 v108, v46
	v_mov_b32_e32 v109, v47
	v_mov_b32_e32 v110, v50
	v_mov_b32_e32 v111, v51
	v_mov_b32_e32 v112, v44
	v_mov_b32_e32 v113, v45
	ds_write2_b64 v128, v[94:95], v[96:97] offset0:10 offset1:11
	ds_write2_b64 v128, v[98:99], v[100:101] offset0:12 offset1:13
	;; [unrolled: 1-line block ×5, first 2 shown]
	ds_write_b64 v128, v[78:79] offset:160
	ds_read_b64 v[94:95], v1
	s_waitcnt lgkmcnt(0)
	v_cmp_neq_f64_e32 vcc_lo, 0, v[94:95]
	s_and_b32 exec_lo, exec_lo, vcc_lo
	s_cbranch_execz .LBB41_19
; %bb.18:
	v_div_scale_f64 v[96:97], null, v[94:95], v[94:95], 1.0
	v_rcp_f64_e32 v[98:99], v[96:97]
	v_fma_f64 v[100:101], -v[96:97], v[98:99], 1.0
	v_fma_f64 v[98:99], v[98:99], v[100:101], v[98:99]
	v_fma_f64 v[100:101], -v[96:97], v[98:99], 1.0
	v_fma_f64 v[98:99], v[98:99], v[100:101], v[98:99]
	v_div_scale_f64 v[100:101], vcc_lo, 1.0, v[94:95], 1.0
	v_mul_f64 v[102:103], v[100:101], v[98:99]
	v_fma_f64 v[96:97], -v[96:97], v[102:103], v[100:101]
	v_div_fmas_f64 v[96:97], v[96:97], v[98:99], v[102:103]
	v_div_fixup_f64 v[94:95], v[96:97], v[94:95], 1.0
	ds_write_b64 v1, v[94:95]
.LBB41_19:
	s_or_b32 exec_lo, exec_lo, s1
	s_waitcnt lgkmcnt(0)
	s_barrier
	buffer_gl0_inv
	ds_read_b64 v[94:95], v1
	s_mov_b32 s1, exec_lo
	v_cmpx_lt_u32_e32 3, v0
	s_cbranch_execz .LBB41_21
; %bb.20:
	s_waitcnt lgkmcnt(0)
	v_mul_f64 v[82:83], v[94:95], v[82:83]
	ds_read2_b64 v[96:99], v128 offset0:4 offset1:5
	ds_read2_b64 v[100:103], v128 offset0:6 offset1:7
	;; [unrolled: 1-line block ×8, first 2 shown]
	ds_read_b64 v[129:130], v128 offset:160
	s_waitcnt lgkmcnt(8)
	v_fma_f64 v[74:75], -v[82:83], v[96:97], v[74:75]
	v_fma_f64 v[62:63], -v[82:83], v[98:99], v[62:63]
	s_waitcnt lgkmcnt(7)
	v_fma_f64 v[72:73], -v[82:83], v[100:101], v[72:73]
	v_fma_f64 v[60:61], -v[82:83], v[102:103], v[60:61]
	s_waitcnt lgkmcnt(6)
	v_fma_f64 v[70:71], -v[82:83], v[104:105], v[70:71]
	v_fma_f64 v[58:59], -v[82:83], v[106:107], v[58:59]
	s_waitcnt lgkmcnt(5)
	v_fma_f64 v[68:69], -v[82:83], v[108:109], v[68:69]
	v_fma_f64 v[56:57], -v[82:83], v[110:111], v[56:57]
	s_waitcnt lgkmcnt(4)
	v_fma_f64 v[66:67], -v[82:83], v[112:113], v[66:67]
	v_fma_f64 v[54:55], -v[82:83], v[114:115], v[54:55]
	s_waitcnt lgkmcnt(3)
	v_fma_f64 v[64:65], -v[82:83], v[116:117], v[64:65]
	v_fma_f64 v[48:49], -v[82:83], v[118:119], v[48:49]
	s_waitcnt lgkmcnt(2)
	v_fma_f64 v[52:53], -v[82:83], v[120:121], v[52:53]
	v_fma_f64 v[46:47], -v[82:83], v[122:123], v[46:47]
	s_waitcnt lgkmcnt(1)
	v_fma_f64 v[50:51], -v[82:83], v[124:125], v[50:51]
	v_fma_f64 v[44:45], -v[82:83], v[126:127], v[44:45]
	s_waitcnt lgkmcnt(0)
	v_fma_f64 v[78:79], -v[82:83], v[129:130], v[78:79]
.LBB41_21:
	s_or_b32 exec_lo, exec_lo, s1
	s_mov_b32 s1, exec_lo
	s_waitcnt lgkmcnt(0)
	s_barrier
	buffer_gl0_inv
	v_cmpx_eq_u32_e32 4, v0
	s_cbranch_execz .LBB41_24
; %bb.22:
	ds_write_b64 v1, v[74:75]
	ds_write2_b64 v128, v[62:63], v[72:73] offset0:5 offset1:6
	ds_write2_b64 v128, v[60:61], v[70:71] offset0:7 offset1:8
	;; [unrolled: 1-line block ×8, first 2 shown]
	ds_read_b64 v[96:97], v1
	s_waitcnt lgkmcnt(0)
	v_cmp_neq_f64_e32 vcc_lo, 0, v[96:97]
	s_and_b32 exec_lo, exec_lo, vcc_lo
	s_cbranch_execz .LBB41_24
; %bb.23:
	v_div_scale_f64 v[98:99], null, v[96:97], v[96:97], 1.0
	v_rcp_f64_e32 v[100:101], v[98:99]
	v_fma_f64 v[102:103], -v[98:99], v[100:101], 1.0
	v_fma_f64 v[100:101], v[100:101], v[102:103], v[100:101]
	v_fma_f64 v[102:103], -v[98:99], v[100:101], 1.0
	v_fma_f64 v[100:101], v[100:101], v[102:103], v[100:101]
	v_div_scale_f64 v[102:103], vcc_lo, 1.0, v[96:97], 1.0
	v_mul_f64 v[104:105], v[102:103], v[100:101]
	v_fma_f64 v[98:99], -v[98:99], v[104:105], v[102:103]
	v_div_fmas_f64 v[98:99], v[98:99], v[100:101], v[104:105]
	v_div_fixup_f64 v[96:97], v[98:99], v[96:97], 1.0
	ds_write_b64 v1, v[96:97]
.LBB41_24:
	s_or_b32 exec_lo, exec_lo, s1
	s_waitcnt lgkmcnt(0)
	s_barrier
	buffer_gl0_inv
	ds_read_b64 v[96:97], v1
	s_mov_b32 s1, exec_lo
	v_cmpx_lt_u32_e32 4, v0
	s_cbranch_execz .LBB41_26
; %bb.25:
	s_waitcnt lgkmcnt(0)
	v_mul_f64 v[74:75], v[96:97], v[74:75]
	ds_read2_b64 v[98:101], v128 offset0:5 offset1:6
	ds_read2_b64 v[102:105], v128 offset0:7 offset1:8
	ds_read2_b64 v[106:109], v128 offset0:9 offset1:10
	ds_read2_b64 v[110:113], v128 offset0:11 offset1:12
	ds_read2_b64 v[114:117], v128 offset0:13 offset1:14
	ds_read2_b64 v[118:121], v128 offset0:15 offset1:16
	ds_read2_b64 v[122:125], v128 offset0:17 offset1:18
	ds_read2_b64 v[129:132], v128 offset0:19 offset1:20
	s_waitcnt lgkmcnt(7)
	v_fma_f64 v[62:63], -v[74:75], v[98:99], v[62:63]
	v_fma_f64 v[72:73], -v[74:75], v[100:101], v[72:73]
	s_waitcnt lgkmcnt(6)
	v_fma_f64 v[60:61], -v[74:75], v[102:103], v[60:61]
	v_fma_f64 v[70:71], -v[74:75], v[104:105], v[70:71]
	;; [unrolled: 3-line block ×8, first 2 shown]
.LBB41_26:
	s_or_b32 exec_lo, exec_lo, s1
	s_mov_b32 s1, exec_lo
	s_waitcnt lgkmcnt(0)
	s_barrier
	buffer_gl0_inv
	v_cmpx_eq_u32_e32 5, v0
	s_cbranch_execz .LBB41_29
; %bb.27:
	v_mov_b32_e32 v98, v72
	v_mov_b32_e32 v99, v73
	;; [unrolled: 1-line block ×8, first 2 shown]
	ds_write_b64 v1, v[62:63]
	ds_write2_b64 v128, v[98:99], v[100:101] offset0:6 offset1:7
	ds_write2_b64 v128, v[102:103], v[104:105] offset0:8 offset1:9
	v_mov_b32_e32 v98, v68
	v_mov_b32_e32 v99, v69
	;; [unrolled: 1-line block ×20, first 2 shown]
	ds_write2_b64 v128, v[98:99], v[100:101] offset0:10 offset1:11
	ds_write2_b64 v128, v[102:103], v[104:105] offset0:12 offset1:13
	;; [unrolled: 1-line block ×5, first 2 shown]
	ds_write_b64 v128, v[78:79] offset:160
	ds_read_b64 v[98:99], v1
	s_waitcnt lgkmcnt(0)
	v_cmp_neq_f64_e32 vcc_lo, 0, v[98:99]
	s_and_b32 exec_lo, exec_lo, vcc_lo
	s_cbranch_execz .LBB41_29
; %bb.28:
	v_div_scale_f64 v[100:101], null, v[98:99], v[98:99], 1.0
	v_rcp_f64_e32 v[102:103], v[100:101]
	v_fma_f64 v[104:105], -v[100:101], v[102:103], 1.0
	v_fma_f64 v[102:103], v[102:103], v[104:105], v[102:103]
	v_fma_f64 v[104:105], -v[100:101], v[102:103], 1.0
	v_fma_f64 v[102:103], v[102:103], v[104:105], v[102:103]
	v_div_scale_f64 v[104:105], vcc_lo, 1.0, v[98:99], 1.0
	v_mul_f64 v[106:107], v[104:105], v[102:103]
	v_fma_f64 v[100:101], -v[100:101], v[106:107], v[104:105]
	v_div_fmas_f64 v[100:101], v[100:101], v[102:103], v[106:107]
	v_div_fixup_f64 v[98:99], v[100:101], v[98:99], 1.0
	ds_write_b64 v1, v[98:99]
.LBB41_29:
	s_or_b32 exec_lo, exec_lo, s1
	s_waitcnt lgkmcnt(0)
	s_barrier
	buffer_gl0_inv
	ds_read_b64 v[98:99], v1
	s_mov_b32 s1, exec_lo
	v_cmpx_lt_u32_e32 5, v0
	s_cbranch_execz .LBB41_31
; %bb.30:
	s_waitcnt lgkmcnt(0)
	v_mul_f64 v[62:63], v[98:99], v[62:63]
	ds_read2_b64 v[100:103], v128 offset0:6 offset1:7
	ds_read2_b64 v[104:107], v128 offset0:8 offset1:9
	;; [unrolled: 1-line block ×7, first 2 shown]
	ds_read_b64 v[129:130], v128 offset:160
	s_waitcnt lgkmcnt(7)
	v_fma_f64 v[72:73], -v[62:63], v[100:101], v[72:73]
	v_fma_f64 v[60:61], -v[62:63], v[102:103], v[60:61]
	s_waitcnt lgkmcnt(6)
	v_fma_f64 v[70:71], -v[62:63], v[104:105], v[70:71]
	v_fma_f64 v[58:59], -v[62:63], v[106:107], v[58:59]
	;; [unrolled: 3-line block ×7, first 2 shown]
	s_waitcnt lgkmcnt(0)
	v_fma_f64 v[78:79], -v[62:63], v[129:130], v[78:79]
.LBB41_31:
	s_or_b32 exec_lo, exec_lo, s1
	s_mov_b32 s1, exec_lo
	s_waitcnt lgkmcnt(0)
	s_barrier
	buffer_gl0_inv
	v_cmpx_eq_u32_e32 6, v0
	s_cbranch_execz .LBB41_34
; %bb.32:
	ds_write_b64 v1, v[72:73]
	ds_write2_b64 v128, v[60:61], v[70:71] offset0:7 offset1:8
	ds_write2_b64 v128, v[58:59], v[68:69] offset0:9 offset1:10
	;; [unrolled: 1-line block ×7, first 2 shown]
	ds_read_b64 v[100:101], v1
	s_waitcnt lgkmcnt(0)
	v_cmp_neq_f64_e32 vcc_lo, 0, v[100:101]
	s_and_b32 exec_lo, exec_lo, vcc_lo
	s_cbranch_execz .LBB41_34
; %bb.33:
	v_div_scale_f64 v[102:103], null, v[100:101], v[100:101], 1.0
	v_rcp_f64_e32 v[104:105], v[102:103]
	v_fma_f64 v[106:107], -v[102:103], v[104:105], 1.0
	v_fma_f64 v[104:105], v[104:105], v[106:107], v[104:105]
	v_fma_f64 v[106:107], -v[102:103], v[104:105], 1.0
	v_fma_f64 v[104:105], v[104:105], v[106:107], v[104:105]
	v_div_scale_f64 v[106:107], vcc_lo, 1.0, v[100:101], 1.0
	v_mul_f64 v[108:109], v[106:107], v[104:105]
	v_fma_f64 v[102:103], -v[102:103], v[108:109], v[106:107]
	v_div_fmas_f64 v[102:103], v[102:103], v[104:105], v[108:109]
	v_div_fixup_f64 v[100:101], v[102:103], v[100:101], 1.0
	ds_write_b64 v1, v[100:101]
.LBB41_34:
	s_or_b32 exec_lo, exec_lo, s1
	s_waitcnt lgkmcnt(0)
	s_barrier
	buffer_gl0_inv
	ds_read_b64 v[100:101], v1
	s_mov_b32 s1, exec_lo
	v_cmpx_lt_u32_e32 6, v0
	s_cbranch_execz .LBB41_36
; %bb.35:
	s_waitcnt lgkmcnt(0)
	v_mul_f64 v[72:73], v[100:101], v[72:73]
	ds_read2_b64 v[102:105], v128 offset0:7 offset1:8
	ds_read2_b64 v[106:109], v128 offset0:9 offset1:10
	;; [unrolled: 1-line block ×7, first 2 shown]
	s_waitcnt lgkmcnt(6)
	v_fma_f64 v[60:61], -v[72:73], v[102:103], v[60:61]
	v_fma_f64 v[70:71], -v[72:73], v[104:105], v[70:71]
	s_waitcnt lgkmcnt(5)
	v_fma_f64 v[58:59], -v[72:73], v[106:107], v[58:59]
	v_fma_f64 v[68:69], -v[72:73], v[108:109], v[68:69]
	;; [unrolled: 3-line block ×7, first 2 shown]
.LBB41_36:
	s_or_b32 exec_lo, exec_lo, s1
	s_mov_b32 s1, exec_lo
	s_waitcnt lgkmcnt(0)
	s_barrier
	buffer_gl0_inv
	v_cmpx_eq_u32_e32 7, v0
	s_cbranch_execz .LBB41_39
; %bb.37:
	v_mov_b32_e32 v102, v70
	v_mov_b32_e32 v103, v71
	;; [unrolled: 1-line block ×4, first 2 shown]
	ds_write_b64 v1, v[60:61]
	ds_write2_b64 v128, v[102:103], v[104:105] offset0:8 offset1:9
	v_mov_b32_e32 v102, v68
	v_mov_b32_e32 v103, v69
	;; [unrolled: 1-line block ×20, first 2 shown]
	ds_write2_b64 v128, v[102:103], v[104:105] offset0:10 offset1:11
	ds_write2_b64 v128, v[106:107], v[108:109] offset0:12 offset1:13
	;; [unrolled: 1-line block ×5, first 2 shown]
	ds_write_b64 v128, v[78:79] offset:160
	ds_read_b64 v[102:103], v1
	s_waitcnt lgkmcnt(0)
	v_cmp_neq_f64_e32 vcc_lo, 0, v[102:103]
	s_and_b32 exec_lo, exec_lo, vcc_lo
	s_cbranch_execz .LBB41_39
; %bb.38:
	v_div_scale_f64 v[104:105], null, v[102:103], v[102:103], 1.0
	v_rcp_f64_e32 v[106:107], v[104:105]
	v_fma_f64 v[108:109], -v[104:105], v[106:107], 1.0
	v_fma_f64 v[106:107], v[106:107], v[108:109], v[106:107]
	v_fma_f64 v[108:109], -v[104:105], v[106:107], 1.0
	v_fma_f64 v[106:107], v[106:107], v[108:109], v[106:107]
	v_div_scale_f64 v[108:109], vcc_lo, 1.0, v[102:103], 1.0
	v_mul_f64 v[110:111], v[108:109], v[106:107]
	v_fma_f64 v[104:105], -v[104:105], v[110:111], v[108:109]
	v_div_fmas_f64 v[104:105], v[104:105], v[106:107], v[110:111]
	v_div_fixup_f64 v[102:103], v[104:105], v[102:103], 1.0
	ds_write_b64 v1, v[102:103]
.LBB41_39:
	s_or_b32 exec_lo, exec_lo, s1
	s_waitcnt lgkmcnt(0)
	s_barrier
	buffer_gl0_inv
	ds_read_b64 v[102:103], v1
	s_mov_b32 s1, exec_lo
	v_cmpx_lt_u32_e32 7, v0
	s_cbranch_execz .LBB41_41
; %bb.40:
	s_waitcnt lgkmcnt(0)
	v_mul_f64 v[60:61], v[102:103], v[60:61]
	ds_read2_b64 v[104:107], v128 offset0:8 offset1:9
	ds_read2_b64 v[108:111], v128 offset0:10 offset1:11
	;; [unrolled: 1-line block ×6, first 2 shown]
	ds_read_b64 v[129:130], v128 offset:160
	s_waitcnt lgkmcnt(6)
	v_fma_f64 v[70:71], -v[60:61], v[104:105], v[70:71]
	v_fma_f64 v[58:59], -v[60:61], v[106:107], v[58:59]
	s_waitcnt lgkmcnt(5)
	v_fma_f64 v[68:69], -v[60:61], v[108:109], v[68:69]
	v_fma_f64 v[56:57], -v[60:61], v[110:111], v[56:57]
	s_waitcnt lgkmcnt(4)
	v_fma_f64 v[66:67], -v[60:61], v[112:113], v[66:67]
	v_fma_f64 v[54:55], -v[60:61], v[114:115], v[54:55]
	s_waitcnt lgkmcnt(3)
	v_fma_f64 v[64:65], -v[60:61], v[116:117], v[64:65]
	v_fma_f64 v[48:49], -v[60:61], v[118:119], v[48:49]
	s_waitcnt lgkmcnt(2)
	v_fma_f64 v[52:53], -v[60:61], v[120:121], v[52:53]
	v_fma_f64 v[46:47], -v[60:61], v[122:123], v[46:47]
	s_waitcnt lgkmcnt(1)
	v_fma_f64 v[50:51], -v[60:61], v[124:125], v[50:51]
	v_fma_f64 v[44:45], -v[60:61], v[126:127], v[44:45]
	s_waitcnt lgkmcnt(0)
	v_fma_f64 v[78:79], -v[60:61], v[129:130], v[78:79]
.LBB41_41:
	s_or_b32 exec_lo, exec_lo, s1
	s_mov_b32 s1, exec_lo
	s_waitcnt lgkmcnt(0)
	s_barrier
	buffer_gl0_inv
	v_cmpx_eq_u32_e32 8, v0
	s_cbranch_execz .LBB41_44
; %bb.42:
	ds_write_b64 v1, v[70:71]
	ds_write2_b64 v128, v[58:59], v[68:69] offset0:9 offset1:10
	ds_write2_b64 v128, v[56:57], v[66:67] offset0:11 offset1:12
	;; [unrolled: 1-line block ×6, first 2 shown]
	ds_read_b64 v[104:105], v1
	s_waitcnt lgkmcnt(0)
	v_cmp_neq_f64_e32 vcc_lo, 0, v[104:105]
	s_and_b32 exec_lo, exec_lo, vcc_lo
	s_cbranch_execz .LBB41_44
; %bb.43:
	v_div_scale_f64 v[106:107], null, v[104:105], v[104:105], 1.0
	v_rcp_f64_e32 v[108:109], v[106:107]
	v_fma_f64 v[110:111], -v[106:107], v[108:109], 1.0
	v_fma_f64 v[108:109], v[108:109], v[110:111], v[108:109]
	v_fma_f64 v[110:111], -v[106:107], v[108:109], 1.0
	v_fma_f64 v[108:109], v[108:109], v[110:111], v[108:109]
	v_div_scale_f64 v[110:111], vcc_lo, 1.0, v[104:105], 1.0
	v_mul_f64 v[112:113], v[110:111], v[108:109]
	v_fma_f64 v[106:107], -v[106:107], v[112:113], v[110:111]
	v_div_fmas_f64 v[106:107], v[106:107], v[108:109], v[112:113]
	v_div_fixup_f64 v[104:105], v[106:107], v[104:105], 1.0
	ds_write_b64 v1, v[104:105]
.LBB41_44:
	s_or_b32 exec_lo, exec_lo, s1
	s_waitcnt lgkmcnt(0)
	s_barrier
	buffer_gl0_inv
	ds_read_b64 v[104:105], v1
	s_mov_b32 s1, exec_lo
	v_cmpx_lt_u32_e32 8, v0
	s_cbranch_execz .LBB41_46
; %bb.45:
	s_waitcnt lgkmcnt(0)
	v_mul_f64 v[70:71], v[104:105], v[70:71]
	ds_read2_b64 v[106:109], v128 offset0:9 offset1:10
	ds_read2_b64 v[110:113], v128 offset0:11 offset1:12
	;; [unrolled: 1-line block ×6, first 2 shown]
	s_waitcnt lgkmcnt(5)
	v_fma_f64 v[58:59], -v[70:71], v[106:107], v[58:59]
	v_fma_f64 v[68:69], -v[70:71], v[108:109], v[68:69]
	s_waitcnt lgkmcnt(4)
	v_fma_f64 v[56:57], -v[70:71], v[110:111], v[56:57]
	v_fma_f64 v[66:67], -v[70:71], v[112:113], v[66:67]
	;; [unrolled: 3-line block ×6, first 2 shown]
.LBB41_46:
	s_or_b32 exec_lo, exec_lo, s1
	s_mov_b32 s1, exec_lo
	s_waitcnt lgkmcnt(0)
	s_barrier
	buffer_gl0_inv
	v_cmpx_eq_u32_e32 9, v0
	s_cbranch_execz .LBB41_49
; %bb.47:
	v_mov_b32_e32 v106, v68
	v_mov_b32_e32 v107, v69
	v_mov_b32_e32 v108, v56
	v_mov_b32_e32 v109, v57
	v_mov_b32_e32 v110, v66
	v_mov_b32_e32 v111, v67
	v_mov_b32_e32 v112, v54
	v_mov_b32_e32 v113, v55
	v_mov_b32_e32 v114, v64
	v_mov_b32_e32 v115, v65
	v_mov_b32_e32 v116, v48
	v_mov_b32_e32 v117, v49
	v_mov_b32_e32 v118, v52
	v_mov_b32_e32 v119, v53
	v_mov_b32_e32 v120, v46
	v_mov_b32_e32 v121, v47
	v_mov_b32_e32 v122, v50
	v_mov_b32_e32 v123, v51
	v_mov_b32_e32 v124, v44
	v_mov_b32_e32 v125, v45
	ds_write_b64 v1, v[58:59]
	ds_write2_b64 v128, v[106:107], v[108:109] offset0:10 offset1:11
	ds_write2_b64 v128, v[110:111], v[112:113] offset0:12 offset1:13
	ds_write2_b64 v128, v[114:115], v[116:117] offset0:14 offset1:15
	ds_write2_b64 v128, v[118:119], v[120:121] offset0:16 offset1:17
	ds_write2_b64 v128, v[122:123], v[124:125] offset0:18 offset1:19
	ds_write_b64 v128, v[78:79] offset:160
	ds_read_b64 v[106:107], v1
	s_waitcnt lgkmcnt(0)
	v_cmp_neq_f64_e32 vcc_lo, 0, v[106:107]
	s_and_b32 exec_lo, exec_lo, vcc_lo
	s_cbranch_execz .LBB41_49
; %bb.48:
	v_div_scale_f64 v[108:109], null, v[106:107], v[106:107], 1.0
	v_rcp_f64_e32 v[110:111], v[108:109]
	v_fma_f64 v[112:113], -v[108:109], v[110:111], 1.0
	v_fma_f64 v[110:111], v[110:111], v[112:113], v[110:111]
	v_fma_f64 v[112:113], -v[108:109], v[110:111], 1.0
	v_fma_f64 v[110:111], v[110:111], v[112:113], v[110:111]
	v_div_scale_f64 v[112:113], vcc_lo, 1.0, v[106:107], 1.0
	v_mul_f64 v[114:115], v[112:113], v[110:111]
	v_fma_f64 v[108:109], -v[108:109], v[114:115], v[112:113]
	v_div_fmas_f64 v[108:109], v[108:109], v[110:111], v[114:115]
	v_div_fixup_f64 v[106:107], v[108:109], v[106:107], 1.0
	ds_write_b64 v1, v[106:107]
.LBB41_49:
	s_or_b32 exec_lo, exec_lo, s1
	s_waitcnt lgkmcnt(0)
	s_barrier
	buffer_gl0_inv
	ds_read_b64 v[106:107], v1
	s_mov_b32 s1, exec_lo
	v_cmpx_lt_u32_e32 9, v0
	s_cbranch_execz .LBB41_51
; %bb.50:
	s_waitcnt lgkmcnt(0)
	v_mul_f64 v[58:59], v[106:107], v[58:59]
	ds_read2_b64 v[108:111], v128 offset0:10 offset1:11
	ds_read2_b64 v[112:115], v128 offset0:12 offset1:13
	;; [unrolled: 1-line block ×5, first 2 shown]
	ds_read_b64 v[129:130], v128 offset:160
	s_waitcnt lgkmcnt(5)
	v_fma_f64 v[68:69], -v[58:59], v[108:109], v[68:69]
	v_fma_f64 v[56:57], -v[58:59], v[110:111], v[56:57]
	s_waitcnt lgkmcnt(4)
	v_fma_f64 v[66:67], -v[58:59], v[112:113], v[66:67]
	v_fma_f64 v[54:55], -v[58:59], v[114:115], v[54:55]
	;; [unrolled: 3-line block ×5, first 2 shown]
	s_waitcnt lgkmcnt(0)
	v_fma_f64 v[78:79], -v[58:59], v[129:130], v[78:79]
.LBB41_51:
	s_or_b32 exec_lo, exec_lo, s1
	s_mov_b32 s1, exec_lo
	s_waitcnt lgkmcnt(0)
	s_barrier
	buffer_gl0_inv
	v_cmpx_eq_u32_e32 10, v0
	s_cbranch_execz .LBB41_54
; %bb.52:
	ds_write_b64 v1, v[68:69]
	ds_write2_b64 v128, v[56:57], v[66:67] offset0:11 offset1:12
	ds_write2_b64 v128, v[54:55], v[64:65] offset0:13 offset1:14
	;; [unrolled: 1-line block ×5, first 2 shown]
	ds_read_b64 v[108:109], v1
	s_waitcnt lgkmcnt(0)
	v_cmp_neq_f64_e32 vcc_lo, 0, v[108:109]
	s_and_b32 exec_lo, exec_lo, vcc_lo
	s_cbranch_execz .LBB41_54
; %bb.53:
	v_div_scale_f64 v[110:111], null, v[108:109], v[108:109], 1.0
	v_rcp_f64_e32 v[112:113], v[110:111]
	v_fma_f64 v[114:115], -v[110:111], v[112:113], 1.0
	v_fma_f64 v[112:113], v[112:113], v[114:115], v[112:113]
	v_fma_f64 v[114:115], -v[110:111], v[112:113], 1.0
	v_fma_f64 v[112:113], v[112:113], v[114:115], v[112:113]
	v_div_scale_f64 v[114:115], vcc_lo, 1.0, v[108:109], 1.0
	v_mul_f64 v[116:117], v[114:115], v[112:113]
	v_fma_f64 v[110:111], -v[110:111], v[116:117], v[114:115]
	v_div_fmas_f64 v[110:111], v[110:111], v[112:113], v[116:117]
	v_div_fixup_f64 v[108:109], v[110:111], v[108:109], 1.0
	ds_write_b64 v1, v[108:109]
.LBB41_54:
	s_or_b32 exec_lo, exec_lo, s1
	s_waitcnt lgkmcnt(0)
	s_barrier
	buffer_gl0_inv
	ds_read_b64 v[108:109], v1
	s_mov_b32 s1, exec_lo
	v_cmpx_lt_u32_e32 10, v0
	s_cbranch_execz .LBB41_56
; %bb.55:
	s_waitcnt lgkmcnt(0)
	v_mul_f64 v[68:69], v[108:109], v[68:69]
	ds_read2_b64 v[110:113], v128 offset0:11 offset1:12
	ds_read2_b64 v[114:117], v128 offset0:13 offset1:14
	;; [unrolled: 1-line block ×5, first 2 shown]
	s_waitcnt lgkmcnt(4)
	v_fma_f64 v[56:57], -v[68:69], v[110:111], v[56:57]
	v_fma_f64 v[66:67], -v[68:69], v[112:113], v[66:67]
	s_waitcnt lgkmcnt(3)
	v_fma_f64 v[54:55], -v[68:69], v[114:115], v[54:55]
	v_fma_f64 v[64:65], -v[68:69], v[116:117], v[64:65]
	;; [unrolled: 3-line block ×5, first 2 shown]
.LBB41_56:
	s_or_b32 exec_lo, exec_lo, s1
	s_mov_b32 s1, exec_lo
	s_waitcnt lgkmcnt(0)
	s_barrier
	buffer_gl0_inv
	v_cmpx_eq_u32_e32 11, v0
	s_cbranch_execz .LBB41_59
; %bb.57:
	v_mov_b32_e32 v110, v66
	v_mov_b32_e32 v111, v67
	;; [unrolled: 1-line block ×16, first 2 shown]
	ds_write_b64 v1, v[56:57]
	ds_write2_b64 v128, v[110:111], v[112:113] offset0:12 offset1:13
	ds_write2_b64 v128, v[114:115], v[116:117] offset0:14 offset1:15
	ds_write2_b64 v128, v[118:119], v[120:121] offset0:16 offset1:17
	ds_write2_b64 v128, v[122:123], v[124:125] offset0:18 offset1:19
	ds_write_b64 v128, v[78:79] offset:160
	ds_read_b64 v[110:111], v1
	s_waitcnt lgkmcnt(0)
	v_cmp_neq_f64_e32 vcc_lo, 0, v[110:111]
	s_and_b32 exec_lo, exec_lo, vcc_lo
	s_cbranch_execz .LBB41_59
; %bb.58:
	v_div_scale_f64 v[112:113], null, v[110:111], v[110:111], 1.0
	v_rcp_f64_e32 v[114:115], v[112:113]
	v_fma_f64 v[116:117], -v[112:113], v[114:115], 1.0
	v_fma_f64 v[114:115], v[114:115], v[116:117], v[114:115]
	v_fma_f64 v[116:117], -v[112:113], v[114:115], 1.0
	v_fma_f64 v[114:115], v[114:115], v[116:117], v[114:115]
	v_div_scale_f64 v[116:117], vcc_lo, 1.0, v[110:111], 1.0
	v_mul_f64 v[118:119], v[116:117], v[114:115]
	v_fma_f64 v[112:113], -v[112:113], v[118:119], v[116:117]
	v_div_fmas_f64 v[112:113], v[112:113], v[114:115], v[118:119]
	v_div_fixup_f64 v[110:111], v[112:113], v[110:111], 1.0
	ds_write_b64 v1, v[110:111]
.LBB41_59:
	s_or_b32 exec_lo, exec_lo, s1
	s_waitcnt lgkmcnt(0)
	s_barrier
	buffer_gl0_inv
	ds_read_b64 v[110:111], v1
	s_mov_b32 s1, exec_lo
	v_cmpx_lt_u32_e32 11, v0
	s_cbranch_execz .LBB41_61
; %bb.60:
	s_waitcnt lgkmcnt(0)
	v_mul_f64 v[56:57], v[110:111], v[56:57]
	ds_read2_b64 v[112:115], v128 offset0:12 offset1:13
	ds_read2_b64 v[116:119], v128 offset0:14 offset1:15
	;; [unrolled: 1-line block ×4, first 2 shown]
	ds_read_b64 v[129:130], v128 offset:160
	s_waitcnt lgkmcnt(4)
	v_fma_f64 v[66:67], -v[56:57], v[112:113], v[66:67]
	v_fma_f64 v[54:55], -v[56:57], v[114:115], v[54:55]
	s_waitcnt lgkmcnt(3)
	v_fma_f64 v[64:65], -v[56:57], v[116:117], v[64:65]
	v_fma_f64 v[48:49], -v[56:57], v[118:119], v[48:49]
	s_waitcnt lgkmcnt(2)
	v_fma_f64 v[52:53], -v[56:57], v[120:121], v[52:53]
	v_fma_f64 v[46:47], -v[56:57], v[122:123], v[46:47]
	s_waitcnt lgkmcnt(1)
	v_fma_f64 v[50:51], -v[56:57], v[124:125], v[50:51]
	v_fma_f64 v[44:45], -v[56:57], v[126:127], v[44:45]
	s_waitcnt lgkmcnt(0)
	v_fma_f64 v[78:79], -v[56:57], v[129:130], v[78:79]
.LBB41_61:
	s_or_b32 exec_lo, exec_lo, s1
	s_mov_b32 s1, exec_lo
	s_waitcnt lgkmcnt(0)
	s_barrier
	buffer_gl0_inv
	v_cmpx_eq_u32_e32 12, v0
	s_cbranch_execz .LBB41_64
; %bb.62:
	ds_write_b64 v1, v[66:67]
	ds_write2_b64 v128, v[54:55], v[64:65] offset0:13 offset1:14
	ds_write2_b64 v128, v[48:49], v[52:53] offset0:15 offset1:16
	;; [unrolled: 1-line block ×4, first 2 shown]
	ds_read_b64 v[112:113], v1
	s_waitcnt lgkmcnt(0)
	v_cmp_neq_f64_e32 vcc_lo, 0, v[112:113]
	s_and_b32 exec_lo, exec_lo, vcc_lo
	s_cbranch_execz .LBB41_64
; %bb.63:
	v_div_scale_f64 v[114:115], null, v[112:113], v[112:113], 1.0
	v_rcp_f64_e32 v[116:117], v[114:115]
	v_fma_f64 v[118:119], -v[114:115], v[116:117], 1.0
	v_fma_f64 v[116:117], v[116:117], v[118:119], v[116:117]
	v_fma_f64 v[118:119], -v[114:115], v[116:117], 1.0
	v_fma_f64 v[116:117], v[116:117], v[118:119], v[116:117]
	v_div_scale_f64 v[118:119], vcc_lo, 1.0, v[112:113], 1.0
	v_mul_f64 v[120:121], v[118:119], v[116:117]
	v_fma_f64 v[114:115], -v[114:115], v[120:121], v[118:119]
	v_div_fmas_f64 v[114:115], v[114:115], v[116:117], v[120:121]
	v_div_fixup_f64 v[112:113], v[114:115], v[112:113], 1.0
	ds_write_b64 v1, v[112:113]
.LBB41_64:
	s_or_b32 exec_lo, exec_lo, s1
	s_waitcnt lgkmcnt(0)
	s_barrier
	buffer_gl0_inv
	ds_read_b64 v[112:113], v1
	s_mov_b32 s1, exec_lo
	v_cmpx_lt_u32_e32 12, v0
	s_cbranch_execz .LBB41_66
; %bb.65:
	s_waitcnt lgkmcnt(0)
	v_mul_f64 v[66:67], v[112:113], v[66:67]
	ds_read2_b64 v[114:117], v128 offset0:13 offset1:14
	ds_read2_b64 v[118:121], v128 offset0:15 offset1:16
	;; [unrolled: 1-line block ×4, first 2 shown]
	s_waitcnt lgkmcnt(3)
	v_fma_f64 v[54:55], -v[66:67], v[114:115], v[54:55]
	v_fma_f64 v[64:65], -v[66:67], v[116:117], v[64:65]
	s_waitcnt lgkmcnt(2)
	v_fma_f64 v[48:49], -v[66:67], v[118:119], v[48:49]
	v_fma_f64 v[52:53], -v[66:67], v[120:121], v[52:53]
	;; [unrolled: 3-line block ×4, first 2 shown]
.LBB41_66:
	s_or_b32 exec_lo, exec_lo, s1
	s_mov_b32 s1, exec_lo
	s_waitcnt lgkmcnt(0)
	s_barrier
	buffer_gl0_inv
	v_cmpx_eq_u32_e32 13, v0
	s_cbranch_execz .LBB41_69
; %bb.67:
	v_mov_b32_e32 v114, v64
	v_mov_b32_e32 v115, v65
	;; [unrolled: 1-line block ×12, first 2 shown]
	ds_write_b64 v1, v[54:55]
	ds_write2_b64 v128, v[114:115], v[116:117] offset0:14 offset1:15
	ds_write2_b64 v128, v[118:119], v[120:121] offset0:16 offset1:17
	;; [unrolled: 1-line block ×3, first 2 shown]
	ds_write_b64 v128, v[78:79] offset:160
	ds_read_b64 v[114:115], v1
	s_waitcnt lgkmcnt(0)
	v_cmp_neq_f64_e32 vcc_lo, 0, v[114:115]
	s_and_b32 exec_lo, exec_lo, vcc_lo
	s_cbranch_execz .LBB41_69
; %bb.68:
	v_div_scale_f64 v[116:117], null, v[114:115], v[114:115], 1.0
	v_rcp_f64_e32 v[118:119], v[116:117]
	v_fma_f64 v[120:121], -v[116:117], v[118:119], 1.0
	v_fma_f64 v[118:119], v[118:119], v[120:121], v[118:119]
	v_fma_f64 v[120:121], -v[116:117], v[118:119], 1.0
	v_fma_f64 v[118:119], v[118:119], v[120:121], v[118:119]
	v_div_scale_f64 v[120:121], vcc_lo, 1.0, v[114:115], 1.0
	v_mul_f64 v[122:123], v[120:121], v[118:119]
	v_fma_f64 v[116:117], -v[116:117], v[122:123], v[120:121]
	v_div_fmas_f64 v[116:117], v[116:117], v[118:119], v[122:123]
	v_div_fixup_f64 v[114:115], v[116:117], v[114:115], 1.0
	ds_write_b64 v1, v[114:115]
.LBB41_69:
	s_or_b32 exec_lo, exec_lo, s1
	s_waitcnt lgkmcnt(0)
	s_barrier
	buffer_gl0_inv
	ds_read_b64 v[114:115], v1
	s_mov_b32 s1, exec_lo
	v_cmpx_lt_u32_e32 13, v0
	s_cbranch_execz .LBB41_71
; %bb.70:
	s_waitcnt lgkmcnt(0)
	v_mul_f64 v[54:55], v[114:115], v[54:55]
	ds_read2_b64 v[116:119], v128 offset0:14 offset1:15
	ds_read2_b64 v[120:123], v128 offset0:16 offset1:17
	;; [unrolled: 1-line block ×3, first 2 shown]
	ds_read_b64 v[129:130], v128 offset:160
	s_waitcnt lgkmcnt(3)
	v_fma_f64 v[64:65], -v[54:55], v[116:117], v[64:65]
	v_fma_f64 v[48:49], -v[54:55], v[118:119], v[48:49]
	s_waitcnt lgkmcnt(2)
	v_fma_f64 v[52:53], -v[54:55], v[120:121], v[52:53]
	v_fma_f64 v[46:47], -v[54:55], v[122:123], v[46:47]
	;; [unrolled: 3-line block ×3, first 2 shown]
	s_waitcnt lgkmcnt(0)
	v_fma_f64 v[78:79], -v[54:55], v[129:130], v[78:79]
.LBB41_71:
	s_or_b32 exec_lo, exec_lo, s1
	s_mov_b32 s1, exec_lo
	s_waitcnt lgkmcnt(0)
	s_barrier
	buffer_gl0_inv
	v_cmpx_eq_u32_e32 14, v0
	s_cbranch_execz .LBB41_74
; %bb.72:
	ds_write_b64 v1, v[64:65]
	ds_write2_b64 v128, v[48:49], v[52:53] offset0:15 offset1:16
	ds_write2_b64 v128, v[46:47], v[50:51] offset0:17 offset1:18
	ds_write2_b64 v128, v[44:45], v[78:79] offset0:19 offset1:20
	ds_read_b64 v[116:117], v1
	s_waitcnt lgkmcnt(0)
	v_cmp_neq_f64_e32 vcc_lo, 0, v[116:117]
	s_and_b32 exec_lo, exec_lo, vcc_lo
	s_cbranch_execz .LBB41_74
; %bb.73:
	v_div_scale_f64 v[118:119], null, v[116:117], v[116:117], 1.0
	v_rcp_f64_e32 v[120:121], v[118:119]
	v_fma_f64 v[122:123], -v[118:119], v[120:121], 1.0
	v_fma_f64 v[120:121], v[120:121], v[122:123], v[120:121]
	v_fma_f64 v[122:123], -v[118:119], v[120:121], 1.0
	v_fma_f64 v[120:121], v[120:121], v[122:123], v[120:121]
	v_div_scale_f64 v[122:123], vcc_lo, 1.0, v[116:117], 1.0
	v_mul_f64 v[124:125], v[122:123], v[120:121]
	v_fma_f64 v[118:119], -v[118:119], v[124:125], v[122:123]
	v_div_fmas_f64 v[118:119], v[118:119], v[120:121], v[124:125]
	v_div_fixup_f64 v[116:117], v[118:119], v[116:117], 1.0
	ds_write_b64 v1, v[116:117]
.LBB41_74:
	s_or_b32 exec_lo, exec_lo, s1
	s_waitcnt lgkmcnt(0)
	s_barrier
	buffer_gl0_inv
	ds_read_b64 v[116:117], v1
	s_mov_b32 s1, exec_lo
	v_cmpx_lt_u32_e32 14, v0
	s_cbranch_execz .LBB41_76
; %bb.75:
	s_waitcnt lgkmcnt(0)
	v_mul_f64 v[64:65], v[116:117], v[64:65]
	ds_read2_b64 v[118:121], v128 offset0:15 offset1:16
	ds_read2_b64 v[122:125], v128 offset0:17 offset1:18
	;; [unrolled: 1-line block ×3, first 2 shown]
	s_waitcnt lgkmcnt(2)
	v_fma_f64 v[48:49], -v[64:65], v[118:119], v[48:49]
	v_fma_f64 v[52:53], -v[64:65], v[120:121], v[52:53]
	s_waitcnt lgkmcnt(1)
	v_fma_f64 v[46:47], -v[64:65], v[122:123], v[46:47]
	v_fma_f64 v[50:51], -v[64:65], v[124:125], v[50:51]
	;; [unrolled: 3-line block ×3, first 2 shown]
.LBB41_76:
	s_or_b32 exec_lo, exec_lo, s1
	s_mov_b32 s1, exec_lo
	s_waitcnt lgkmcnt(0)
	s_barrier
	buffer_gl0_inv
	v_cmpx_eq_u32_e32 15, v0
	s_cbranch_execz .LBB41_79
; %bb.77:
	v_mov_b32_e32 v118, v52
	v_mov_b32_e32 v119, v53
	;; [unrolled: 1-line block ×8, first 2 shown]
	ds_write_b64 v1, v[48:49]
	ds_write2_b64 v128, v[118:119], v[120:121] offset0:16 offset1:17
	ds_write2_b64 v128, v[122:123], v[124:125] offset0:18 offset1:19
	ds_write_b64 v128, v[78:79] offset:160
	ds_read_b64 v[118:119], v1
	s_waitcnt lgkmcnt(0)
	v_cmp_neq_f64_e32 vcc_lo, 0, v[118:119]
	s_and_b32 exec_lo, exec_lo, vcc_lo
	s_cbranch_execz .LBB41_79
; %bb.78:
	v_div_scale_f64 v[120:121], null, v[118:119], v[118:119], 1.0
	v_rcp_f64_e32 v[122:123], v[120:121]
	v_fma_f64 v[124:125], -v[120:121], v[122:123], 1.0
	v_fma_f64 v[122:123], v[122:123], v[124:125], v[122:123]
	v_fma_f64 v[124:125], -v[120:121], v[122:123], 1.0
	v_fma_f64 v[122:123], v[122:123], v[124:125], v[122:123]
	v_div_scale_f64 v[124:125], vcc_lo, 1.0, v[118:119], 1.0
	v_mul_f64 v[126:127], v[124:125], v[122:123]
	v_fma_f64 v[120:121], -v[120:121], v[126:127], v[124:125]
	v_div_fmas_f64 v[120:121], v[120:121], v[122:123], v[126:127]
	v_div_fixup_f64 v[118:119], v[120:121], v[118:119], 1.0
	ds_write_b64 v1, v[118:119]
.LBB41_79:
	s_or_b32 exec_lo, exec_lo, s1
	s_waitcnt lgkmcnt(0)
	s_barrier
	buffer_gl0_inv
	ds_read_b64 v[118:119], v1
	s_mov_b32 s1, exec_lo
	v_cmpx_lt_u32_e32 15, v0
	s_cbranch_execz .LBB41_81
; %bb.80:
	s_waitcnt lgkmcnt(0)
	v_mul_f64 v[48:49], v[118:119], v[48:49]
	ds_read2_b64 v[120:123], v128 offset0:16 offset1:17
	ds_read2_b64 v[124:127], v128 offset0:18 offset1:19
	ds_read_b64 v[129:130], v128 offset:160
	s_waitcnt lgkmcnt(2)
	v_fma_f64 v[52:53], -v[48:49], v[120:121], v[52:53]
	v_fma_f64 v[46:47], -v[48:49], v[122:123], v[46:47]
	s_waitcnt lgkmcnt(1)
	v_fma_f64 v[50:51], -v[48:49], v[124:125], v[50:51]
	v_fma_f64 v[44:45], -v[48:49], v[126:127], v[44:45]
	s_waitcnt lgkmcnt(0)
	v_fma_f64 v[78:79], -v[48:49], v[129:130], v[78:79]
.LBB41_81:
	s_or_b32 exec_lo, exec_lo, s1
	s_mov_b32 s1, exec_lo
	s_waitcnt lgkmcnt(0)
	s_barrier
	buffer_gl0_inv
	v_cmpx_eq_u32_e32 16, v0
	s_cbranch_execz .LBB41_84
; %bb.82:
	ds_write_b64 v1, v[52:53]
	ds_write2_b64 v128, v[46:47], v[50:51] offset0:17 offset1:18
	ds_write2_b64 v128, v[44:45], v[78:79] offset0:19 offset1:20
	ds_read_b64 v[120:121], v1
	s_waitcnt lgkmcnt(0)
	v_cmp_neq_f64_e32 vcc_lo, 0, v[120:121]
	s_and_b32 exec_lo, exec_lo, vcc_lo
	s_cbranch_execz .LBB41_84
; %bb.83:
	v_div_scale_f64 v[122:123], null, v[120:121], v[120:121], 1.0
	v_rcp_f64_e32 v[124:125], v[122:123]
	v_fma_f64 v[126:127], -v[122:123], v[124:125], 1.0
	v_fma_f64 v[124:125], v[124:125], v[126:127], v[124:125]
	v_fma_f64 v[126:127], -v[122:123], v[124:125], 1.0
	v_fma_f64 v[124:125], v[124:125], v[126:127], v[124:125]
	v_div_scale_f64 v[126:127], vcc_lo, 1.0, v[120:121], 1.0
	v_mul_f64 v[129:130], v[126:127], v[124:125]
	v_fma_f64 v[122:123], -v[122:123], v[129:130], v[126:127]
	v_div_fmas_f64 v[122:123], v[122:123], v[124:125], v[129:130]
	v_div_fixup_f64 v[120:121], v[122:123], v[120:121], 1.0
	ds_write_b64 v1, v[120:121]
.LBB41_84:
	s_or_b32 exec_lo, exec_lo, s1
	s_waitcnt lgkmcnt(0)
	s_barrier
	buffer_gl0_inv
	ds_read_b64 v[120:121], v1
	s_mov_b32 s1, exec_lo
	v_cmpx_lt_u32_e32 16, v0
	s_cbranch_execz .LBB41_86
; %bb.85:
	s_waitcnt lgkmcnt(0)
	v_mul_f64 v[52:53], v[120:121], v[52:53]
	ds_read2_b64 v[122:125], v128 offset0:17 offset1:18
	ds_read2_b64 v[129:132], v128 offset0:19 offset1:20
	s_waitcnt lgkmcnt(1)
	v_fma_f64 v[46:47], -v[52:53], v[122:123], v[46:47]
	v_fma_f64 v[50:51], -v[52:53], v[124:125], v[50:51]
	s_waitcnt lgkmcnt(0)
	v_fma_f64 v[44:45], -v[52:53], v[129:130], v[44:45]
	v_fma_f64 v[78:79], -v[52:53], v[131:132], v[78:79]
.LBB41_86:
	s_or_b32 exec_lo, exec_lo, s1
	s_mov_b32 s1, exec_lo
	s_waitcnt lgkmcnt(0)
	s_barrier
	buffer_gl0_inv
	v_cmpx_eq_u32_e32 17, v0
	s_cbranch_execz .LBB41_89
; %bb.87:
	v_mov_b32_e32 v122, v50
	v_mov_b32_e32 v123, v51
	;; [unrolled: 1-line block ×4, first 2 shown]
	ds_write_b64 v1, v[46:47]
	ds_write2_b64 v128, v[122:123], v[124:125] offset0:18 offset1:19
	ds_write_b64 v128, v[78:79] offset:160
	ds_read_b64 v[122:123], v1
	s_waitcnt lgkmcnt(0)
	v_cmp_neq_f64_e32 vcc_lo, 0, v[122:123]
	s_and_b32 exec_lo, exec_lo, vcc_lo
	s_cbranch_execz .LBB41_89
; %bb.88:
	v_div_scale_f64 v[124:125], null, v[122:123], v[122:123], 1.0
	v_rcp_f64_e32 v[126:127], v[124:125]
	v_fma_f64 v[129:130], -v[124:125], v[126:127], 1.0
	v_fma_f64 v[126:127], v[126:127], v[129:130], v[126:127]
	v_fma_f64 v[129:130], -v[124:125], v[126:127], 1.0
	v_fma_f64 v[126:127], v[126:127], v[129:130], v[126:127]
	v_div_scale_f64 v[129:130], vcc_lo, 1.0, v[122:123], 1.0
	v_mul_f64 v[131:132], v[129:130], v[126:127]
	v_fma_f64 v[124:125], -v[124:125], v[131:132], v[129:130]
	v_div_fmas_f64 v[124:125], v[124:125], v[126:127], v[131:132]
	v_div_fixup_f64 v[122:123], v[124:125], v[122:123], 1.0
	ds_write_b64 v1, v[122:123]
.LBB41_89:
	s_or_b32 exec_lo, exec_lo, s1
	s_waitcnt lgkmcnt(0)
	s_barrier
	buffer_gl0_inv
	ds_read_b64 v[122:123], v1
	s_mov_b32 s1, exec_lo
	v_cmpx_lt_u32_e32 17, v0
	s_cbranch_execz .LBB41_91
; %bb.90:
	s_waitcnt lgkmcnt(0)
	v_mul_f64 v[46:47], v[122:123], v[46:47]
	ds_read2_b64 v[124:127], v128 offset0:18 offset1:19
	ds_read_b64 v[129:130], v128 offset:160
	s_waitcnt lgkmcnt(1)
	v_fma_f64 v[50:51], -v[46:47], v[124:125], v[50:51]
	v_fma_f64 v[44:45], -v[46:47], v[126:127], v[44:45]
	s_waitcnt lgkmcnt(0)
	v_fma_f64 v[78:79], -v[46:47], v[129:130], v[78:79]
.LBB41_91:
	s_or_b32 exec_lo, exec_lo, s1
	s_mov_b32 s1, exec_lo
	s_waitcnt lgkmcnt(0)
	s_barrier
	buffer_gl0_inv
	v_cmpx_eq_u32_e32 18, v0
	s_cbranch_execz .LBB41_94
; %bb.92:
	ds_write_b64 v1, v[50:51]
	ds_write2_b64 v128, v[44:45], v[78:79] offset0:19 offset1:20
	ds_read_b64 v[124:125], v1
	s_waitcnt lgkmcnt(0)
	v_cmp_neq_f64_e32 vcc_lo, 0, v[124:125]
	s_and_b32 exec_lo, exec_lo, vcc_lo
	s_cbranch_execz .LBB41_94
; %bb.93:
	v_div_scale_f64 v[126:127], null, v[124:125], v[124:125], 1.0
	v_rcp_f64_e32 v[129:130], v[126:127]
	v_fma_f64 v[131:132], -v[126:127], v[129:130], 1.0
	v_fma_f64 v[129:130], v[129:130], v[131:132], v[129:130]
	v_fma_f64 v[131:132], -v[126:127], v[129:130], 1.0
	v_fma_f64 v[129:130], v[129:130], v[131:132], v[129:130]
	v_div_scale_f64 v[131:132], vcc_lo, 1.0, v[124:125], 1.0
	v_mul_f64 v[133:134], v[131:132], v[129:130]
	v_fma_f64 v[126:127], -v[126:127], v[133:134], v[131:132]
	v_div_fmas_f64 v[126:127], v[126:127], v[129:130], v[133:134]
	v_div_fixup_f64 v[124:125], v[126:127], v[124:125], 1.0
	ds_write_b64 v1, v[124:125]
.LBB41_94:
	s_or_b32 exec_lo, exec_lo, s1
	s_waitcnt lgkmcnt(0)
	s_barrier
	buffer_gl0_inv
	ds_read_b64 v[124:125], v1
	s_mov_b32 s1, exec_lo
	v_cmpx_lt_u32_e32 18, v0
	s_cbranch_execz .LBB41_96
; %bb.95:
	s_waitcnt lgkmcnt(0)
	v_mul_f64 v[50:51], v[124:125], v[50:51]
	ds_read2_b64 v[129:132], v128 offset0:19 offset1:20
	s_waitcnt lgkmcnt(0)
	v_fma_f64 v[44:45], -v[50:51], v[129:130], v[44:45]
	v_fma_f64 v[78:79], -v[50:51], v[131:132], v[78:79]
.LBB41_96:
	s_or_b32 exec_lo, exec_lo, s1
	s_mov_b32 s1, exec_lo
	s_waitcnt lgkmcnt(0)
	s_barrier
	buffer_gl0_inv
	v_cmpx_eq_u32_e32 19, v0
	s_cbranch_execz .LBB41_99
; %bb.97:
	ds_write_b64 v1, v[44:45]
	ds_write_b64 v128, v[78:79] offset:160
	ds_read_b64 v[126:127], v1
	s_waitcnt lgkmcnt(0)
	v_cmp_neq_f64_e32 vcc_lo, 0, v[126:127]
	s_and_b32 exec_lo, exec_lo, vcc_lo
	s_cbranch_execz .LBB41_99
; %bb.98:
	v_div_scale_f64 v[129:130], null, v[126:127], v[126:127], 1.0
	v_rcp_f64_e32 v[131:132], v[129:130]
	v_fma_f64 v[133:134], -v[129:130], v[131:132], 1.0
	v_fma_f64 v[131:132], v[131:132], v[133:134], v[131:132]
	v_fma_f64 v[133:134], -v[129:130], v[131:132], 1.0
	v_fma_f64 v[131:132], v[131:132], v[133:134], v[131:132]
	v_div_scale_f64 v[133:134], vcc_lo, 1.0, v[126:127], 1.0
	v_mul_f64 v[135:136], v[133:134], v[131:132]
	v_fma_f64 v[129:130], -v[129:130], v[135:136], v[133:134]
	v_div_fmas_f64 v[129:130], v[129:130], v[131:132], v[135:136]
	v_div_fixup_f64 v[126:127], v[129:130], v[126:127], 1.0
	ds_write_b64 v1, v[126:127]
.LBB41_99:
	s_or_b32 exec_lo, exec_lo, s1
	s_waitcnt lgkmcnt(0)
	s_barrier
	buffer_gl0_inv
	ds_read_b64 v[126:127], v1
	s_mov_b32 s1, exec_lo
	v_cmpx_lt_u32_e32 19, v0
	s_cbranch_execz .LBB41_101
; %bb.100:
	s_waitcnt lgkmcnt(0)
	v_mul_f64 v[44:45], v[126:127], v[44:45]
	ds_read_b64 v[128:129], v128 offset:160
	s_waitcnt lgkmcnt(0)
	v_fma_f64 v[78:79], -v[44:45], v[128:129], v[78:79]
.LBB41_101:
	s_or_b32 exec_lo, exec_lo, s1
	s_mov_b32 s1, exec_lo
	s_waitcnt lgkmcnt(0)
	s_barrier
	buffer_gl0_inv
	v_cmpx_eq_u32_e32 20, v0
	s_cbranch_execz .LBB41_104
; %bb.102:
	v_cmp_neq_f64_e32 vcc_lo, 0, v[78:79]
	ds_write_b64 v1, v[78:79]
	s_and_b32 exec_lo, exec_lo, vcc_lo
	s_cbranch_execz .LBB41_104
; %bb.103:
	v_div_scale_f64 v[128:129], null, v[78:79], v[78:79], 1.0
	v_rcp_f64_e32 v[130:131], v[128:129]
	v_fma_f64 v[132:133], -v[128:129], v[130:131], 1.0
	v_fma_f64 v[130:131], v[130:131], v[132:133], v[130:131]
	v_fma_f64 v[132:133], -v[128:129], v[130:131], 1.0
	v_fma_f64 v[130:131], v[130:131], v[132:133], v[130:131]
	v_div_scale_f64 v[132:133], vcc_lo, 1.0, v[78:79], 1.0
	v_mul_f64 v[134:135], v[132:133], v[130:131]
	v_fma_f64 v[128:129], -v[128:129], v[134:135], v[132:133]
	v_div_fmas_f64 v[128:129], v[128:129], v[130:131], v[134:135]
	v_div_fixup_f64 v[128:129], v[128:129], v[78:79], 1.0
	ds_write_b64 v1, v[128:129]
.LBB41_104:
	s_or_b32 exec_lo, exec_lo, s1
	s_waitcnt lgkmcnt(0)
	s_barrier
	buffer_gl0_inv
	ds_read_b64 v[128:129], v1
	s_waitcnt lgkmcnt(0)
	s_barrier
	buffer_gl0_inv
	s_and_saveexec_b32 s3, s0
	s_cbranch_execz .LBB41_107
; %bb.105:
	s_load_dwordx2 s[0:1], s[4:5], 0x28
	v_lshlrev_b64 v[1:2], 2, v[2:3]
	v_cmp_eq_f64_e64 s2, 0, v[94:95]
	s_waitcnt lgkmcnt(0)
	v_add_co_u32 v1, vcc_lo, s0, v1
	v_add_co_ci_u32_e64 v2, null, s1, v2, vcc_lo
	v_cmp_eq_f64_e32 vcc_lo, 0, v[88:89]
	v_cmp_neq_f64_e64 s0, 0, v[90:91]
	v_cmp_eq_f64_e64 s1, 0, v[92:93]
	global_load_dword v130, v[1:2], off
	v_cndmask_b32_e64 v3, 0, 1, vcc_lo
	s_or_b32 vcc_lo, s0, vcc_lo
	v_cmp_eq_f64_e64 s0, 0, v[96:97]
	v_cndmask_b32_e32 v3, 2, v3, vcc_lo
	v_cmp_eq_u32_e32 vcc_lo, 0, v3
	s_and_b32 s1, s1, vcc_lo
	v_cndmask_b32_e64 v3, v3, 3, s1
	v_cmp_eq_f64_e64 s1, 0, v[98:99]
	v_cmp_eq_u32_e32 vcc_lo, 0, v3
	s_and_b32 s2, s2, vcc_lo
	v_cndmask_b32_e64 v3, v3, 4, s2
	v_cmp_eq_f64_e64 s2, 0, v[100:101]
	;; [unrolled: 4-line block ×16, first 2 shown]
	v_cmp_eq_u32_e32 vcc_lo, 0, v3
	s_and_b32 s2, s2, vcc_lo
	v_cndmask_b32_e64 v3, v3, 19, s2
	v_cmp_eq_u32_e32 vcc_lo, 0, v3
	s_and_b32 s0, s0, vcc_lo
	v_cndmask_b32_e64 v3, v3, 20, s0
	;; [unrolled: 3-line block ×3, first 2 shown]
	v_cmp_ne_u32_e64 s0, 0, v3
	s_waitcnt vmcnt(0)
	v_cmp_eq_u32_e32 vcc_lo, 0, v130
	s_and_b32 s0, vcc_lo, s0
	s_and_b32 exec_lo, exec_lo, s0
	s_cbranch_execz .LBB41_107
; %bb.106:
	v_add_nc_u32_e32 v3, s9, v3
	global_store_dword v[1:2], v3, off
.LBB41_107:
	s_or_b32 exec_lo, exec_lo, s3
	v_mul_f64 v[1:2], v[128:129], v[78:79]
	v_cmp_lt_u32_e32 vcc_lo, 20, v0
	flat_store_dwordx2 v[4:5], v[80:81]
	flat_store_dwordx2 v[76:77], v[84:85]
	;; [unrolled: 1-line block ×15, first 2 shown]
	v_cndmask_b32_e32 v2, v79, v2, vcc_lo
	v_cndmask_b32_e32 v1, v78, v1, vcc_lo
	flat_store_dwordx2 v[30:31], v[48:49]
	flat_store_dwordx2 v[34:35], v[52:53]
	;; [unrolled: 1-line block ×6, first 2 shown]
.LBB41_108:
	s_endpgm
	.section	.rodata,"a",@progbits
	.p2align	6, 0x0
	.amdhsa_kernel _ZN9rocsolver6v33100L23getf2_npvt_small_kernelILi21EdiiPKPdEEvT1_T3_lS5_lPT2_S5_S5_
		.amdhsa_group_segment_fixed_size 0
		.amdhsa_private_segment_fixed_size 0
		.amdhsa_kernarg_size 312
		.amdhsa_user_sgpr_count 6
		.amdhsa_user_sgpr_private_segment_buffer 1
		.amdhsa_user_sgpr_dispatch_ptr 0
		.amdhsa_user_sgpr_queue_ptr 0
		.amdhsa_user_sgpr_kernarg_segment_ptr 1
		.amdhsa_user_sgpr_dispatch_id 0
		.amdhsa_user_sgpr_flat_scratch_init 0
		.amdhsa_user_sgpr_private_segment_size 0
		.amdhsa_wavefront_size32 1
		.amdhsa_uses_dynamic_stack 0
		.amdhsa_system_sgpr_private_segment_wavefront_offset 0
		.amdhsa_system_sgpr_workgroup_id_x 1
		.amdhsa_system_sgpr_workgroup_id_y 1
		.amdhsa_system_sgpr_workgroup_id_z 0
		.amdhsa_system_sgpr_workgroup_info 0
		.amdhsa_system_vgpr_workitem_id 1
		.amdhsa_next_free_vgpr 137
		.amdhsa_next_free_sgpr 11
		.amdhsa_reserve_vcc 1
		.amdhsa_reserve_flat_scratch 1
		.amdhsa_float_round_mode_32 0
		.amdhsa_float_round_mode_16_64 0
		.amdhsa_float_denorm_mode_32 3
		.amdhsa_float_denorm_mode_16_64 3
		.amdhsa_dx10_clamp 1
		.amdhsa_ieee_mode 1
		.amdhsa_fp16_overflow 0
		.amdhsa_workgroup_processor_mode 1
		.amdhsa_memory_ordered 1
		.amdhsa_forward_progress 1
		.amdhsa_shared_vgpr_count 0
		.amdhsa_exception_fp_ieee_invalid_op 0
		.amdhsa_exception_fp_denorm_src 0
		.amdhsa_exception_fp_ieee_div_zero 0
		.amdhsa_exception_fp_ieee_overflow 0
		.amdhsa_exception_fp_ieee_underflow 0
		.amdhsa_exception_fp_ieee_inexact 0
		.amdhsa_exception_int_div_zero 0
	.end_amdhsa_kernel
	.section	.text._ZN9rocsolver6v33100L23getf2_npvt_small_kernelILi21EdiiPKPdEEvT1_T3_lS5_lPT2_S5_S5_,"axG",@progbits,_ZN9rocsolver6v33100L23getf2_npvt_small_kernelILi21EdiiPKPdEEvT1_T3_lS5_lPT2_S5_S5_,comdat
.Lfunc_end41:
	.size	_ZN9rocsolver6v33100L23getf2_npvt_small_kernelILi21EdiiPKPdEEvT1_T3_lS5_lPT2_S5_S5_, .Lfunc_end41-_ZN9rocsolver6v33100L23getf2_npvt_small_kernelILi21EdiiPKPdEEvT1_T3_lS5_lPT2_S5_S5_
                                        ; -- End function
	.set _ZN9rocsolver6v33100L23getf2_npvt_small_kernelILi21EdiiPKPdEEvT1_T3_lS5_lPT2_S5_S5_.num_vgpr, 137
	.set _ZN9rocsolver6v33100L23getf2_npvt_small_kernelILi21EdiiPKPdEEvT1_T3_lS5_lPT2_S5_S5_.num_agpr, 0
	.set _ZN9rocsolver6v33100L23getf2_npvt_small_kernelILi21EdiiPKPdEEvT1_T3_lS5_lPT2_S5_S5_.numbered_sgpr, 11
	.set _ZN9rocsolver6v33100L23getf2_npvt_small_kernelILi21EdiiPKPdEEvT1_T3_lS5_lPT2_S5_S5_.num_named_barrier, 0
	.set _ZN9rocsolver6v33100L23getf2_npvt_small_kernelILi21EdiiPKPdEEvT1_T3_lS5_lPT2_S5_S5_.private_seg_size, 0
	.set _ZN9rocsolver6v33100L23getf2_npvt_small_kernelILi21EdiiPKPdEEvT1_T3_lS5_lPT2_S5_S5_.uses_vcc, 1
	.set _ZN9rocsolver6v33100L23getf2_npvt_small_kernelILi21EdiiPKPdEEvT1_T3_lS5_lPT2_S5_S5_.uses_flat_scratch, 1
	.set _ZN9rocsolver6v33100L23getf2_npvt_small_kernelILi21EdiiPKPdEEvT1_T3_lS5_lPT2_S5_S5_.has_dyn_sized_stack, 0
	.set _ZN9rocsolver6v33100L23getf2_npvt_small_kernelILi21EdiiPKPdEEvT1_T3_lS5_lPT2_S5_S5_.has_recursion, 0
	.set _ZN9rocsolver6v33100L23getf2_npvt_small_kernelILi21EdiiPKPdEEvT1_T3_lS5_lPT2_S5_S5_.has_indirect_call, 0
	.section	.AMDGPU.csdata,"",@progbits
; Kernel info:
; codeLenInByte = 10716
; TotalNumSgprs: 13
; NumVgprs: 137
; ScratchSize: 0
; MemoryBound: 0
; FloatMode: 240
; IeeeMode: 1
; LDSByteSize: 0 bytes/workgroup (compile time only)
; SGPRBlocks: 0
; VGPRBlocks: 17
; NumSGPRsForWavesPerEU: 13
; NumVGPRsForWavesPerEU: 137
; Occupancy: 7
; WaveLimiterHint : 1
; COMPUTE_PGM_RSRC2:SCRATCH_EN: 0
; COMPUTE_PGM_RSRC2:USER_SGPR: 6
; COMPUTE_PGM_RSRC2:TRAP_HANDLER: 0
; COMPUTE_PGM_RSRC2:TGID_X_EN: 1
; COMPUTE_PGM_RSRC2:TGID_Y_EN: 1
; COMPUTE_PGM_RSRC2:TGID_Z_EN: 0
; COMPUTE_PGM_RSRC2:TIDIG_COMP_CNT: 1
	.section	.text._ZN9rocsolver6v33100L18getf2_small_kernelILi22EdiiPKPdEEvT1_T3_lS5_lPS5_llPT2_S5_S5_S7_l,"axG",@progbits,_ZN9rocsolver6v33100L18getf2_small_kernelILi22EdiiPKPdEEvT1_T3_lS5_lPS5_llPT2_S5_S5_S7_l,comdat
	.globl	_ZN9rocsolver6v33100L18getf2_small_kernelILi22EdiiPKPdEEvT1_T3_lS5_lPS5_llPT2_S5_S5_S7_l ; -- Begin function _ZN9rocsolver6v33100L18getf2_small_kernelILi22EdiiPKPdEEvT1_T3_lS5_lPS5_llPT2_S5_S5_S7_l
	.p2align	8
	.type	_ZN9rocsolver6v33100L18getf2_small_kernelILi22EdiiPKPdEEvT1_T3_lS5_lPS5_llPT2_S5_S5_S7_l,@function
_ZN9rocsolver6v33100L18getf2_small_kernelILi22EdiiPKPdEEvT1_T3_lS5_lPS5_llPT2_S5_S5_S7_l: ; @_ZN9rocsolver6v33100L18getf2_small_kernelILi22EdiiPKPdEEvT1_T3_lS5_lPS5_llPT2_S5_S5_S7_l
; %bb.0:
	s_clause 0x1
	s_load_dword s0, s[4:5], 0x6c
	s_load_dwordx2 s[12:13], s[4:5], 0x48
	s_waitcnt lgkmcnt(0)
	s_lshr_b32 s0, s0, 16
	v_mad_u64_u32 v[2:3], null, s7, s0, v[1:2]
	s_mov_b32 s0, exec_lo
	v_cmpx_gt_i32_e64 s12, v2
	s_cbranch_execz .LBB42_371
; %bb.1:
	s_clause 0x1
	s_load_dwordx4 s[0:3], s[4:5], 0x8
	s_load_dwordx4 s[8:11], s[4:5], 0x50
	v_ashrrev_i32_e32 v3, 31, v2
	v_mov_b32_e32 v46, 0
	v_mov_b32_e32 v47, 0
	v_lshlrev_b64 v[4:5], 3, v[2:3]
	s_waitcnt lgkmcnt(0)
	v_add_co_u32 v4, vcc_lo, s0, v4
	v_add_co_ci_u32_e64 v5, null, s1, v5, vcc_lo
	s_cmp_eq_u64 s[8:9], 0
	s_cselect_b32 s6, -1, 0
	global_load_dwordx2 v[4:5], v[4:5], off
	s_and_b32 vcc_lo, exec_lo, s6
	s_cbranch_vccnz .LBB42_3
; %bb.2:
	v_mul_lo_u32 v8, s11, v2
	v_mul_lo_u32 v9, s10, v3
	v_mad_u64_u32 v[6:7], null, s10, v2, 0
	v_add3_u32 v7, v7, v9, v8
	v_lshlrev_b64 v[6:7], 2, v[6:7]
	v_add_co_u32 v46, vcc_lo, s8, v6
	v_add_co_ci_u32_e64 v47, null, s9, v7, vcc_lo
.LBB42_3:
	s_load_dword s8, s[4:5], 0x18
	s_lshl_b64 s[0:1], s[2:3], 3
	s_load_dword s2, s[4:5], 0x0
	s_waitcnt vmcnt(0)
	v_add_co_u32 v54, vcc_lo, v4, s0
	v_lshlrev_b32_e32 v52, 3, v0
	v_add_co_ci_u32_e64 v55, null, s1, v5, vcc_lo
	v_add_co_u32 v8, vcc_lo, v54, v52
	v_add_co_ci_u32_e64 v9, null, 0, v55, vcc_lo
	s_waitcnt lgkmcnt(0)
	v_add3_u32 v6, s8, s8, v0
	s_ashr_i32 s9, s8, 31
	s_max_i32 s0, s2, 22
	s_lshl_b64 s[10:11], s[8:9], 3
	v_mul_lo_u32 v1, s0, v1
	v_add_nc_u32_e32 v4, s8, v6
	v_ashrrev_i32_e32 v7, 31, v6
	v_add_co_u32 v12, vcc_lo, v8, s10
	v_add_co_ci_u32_e64 v13, null, s11, v9, vcc_lo
	v_add_nc_u32_e32 v10, s8, v4
	v_ashrrev_i32_e32 v5, 31, v4
	v_lshlrev_b64 v[6:7], 3, v[6:7]
	v_lshl_add_u32 v56, v1, 3, 0
	v_lshlrev_b32_e32 v57, 3, v1
	v_add_nc_u32_e32 v14, s8, v10
	v_lshlrev_b64 v[4:5], 3, v[4:5]
	v_ashrrev_i32_e32 v11, 31, v10
	v_add_co_u32 v6, vcc_lo, v54, v6
	v_add_nc_u32_e32 v16, s8, v14
	v_ashrrev_i32_e32 v15, 31, v14
	v_add_co_ci_u32_e64 v7, null, v55, v7, vcc_lo
	v_add_co_u32 v4, vcc_lo, v54, v4
	v_add_nc_u32_e32 v18, s8, v16
	v_lshlrev_b64 v[10:11], 3, v[10:11]
	v_add_co_ci_u32_e64 v5, null, v55, v5, vcc_lo
	v_ashrrev_i32_e32 v17, 31, v16
	v_lshlrev_b64 v[14:15], 3, v[14:15]
	s_clause 0x3
	flat_load_dwordx2 v[40:41], v[8:9]
	flat_load_dwordx2 v[36:37], v[12:13]
	flat_load_dwordx2 v[22:23], v[6:7]
	flat_load_dwordx2 v[20:21], v[4:5]
	v_ashrrev_i32_e32 v19, 31, v18
	v_add_nc_u32_e32 v8, s8, v18
	v_add_co_u32 v4, vcc_lo, v54, v10
	v_lshlrev_b64 v[6:7], 3, v[16:17]
	v_add_co_ci_u32_e64 v5, null, v55, v11, vcc_lo
	v_add_co_u32 v10, vcc_lo, v54, v14
	v_lshlrev_b64 v[12:13], 3, v[18:19]
	v_add_nc_u32_e32 v14, s8, v8
	v_add_co_ci_u32_e64 v11, null, v55, v15, vcc_lo
	v_add_co_u32 v6, vcc_lo, v54, v6
	v_add_nc_u32_e32 v16, s8, v14
	v_add_co_ci_u32_e64 v7, null, v55, v7, vcc_lo
	v_add_co_u32 v12, vcc_lo, v54, v12
	v_add_co_ci_u32_e64 v13, null, v55, v13, vcc_lo
	s_clause 0x3
	flat_load_dwordx2 v[44:45], v[4:5]
	flat_load_dwordx2 v[24:25], v[10:11]
	;; [unrolled: 1-line block ×4, first 2 shown]
	v_add_nc_u32_e32 v10, s8, v16
	v_ashrrev_i32_e32 v9, 31, v8
	v_ashrrev_i32_e32 v15, 31, v14
	;; [unrolled: 1-line block ×3, first 2 shown]
	s_cmp_lt_i32 s2, 2
	v_ashrrev_i32_e32 v11, 31, v10
	v_lshlrev_b64 v[8:9], 3, v[8:9]
	v_lshlrev_b64 v[6:7], 3, v[14:15]
	;; [unrolled: 1-line block ×4, first 2 shown]
	v_add_nc_u32_e32 v10, s8, v10
	v_add_co_u32 v8, vcc_lo, v54, v8
	v_add_co_ci_u32_e64 v9, null, v55, v9, vcc_lo
	v_add_nc_u32_e32 v16, s8, v10
	v_add_co_u32 v6, vcc_lo, v54, v6
	v_add_co_ci_u32_e64 v7, null, v55, v7, vcc_lo
	v_add_co_u32 v12, vcc_lo, v54, v12
	v_ashrrev_i32_e32 v11, 31, v10
	v_add_nc_u32_e32 v28, s8, v16
	v_add_co_ci_u32_e64 v13, null, v55, v13, vcc_lo
	v_add_co_u32 v14, vcc_lo, v54, v14
	v_add_co_ci_u32_e64 v15, null, v55, v15, vcc_lo
	v_lshlrev_b64 v[18:19], 3, v[10:11]
	s_clause 0x3
	flat_load_dwordx2 v[38:39], v[8:9]
	flat_load_dwordx2 v[34:35], v[6:7]
	;; [unrolled: 1-line block ×4, first 2 shown]
	v_add_nc_u32_e32 v12, s8, v28
	v_ashrrev_i32_e32 v17, 31, v16
	v_ashrrev_i32_e32 v29, 31, v28
	v_add_co_u32 v14, vcc_lo, v54, v18
	v_ashrrev_i32_e32 v13, 31, v12
	v_add_co_ci_u32_e64 v15, null, v55, v19, vcc_lo
	v_lshlrev_b64 v[6:7], 3, v[16:17]
	v_lshlrev_b64 v[16:17], 3, v[28:29]
	;; [unrolled: 1-line block ×3, first 2 shown]
	v_add_nc_u32_e32 v12, s8, v12
	v_add_co_u32 v6, vcc_lo, v54, v6
	v_add_nc_u32_e32 v42, s8, v12
	v_add_co_ci_u32_e64 v7, null, v55, v7, vcc_lo
	v_add_co_u32 v16, vcc_lo, v54, v16
	v_add_nc_u32_e32 v48, s8, v42
	v_add_co_ci_u32_e64 v17, null, v55, v17, vcc_lo
	v_add_co_u32 v18, vcc_lo, v54, v18
	v_add_co_ci_u32_e64 v19, null, v55, v19, vcc_lo
	v_ashrrev_i32_e32 v43, 31, v42
	s_clause 0x3
	flat_load_dwordx2 v[32:33], v[14:15]
	flat_load_dwordx2 v[28:29], v[6:7]
	;; [unrolled: 1-line block ×4, first 2 shown]
	v_add_nc_u32_e32 v16, s8, v48
	v_ashrrev_i32_e32 v13, 31, v12
	v_ashrrev_i32_e32 v49, 31, v48
	v_lshlrev_b64 v[14:15], 3, v[42:43]
	v_add_nc_u32_e32 v42, s8, v16
	v_lshlrev_b64 v[12:13], 3, v[12:13]
	v_lshlrev_b64 v[18:19], 3, v[48:49]
	v_ashrrev_i32_e32 v17, 31, v16
	v_add_nc_u32_e32 v48, s8, v42
	v_ashrrev_i32_e32 v43, 31, v42
	v_add_co_u32 v12, vcc_lo, v54, v12
	v_lshlrev_b64 v[16:17], 3, v[16:17]
	v_ashrrev_i32_e32 v49, 31, v48
	v_add_co_ci_u32_e64 v13, null, v55, v13, vcc_lo
	v_add_co_u32 v14, vcc_lo, v54, v14
	v_lshlrev_b64 v[42:43], 3, v[42:43]
	v_add_co_ci_u32_e64 v15, null, v55, v15, vcc_lo
	v_add_co_u32 v18, vcc_lo, v54, v18
	v_lshlrev_b64 v[48:49], 3, v[48:49]
	v_add_co_ci_u32_e64 v19, null, v55, v19, vcc_lo
	v_add_co_u32 v16, vcc_lo, v54, v16
	v_add_co_ci_u32_e64 v17, null, v55, v17, vcc_lo
	v_add_co_u32 v50, vcc_lo, v54, v42
	;; [unrolled: 2-line block ×3, first 2 shown]
	v_add_co_ci_u32_e64 v49, null, v55, v49, vcc_lo
	s_clause 0x5
	flat_load_dwordx2 v[42:43], v[12:13]
	flat_load_dwordx2 v[14:15], v[14:15]
	;; [unrolled: 1-line block ×6, first 2 shown]
	v_add_nc_u32_e32 v50, v56, v52
	v_mov_b32_e32 v52, 0
	s_waitcnt vmcnt(21) lgkmcnt(21)
	ds_write_b64 v50, v[40:41]
	s_waitcnt vmcnt(0) lgkmcnt(0)
	s_barrier
	buffer_gl0_inv
	ds_read_b64 v[50:51], v56
	s_cbranch_scc1 .LBB42_6
; %bb.4:
	v_add3_u32 v1, v57, 0, 8
	v_mov_b32_e32 v52, 0
	s_mov_b32 s0, 1
.LBB42_5:                               ; =>This Inner Loop Header: Depth=1
	ds_read_b64 v[58:59], v1
	v_add_nc_u32_e32 v1, 8, v1
	s_waitcnt lgkmcnt(0)
	v_cmp_lt_f64_e64 vcc_lo, |v[50:51]|, |v[58:59]|
	v_cndmask_b32_e32 v51, v51, v59, vcc_lo
	v_cndmask_b32_e32 v50, v50, v58, vcc_lo
	v_cndmask_b32_e64 v52, v52, s0, vcc_lo
	s_add_i32 s0, s0, 1
	s_cmp_eq_u32 s2, s0
	s_cbranch_scc0 .LBB42_5
.LBB42_6:
	s_mov_b32 s0, exec_lo
                                        ; implicit-def: $vgpr59
	v_cmpx_ne_u32_e64 v0, v52
	s_xor_b32 s0, exec_lo, s0
	s_cbranch_execz .LBB42_12
; %bb.7:
	s_mov_b32 s1, exec_lo
	v_cmpx_eq_u32_e32 0, v0
	s_cbranch_execz .LBB42_11
; %bb.8:
	v_cmp_ne_u32_e32 vcc_lo, 0, v52
	s_xor_b32 s3, s6, -1
	s_and_b32 s7, s3, vcc_lo
	s_and_saveexec_b32 s3, s7
	s_cbranch_execz .LBB42_10
; %bb.9:
	v_ashrrev_i32_e32 v53, 31, v52
	v_lshlrev_b64 v[0:1], 2, v[52:53]
	v_add_co_u32 v0, vcc_lo, v46, v0
	v_add_co_ci_u32_e64 v1, null, v47, v1, vcc_lo
	s_clause 0x1
	global_load_dword v53, v[0:1], off
	global_load_dword v58, v[46:47], off
	s_waitcnt vmcnt(1)
	global_store_dword v[46:47], v53, off
	s_waitcnt vmcnt(0)
	global_store_dword v[0:1], v58, off
.LBB42_10:
	s_or_b32 exec_lo, exec_lo, s3
	v_mov_b32_e32 v0, v52
.LBB42_11:
	s_or_b32 exec_lo, exec_lo, s1
	v_mov_b32_e32 v59, v0
                                        ; implicit-def: $vgpr0
.LBB42_12:
	s_or_saveexec_b32 s0, s0
	v_mov_b32_e32 v53, v59
	s_xor_b32 exec_lo, exec_lo, s0
	s_cbranch_execz .LBB42_14
; %bb.13:
	v_mov_b32_e32 v59, 0
	v_mov_b32_e32 v53, v0
	ds_write2_b64 v56, v[36:37], v[22:23] offset0:1 offset1:2
	ds_write2_b64 v56, v[20:21], v[44:45] offset0:3 offset1:4
	;; [unrolled: 1-line block ×10, first 2 shown]
	ds_write_b64 v56, v[48:49] offset:168
.LBB42_14:
	s_or_b32 exec_lo, exec_lo, s0
	s_waitcnt lgkmcnt(0)
	v_cmp_eq_f64_e64 s0, 0, v[50:51]
	s_mov_b32 s1, exec_lo
	s_waitcnt_vscnt null, 0x0
	s_barrier
	buffer_gl0_inv
	v_cmpx_lt_i32_e32 0, v59
	s_cbranch_execz .LBB42_16
; %bb.15:
	v_div_scale_f64 v[0:1], null, v[50:51], v[50:51], 1.0
	v_div_scale_f64 v[64:65], vcc_lo, 1.0, v[50:51], 1.0
	v_rcp_f64_e32 v[60:61], v[0:1]
	v_fma_f64 v[62:63], -v[0:1], v[60:61], 1.0
	v_fma_f64 v[60:61], v[60:61], v[62:63], v[60:61]
	v_fma_f64 v[62:63], -v[0:1], v[60:61], 1.0
	v_fma_f64 v[60:61], v[60:61], v[62:63], v[60:61]
	v_mul_f64 v[62:63], v[64:65], v[60:61]
	v_fma_f64 v[0:1], -v[0:1], v[62:63], v[64:65]
	v_div_fmas_f64 v[0:1], v[0:1], v[60:61], v[62:63]
	v_div_fixup_f64 v[0:1], v[0:1], v[50:51], 1.0
	v_cndmask_b32_e64 v1, v1, v51, s0
	v_cndmask_b32_e64 v0, v0, v50, s0
	v_mul_f64 v[40:41], v[0:1], v[40:41]
	ds_read2_b64 v[60:63], v56 offset0:1 offset1:2
	ds_read2_b64 v[64:67], v56 offset0:3 offset1:4
	;; [unrolled: 1-line block ×10, first 2 shown]
	ds_read_b64 v[0:1], v56 offset:168
	s_waitcnt lgkmcnt(10)
	v_fma_f64 v[36:37], -v[40:41], v[60:61], v[36:37]
	v_fma_f64 v[22:23], -v[40:41], v[62:63], v[22:23]
	s_waitcnt lgkmcnt(9)
	v_fma_f64 v[20:21], -v[40:41], v[64:65], v[20:21]
	v_fma_f64 v[44:45], -v[40:41], v[66:67], v[44:45]
	;; [unrolled: 3-line block ×10, first 2 shown]
	s_waitcnt lgkmcnt(0)
	v_fma_f64 v[48:49], -v[40:41], v[0:1], v[48:49]
.LBB42_16:
	s_or_b32 exec_lo, exec_lo, s1
	v_lshl_add_u32 v0, v59, 3, v56
	s_barrier
	buffer_gl0_inv
	v_mov_b32_e32 v50, 1
	ds_write_b64 v0, v[36:37]
	s_waitcnt lgkmcnt(0)
	s_barrier
	buffer_gl0_inv
	ds_read_b64 v[0:1], v56 offset:8
	s_cmp_lt_i32 s2, 3
	s_cbranch_scc1 .LBB42_19
; %bb.17:
	v_add3_u32 v51, v57, 0, 16
	v_mov_b32_e32 v50, 1
	s_mov_b32 s1, 2
.LBB42_18:                              ; =>This Inner Loop Header: Depth=1
	ds_read_b64 v[60:61], v51
	v_add_nc_u32_e32 v51, 8, v51
	s_waitcnt lgkmcnt(0)
	v_cmp_lt_f64_e64 vcc_lo, |v[0:1]|, |v[60:61]|
	v_cndmask_b32_e32 v1, v1, v61, vcc_lo
	v_cndmask_b32_e32 v0, v0, v60, vcc_lo
	v_cndmask_b32_e64 v50, v50, s1, vcc_lo
	s_add_i32 s1, s1, 1
	s_cmp_lg_u32 s2, s1
	s_cbranch_scc1 .LBB42_18
.LBB42_19:
	s_mov_b32 s1, exec_lo
	v_cmpx_ne_u32_e64 v59, v50
	s_xor_b32 s1, exec_lo, s1
	s_cbranch_execz .LBB42_25
; %bb.20:
	s_mov_b32 s3, exec_lo
	v_cmpx_eq_u32_e32 1, v59
	s_cbranch_execz .LBB42_24
; %bb.21:
	v_cmp_ne_u32_e32 vcc_lo, 1, v50
	s_xor_b32 s7, s6, -1
	s_and_b32 s9, s7, vcc_lo
	s_and_saveexec_b32 s7, s9
	s_cbranch_execz .LBB42_23
; %bb.22:
	v_ashrrev_i32_e32 v51, 31, v50
	v_lshlrev_b64 v[51:52], 2, v[50:51]
	v_add_co_u32 v51, vcc_lo, v46, v51
	v_add_co_ci_u32_e64 v52, null, v47, v52, vcc_lo
	s_clause 0x1
	global_load_dword v53, v[51:52], off
	global_load_dword v58, v[46:47], off offset:4
	s_waitcnt vmcnt(1)
	global_store_dword v[46:47], v53, off offset:4
	s_waitcnt vmcnt(0)
	global_store_dword v[51:52], v58, off
.LBB42_23:
	s_or_b32 exec_lo, exec_lo, s7
	v_mov_b32_e32 v53, v50
	v_mov_b32_e32 v59, v50
.LBB42_24:
	s_or_b32 exec_lo, exec_lo, s3
.LBB42_25:
	s_andn2_saveexec_b32 s1, s1
	s_cbranch_execz .LBB42_27
; %bb.26:
	v_mov_b32_e32 v50, v22
	v_mov_b32_e32 v51, v23
	;; [unrolled: 1-line block ×8, first 2 shown]
	ds_write2_b64 v56, v[50:51], v[58:59] offset0:2 offset1:3
	v_mov_b32_e32 v50, v24
	v_mov_b32_e32 v51, v25
	;; [unrolled: 1-line block ×16, first 2 shown]
	ds_write2_b64 v56, v[60:61], v[50:51] offset0:4 offset1:5
	ds_write2_b64 v56, v[58:59], v[62:63] offset0:6 offset1:7
	;; [unrolled: 1-line block ×5, first 2 shown]
	v_mov_b32_e32 v50, v30
	v_mov_b32_e32 v51, v31
	v_mov_b32_e32 v60, v6
	v_mov_b32_e32 v61, v7
	v_mov_b32_e32 v59, 1
	v_mov_b32_e32 v62, v42
	v_mov_b32_e32 v63, v43
	v_mov_b32_e32 v64, v14
	v_mov_b32_e32 v65, v15
	v_mov_b32_e32 v66, v18
	v_mov_b32_e32 v67, v19
	v_mov_b32_e32 v68, v12
	v_mov_b32_e32 v69, v13
	v_mov_b32_e32 v70, v16
	v_mov_b32_e32 v71, v17
	ds_write2_b64 v56, v[50:51], v[60:61] offset0:14 offset1:15
	ds_write2_b64 v56, v[62:63], v[64:65] offset0:16 offset1:17
	;; [unrolled: 1-line block ×4, first 2 shown]
.LBB42_27:
	s_or_b32 exec_lo, exec_lo, s1
	s_waitcnt lgkmcnt(0)
	v_cmp_neq_f64_e64 s1, 0, v[0:1]
	s_mov_b32 s3, exec_lo
	s_waitcnt_vscnt null, 0x0
	s_barrier
	buffer_gl0_inv
	v_cmpx_lt_i32_e32 1, v59
	s_cbranch_execz .LBB42_29
; %bb.28:
	v_div_scale_f64 v[50:51], null, v[0:1], v[0:1], 1.0
	v_div_scale_f64 v[64:65], vcc_lo, 1.0, v[0:1], 1.0
	v_rcp_f64_e32 v[60:61], v[50:51]
	v_fma_f64 v[62:63], -v[50:51], v[60:61], 1.0
	v_fma_f64 v[60:61], v[60:61], v[62:63], v[60:61]
	v_fma_f64 v[62:63], -v[50:51], v[60:61], 1.0
	v_fma_f64 v[60:61], v[60:61], v[62:63], v[60:61]
	v_mul_f64 v[62:63], v[64:65], v[60:61]
	v_fma_f64 v[50:51], -v[50:51], v[62:63], v[64:65]
	v_div_fmas_f64 v[50:51], v[50:51], v[60:61], v[62:63]
	ds_read2_b64 v[60:63], v56 offset0:2 offset1:3
	ds_read2_b64 v[64:67], v56 offset0:4 offset1:5
	;; [unrolled: 1-line block ×10, first 2 shown]
	v_div_fixup_f64 v[50:51], v[50:51], v[0:1], 1.0
	v_cndmask_b32_e64 v1, v1, v51, s1
	v_cndmask_b32_e64 v0, v0, v50, s1
	v_mul_f64 v[36:37], v[0:1], v[36:37]
	s_waitcnt lgkmcnt(9)
	v_fma_f64 v[22:23], -v[36:37], v[60:61], v[22:23]
	v_fma_f64 v[20:21], -v[36:37], v[62:63], v[20:21]
	s_waitcnt lgkmcnt(8)
	v_fma_f64 v[44:45], -v[36:37], v[64:65], v[44:45]
	v_fma_f64 v[24:25], -v[36:37], v[66:67], v[24:25]
	;; [unrolled: 3-line block ×10, first 2 shown]
.LBB42_29:
	s_or_b32 exec_lo, exec_lo, s3
	v_lshl_add_u32 v0, v59, 3, v56
	s_barrier
	buffer_gl0_inv
	v_mov_b32_e32 v50, 2
	ds_write_b64 v0, v[22:23]
	s_waitcnt lgkmcnt(0)
	s_barrier
	buffer_gl0_inv
	ds_read_b64 v[0:1], v56 offset:16
	s_cmp_lt_i32 s2, 4
	s_mov_b32 s3, 3
	s_cbranch_scc1 .LBB42_32
; %bb.30:
	v_add3_u32 v51, v57, 0, 24
	v_mov_b32_e32 v50, 2
.LBB42_31:                              ; =>This Inner Loop Header: Depth=1
	ds_read_b64 v[60:61], v51
	v_add_nc_u32_e32 v51, 8, v51
	s_waitcnt lgkmcnt(0)
	v_cmp_lt_f64_e64 vcc_lo, |v[0:1]|, |v[60:61]|
	v_cndmask_b32_e32 v1, v1, v61, vcc_lo
	v_cndmask_b32_e32 v0, v0, v60, vcc_lo
	v_cndmask_b32_e64 v50, v50, s3, vcc_lo
	s_add_i32 s3, s3, 1
	s_cmp_lg_u32 s2, s3
	s_cbranch_scc1 .LBB42_31
.LBB42_32:
	v_cndmask_b32_e64 v51, 2, 1, s0
	v_cndmask_b32_e64 v52, 0, 1, s0
	s_mov_b32 s0, exec_lo
	v_cndmask_b32_e64 v58, v51, v52, s1
	s_waitcnt lgkmcnt(0)
	v_cmpx_eq_f64_e32 0, v[0:1]
	s_xor_b32 s0, exec_lo, s0
; %bb.33:
	v_cmp_ne_u32_e32 vcc_lo, 0, v58
	v_cndmask_b32_e32 v58, 3, v58, vcc_lo
; %bb.34:
	s_andn2_saveexec_b32 s0, s0
	s_cbranch_execz .LBB42_36
; %bb.35:
	v_div_scale_f64 v[51:52], null, v[0:1], v[0:1], 1.0
	v_rcp_f64_e32 v[60:61], v[51:52]
	v_fma_f64 v[62:63], -v[51:52], v[60:61], 1.0
	v_fma_f64 v[60:61], v[60:61], v[62:63], v[60:61]
	v_fma_f64 v[62:63], -v[51:52], v[60:61], 1.0
	v_fma_f64 v[60:61], v[60:61], v[62:63], v[60:61]
	v_div_scale_f64 v[62:63], vcc_lo, 1.0, v[0:1], 1.0
	v_mul_f64 v[64:65], v[62:63], v[60:61]
	v_fma_f64 v[51:52], -v[51:52], v[64:65], v[62:63]
	v_div_fmas_f64 v[51:52], v[51:52], v[60:61], v[64:65]
	v_div_fixup_f64 v[0:1], v[51:52], v[0:1], 1.0
.LBB42_36:
	s_or_b32 exec_lo, exec_lo, s0
	s_mov_b32 s0, exec_lo
	v_cmpx_ne_u32_e64 v59, v50
	s_xor_b32 s0, exec_lo, s0
	s_cbranch_execz .LBB42_42
; %bb.37:
	s_mov_b32 s1, exec_lo
	v_cmpx_eq_u32_e32 2, v59
	s_cbranch_execz .LBB42_41
; %bb.38:
	v_cmp_ne_u32_e32 vcc_lo, 2, v50
	s_xor_b32 s3, s6, -1
	s_and_b32 s7, s3, vcc_lo
	s_and_saveexec_b32 s3, s7
	s_cbranch_execz .LBB42_40
; %bb.39:
	v_ashrrev_i32_e32 v51, 31, v50
	v_lshlrev_b64 v[51:52], 2, v[50:51]
	v_add_co_u32 v51, vcc_lo, v46, v51
	v_add_co_ci_u32_e64 v52, null, v47, v52, vcc_lo
	s_clause 0x1
	global_load_dword v53, v[51:52], off
	global_load_dword v59, v[46:47], off offset:8
	s_waitcnt vmcnt(1)
	global_store_dword v[46:47], v53, off offset:8
	s_waitcnt vmcnt(0)
	global_store_dword v[51:52], v59, off
.LBB42_40:
	s_or_b32 exec_lo, exec_lo, s3
	v_mov_b32_e32 v53, v50
	v_mov_b32_e32 v59, v50
.LBB42_41:
	s_or_b32 exec_lo, exec_lo, s1
.LBB42_42:
	s_andn2_saveexec_b32 s0, s0
	s_cbranch_execz .LBB42_44
; %bb.43:
	v_mov_b32_e32 v59, 2
	ds_write2_b64 v56, v[20:21], v[44:45] offset0:3 offset1:4
	ds_write2_b64 v56, v[24:25], v[26:27] offset0:5 offset1:6
	;; [unrolled: 1-line block ×9, first 2 shown]
	ds_write_b64 v56, v[48:49] offset:168
.LBB42_44:
	s_or_b32 exec_lo, exec_lo, s0
	s_mov_b32 s0, exec_lo
	s_waitcnt lgkmcnt(0)
	s_waitcnt_vscnt null, 0x0
	s_barrier
	buffer_gl0_inv
	v_cmpx_lt_i32_e32 2, v59
	s_cbranch_execz .LBB42_46
; %bb.45:
	v_mul_f64 v[22:23], v[0:1], v[22:23]
	ds_read2_b64 v[60:63], v56 offset0:3 offset1:4
	ds_read2_b64 v[64:67], v56 offset0:5 offset1:6
	ds_read2_b64 v[68:71], v56 offset0:7 offset1:8
	ds_read2_b64 v[72:75], v56 offset0:9 offset1:10
	ds_read2_b64 v[76:79], v56 offset0:11 offset1:12
	ds_read2_b64 v[80:83], v56 offset0:13 offset1:14
	ds_read2_b64 v[84:87], v56 offset0:15 offset1:16
	ds_read2_b64 v[88:91], v56 offset0:17 offset1:18
	ds_read2_b64 v[92:95], v56 offset0:19 offset1:20
	ds_read_b64 v[0:1], v56 offset:168
	s_waitcnt lgkmcnt(9)
	v_fma_f64 v[20:21], -v[22:23], v[60:61], v[20:21]
	v_fma_f64 v[44:45], -v[22:23], v[62:63], v[44:45]
	s_waitcnt lgkmcnt(8)
	v_fma_f64 v[24:25], -v[22:23], v[64:65], v[24:25]
	v_fma_f64 v[26:27], -v[22:23], v[66:67], v[26:27]
	;; [unrolled: 3-line block ×9, first 2 shown]
	s_waitcnt lgkmcnt(0)
	v_fma_f64 v[48:49], -v[22:23], v[0:1], v[48:49]
.LBB42_46:
	s_or_b32 exec_lo, exec_lo, s0
	v_lshl_add_u32 v0, v59, 3, v56
	s_barrier
	buffer_gl0_inv
	v_mov_b32_e32 v50, 3
	ds_write_b64 v0, v[20:21]
	s_waitcnt lgkmcnt(0)
	s_barrier
	buffer_gl0_inv
	ds_read_b64 v[0:1], v56 offset:24
	s_cmp_lt_i32 s2, 5
	s_cbranch_scc1 .LBB42_49
; %bb.47:
	v_mov_b32_e32 v50, 3
	v_add3_u32 v51, v57, 0, 32
	s_mov_b32 s0, 4
.LBB42_48:                              ; =>This Inner Loop Header: Depth=1
	ds_read_b64 v[60:61], v51
	v_add_nc_u32_e32 v51, 8, v51
	s_waitcnt lgkmcnt(0)
	v_cmp_lt_f64_e64 vcc_lo, |v[0:1]|, |v[60:61]|
	v_cndmask_b32_e32 v1, v1, v61, vcc_lo
	v_cndmask_b32_e32 v0, v0, v60, vcc_lo
	v_cndmask_b32_e64 v50, v50, s0, vcc_lo
	s_add_i32 s0, s0, 1
	s_cmp_lg_u32 s2, s0
	s_cbranch_scc1 .LBB42_48
.LBB42_49:
	s_mov_b32 s0, exec_lo
	s_waitcnt lgkmcnt(0)
	v_cmpx_eq_f64_e32 0, v[0:1]
	s_xor_b32 s0, exec_lo, s0
; %bb.50:
	v_cmp_ne_u32_e32 vcc_lo, 0, v58
	v_cndmask_b32_e32 v58, 4, v58, vcc_lo
; %bb.51:
	s_andn2_saveexec_b32 s0, s0
	s_cbranch_execz .LBB42_53
; %bb.52:
	v_div_scale_f64 v[51:52], null, v[0:1], v[0:1], 1.0
	v_rcp_f64_e32 v[60:61], v[51:52]
	v_fma_f64 v[62:63], -v[51:52], v[60:61], 1.0
	v_fma_f64 v[60:61], v[60:61], v[62:63], v[60:61]
	v_fma_f64 v[62:63], -v[51:52], v[60:61], 1.0
	v_fma_f64 v[60:61], v[60:61], v[62:63], v[60:61]
	v_div_scale_f64 v[62:63], vcc_lo, 1.0, v[0:1], 1.0
	v_mul_f64 v[64:65], v[62:63], v[60:61]
	v_fma_f64 v[51:52], -v[51:52], v[64:65], v[62:63]
	v_div_fmas_f64 v[51:52], v[51:52], v[60:61], v[64:65]
	v_div_fixup_f64 v[0:1], v[51:52], v[0:1], 1.0
.LBB42_53:
	s_or_b32 exec_lo, exec_lo, s0
	s_mov_b32 s0, exec_lo
	v_cmpx_ne_u32_e64 v59, v50
	s_xor_b32 s0, exec_lo, s0
	s_cbranch_execz .LBB42_59
; %bb.54:
	s_mov_b32 s1, exec_lo
	v_cmpx_eq_u32_e32 3, v59
	s_cbranch_execz .LBB42_58
; %bb.55:
	v_cmp_ne_u32_e32 vcc_lo, 3, v50
	s_xor_b32 s3, s6, -1
	s_and_b32 s7, s3, vcc_lo
	s_and_saveexec_b32 s3, s7
	s_cbranch_execz .LBB42_57
; %bb.56:
	v_ashrrev_i32_e32 v51, 31, v50
	v_lshlrev_b64 v[51:52], 2, v[50:51]
	v_add_co_u32 v51, vcc_lo, v46, v51
	v_add_co_ci_u32_e64 v52, null, v47, v52, vcc_lo
	s_clause 0x1
	global_load_dword v53, v[51:52], off
	global_load_dword v59, v[46:47], off offset:12
	s_waitcnt vmcnt(1)
	global_store_dword v[46:47], v53, off offset:12
	s_waitcnt vmcnt(0)
	global_store_dword v[51:52], v59, off
.LBB42_57:
	s_or_b32 exec_lo, exec_lo, s3
	v_mov_b32_e32 v53, v50
	v_mov_b32_e32 v59, v50
.LBB42_58:
	s_or_b32 exec_lo, exec_lo, s1
.LBB42_59:
	s_andn2_saveexec_b32 s0, s0
	s_cbranch_execz .LBB42_61
; %bb.60:
	v_mov_b32_e32 v50, v44
	v_mov_b32_e32 v51, v45
	;; [unrolled: 1-line block ×20, first 2 shown]
	ds_write2_b64 v56, v[50:51], v[59:60] offset0:4 offset1:5
	ds_write2_b64 v56, v[61:62], v[63:64] offset0:6 offset1:7
	;; [unrolled: 1-line block ×5, first 2 shown]
	v_mov_b32_e32 v50, v30
	v_mov_b32_e32 v51, v31
	;; [unrolled: 1-line block ×15, first 2 shown]
	ds_write2_b64 v56, v[50:51], v[60:61] offset0:14 offset1:15
	ds_write2_b64 v56, v[62:63], v[64:65] offset0:16 offset1:17
	;; [unrolled: 1-line block ×4, first 2 shown]
.LBB42_61:
	s_or_b32 exec_lo, exec_lo, s0
	s_mov_b32 s0, exec_lo
	s_waitcnt lgkmcnt(0)
	s_waitcnt_vscnt null, 0x0
	s_barrier
	buffer_gl0_inv
	v_cmpx_lt_i32_e32 3, v59
	s_cbranch_execz .LBB42_63
; %bb.62:
	v_mul_f64 v[20:21], v[0:1], v[20:21]
	ds_read2_b64 v[60:63], v56 offset0:4 offset1:5
	ds_read2_b64 v[64:67], v56 offset0:6 offset1:7
	;; [unrolled: 1-line block ×9, first 2 shown]
	s_waitcnt lgkmcnt(8)
	v_fma_f64 v[44:45], -v[20:21], v[60:61], v[44:45]
	v_fma_f64 v[24:25], -v[20:21], v[62:63], v[24:25]
	s_waitcnt lgkmcnt(7)
	v_fma_f64 v[26:27], -v[20:21], v[64:65], v[26:27]
	v_fma_f64 v[4:5], -v[20:21], v[66:67], v[4:5]
	;; [unrolled: 3-line block ×9, first 2 shown]
.LBB42_63:
	s_or_b32 exec_lo, exec_lo, s0
	v_lshl_add_u32 v0, v59, 3, v56
	s_barrier
	buffer_gl0_inv
	v_mov_b32_e32 v50, 4
	ds_write_b64 v0, v[44:45]
	s_waitcnt lgkmcnt(0)
	s_barrier
	buffer_gl0_inv
	ds_read_b64 v[0:1], v56 offset:32
	s_cmp_lt_i32 s2, 6
	s_cbranch_scc1 .LBB42_66
; %bb.64:
	v_add3_u32 v51, v57, 0, 40
	v_mov_b32_e32 v50, 4
	s_mov_b32 s0, 5
.LBB42_65:                              ; =>This Inner Loop Header: Depth=1
	ds_read_b64 v[60:61], v51
	v_add_nc_u32_e32 v51, 8, v51
	s_waitcnt lgkmcnt(0)
	v_cmp_lt_f64_e64 vcc_lo, |v[0:1]|, |v[60:61]|
	v_cndmask_b32_e32 v1, v1, v61, vcc_lo
	v_cndmask_b32_e32 v0, v0, v60, vcc_lo
	v_cndmask_b32_e64 v50, v50, s0, vcc_lo
	s_add_i32 s0, s0, 1
	s_cmp_lg_u32 s2, s0
	s_cbranch_scc1 .LBB42_65
.LBB42_66:
	s_mov_b32 s0, exec_lo
	s_waitcnt lgkmcnt(0)
	v_cmpx_eq_f64_e32 0, v[0:1]
	s_xor_b32 s0, exec_lo, s0
; %bb.67:
	v_cmp_ne_u32_e32 vcc_lo, 0, v58
	v_cndmask_b32_e32 v58, 5, v58, vcc_lo
; %bb.68:
	s_andn2_saveexec_b32 s0, s0
	s_cbranch_execz .LBB42_70
; %bb.69:
	v_div_scale_f64 v[51:52], null, v[0:1], v[0:1], 1.0
	v_rcp_f64_e32 v[60:61], v[51:52]
	v_fma_f64 v[62:63], -v[51:52], v[60:61], 1.0
	v_fma_f64 v[60:61], v[60:61], v[62:63], v[60:61]
	v_fma_f64 v[62:63], -v[51:52], v[60:61], 1.0
	v_fma_f64 v[60:61], v[60:61], v[62:63], v[60:61]
	v_div_scale_f64 v[62:63], vcc_lo, 1.0, v[0:1], 1.0
	v_mul_f64 v[64:65], v[62:63], v[60:61]
	v_fma_f64 v[51:52], -v[51:52], v[64:65], v[62:63]
	v_div_fmas_f64 v[51:52], v[51:52], v[60:61], v[64:65]
	v_div_fixup_f64 v[0:1], v[51:52], v[0:1], 1.0
.LBB42_70:
	s_or_b32 exec_lo, exec_lo, s0
	s_mov_b32 s0, exec_lo
	v_cmpx_ne_u32_e64 v59, v50
	s_xor_b32 s0, exec_lo, s0
	s_cbranch_execz .LBB42_76
; %bb.71:
	s_mov_b32 s1, exec_lo
	v_cmpx_eq_u32_e32 4, v59
	s_cbranch_execz .LBB42_75
; %bb.72:
	v_cmp_ne_u32_e32 vcc_lo, 4, v50
	s_xor_b32 s3, s6, -1
	s_and_b32 s7, s3, vcc_lo
	s_and_saveexec_b32 s3, s7
	s_cbranch_execz .LBB42_74
; %bb.73:
	v_ashrrev_i32_e32 v51, 31, v50
	v_lshlrev_b64 v[51:52], 2, v[50:51]
	v_add_co_u32 v51, vcc_lo, v46, v51
	v_add_co_ci_u32_e64 v52, null, v47, v52, vcc_lo
	s_clause 0x1
	global_load_dword v53, v[51:52], off
	global_load_dword v59, v[46:47], off offset:16
	s_waitcnt vmcnt(1)
	global_store_dword v[46:47], v53, off offset:16
	s_waitcnt vmcnt(0)
	global_store_dword v[51:52], v59, off
.LBB42_74:
	s_or_b32 exec_lo, exec_lo, s3
	v_mov_b32_e32 v53, v50
	v_mov_b32_e32 v59, v50
.LBB42_75:
	s_or_b32 exec_lo, exec_lo, s1
.LBB42_76:
	s_andn2_saveexec_b32 s0, s0
	s_cbranch_execz .LBB42_78
; %bb.77:
	v_mov_b32_e32 v59, 4
	ds_write2_b64 v56, v[24:25], v[26:27] offset0:5 offset1:6
	ds_write2_b64 v56, v[4:5], v[38:39] offset0:7 offset1:8
	;; [unrolled: 1-line block ×8, first 2 shown]
	ds_write_b64 v56, v[48:49] offset:168
.LBB42_78:
	s_or_b32 exec_lo, exec_lo, s0
	s_mov_b32 s0, exec_lo
	s_waitcnt lgkmcnt(0)
	s_waitcnt_vscnt null, 0x0
	s_barrier
	buffer_gl0_inv
	v_cmpx_lt_i32_e32 4, v59
	s_cbranch_execz .LBB42_80
; %bb.79:
	v_mul_f64 v[44:45], v[0:1], v[44:45]
	ds_read2_b64 v[60:63], v56 offset0:5 offset1:6
	ds_read2_b64 v[64:67], v56 offset0:7 offset1:8
	;; [unrolled: 1-line block ×8, first 2 shown]
	ds_read_b64 v[0:1], v56 offset:168
	s_waitcnt lgkmcnt(8)
	v_fma_f64 v[24:25], -v[44:45], v[60:61], v[24:25]
	v_fma_f64 v[26:27], -v[44:45], v[62:63], v[26:27]
	s_waitcnt lgkmcnt(7)
	v_fma_f64 v[4:5], -v[44:45], v[64:65], v[4:5]
	v_fma_f64 v[38:39], -v[44:45], v[66:67], v[38:39]
	;; [unrolled: 3-line block ×8, first 2 shown]
	s_waitcnt lgkmcnt(0)
	v_fma_f64 v[48:49], -v[44:45], v[0:1], v[48:49]
.LBB42_80:
	s_or_b32 exec_lo, exec_lo, s0
	v_lshl_add_u32 v0, v59, 3, v56
	s_barrier
	buffer_gl0_inv
	v_mov_b32_e32 v50, 5
	ds_write_b64 v0, v[24:25]
	s_waitcnt lgkmcnt(0)
	s_barrier
	buffer_gl0_inv
	ds_read_b64 v[0:1], v56 offset:40
	s_cmp_lt_i32 s2, 7
	s_cbranch_scc1 .LBB42_83
; %bb.81:
	v_add3_u32 v51, v57, 0, 48
	v_mov_b32_e32 v50, 5
	s_mov_b32 s0, 6
.LBB42_82:                              ; =>This Inner Loop Header: Depth=1
	ds_read_b64 v[60:61], v51
	v_add_nc_u32_e32 v51, 8, v51
	s_waitcnt lgkmcnt(0)
	v_cmp_lt_f64_e64 vcc_lo, |v[0:1]|, |v[60:61]|
	v_cndmask_b32_e32 v1, v1, v61, vcc_lo
	v_cndmask_b32_e32 v0, v0, v60, vcc_lo
	v_cndmask_b32_e64 v50, v50, s0, vcc_lo
	s_add_i32 s0, s0, 1
	s_cmp_lg_u32 s2, s0
	s_cbranch_scc1 .LBB42_82
.LBB42_83:
	s_mov_b32 s0, exec_lo
	s_waitcnt lgkmcnt(0)
	v_cmpx_eq_f64_e32 0, v[0:1]
	s_xor_b32 s0, exec_lo, s0
; %bb.84:
	v_cmp_ne_u32_e32 vcc_lo, 0, v58
	v_cndmask_b32_e32 v58, 6, v58, vcc_lo
; %bb.85:
	s_andn2_saveexec_b32 s0, s0
	s_cbranch_execz .LBB42_87
; %bb.86:
	v_div_scale_f64 v[51:52], null, v[0:1], v[0:1], 1.0
	v_rcp_f64_e32 v[60:61], v[51:52]
	v_fma_f64 v[62:63], -v[51:52], v[60:61], 1.0
	v_fma_f64 v[60:61], v[60:61], v[62:63], v[60:61]
	v_fma_f64 v[62:63], -v[51:52], v[60:61], 1.0
	v_fma_f64 v[60:61], v[60:61], v[62:63], v[60:61]
	v_div_scale_f64 v[62:63], vcc_lo, 1.0, v[0:1], 1.0
	v_mul_f64 v[64:65], v[62:63], v[60:61]
	v_fma_f64 v[51:52], -v[51:52], v[64:65], v[62:63]
	v_div_fmas_f64 v[51:52], v[51:52], v[60:61], v[64:65]
	v_div_fixup_f64 v[0:1], v[51:52], v[0:1], 1.0
.LBB42_87:
	s_or_b32 exec_lo, exec_lo, s0
	s_mov_b32 s0, exec_lo
	v_cmpx_ne_u32_e64 v59, v50
	s_xor_b32 s0, exec_lo, s0
	s_cbranch_execz .LBB42_93
; %bb.88:
	s_mov_b32 s1, exec_lo
	v_cmpx_eq_u32_e32 5, v59
	s_cbranch_execz .LBB42_92
; %bb.89:
	v_cmp_ne_u32_e32 vcc_lo, 5, v50
	s_xor_b32 s3, s6, -1
	s_and_b32 s7, s3, vcc_lo
	s_and_saveexec_b32 s3, s7
	s_cbranch_execz .LBB42_91
; %bb.90:
	v_ashrrev_i32_e32 v51, 31, v50
	v_lshlrev_b64 v[51:52], 2, v[50:51]
	v_add_co_u32 v51, vcc_lo, v46, v51
	v_add_co_ci_u32_e64 v52, null, v47, v52, vcc_lo
	s_clause 0x1
	global_load_dword v53, v[51:52], off
	global_load_dword v59, v[46:47], off offset:20
	s_waitcnt vmcnt(1)
	global_store_dword v[46:47], v53, off offset:20
	s_waitcnt vmcnt(0)
	global_store_dword v[51:52], v59, off
.LBB42_91:
	s_or_b32 exec_lo, exec_lo, s3
	v_mov_b32_e32 v53, v50
	v_mov_b32_e32 v59, v50
.LBB42_92:
	s_or_b32 exec_lo, exec_lo, s1
.LBB42_93:
	s_andn2_saveexec_b32 s0, s0
	s_cbranch_execz .LBB42_95
; %bb.94:
	v_mov_b32_e32 v50, v26
	v_mov_b32_e32 v51, v27
	;; [unrolled: 1-line block ×16, first 2 shown]
	ds_write2_b64 v56, v[50:51], v[59:60] offset0:6 offset1:7
	ds_write2_b64 v56, v[61:62], v[63:64] offset0:8 offset1:9
	;; [unrolled: 1-line block ×4, first 2 shown]
	v_mov_b32_e32 v50, v30
	v_mov_b32_e32 v51, v31
	;; [unrolled: 1-line block ×15, first 2 shown]
	ds_write2_b64 v56, v[50:51], v[60:61] offset0:14 offset1:15
	ds_write2_b64 v56, v[62:63], v[64:65] offset0:16 offset1:17
	;; [unrolled: 1-line block ×4, first 2 shown]
.LBB42_95:
	s_or_b32 exec_lo, exec_lo, s0
	s_mov_b32 s0, exec_lo
	s_waitcnt lgkmcnt(0)
	s_waitcnt_vscnt null, 0x0
	s_barrier
	buffer_gl0_inv
	v_cmpx_lt_i32_e32 5, v59
	s_cbranch_execz .LBB42_97
; %bb.96:
	v_mul_f64 v[24:25], v[0:1], v[24:25]
	ds_read2_b64 v[60:63], v56 offset0:6 offset1:7
	ds_read2_b64 v[64:67], v56 offset0:8 offset1:9
	;; [unrolled: 1-line block ×8, first 2 shown]
	s_waitcnt lgkmcnt(7)
	v_fma_f64 v[26:27], -v[24:25], v[60:61], v[26:27]
	v_fma_f64 v[4:5], -v[24:25], v[62:63], v[4:5]
	s_waitcnt lgkmcnt(6)
	v_fma_f64 v[38:39], -v[24:25], v[64:65], v[38:39]
	v_fma_f64 v[34:35], -v[24:25], v[66:67], v[34:35]
	s_waitcnt lgkmcnt(5)
	v_fma_f64 v[10:11], -v[24:25], v[68:69], v[10:11]
	v_fma_f64 v[8:9], -v[24:25], v[70:71], v[8:9]
	s_waitcnt lgkmcnt(4)
	v_fma_f64 v[32:33], -v[24:25], v[72:73], v[32:33]
	v_fma_f64 v[28:29], -v[24:25], v[74:75], v[28:29]
	s_waitcnt lgkmcnt(3)
	v_fma_f64 v[30:31], -v[24:25], v[76:77], v[30:31]
	v_fma_f64 v[6:7], -v[24:25], v[78:79], v[6:7]
	s_waitcnt lgkmcnt(2)
	v_fma_f64 v[42:43], -v[24:25], v[80:81], v[42:43]
	v_fma_f64 v[14:15], -v[24:25], v[82:83], v[14:15]
	s_waitcnt lgkmcnt(1)
	v_fma_f64 v[18:19], -v[24:25], v[84:85], v[18:19]
	v_fma_f64 v[12:13], -v[24:25], v[86:87], v[12:13]
	s_waitcnt lgkmcnt(0)
	v_fma_f64 v[16:17], -v[24:25], v[88:89], v[16:17]
	v_fma_f64 v[48:49], -v[24:25], v[90:91], v[48:49]
.LBB42_97:
	s_or_b32 exec_lo, exec_lo, s0
	v_lshl_add_u32 v0, v59, 3, v56
	s_barrier
	buffer_gl0_inv
	v_mov_b32_e32 v50, 6
	ds_write_b64 v0, v[26:27]
	s_waitcnt lgkmcnt(0)
	s_barrier
	buffer_gl0_inv
	ds_read_b64 v[0:1], v56 offset:48
	s_cmp_lt_i32 s2, 8
	s_cbranch_scc1 .LBB42_100
; %bb.98:
	v_add3_u32 v51, v57, 0, 56
	v_mov_b32_e32 v50, 6
	s_mov_b32 s0, 7
.LBB42_99:                              ; =>This Inner Loop Header: Depth=1
	ds_read_b64 v[60:61], v51
	v_add_nc_u32_e32 v51, 8, v51
	s_waitcnt lgkmcnt(0)
	v_cmp_lt_f64_e64 vcc_lo, |v[0:1]|, |v[60:61]|
	v_cndmask_b32_e32 v1, v1, v61, vcc_lo
	v_cndmask_b32_e32 v0, v0, v60, vcc_lo
	v_cndmask_b32_e64 v50, v50, s0, vcc_lo
	s_add_i32 s0, s0, 1
	s_cmp_lg_u32 s2, s0
	s_cbranch_scc1 .LBB42_99
.LBB42_100:
	s_mov_b32 s0, exec_lo
	s_waitcnt lgkmcnt(0)
	v_cmpx_eq_f64_e32 0, v[0:1]
	s_xor_b32 s0, exec_lo, s0
; %bb.101:
	v_cmp_ne_u32_e32 vcc_lo, 0, v58
	v_cndmask_b32_e32 v58, 7, v58, vcc_lo
; %bb.102:
	s_andn2_saveexec_b32 s0, s0
	s_cbranch_execz .LBB42_104
; %bb.103:
	v_div_scale_f64 v[51:52], null, v[0:1], v[0:1], 1.0
	v_rcp_f64_e32 v[60:61], v[51:52]
	v_fma_f64 v[62:63], -v[51:52], v[60:61], 1.0
	v_fma_f64 v[60:61], v[60:61], v[62:63], v[60:61]
	v_fma_f64 v[62:63], -v[51:52], v[60:61], 1.0
	v_fma_f64 v[60:61], v[60:61], v[62:63], v[60:61]
	v_div_scale_f64 v[62:63], vcc_lo, 1.0, v[0:1], 1.0
	v_mul_f64 v[64:65], v[62:63], v[60:61]
	v_fma_f64 v[51:52], -v[51:52], v[64:65], v[62:63]
	v_div_fmas_f64 v[51:52], v[51:52], v[60:61], v[64:65]
	v_div_fixup_f64 v[0:1], v[51:52], v[0:1], 1.0
.LBB42_104:
	s_or_b32 exec_lo, exec_lo, s0
	s_mov_b32 s0, exec_lo
	v_cmpx_ne_u32_e64 v59, v50
	s_xor_b32 s0, exec_lo, s0
	s_cbranch_execz .LBB42_110
; %bb.105:
	s_mov_b32 s1, exec_lo
	v_cmpx_eq_u32_e32 6, v59
	s_cbranch_execz .LBB42_109
; %bb.106:
	v_cmp_ne_u32_e32 vcc_lo, 6, v50
	s_xor_b32 s3, s6, -1
	s_and_b32 s7, s3, vcc_lo
	s_and_saveexec_b32 s3, s7
	s_cbranch_execz .LBB42_108
; %bb.107:
	v_ashrrev_i32_e32 v51, 31, v50
	v_lshlrev_b64 v[51:52], 2, v[50:51]
	v_add_co_u32 v51, vcc_lo, v46, v51
	v_add_co_ci_u32_e64 v52, null, v47, v52, vcc_lo
	s_clause 0x1
	global_load_dword v53, v[51:52], off
	global_load_dword v59, v[46:47], off offset:24
	s_waitcnt vmcnt(1)
	global_store_dword v[46:47], v53, off offset:24
	s_waitcnt vmcnt(0)
	global_store_dword v[51:52], v59, off
.LBB42_108:
	s_or_b32 exec_lo, exec_lo, s3
	v_mov_b32_e32 v53, v50
	v_mov_b32_e32 v59, v50
.LBB42_109:
	s_or_b32 exec_lo, exec_lo, s1
.LBB42_110:
	s_andn2_saveexec_b32 s0, s0
	s_cbranch_execz .LBB42_112
; %bb.111:
	v_mov_b32_e32 v59, 6
	ds_write2_b64 v56, v[4:5], v[38:39] offset0:7 offset1:8
	ds_write2_b64 v56, v[34:35], v[10:11] offset0:9 offset1:10
	;; [unrolled: 1-line block ×7, first 2 shown]
	ds_write_b64 v56, v[48:49] offset:168
.LBB42_112:
	s_or_b32 exec_lo, exec_lo, s0
	s_mov_b32 s0, exec_lo
	s_waitcnt lgkmcnt(0)
	s_waitcnt_vscnt null, 0x0
	s_barrier
	buffer_gl0_inv
	v_cmpx_lt_i32_e32 6, v59
	s_cbranch_execz .LBB42_114
; %bb.113:
	v_mul_f64 v[26:27], v[0:1], v[26:27]
	ds_read2_b64 v[60:63], v56 offset0:7 offset1:8
	ds_read2_b64 v[64:67], v56 offset0:9 offset1:10
	;; [unrolled: 1-line block ×7, first 2 shown]
	ds_read_b64 v[0:1], v56 offset:168
	s_waitcnt lgkmcnt(7)
	v_fma_f64 v[4:5], -v[26:27], v[60:61], v[4:5]
	v_fma_f64 v[38:39], -v[26:27], v[62:63], v[38:39]
	s_waitcnt lgkmcnt(6)
	v_fma_f64 v[34:35], -v[26:27], v[64:65], v[34:35]
	v_fma_f64 v[10:11], -v[26:27], v[66:67], v[10:11]
	;; [unrolled: 3-line block ×7, first 2 shown]
	s_waitcnt lgkmcnt(0)
	v_fma_f64 v[48:49], -v[26:27], v[0:1], v[48:49]
.LBB42_114:
	s_or_b32 exec_lo, exec_lo, s0
	v_lshl_add_u32 v0, v59, 3, v56
	s_barrier
	buffer_gl0_inv
	v_mov_b32_e32 v50, 7
	ds_write_b64 v0, v[4:5]
	s_waitcnt lgkmcnt(0)
	s_barrier
	buffer_gl0_inv
	ds_read_b64 v[0:1], v56 offset:56
	s_cmp_lt_i32 s2, 9
	s_cbranch_scc1 .LBB42_117
; %bb.115:
	v_add3_u32 v51, v57, 0, 64
	v_mov_b32_e32 v50, 7
	s_mov_b32 s0, 8
.LBB42_116:                             ; =>This Inner Loop Header: Depth=1
	ds_read_b64 v[60:61], v51
	v_add_nc_u32_e32 v51, 8, v51
	s_waitcnt lgkmcnt(0)
	v_cmp_lt_f64_e64 vcc_lo, |v[0:1]|, |v[60:61]|
	v_cndmask_b32_e32 v1, v1, v61, vcc_lo
	v_cndmask_b32_e32 v0, v0, v60, vcc_lo
	v_cndmask_b32_e64 v50, v50, s0, vcc_lo
	s_add_i32 s0, s0, 1
	s_cmp_lg_u32 s2, s0
	s_cbranch_scc1 .LBB42_116
.LBB42_117:
	s_mov_b32 s0, exec_lo
	s_waitcnt lgkmcnt(0)
	v_cmpx_eq_f64_e32 0, v[0:1]
	s_xor_b32 s0, exec_lo, s0
; %bb.118:
	v_cmp_ne_u32_e32 vcc_lo, 0, v58
	v_cndmask_b32_e32 v58, 8, v58, vcc_lo
; %bb.119:
	s_andn2_saveexec_b32 s0, s0
	s_cbranch_execz .LBB42_121
; %bb.120:
	v_div_scale_f64 v[51:52], null, v[0:1], v[0:1], 1.0
	v_rcp_f64_e32 v[60:61], v[51:52]
	v_fma_f64 v[62:63], -v[51:52], v[60:61], 1.0
	v_fma_f64 v[60:61], v[60:61], v[62:63], v[60:61]
	v_fma_f64 v[62:63], -v[51:52], v[60:61], 1.0
	v_fma_f64 v[60:61], v[60:61], v[62:63], v[60:61]
	v_div_scale_f64 v[62:63], vcc_lo, 1.0, v[0:1], 1.0
	v_mul_f64 v[64:65], v[62:63], v[60:61]
	v_fma_f64 v[51:52], -v[51:52], v[64:65], v[62:63]
	v_div_fmas_f64 v[51:52], v[51:52], v[60:61], v[64:65]
	v_div_fixup_f64 v[0:1], v[51:52], v[0:1], 1.0
.LBB42_121:
	s_or_b32 exec_lo, exec_lo, s0
	s_mov_b32 s0, exec_lo
	v_cmpx_ne_u32_e64 v59, v50
	s_xor_b32 s0, exec_lo, s0
	s_cbranch_execz .LBB42_127
; %bb.122:
	s_mov_b32 s1, exec_lo
	v_cmpx_eq_u32_e32 7, v59
	s_cbranch_execz .LBB42_126
; %bb.123:
	v_cmp_ne_u32_e32 vcc_lo, 7, v50
	s_xor_b32 s3, s6, -1
	s_and_b32 s7, s3, vcc_lo
	s_and_saveexec_b32 s3, s7
	s_cbranch_execz .LBB42_125
; %bb.124:
	v_ashrrev_i32_e32 v51, 31, v50
	v_lshlrev_b64 v[51:52], 2, v[50:51]
	v_add_co_u32 v51, vcc_lo, v46, v51
	v_add_co_ci_u32_e64 v52, null, v47, v52, vcc_lo
	s_clause 0x1
	global_load_dword v53, v[51:52], off
	global_load_dword v59, v[46:47], off offset:28
	s_waitcnt vmcnt(1)
	global_store_dword v[46:47], v53, off offset:28
	s_waitcnt vmcnt(0)
	global_store_dword v[51:52], v59, off
.LBB42_125:
	s_or_b32 exec_lo, exec_lo, s3
	v_mov_b32_e32 v53, v50
	v_mov_b32_e32 v59, v50
.LBB42_126:
	s_or_b32 exec_lo, exec_lo, s1
.LBB42_127:
	s_andn2_saveexec_b32 s0, s0
	s_cbranch_execz .LBB42_129
; %bb.128:
	v_mov_b32_e32 v50, v38
	v_mov_b32_e32 v51, v39
	;; [unrolled: 1-line block ×12, first 2 shown]
	ds_write2_b64 v56, v[50:51], v[59:60] offset0:8 offset1:9
	ds_write2_b64 v56, v[61:62], v[63:64] offset0:10 offset1:11
	;; [unrolled: 1-line block ×3, first 2 shown]
	v_mov_b32_e32 v50, v30
	v_mov_b32_e32 v51, v31
	;; [unrolled: 1-line block ×15, first 2 shown]
	ds_write2_b64 v56, v[50:51], v[60:61] offset0:14 offset1:15
	ds_write2_b64 v56, v[62:63], v[64:65] offset0:16 offset1:17
	;; [unrolled: 1-line block ×4, first 2 shown]
.LBB42_129:
	s_or_b32 exec_lo, exec_lo, s0
	s_mov_b32 s0, exec_lo
	s_waitcnt lgkmcnt(0)
	s_waitcnt_vscnt null, 0x0
	s_barrier
	buffer_gl0_inv
	v_cmpx_lt_i32_e32 7, v59
	s_cbranch_execz .LBB42_131
; %bb.130:
	v_mul_f64 v[4:5], v[0:1], v[4:5]
	ds_read2_b64 v[60:63], v56 offset0:8 offset1:9
	ds_read2_b64 v[64:67], v56 offset0:10 offset1:11
	;; [unrolled: 1-line block ×7, first 2 shown]
	s_waitcnt lgkmcnt(6)
	v_fma_f64 v[38:39], -v[4:5], v[60:61], v[38:39]
	v_fma_f64 v[34:35], -v[4:5], v[62:63], v[34:35]
	s_waitcnt lgkmcnt(5)
	v_fma_f64 v[10:11], -v[4:5], v[64:65], v[10:11]
	v_fma_f64 v[8:9], -v[4:5], v[66:67], v[8:9]
	;; [unrolled: 3-line block ×7, first 2 shown]
.LBB42_131:
	s_or_b32 exec_lo, exec_lo, s0
	v_lshl_add_u32 v0, v59, 3, v56
	s_barrier
	buffer_gl0_inv
	v_mov_b32_e32 v50, 8
	ds_write_b64 v0, v[38:39]
	s_waitcnt lgkmcnt(0)
	s_barrier
	buffer_gl0_inv
	ds_read_b64 v[0:1], v56 offset:64
	s_cmp_lt_i32 s2, 10
	s_cbranch_scc1 .LBB42_134
; %bb.132:
	v_add3_u32 v51, v57, 0, 0x48
	v_mov_b32_e32 v50, 8
	s_mov_b32 s0, 9
.LBB42_133:                             ; =>This Inner Loop Header: Depth=1
	ds_read_b64 v[60:61], v51
	v_add_nc_u32_e32 v51, 8, v51
	s_waitcnt lgkmcnt(0)
	v_cmp_lt_f64_e64 vcc_lo, |v[0:1]|, |v[60:61]|
	v_cndmask_b32_e32 v1, v1, v61, vcc_lo
	v_cndmask_b32_e32 v0, v0, v60, vcc_lo
	v_cndmask_b32_e64 v50, v50, s0, vcc_lo
	s_add_i32 s0, s0, 1
	s_cmp_lg_u32 s2, s0
	s_cbranch_scc1 .LBB42_133
.LBB42_134:
	s_mov_b32 s0, exec_lo
	s_waitcnt lgkmcnt(0)
	v_cmpx_eq_f64_e32 0, v[0:1]
	s_xor_b32 s0, exec_lo, s0
; %bb.135:
	v_cmp_ne_u32_e32 vcc_lo, 0, v58
	v_cndmask_b32_e32 v58, 9, v58, vcc_lo
; %bb.136:
	s_andn2_saveexec_b32 s0, s0
	s_cbranch_execz .LBB42_138
; %bb.137:
	v_div_scale_f64 v[51:52], null, v[0:1], v[0:1], 1.0
	v_rcp_f64_e32 v[60:61], v[51:52]
	v_fma_f64 v[62:63], -v[51:52], v[60:61], 1.0
	v_fma_f64 v[60:61], v[60:61], v[62:63], v[60:61]
	v_fma_f64 v[62:63], -v[51:52], v[60:61], 1.0
	v_fma_f64 v[60:61], v[60:61], v[62:63], v[60:61]
	v_div_scale_f64 v[62:63], vcc_lo, 1.0, v[0:1], 1.0
	v_mul_f64 v[64:65], v[62:63], v[60:61]
	v_fma_f64 v[51:52], -v[51:52], v[64:65], v[62:63]
	v_div_fmas_f64 v[51:52], v[51:52], v[60:61], v[64:65]
	v_div_fixup_f64 v[0:1], v[51:52], v[0:1], 1.0
.LBB42_138:
	s_or_b32 exec_lo, exec_lo, s0
	s_mov_b32 s0, exec_lo
	v_cmpx_ne_u32_e64 v59, v50
	s_xor_b32 s0, exec_lo, s0
	s_cbranch_execz .LBB42_144
; %bb.139:
	s_mov_b32 s1, exec_lo
	v_cmpx_eq_u32_e32 8, v59
	s_cbranch_execz .LBB42_143
; %bb.140:
	v_cmp_ne_u32_e32 vcc_lo, 8, v50
	s_xor_b32 s3, s6, -1
	s_and_b32 s7, s3, vcc_lo
	s_and_saveexec_b32 s3, s7
	s_cbranch_execz .LBB42_142
; %bb.141:
	v_ashrrev_i32_e32 v51, 31, v50
	v_lshlrev_b64 v[51:52], 2, v[50:51]
	v_add_co_u32 v51, vcc_lo, v46, v51
	v_add_co_ci_u32_e64 v52, null, v47, v52, vcc_lo
	s_clause 0x1
	global_load_dword v53, v[51:52], off
	global_load_dword v59, v[46:47], off offset:32
	s_waitcnt vmcnt(1)
	global_store_dword v[46:47], v53, off offset:32
	s_waitcnt vmcnt(0)
	global_store_dword v[51:52], v59, off
.LBB42_142:
	s_or_b32 exec_lo, exec_lo, s3
	v_mov_b32_e32 v53, v50
	v_mov_b32_e32 v59, v50
.LBB42_143:
	s_or_b32 exec_lo, exec_lo, s1
.LBB42_144:
	s_andn2_saveexec_b32 s0, s0
	s_cbranch_execz .LBB42_146
; %bb.145:
	v_mov_b32_e32 v59, 8
	ds_write2_b64 v56, v[34:35], v[10:11] offset0:9 offset1:10
	ds_write2_b64 v56, v[8:9], v[32:33] offset0:11 offset1:12
	;; [unrolled: 1-line block ×6, first 2 shown]
	ds_write_b64 v56, v[48:49] offset:168
.LBB42_146:
	s_or_b32 exec_lo, exec_lo, s0
	s_mov_b32 s0, exec_lo
	s_waitcnt lgkmcnt(0)
	s_waitcnt_vscnt null, 0x0
	s_barrier
	buffer_gl0_inv
	v_cmpx_lt_i32_e32 8, v59
	s_cbranch_execz .LBB42_148
; %bb.147:
	v_mul_f64 v[38:39], v[0:1], v[38:39]
	ds_read2_b64 v[60:63], v56 offset0:9 offset1:10
	ds_read2_b64 v[64:67], v56 offset0:11 offset1:12
	;; [unrolled: 1-line block ×6, first 2 shown]
	ds_read_b64 v[0:1], v56 offset:168
	s_waitcnt lgkmcnt(6)
	v_fma_f64 v[34:35], -v[38:39], v[60:61], v[34:35]
	v_fma_f64 v[10:11], -v[38:39], v[62:63], v[10:11]
	s_waitcnt lgkmcnt(5)
	v_fma_f64 v[8:9], -v[38:39], v[64:65], v[8:9]
	v_fma_f64 v[32:33], -v[38:39], v[66:67], v[32:33]
	;; [unrolled: 3-line block ×6, first 2 shown]
	s_waitcnt lgkmcnt(0)
	v_fma_f64 v[48:49], -v[38:39], v[0:1], v[48:49]
.LBB42_148:
	s_or_b32 exec_lo, exec_lo, s0
	v_lshl_add_u32 v0, v59, 3, v56
	s_barrier
	buffer_gl0_inv
	v_mov_b32_e32 v50, 9
	ds_write_b64 v0, v[34:35]
	s_waitcnt lgkmcnt(0)
	s_barrier
	buffer_gl0_inv
	ds_read_b64 v[0:1], v56 offset:72
	s_cmp_lt_i32 s2, 11
	s_cbranch_scc1 .LBB42_151
; %bb.149:
	v_add3_u32 v51, v57, 0, 0x50
	v_mov_b32_e32 v50, 9
	s_mov_b32 s0, 10
.LBB42_150:                             ; =>This Inner Loop Header: Depth=1
	ds_read_b64 v[60:61], v51
	v_add_nc_u32_e32 v51, 8, v51
	s_waitcnt lgkmcnt(0)
	v_cmp_lt_f64_e64 vcc_lo, |v[0:1]|, |v[60:61]|
	v_cndmask_b32_e32 v1, v1, v61, vcc_lo
	v_cndmask_b32_e32 v0, v0, v60, vcc_lo
	v_cndmask_b32_e64 v50, v50, s0, vcc_lo
	s_add_i32 s0, s0, 1
	s_cmp_lg_u32 s2, s0
	s_cbranch_scc1 .LBB42_150
.LBB42_151:
	s_mov_b32 s0, exec_lo
	s_waitcnt lgkmcnt(0)
	v_cmpx_eq_f64_e32 0, v[0:1]
	s_xor_b32 s0, exec_lo, s0
; %bb.152:
	v_cmp_ne_u32_e32 vcc_lo, 0, v58
	v_cndmask_b32_e32 v58, 10, v58, vcc_lo
; %bb.153:
	s_andn2_saveexec_b32 s0, s0
	s_cbranch_execz .LBB42_155
; %bb.154:
	v_div_scale_f64 v[51:52], null, v[0:1], v[0:1], 1.0
	v_rcp_f64_e32 v[60:61], v[51:52]
	v_fma_f64 v[62:63], -v[51:52], v[60:61], 1.0
	v_fma_f64 v[60:61], v[60:61], v[62:63], v[60:61]
	v_fma_f64 v[62:63], -v[51:52], v[60:61], 1.0
	v_fma_f64 v[60:61], v[60:61], v[62:63], v[60:61]
	v_div_scale_f64 v[62:63], vcc_lo, 1.0, v[0:1], 1.0
	v_mul_f64 v[64:65], v[62:63], v[60:61]
	v_fma_f64 v[51:52], -v[51:52], v[64:65], v[62:63]
	v_div_fmas_f64 v[51:52], v[51:52], v[60:61], v[64:65]
	v_div_fixup_f64 v[0:1], v[51:52], v[0:1], 1.0
.LBB42_155:
	s_or_b32 exec_lo, exec_lo, s0
	s_mov_b32 s0, exec_lo
	v_cmpx_ne_u32_e64 v59, v50
	s_xor_b32 s0, exec_lo, s0
	s_cbranch_execz .LBB42_161
; %bb.156:
	s_mov_b32 s1, exec_lo
	v_cmpx_eq_u32_e32 9, v59
	s_cbranch_execz .LBB42_160
; %bb.157:
	v_cmp_ne_u32_e32 vcc_lo, 9, v50
	s_xor_b32 s3, s6, -1
	s_and_b32 s7, s3, vcc_lo
	s_and_saveexec_b32 s3, s7
	s_cbranch_execz .LBB42_159
; %bb.158:
	v_ashrrev_i32_e32 v51, 31, v50
	v_lshlrev_b64 v[51:52], 2, v[50:51]
	v_add_co_u32 v51, vcc_lo, v46, v51
	v_add_co_ci_u32_e64 v52, null, v47, v52, vcc_lo
	s_clause 0x1
	global_load_dword v53, v[51:52], off
	global_load_dword v59, v[46:47], off offset:36
	s_waitcnt vmcnt(1)
	global_store_dword v[46:47], v53, off offset:36
	s_waitcnt vmcnt(0)
	global_store_dword v[51:52], v59, off
.LBB42_159:
	s_or_b32 exec_lo, exec_lo, s3
	v_mov_b32_e32 v53, v50
	v_mov_b32_e32 v59, v50
.LBB42_160:
	s_or_b32 exec_lo, exec_lo, s1
.LBB42_161:
	s_andn2_saveexec_b32 s0, s0
	s_cbranch_execz .LBB42_163
; %bb.162:
	v_mov_b32_e32 v50, v10
	v_mov_b32_e32 v51, v11
	;; [unrolled: 1-line block ×8, first 2 shown]
	ds_write2_b64 v56, v[50:51], v[59:60] offset0:10 offset1:11
	ds_write2_b64 v56, v[61:62], v[63:64] offset0:12 offset1:13
	v_mov_b32_e32 v50, v30
	v_mov_b32_e32 v51, v31
	v_mov_b32_e32 v60, v6
	v_mov_b32_e32 v61, v7
	v_mov_b32_e32 v59, 9
	v_mov_b32_e32 v62, v42
	v_mov_b32_e32 v63, v43
	v_mov_b32_e32 v64, v14
	v_mov_b32_e32 v65, v15
	v_mov_b32_e32 v66, v18
	v_mov_b32_e32 v67, v19
	v_mov_b32_e32 v68, v12
	v_mov_b32_e32 v69, v13
	v_mov_b32_e32 v70, v16
	v_mov_b32_e32 v71, v17
	ds_write2_b64 v56, v[50:51], v[60:61] offset0:14 offset1:15
	ds_write2_b64 v56, v[62:63], v[64:65] offset0:16 offset1:17
	;; [unrolled: 1-line block ×4, first 2 shown]
.LBB42_163:
	s_or_b32 exec_lo, exec_lo, s0
	s_mov_b32 s0, exec_lo
	s_waitcnt lgkmcnt(0)
	s_waitcnt_vscnt null, 0x0
	s_barrier
	buffer_gl0_inv
	v_cmpx_lt_i32_e32 9, v59
	s_cbranch_execz .LBB42_165
; %bb.164:
	v_mul_f64 v[34:35], v[0:1], v[34:35]
	ds_read2_b64 v[60:63], v56 offset0:10 offset1:11
	ds_read2_b64 v[64:67], v56 offset0:12 offset1:13
	;; [unrolled: 1-line block ×6, first 2 shown]
	s_waitcnt lgkmcnt(5)
	v_fma_f64 v[10:11], -v[34:35], v[60:61], v[10:11]
	v_fma_f64 v[8:9], -v[34:35], v[62:63], v[8:9]
	s_waitcnt lgkmcnt(4)
	v_fma_f64 v[32:33], -v[34:35], v[64:65], v[32:33]
	v_fma_f64 v[28:29], -v[34:35], v[66:67], v[28:29]
	;; [unrolled: 3-line block ×6, first 2 shown]
.LBB42_165:
	s_or_b32 exec_lo, exec_lo, s0
	v_lshl_add_u32 v0, v59, 3, v56
	s_barrier
	buffer_gl0_inv
	v_mov_b32_e32 v50, 10
	ds_write_b64 v0, v[10:11]
	s_waitcnt lgkmcnt(0)
	s_barrier
	buffer_gl0_inv
	ds_read_b64 v[0:1], v56 offset:80
	s_cmp_lt_i32 s2, 12
	s_cbranch_scc1 .LBB42_168
; %bb.166:
	v_add3_u32 v51, v57, 0, 0x58
	v_mov_b32_e32 v50, 10
	s_mov_b32 s0, 11
.LBB42_167:                             ; =>This Inner Loop Header: Depth=1
	ds_read_b64 v[60:61], v51
	v_add_nc_u32_e32 v51, 8, v51
	s_waitcnt lgkmcnt(0)
	v_cmp_lt_f64_e64 vcc_lo, |v[0:1]|, |v[60:61]|
	v_cndmask_b32_e32 v1, v1, v61, vcc_lo
	v_cndmask_b32_e32 v0, v0, v60, vcc_lo
	v_cndmask_b32_e64 v50, v50, s0, vcc_lo
	s_add_i32 s0, s0, 1
	s_cmp_lg_u32 s2, s0
	s_cbranch_scc1 .LBB42_167
.LBB42_168:
	s_mov_b32 s0, exec_lo
	s_waitcnt lgkmcnt(0)
	v_cmpx_eq_f64_e32 0, v[0:1]
	s_xor_b32 s0, exec_lo, s0
; %bb.169:
	v_cmp_ne_u32_e32 vcc_lo, 0, v58
	v_cndmask_b32_e32 v58, 11, v58, vcc_lo
; %bb.170:
	s_andn2_saveexec_b32 s0, s0
	s_cbranch_execz .LBB42_172
; %bb.171:
	v_div_scale_f64 v[51:52], null, v[0:1], v[0:1], 1.0
	v_rcp_f64_e32 v[60:61], v[51:52]
	v_fma_f64 v[62:63], -v[51:52], v[60:61], 1.0
	v_fma_f64 v[60:61], v[60:61], v[62:63], v[60:61]
	v_fma_f64 v[62:63], -v[51:52], v[60:61], 1.0
	v_fma_f64 v[60:61], v[60:61], v[62:63], v[60:61]
	v_div_scale_f64 v[62:63], vcc_lo, 1.0, v[0:1], 1.0
	v_mul_f64 v[64:65], v[62:63], v[60:61]
	v_fma_f64 v[51:52], -v[51:52], v[64:65], v[62:63]
	v_div_fmas_f64 v[51:52], v[51:52], v[60:61], v[64:65]
	v_div_fixup_f64 v[0:1], v[51:52], v[0:1], 1.0
.LBB42_172:
	s_or_b32 exec_lo, exec_lo, s0
	s_mov_b32 s0, exec_lo
	v_cmpx_ne_u32_e64 v59, v50
	s_xor_b32 s0, exec_lo, s0
	s_cbranch_execz .LBB42_178
; %bb.173:
	s_mov_b32 s1, exec_lo
	v_cmpx_eq_u32_e32 10, v59
	s_cbranch_execz .LBB42_177
; %bb.174:
	v_cmp_ne_u32_e32 vcc_lo, 10, v50
	s_xor_b32 s3, s6, -1
	s_and_b32 s7, s3, vcc_lo
	s_and_saveexec_b32 s3, s7
	s_cbranch_execz .LBB42_176
; %bb.175:
	v_ashrrev_i32_e32 v51, 31, v50
	v_lshlrev_b64 v[51:52], 2, v[50:51]
	v_add_co_u32 v51, vcc_lo, v46, v51
	v_add_co_ci_u32_e64 v52, null, v47, v52, vcc_lo
	s_clause 0x1
	global_load_dword v53, v[51:52], off
	global_load_dword v59, v[46:47], off offset:40
	s_waitcnt vmcnt(1)
	global_store_dword v[46:47], v53, off offset:40
	s_waitcnt vmcnt(0)
	global_store_dword v[51:52], v59, off
.LBB42_176:
	s_or_b32 exec_lo, exec_lo, s3
	v_mov_b32_e32 v53, v50
	v_mov_b32_e32 v59, v50
.LBB42_177:
	s_or_b32 exec_lo, exec_lo, s1
.LBB42_178:
	s_andn2_saveexec_b32 s0, s0
	s_cbranch_execz .LBB42_180
; %bb.179:
	v_mov_b32_e32 v59, 10
	ds_write2_b64 v56, v[8:9], v[32:33] offset0:11 offset1:12
	ds_write2_b64 v56, v[28:29], v[30:31] offset0:13 offset1:14
	;; [unrolled: 1-line block ×5, first 2 shown]
	ds_write_b64 v56, v[48:49] offset:168
.LBB42_180:
	s_or_b32 exec_lo, exec_lo, s0
	s_mov_b32 s0, exec_lo
	s_waitcnt lgkmcnt(0)
	s_waitcnt_vscnt null, 0x0
	s_barrier
	buffer_gl0_inv
	v_cmpx_lt_i32_e32 10, v59
	s_cbranch_execz .LBB42_182
; %bb.181:
	v_mul_f64 v[10:11], v[0:1], v[10:11]
	ds_read2_b64 v[60:63], v56 offset0:11 offset1:12
	ds_read2_b64 v[64:67], v56 offset0:13 offset1:14
	;; [unrolled: 1-line block ×5, first 2 shown]
	ds_read_b64 v[0:1], v56 offset:168
	s_waitcnt lgkmcnt(5)
	v_fma_f64 v[8:9], -v[10:11], v[60:61], v[8:9]
	v_fma_f64 v[32:33], -v[10:11], v[62:63], v[32:33]
	s_waitcnt lgkmcnt(4)
	v_fma_f64 v[28:29], -v[10:11], v[64:65], v[28:29]
	v_fma_f64 v[30:31], -v[10:11], v[66:67], v[30:31]
	;; [unrolled: 3-line block ×5, first 2 shown]
	s_waitcnt lgkmcnt(0)
	v_fma_f64 v[48:49], -v[10:11], v[0:1], v[48:49]
.LBB42_182:
	s_or_b32 exec_lo, exec_lo, s0
	v_lshl_add_u32 v0, v59, 3, v56
	s_barrier
	buffer_gl0_inv
	v_mov_b32_e32 v50, 11
	ds_write_b64 v0, v[8:9]
	s_waitcnt lgkmcnt(0)
	s_barrier
	buffer_gl0_inv
	ds_read_b64 v[0:1], v56 offset:88
	s_cmp_lt_i32 s2, 13
	s_cbranch_scc1 .LBB42_185
; %bb.183:
	v_add3_u32 v51, v57, 0, 0x60
	v_mov_b32_e32 v50, 11
	s_mov_b32 s0, 12
.LBB42_184:                             ; =>This Inner Loop Header: Depth=1
	ds_read_b64 v[60:61], v51
	v_add_nc_u32_e32 v51, 8, v51
	s_waitcnt lgkmcnt(0)
	v_cmp_lt_f64_e64 vcc_lo, |v[0:1]|, |v[60:61]|
	v_cndmask_b32_e32 v1, v1, v61, vcc_lo
	v_cndmask_b32_e32 v0, v0, v60, vcc_lo
	v_cndmask_b32_e64 v50, v50, s0, vcc_lo
	s_add_i32 s0, s0, 1
	s_cmp_lg_u32 s2, s0
	s_cbranch_scc1 .LBB42_184
.LBB42_185:
	s_mov_b32 s0, exec_lo
	s_waitcnt lgkmcnt(0)
	v_cmpx_eq_f64_e32 0, v[0:1]
	s_xor_b32 s0, exec_lo, s0
; %bb.186:
	v_cmp_ne_u32_e32 vcc_lo, 0, v58
	v_cndmask_b32_e32 v58, 12, v58, vcc_lo
; %bb.187:
	s_andn2_saveexec_b32 s0, s0
	s_cbranch_execz .LBB42_189
; %bb.188:
	v_div_scale_f64 v[51:52], null, v[0:1], v[0:1], 1.0
	v_rcp_f64_e32 v[60:61], v[51:52]
	v_fma_f64 v[62:63], -v[51:52], v[60:61], 1.0
	v_fma_f64 v[60:61], v[60:61], v[62:63], v[60:61]
	v_fma_f64 v[62:63], -v[51:52], v[60:61], 1.0
	v_fma_f64 v[60:61], v[60:61], v[62:63], v[60:61]
	v_div_scale_f64 v[62:63], vcc_lo, 1.0, v[0:1], 1.0
	v_mul_f64 v[64:65], v[62:63], v[60:61]
	v_fma_f64 v[51:52], -v[51:52], v[64:65], v[62:63]
	v_div_fmas_f64 v[51:52], v[51:52], v[60:61], v[64:65]
	v_div_fixup_f64 v[0:1], v[51:52], v[0:1], 1.0
.LBB42_189:
	s_or_b32 exec_lo, exec_lo, s0
	s_mov_b32 s0, exec_lo
	v_cmpx_ne_u32_e64 v59, v50
	s_xor_b32 s0, exec_lo, s0
	s_cbranch_execz .LBB42_195
; %bb.190:
	s_mov_b32 s1, exec_lo
	v_cmpx_eq_u32_e32 11, v59
	s_cbranch_execz .LBB42_194
; %bb.191:
	v_cmp_ne_u32_e32 vcc_lo, 11, v50
	s_xor_b32 s3, s6, -1
	s_and_b32 s7, s3, vcc_lo
	s_and_saveexec_b32 s3, s7
	s_cbranch_execz .LBB42_193
; %bb.192:
	v_ashrrev_i32_e32 v51, 31, v50
	v_lshlrev_b64 v[51:52], 2, v[50:51]
	v_add_co_u32 v51, vcc_lo, v46, v51
	v_add_co_ci_u32_e64 v52, null, v47, v52, vcc_lo
	s_clause 0x1
	global_load_dword v53, v[51:52], off
	global_load_dword v59, v[46:47], off offset:44
	s_waitcnt vmcnt(1)
	global_store_dword v[46:47], v53, off offset:44
	s_waitcnt vmcnt(0)
	global_store_dword v[51:52], v59, off
.LBB42_193:
	s_or_b32 exec_lo, exec_lo, s3
	v_mov_b32_e32 v53, v50
	v_mov_b32_e32 v59, v50
.LBB42_194:
	s_or_b32 exec_lo, exec_lo, s1
.LBB42_195:
	s_andn2_saveexec_b32 s0, s0
	s_cbranch_execz .LBB42_197
; %bb.196:
	v_mov_b32_e32 v50, v32
	v_mov_b32_e32 v51, v33
	;; [unrolled: 1-line block ×8, first 2 shown]
	ds_write2_b64 v56, v[50:51], v[59:60] offset0:12 offset1:13
	v_mov_b32_e32 v50, v6
	v_mov_b32_e32 v51, v7
	;; [unrolled: 1-line block ×11, first 2 shown]
	ds_write2_b64 v56, v[61:62], v[50:51] offset0:14 offset1:15
	ds_write2_b64 v56, v[63:64], v[65:66] offset0:16 offset1:17
	;; [unrolled: 1-line block ×4, first 2 shown]
.LBB42_197:
	s_or_b32 exec_lo, exec_lo, s0
	s_mov_b32 s0, exec_lo
	s_waitcnt lgkmcnt(0)
	s_waitcnt_vscnt null, 0x0
	s_barrier
	buffer_gl0_inv
	v_cmpx_lt_i32_e32 11, v59
	s_cbranch_execz .LBB42_199
; %bb.198:
	v_mul_f64 v[8:9], v[0:1], v[8:9]
	ds_read2_b64 v[60:63], v56 offset0:12 offset1:13
	ds_read2_b64 v[64:67], v56 offset0:14 offset1:15
	;; [unrolled: 1-line block ×5, first 2 shown]
	s_waitcnt lgkmcnt(4)
	v_fma_f64 v[32:33], -v[8:9], v[60:61], v[32:33]
	v_fma_f64 v[28:29], -v[8:9], v[62:63], v[28:29]
	s_waitcnt lgkmcnt(3)
	v_fma_f64 v[30:31], -v[8:9], v[64:65], v[30:31]
	v_fma_f64 v[6:7], -v[8:9], v[66:67], v[6:7]
	;; [unrolled: 3-line block ×5, first 2 shown]
.LBB42_199:
	s_or_b32 exec_lo, exec_lo, s0
	v_lshl_add_u32 v0, v59, 3, v56
	s_barrier
	buffer_gl0_inv
	v_mov_b32_e32 v50, 12
	ds_write_b64 v0, v[32:33]
	s_waitcnt lgkmcnt(0)
	s_barrier
	buffer_gl0_inv
	ds_read_b64 v[0:1], v56 offset:96
	s_cmp_lt_i32 s2, 14
	s_cbranch_scc1 .LBB42_202
; %bb.200:
	v_add3_u32 v51, v57, 0, 0x68
	v_mov_b32_e32 v50, 12
	s_mov_b32 s0, 13
.LBB42_201:                             ; =>This Inner Loop Header: Depth=1
	ds_read_b64 v[60:61], v51
	v_add_nc_u32_e32 v51, 8, v51
	s_waitcnt lgkmcnt(0)
	v_cmp_lt_f64_e64 vcc_lo, |v[0:1]|, |v[60:61]|
	v_cndmask_b32_e32 v1, v1, v61, vcc_lo
	v_cndmask_b32_e32 v0, v0, v60, vcc_lo
	v_cndmask_b32_e64 v50, v50, s0, vcc_lo
	s_add_i32 s0, s0, 1
	s_cmp_lg_u32 s2, s0
	s_cbranch_scc1 .LBB42_201
.LBB42_202:
	s_mov_b32 s0, exec_lo
	s_waitcnt lgkmcnt(0)
	v_cmpx_eq_f64_e32 0, v[0:1]
	s_xor_b32 s0, exec_lo, s0
; %bb.203:
	v_cmp_ne_u32_e32 vcc_lo, 0, v58
	v_cndmask_b32_e32 v58, 13, v58, vcc_lo
; %bb.204:
	s_andn2_saveexec_b32 s0, s0
	s_cbranch_execz .LBB42_206
; %bb.205:
	v_div_scale_f64 v[51:52], null, v[0:1], v[0:1], 1.0
	v_rcp_f64_e32 v[60:61], v[51:52]
	v_fma_f64 v[62:63], -v[51:52], v[60:61], 1.0
	v_fma_f64 v[60:61], v[60:61], v[62:63], v[60:61]
	v_fma_f64 v[62:63], -v[51:52], v[60:61], 1.0
	v_fma_f64 v[60:61], v[60:61], v[62:63], v[60:61]
	v_div_scale_f64 v[62:63], vcc_lo, 1.0, v[0:1], 1.0
	v_mul_f64 v[64:65], v[62:63], v[60:61]
	v_fma_f64 v[51:52], -v[51:52], v[64:65], v[62:63]
	v_div_fmas_f64 v[51:52], v[51:52], v[60:61], v[64:65]
	v_div_fixup_f64 v[0:1], v[51:52], v[0:1], 1.0
.LBB42_206:
	s_or_b32 exec_lo, exec_lo, s0
	s_mov_b32 s0, exec_lo
	v_cmpx_ne_u32_e64 v59, v50
	s_xor_b32 s0, exec_lo, s0
	s_cbranch_execz .LBB42_212
; %bb.207:
	s_mov_b32 s1, exec_lo
	v_cmpx_eq_u32_e32 12, v59
	s_cbranch_execz .LBB42_211
; %bb.208:
	v_cmp_ne_u32_e32 vcc_lo, 12, v50
	s_xor_b32 s3, s6, -1
	s_and_b32 s7, s3, vcc_lo
	s_and_saveexec_b32 s3, s7
	s_cbranch_execz .LBB42_210
; %bb.209:
	v_ashrrev_i32_e32 v51, 31, v50
	v_lshlrev_b64 v[51:52], 2, v[50:51]
	v_add_co_u32 v51, vcc_lo, v46, v51
	v_add_co_ci_u32_e64 v52, null, v47, v52, vcc_lo
	s_clause 0x1
	global_load_dword v53, v[51:52], off
	global_load_dword v59, v[46:47], off offset:48
	s_waitcnt vmcnt(1)
	global_store_dword v[46:47], v53, off offset:48
	s_waitcnt vmcnt(0)
	global_store_dword v[51:52], v59, off
.LBB42_210:
	s_or_b32 exec_lo, exec_lo, s3
	v_mov_b32_e32 v53, v50
	v_mov_b32_e32 v59, v50
.LBB42_211:
	s_or_b32 exec_lo, exec_lo, s1
.LBB42_212:
	s_andn2_saveexec_b32 s0, s0
	s_cbranch_execz .LBB42_214
; %bb.213:
	v_mov_b32_e32 v59, 12
	ds_write2_b64 v56, v[28:29], v[30:31] offset0:13 offset1:14
	ds_write2_b64 v56, v[6:7], v[42:43] offset0:15 offset1:16
	;; [unrolled: 1-line block ×4, first 2 shown]
	ds_write_b64 v56, v[48:49] offset:168
.LBB42_214:
	s_or_b32 exec_lo, exec_lo, s0
	s_mov_b32 s0, exec_lo
	s_waitcnt lgkmcnt(0)
	s_waitcnt_vscnt null, 0x0
	s_barrier
	buffer_gl0_inv
	v_cmpx_lt_i32_e32 12, v59
	s_cbranch_execz .LBB42_216
; %bb.215:
	v_mul_f64 v[32:33], v[0:1], v[32:33]
	ds_read2_b64 v[60:63], v56 offset0:13 offset1:14
	ds_read2_b64 v[64:67], v56 offset0:15 offset1:16
	;; [unrolled: 1-line block ×4, first 2 shown]
	ds_read_b64 v[0:1], v56 offset:168
	s_waitcnt lgkmcnt(4)
	v_fma_f64 v[28:29], -v[32:33], v[60:61], v[28:29]
	v_fma_f64 v[30:31], -v[32:33], v[62:63], v[30:31]
	s_waitcnt lgkmcnt(3)
	v_fma_f64 v[6:7], -v[32:33], v[64:65], v[6:7]
	v_fma_f64 v[42:43], -v[32:33], v[66:67], v[42:43]
	;; [unrolled: 3-line block ×4, first 2 shown]
	s_waitcnt lgkmcnt(0)
	v_fma_f64 v[48:49], -v[32:33], v[0:1], v[48:49]
.LBB42_216:
	s_or_b32 exec_lo, exec_lo, s0
	v_lshl_add_u32 v0, v59, 3, v56
	s_barrier
	buffer_gl0_inv
	v_mov_b32_e32 v50, 13
	ds_write_b64 v0, v[28:29]
	s_waitcnt lgkmcnt(0)
	s_barrier
	buffer_gl0_inv
	ds_read_b64 v[0:1], v56 offset:104
	s_cmp_lt_i32 s2, 15
	s_cbranch_scc1 .LBB42_219
; %bb.217:
	v_add3_u32 v51, v57, 0, 0x70
	v_mov_b32_e32 v50, 13
	s_mov_b32 s0, 14
.LBB42_218:                             ; =>This Inner Loop Header: Depth=1
	ds_read_b64 v[60:61], v51
	v_add_nc_u32_e32 v51, 8, v51
	s_waitcnt lgkmcnt(0)
	v_cmp_lt_f64_e64 vcc_lo, |v[0:1]|, |v[60:61]|
	v_cndmask_b32_e32 v1, v1, v61, vcc_lo
	v_cndmask_b32_e32 v0, v0, v60, vcc_lo
	v_cndmask_b32_e64 v50, v50, s0, vcc_lo
	s_add_i32 s0, s0, 1
	s_cmp_lg_u32 s2, s0
	s_cbranch_scc1 .LBB42_218
.LBB42_219:
	s_mov_b32 s0, exec_lo
	s_waitcnt lgkmcnt(0)
	v_cmpx_eq_f64_e32 0, v[0:1]
	s_xor_b32 s0, exec_lo, s0
; %bb.220:
	v_cmp_ne_u32_e32 vcc_lo, 0, v58
	v_cndmask_b32_e32 v58, 14, v58, vcc_lo
; %bb.221:
	s_andn2_saveexec_b32 s0, s0
	s_cbranch_execz .LBB42_223
; %bb.222:
	v_div_scale_f64 v[51:52], null, v[0:1], v[0:1], 1.0
	v_rcp_f64_e32 v[60:61], v[51:52]
	v_fma_f64 v[62:63], -v[51:52], v[60:61], 1.0
	v_fma_f64 v[60:61], v[60:61], v[62:63], v[60:61]
	v_fma_f64 v[62:63], -v[51:52], v[60:61], 1.0
	v_fma_f64 v[60:61], v[60:61], v[62:63], v[60:61]
	v_div_scale_f64 v[62:63], vcc_lo, 1.0, v[0:1], 1.0
	v_mul_f64 v[64:65], v[62:63], v[60:61]
	v_fma_f64 v[51:52], -v[51:52], v[64:65], v[62:63]
	v_div_fmas_f64 v[51:52], v[51:52], v[60:61], v[64:65]
	v_div_fixup_f64 v[0:1], v[51:52], v[0:1], 1.0
.LBB42_223:
	s_or_b32 exec_lo, exec_lo, s0
	s_mov_b32 s0, exec_lo
	v_cmpx_ne_u32_e64 v59, v50
	s_xor_b32 s0, exec_lo, s0
	s_cbranch_execz .LBB42_229
; %bb.224:
	s_mov_b32 s1, exec_lo
	v_cmpx_eq_u32_e32 13, v59
	s_cbranch_execz .LBB42_228
; %bb.225:
	v_cmp_ne_u32_e32 vcc_lo, 13, v50
	s_xor_b32 s3, s6, -1
	s_and_b32 s7, s3, vcc_lo
	s_and_saveexec_b32 s3, s7
	s_cbranch_execz .LBB42_227
; %bb.226:
	v_ashrrev_i32_e32 v51, 31, v50
	v_lshlrev_b64 v[51:52], 2, v[50:51]
	v_add_co_u32 v51, vcc_lo, v46, v51
	v_add_co_ci_u32_e64 v52, null, v47, v52, vcc_lo
	s_clause 0x1
	global_load_dword v53, v[51:52], off
	global_load_dword v59, v[46:47], off offset:52
	s_waitcnt vmcnt(1)
	global_store_dword v[46:47], v53, off offset:52
	s_waitcnt vmcnt(0)
	global_store_dword v[51:52], v59, off
.LBB42_227:
	s_or_b32 exec_lo, exec_lo, s3
	v_mov_b32_e32 v53, v50
	v_mov_b32_e32 v59, v50
.LBB42_228:
	s_or_b32 exec_lo, exec_lo, s1
.LBB42_229:
	s_andn2_saveexec_b32 s0, s0
	s_cbranch_execz .LBB42_231
; %bb.230:
	v_mov_b32_e32 v50, v30
	v_mov_b32_e32 v51, v31
	;; [unrolled: 1-line block ×15, first 2 shown]
	ds_write2_b64 v56, v[50:51], v[60:61] offset0:14 offset1:15
	ds_write2_b64 v56, v[62:63], v[64:65] offset0:16 offset1:17
	;; [unrolled: 1-line block ×4, first 2 shown]
.LBB42_231:
	s_or_b32 exec_lo, exec_lo, s0
	s_mov_b32 s0, exec_lo
	s_waitcnt lgkmcnt(0)
	s_waitcnt_vscnt null, 0x0
	s_barrier
	buffer_gl0_inv
	v_cmpx_lt_i32_e32 13, v59
	s_cbranch_execz .LBB42_233
; %bb.232:
	v_mul_f64 v[28:29], v[0:1], v[28:29]
	ds_read2_b64 v[60:63], v56 offset0:14 offset1:15
	ds_read2_b64 v[64:67], v56 offset0:16 offset1:17
	;; [unrolled: 1-line block ×4, first 2 shown]
	s_waitcnt lgkmcnt(3)
	v_fma_f64 v[30:31], -v[28:29], v[60:61], v[30:31]
	v_fma_f64 v[6:7], -v[28:29], v[62:63], v[6:7]
	s_waitcnt lgkmcnt(2)
	v_fma_f64 v[42:43], -v[28:29], v[64:65], v[42:43]
	v_fma_f64 v[14:15], -v[28:29], v[66:67], v[14:15]
	s_waitcnt lgkmcnt(1)
	v_fma_f64 v[18:19], -v[28:29], v[68:69], v[18:19]
	v_fma_f64 v[12:13], -v[28:29], v[70:71], v[12:13]
	s_waitcnt lgkmcnt(0)
	v_fma_f64 v[16:17], -v[28:29], v[72:73], v[16:17]
	v_fma_f64 v[48:49], -v[28:29], v[74:75], v[48:49]
.LBB42_233:
	s_or_b32 exec_lo, exec_lo, s0
	v_lshl_add_u32 v0, v59, 3, v56
	s_barrier
	buffer_gl0_inv
	v_mov_b32_e32 v50, 14
	ds_write_b64 v0, v[30:31]
	s_waitcnt lgkmcnt(0)
	s_barrier
	buffer_gl0_inv
	ds_read_b64 v[0:1], v56 offset:112
	s_cmp_lt_i32 s2, 16
	s_cbranch_scc1 .LBB42_236
; %bb.234:
	v_add3_u32 v51, v57, 0, 0x78
	v_mov_b32_e32 v50, 14
	s_mov_b32 s0, 15
.LBB42_235:                             ; =>This Inner Loop Header: Depth=1
	ds_read_b64 v[60:61], v51
	v_add_nc_u32_e32 v51, 8, v51
	s_waitcnt lgkmcnt(0)
	v_cmp_lt_f64_e64 vcc_lo, |v[0:1]|, |v[60:61]|
	v_cndmask_b32_e32 v1, v1, v61, vcc_lo
	v_cndmask_b32_e32 v0, v0, v60, vcc_lo
	v_cndmask_b32_e64 v50, v50, s0, vcc_lo
	s_add_i32 s0, s0, 1
	s_cmp_lg_u32 s2, s0
	s_cbranch_scc1 .LBB42_235
.LBB42_236:
	s_mov_b32 s0, exec_lo
	s_waitcnt lgkmcnt(0)
	v_cmpx_eq_f64_e32 0, v[0:1]
	s_xor_b32 s0, exec_lo, s0
; %bb.237:
	v_cmp_ne_u32_e32 vcc_lo, 0, v58
	v_cndmask_b32_e32 v58, 15, v58, vcc_lo
; %bb.238:
	s_andn2_saveexec_b32 s0, s0
	s_cbranch_execz .LBB42_240
; %bb.239:
	v_div_scale_f64 v[51:52], null, v[0:1], v[0:1], 1.0
	v_rcp_f64_e32 v[60:61], v[51:52]
	v_fma_f64 v[62:63], -v[51:52], v[60:61], 1.0
	v_fma_f64 v[60:61], v[60:61], v[62:63], v[60:61]
	v_fma_f64 v[62:63], -v[51:52], v[60:61], 1.0
	v_fma_f64 v[60:61], v[60:61], v[62:63], v[60:61]
	v_div_scale_f64 v[62:63], vcc_lo, 1.0, v[0:1], 1.0
	v_mul_f64 v[64:65], v[62:63], v[60:61]
	v_fma_f64 v[51:52], -v[51:52], v[64:65], v[62:63]
	v_div_fmas_f64 v[51:52], v[51:52], v[60:61], v[64:65]
	v_div_fixup_f64 v[0:1], v[51:52], v[0:1], 1.0
.LBB42_240:
	s_or_b32 exec_lo, exec_lo, s0
	s_mov_b32 s0, exec_lo
	v_cmpx_ne_u32_e64 v59, v50
	s_xor_b32 s0, exec_lo, s0
	s_cbranch_execz .LBB42_246
; %bb.241:
	s_mov_b32 s1, exec_lo
	v_cmpx_eq_u32_e32 14, v59
	s_cbranch_execz .LBB42_245
; %bb.242:
	v_cmp_ne_u32_e32 vcc_lo, 14, v50
	s_xor_b32 s3, s6, -1
	s_and_b32 s7, s3, vcc_lo
	s_and_saveexec_b32 s3, s7
	s_cbranch_execz .LBB42_244
; %bb.243:
	v_ashrrev_i32_e32 v51, 31, v50
	v_lshlrev_b64 v[51:52], 2, v[50:51]
	v_add_co_u32 v51, vcc_lo, v46, v51
	v_add_co_ci_u32_e64 v52, null, v47, v52, vcc_lo
	s_clause 0x1
	global_load_dword v53, v[51:52], off
	global_load_dword v59, v[46:47], off offset:56
	s_waitcnt vmcnt(1)
	global_store_dword v[46:47], v53, off offset:56
	s_waitcnt vmcnt(0)
	global_store_dword v[51:52], v59, off
.LBB42_244:
	s_or_b32 exec_lo, exec_lo, s3
	v_mov_b32_e32 v53, v50
	v_mov_b32_e32 v59, v50
.LBB42_245:
	s_or_b32 exec_lo, exec_lo, s1
.LBB42_246:
	s_andn2_saveexec_b32 s0, s0
	s_cbranch_execz .LBB42_248
; %bb.247:
	v_mov_b32_e32 v59, 14
	ds_write2_b64 v56, v[6:7], v[42:43] offset0:15 offset1:16
	ds_write2_b64 v56, v[14:15], v[18:19] offset0:17 offset1:18
	;; [unrolled: 1-line block ×3, first 2 shown]
	ds_write_b64 v56, v[48:49] offset:168
.LBB42_248:
	s_or_b32 exec_lo, exec_lo, s0
	s_mov_b32 s0, exec_lo
	s_waitcnt lgkmcnt(0)
	s_waitcnt_vscnt null, 0x0
	s_barrier
	buffer_gl0_inv
	v_cmpx_lt_i32_e32 14, v59
	s_cbranch_execz .LBB42_250
; %bb.249:
	v_mul_f64 v[30:31], v[0:1], v[30:31]
	ds_read2_b64 v[60:63], v56 offset0:15 offset1:16
	ds_read2_b64 v[64:67], v56 offset0:17 offset1:18
	;; [unrolled: 1-line block ×3, first 2 shown]
	ds_read_b64 v[0:1], v56 offset:168
	s_waitcnt lgkmcnt(3)
	v_fma_f64 v[6:7], -v[30:31], v[60:61], v[6:7]
	v_fma_f64 v[42:43], -v[30:31], v[62:63], v[42:43]
	s_waitcnt lgkmcnt(2)
	v_fma_f64 v[14:15], -v[30:31], v[64:65], v[14:15]
	v_fma_f64 v[18:19], -v[30:31], v[66:67], v[18:19]
	;; [unrolled: 3-line block ×3, first 2 shown]
	s_waitcnt lgkmcnt(0)
	v_fma_f64 v[48:49], -v[30:31], v[0:1], v[48:49]
.LBB42_250:
	s_or_b32 exec_lo, exec_lo, s0
	v_lshl_add_u32 v0, v59, 3, v56
	s_barrier
	buffer_gl0_inv
	v_mov_b32_e32 v50, 15
	ds_write_b64 v0, v[6:7]
	s_waitcnt lgkmcnt(0)
	s_barrier
	buffer_gl0_inv
	ds_read_b64 v[0:1], v56 offset:120
	s_cmp_lt_i32 s2, 17
	s_cbranch_scc1 .LBB42_253
; %bb.251:
	v_add3_u32 v51, v57, 0, 0x80
	v_mov_b32_e32 v50, 15
	s_mov_b32 s0, 16
.LBB42_252:                             ; =>This Inner Loop Header: Depth=1
	ds_read_b64 v[60:61], v51
	v_add_nc_u32_e32 v51, 8, v51
	s_waitcnt lgkmcnt(0)
	v_cmp_lt_f64_e64 vcc_lo, |v[0:1]|, |v[60:61]|
	v_cndmask_b32_e32 v1, v1, v61, vcc_lo
	v_cndmask_b32_e32 v0, v0, v60, vcc_lo
	v_cndmask_b32_e64 v50, v50, s0, vcc_lo
	s_add_i32 s0, s0, 1
	s_cmp_lg_u32 s2, s0
	s_cbranch_scc1 .LBB42_252
.LBB42_253:
	s_mov_b32 s0, exec_lo
	s_waitcnt lgkmcnt(0)
	v_cmpx_eq_f64_e32 0, v[0:1]
	s_xor_b32 s0, exec_lo, s0
; %bb.254:
	v_cmp_ne_u32_e32 vcc_lo, 0, v58
	v_cndmask_b32_e32 v58, 16, v58, vcc_lo
; %bb.255:
	s_andn2_saveexec_b32 s0, s0
	s_cbranch_execz .LBB42_257
; %bb.256:
	v_div_scale_f64 v[51:52], null, v[0:1], v[0:1], 1.0
	v_rcp_f64_e32 v[60:61], v[51:52]
	v_fma_f64 v[62:63], -v[51:52], v[60:61], 1.0
	v_fma_f64 v[60:61], v[60:61], v[62:63], v[60:61]
	v_fma_f64 v[62:63], -v[51:52], v[60:61], 1.0
	v_fma_f64 v[60:61], v[60:61], v[62:63], v[60:61]
	v_div_scale_f64 v[62:63], vcc_lo, 1.0, v[0:1], 1.0
	v_mul_f64 v[64:65], v[62:63], v[60:61]
	v_fma_f64 v[51:52], -v[51:52], v[64:65], v[62:63]
	v_div_fmas_f64 v[51:52], v[51:52], v[60:61], v[64:65]
	v_div_fixup_f64 v[0:1], v[51:52], v[0:1], 1.0
.LBB42_257:
	s_or_b32 exec_lo, exec_lo, s0
	s_mov_b32 s0, exec_lo
	v_cmpx_ne_u32_e64 v59, v50
	s_xor_b32 s0, exec_lo, s0
	s_cbranch_execz .LBB42_263
; %bb.258:
	s_mov_b32 s1, exec_lo
	v_cmpx_eq_u32_e32 15, v59
	s_cbranch_execz .LBB42_262
; %bb.259:
	v_cmp_ne_u32_e32 vcc_lo, 15, v50
	s_xor_b32 s3, s6, -1
	s_and_b32 s7, s3, vcc_lo
	s_and_saveexec_b32 s3, s7
	s_cbranch_execz .LBB42_261
; %bb.260:
	v_ashrrev_i32_e32 v51, 31, v50
	v_lshlrev_b64 v[51:52], 2, v[50:51]
	v_add_co_u32 v51, vcc_lo, v46, v51
	v_add_co_ci_u32_e64 v52, null, v47, v52, vcc_lo
	s_clause 0x1
	global_load_dword v53, v[51:52], off
	global_load_dword v59, v[46:47], off offset:60
	s_waitcnt vmcnt(1)
	global_store_dword v[46:47], v53, off offset:60
	s_waitcnt vmcnt(0)
	global_store_dword v[51:52], v59, off
.LBB42_261:
	s_or_b32 exec_lo, exec_lo, s3
	v_mov_b32_e32 v53, v50
	v_mov_b32_e32 v59, v50
.LBB42_262:
	s_or_b32 exec_lo, exec_lo, s1
.LBB42_263:
	s_andn2_saveexec_b32 s0, s0
	s_cbranch_execz .LBB42_265
; %bb.264:
	v_mov_b32_e32 v50, v42
	v_mov_b32_e32 v51, v43
	;; [unrolled: 1-line block ×11, first 2 shown]
	ds_write2_b64 v56, v[50:51], v[60:61] offset0:16 offset1:17
	ds_write2_b64 v56, v[62:63], v[64:65] offset0:18 offset1:19
	;; [unrolled: 1-line block ×3, first 2 shown]
.LBB42_265:
	s_or_b32 exec_lo, exec_lo, s0
	s_mov_b32 s0, exec_lo
	s_waitcnt lgkmcnt(0)
	s_waitcnt_vscnt null, 0x0
	s_barrier
	buffer_gl0_inv
	v_cmpx_lt_i32_e32 15, v59
	s_cbranch_execz .LBB42_267
; %bb.266:
	v_mul_f64 v[6:7], v[0:1], v[6:7]
	ds_read2_b64 v[60:63], v56 offset0:16 offset1:17
	ds_read2_b64 v[64:67], v56 offset0:18 offset1:19
	;; [unrolled: 1-line block ×3, first 2 shown]
	s_waitcnt lgkmcnt(2)
	v_fma_f64 v[42:43], -v[6:7], v[60:61], v[42:43]
	v_fma_f64 v[14:15], -v[6:7], v[62:63], v[14:15]
	s_waitcnt lgkmcnt(1)
	v_fma_f64 v[18:19], -v[6:7], v[64:65], v[18:19]
	v_fma_f64 v[12:13], -v[6:7], v[66:67], v[12:13]
	;; [unrolled: 3-line block ×3, first 2 shown]
.LBB42_267:
	s_or_b32 exec_lo, exec_lo, s0
	v_lshl_add_u32 v0, v59, 3, v56
	s_barrier
	buffer_gl0_inv
	v_mov_b32_e32 v50, 16
	ds_write_b64 v0, v[42:43]
	s_waitcnt lgkmcnt(0)
	s_barrier
	buffer_gl0_inv
	ds_read_b64 v[0:1], v56 offset:128
	s_cmp_lt_i32 s2, 18
	s_cbranch_scc1 .LBB42_270
; %bb.268:
	v_add3_u32 v51, v57, 0, 0x88
	v_mov_b32_e32 v50, 16
	s_mov_b32 s0, 17
.LBB42_269:                             ; =>This Inner Loop Header: Depth=1
	ds_read_b64 v[60:61], v51
	v_add_nc_u32_e32 v51, 8, v51
	s_waitcnt lgkmcnt(0)
	v_cmp_lt_f64_e64 vcc_lo, |v[0:1]|, |v[60:61]|
	v_cndmask_b32_e32 v1, v1, v61, vcc_lo
	v_cndmask_b32_e32 v0, v0, v60, vcc_lo
	v_cndmask_b32_e64 v50, v50, s0, vcc_lo
	s_add_i32 s0, s0, 1
	s_cmp_lg_u32 s2, s0
	s_cbranch_scc1 .LBB42_269
.LBB42_270:
	s_mov_b32 s0, exec_lo
	s_waitcnt lgkmcnt(0)
	v_cmpx_eq_f64_e32 0, v[0:1]
	s_xor_b32 s0, exec_lo, s0
; %bb.271:
	v_cmp_ne_u32_e32 vcc_lo, 0, v58
	v_cndmask_b32_e32 v58, 17, v58, vcc_lo
; %bb.272:
	s_andn2_saveexec_b32 s0, s0
	s_cbranch_execz .LBB42_274
; %bb.273:
	v_div_scale_f64 v[51:52], null, v[0:1], v[0:1], 1.0
	v_rcp_f64_e32 v[60:61], v[51:52]
	v_fma_f64 v[62:63], -v[51:52], v[60:61], 1.0
	v_fma_f64 v[60:61], v[60:61], v[62:63], v[60:61]
	v_fma_f64 v[62:63], -v[51:52], v[60:61], 1.0
	v_fma_f64 v[60:61], v[60:61], v[62:63], v[60:61]
	v_div_scale_f64 v[62:63], vcc_lo, 1.0, v[0:1], 1.0
	v_mul_f64 v[64:65], v[62:63], v[60:61]
	v_fma_f64 v[51:52], -v[51:52], v[64:65], v[62:63]
	v_div_fmas_f64 v[51:52], v[51:52], v[60:61], v[64:65]
	v_div_fixup_f64 v[0:1], v[51:52], v[0:1], 1.0
.LBB42_274:
	s_or_b32 exec_lo, exec_lo, s0
	s_mov_b32 s0, exec_lo
	v_cmpx_ne_u32_e64 v59, v50
	s_xor_b32 s0, exec_lo, s0
	s_cbranch_execz .LBB42_280
; %bb.275:
	s_mov_b32 s1, exec_lo
	v_cmpx_eq_u32_e32 16, v59
	s_cbranch_execz .LBB42_279
; %bb.276:
	v_cmp_ne_u32_e32 vcc_lo, 16, v50
	s_xor_b32 s3, s6, -1
	s_and_b32 s7, s3, vcc_lo
	s_and_saveexec_b32 s3, s7
	s_cbranch_execz .LBB42_278
; %bb.277:
	v_ashrrev_i32_e32 v51, 31, v50
	v_lshlrev_b64 v[51:52], 2, v[50:51]
	v_add_co_u32 v51, vcc_lo, v46, v51
	v_add_co_ci_u32_e64 v52, null, v47, v52, vcc_lo
	s_clause 0x1
	global_load_dword v53, v[51:52], off
	global_load_dword v59, v[46:47], off offset:64
	s_waitcnt vmcnt(1)
	global_store_dword v[46:47], v53, off offset:64
	s_waitcnt vmcnt(0)
	global_store_dword v[51:52], v59, off
.LBB42_278:
	s_or_b32 exec_lo, exec_lo, s3
	v_mov_b32_e32 v53, v50
	v_mov_b32_e32 v59, v50
.LBB42_279:
	s_or_b32 exec_lo, exec_lo, s1
.LBB42_280:
	s_andn2_saveexec_b32 s0, s0
	s_cbranch_execz .LBB42_282
; %bb.281:
	v_mov_b32_e32 v59, 16
	ds_write2_b64 v56, v[14:15], v[18:19] offset0:17 offset1:18
	ds_write2_b64 v56, v[12:13], v[16:17] offset0:19 offset1:20
	ds_write_b64 v56, v[48:49] offset:168
.LBB42_282:
	s_or_b32 exec_lo, exec_lo, s0
	s_mov_b32 s0, exec_lo
	s_waitcnt lgkmcnt(0)
	s_waitcnt_vscnt null, 0x0
	s_barrier
	buffer_gl0_inv
	v_cmpx_lt_i32_e32 16, v59
	s_cbranch_execz .LBB42_284
; %bb.283:
	v_mul_f64 v[42:43], v[0:1], v[42:43]
	ds_read2_b64 v[60:63], v56 offset0:17 offset1:18
	ds_read2_b64 v[64:67], v56 offset0:19 offset1:20
	ds_read_b64 v[0:1], v56 offset:168
	s_waitcnt lgkmcnt(2)
	v_fma_f64 v[14:15], -v[42:43], v[60:61], v[14:15]
	v_fma_f64 v[18:19], -v[42:43], v[62:63], v[18:19]
	s_waitcnt lgkmcnt(1)
	v_fma_f64 v[12:13], -v[42:43], v[64:65], v[12:13]
	v_fma_f64 v[16:17], -v[42:43], v[66:67], v[16:17]
	s_waitcnt lgkmcnt(0)
	v_fma_f64 v[48:49], -v[42:43], v[0:1], v[48:49]
.LBB42_284:
	s_or_b32 exec_lo, exec_lo, s0
	v_lshl_add_u32 v0, v59, 3, v56
	s_barrier
	buffer_gl0_inv
	v_mov_b32_e32 v50, 17
	ds_write_b64 v0, v[14:15]
	s_waitcnt lgkmcnt(0)
	s_barrier
	buffer_gl0_inv
	ds_read_b64 v[0:1], v56 offset:136
	s_cmp_lt_i32 s2, 19
	s_cbranch_scc1 .LBB42_287
; %bb.285:
	v_add3_u32 v51, v57, 0, 0x90
	v_mov_b32_e32 v50, 17
	s_mov_b32 s0, 18
.LBB42_286:                             ; =>This Inner Loop Header: Depth=1
	ds_read_b64 v[60:61], v51
	v_add_nc_u32_e32 v51, 8, v51
	s_waitcnt lgkmcnt(0)
	v_cmp_lt_f64_e64 vcc_lo, |v[0:1]|, |v[60:61]|
	v_cndmask_b32_e32 v1, v1, v61, vcc_lo
	v_cndmask_b32_e32 v0, v0, v60, vcc_lo
	v_cndmask_b32_e64 v50, v50, s0, vcc_lo
	s_add_i32 s0, s0, 1
	s_cmp_lg_u32 s2, s0
	s_cbranch_scc1 .LBB42_286
.LBB42_287:
	s_mov_b32 s0, exec_lo
	s_waitcnt lgkmcnt(0)
	v_cmpx_eq_f64_e32 0, v[0:1]
	s_xor_b32 s0, exec_lo, s0
; %bb.288:
	v_cmp_ne_u32_e32 vcc_lo, 0, v58
	v_cndmask_b32_e32 v58, 18, v58, vcc_lo
; %bb.289:
	s_andn2_saveexec_b32 s0, s0
	s_cbranch_execz .LBB42_291
; %bb.290:
	v_div_scale_f64 v[51:52], null, v[0:1], v[0:1], 1.0
	v_rcp_f64_e32 v[60:61], v[51:52]
	v_fma_f64 v[62:63], -v[51:52], v[60:61], 1.0
	v_fma_f64 v[60:61], v[60:61], v[62:63], v[60:61]
	v_fma_f64 v[62:63], -v[51:52], v[60:61], 1.0
	v_fma_f64 v[60:61], v[60:61], v[62:63], v[60:61]
	v_div_scale_f64 v[62:63], vcc_lo, 1.0, v[0:1], 1.0
	v_mul_f64 v[64:65], v[62:63], v[60:61]
	v_fma_f64 v[51:52], -v[51:52], v[64:65], v[62:63]
	v_div_fmas_f64 v[51:52], v[51:52], v[60:61], v[64:65]
	v_div_fixup_f64 v[0:1], v[51:52], v[0:1], 1.0
.LBB42_291:
	s_or_b32 exec_lo, exec_lo, s0
	s_mov_b32 s0, exec_lo
	v_cmpx_ne_u32_e64 v59, v50
	s_xor_b32 s0, exec_lo, s0
	s_cbranch_execz .LBB42_297
; %bb.292:
	s_mov_b32 s1, exec_lo
	v_cmpx_eq_u32_e32 17, v59
	s_cbranch_execz .LBB42_296
; %bb.293:
	v_cmp_ne_u32_e32 vcc_lo, 17, v50
	s_xor_b32 s3, s6, -1
	s_and_b32 s7, s3, vcc_lo
	s_and_saveexec_b32 s3, s7
	s_cbranch_execz .LBB42_295
; %bb.294:
	v_ashrrev_i32_e32 v51, 31, v50
	v_lshlrev_b64 v[51:52], 2, v[50:51]
	v_add_co_u32 v51, vcc_lo, v46, v51
	v_add_co_ci_u32_e64 v52, null, v47, v52, vcc_lo
	s_clause 0x1
	global_load_dword v53, v[51:52], off
	global_load_dword v59, v[46:47], off offset:68
	s_waitcnt vmcnt(1)
	global_store_dword v[46:47], v53, off offset:68
	s_waitcnt vmcnt(0)
	global_store_dword v[51:52], v59, off
.LBB42_295:
	s_or_b32 exec_lo, exec_lo, s3
	v_mov_b32_e32 v53, v50
	v_mov_b32_e32 v59, v50
.LBB42_296:
	s_or_b32 exec_lo, exec_lo, s1
.LBB42_297:
	s_andn2_saveexec_b32 s0, s0
	s_cbranch_execz .LBB42_299
; %bb.298:
	v_mov_b32_e32 v50, v18
	v_mov_b32_e32 v51, v19
	v_mov_b32_e32 v60, v12
	v_mov_b32_e32 v61, v13
	v_mov_b32_e32 v59, 17
	v_mov_b32_e32 v62, v16
	v_mov_b32_e32 v63, v17
	ds_write2_b64 v56, v[50:51], v[60:61] offset0:18 offset1:19
	ds_write2_b64 v56, v[62:63], v[48:49] offset0:20 offset1:21
.LBB42_299:
	s_or_b32 exec_lo, exec_lo, s0
	s_mov_b32 s0, exec_lo
	s_waitcnt lgkmcnt(0)
	s_waitcnt_vscnt null, 0x0
	s_barrier
	buffer_gl0_inv
	v_cmpx_lt_i32_e32 17, v59
	s_cbranch_execz .LBB42_301
; %bb.300:
	v_mul_f64 v[14:15], v[0:1], v[14:15]
	ds_read2_b64 v[60:63], v56 offset0:18 offset1:19
	ds_read2_b64 v[64:67], v56 offset0:20 offset1:21
	s_waitcnt lgkmcnt(1)
	v_fma_f64 v[18:19], -v[14:15], v[60:61], v[18:19]
	v_fma_f64 v[12:13], -v[14:15], v[62:63], v[12:13]
	s_waitcnt lgkmcnt(0)
	v_fma_f64 v[16:17], -v[14:15], v[64:65], v[16:17]
	v_fma_f64 v[48:49], -v[14:15], v[66:67], v[48:49]
.LBB42_301:
	s_or_b32 exec_lo, exec_lo, s0
	v_lshl_add_u32 v0, v59, 3, v56
	s_barrier
	buffer_gl0_inv
	v_mov_b32_e32 v50, 18
	ds_write_b64 v0, v[18:19]
	s_waitcnt lgkmcnt(0)
	s_barrier
	buffer_gl0_inv
	ds_read_b64 v[0:1], v56 offset:144
	s_cmp_lt_i32 s2, 20
	s_cbranch_scc1 .LBB42_304
; %bb.302:
	v_add3_u32 v51, v57, 0, 0x98
	v_mov_b32_e32 v50, 18
	s_mov_b32 s0, 19
.LBB42_303:                             ; =>This Inner Loop Header: Depth=1
	ds_read_b64 v[60:61], v51
	v_add_nc_u32_e32 v51, 8, v51
	s_waitcnt lgkmcnt(0)
	v_cmp_lt_f64_e64 vcc_lo, |v[0:1]|, |v[60:61]|
	v_cndmask_b32_e32 v1, v1, v61, vcc_lo
	v_cndmask_b32_e32 v0, v0, v60, vcc_lo
	v_cndmask_b32_e64 v50, v50, s0, vcc_lo
	s_add_i32 s0, s0, 1
	s_cmp_lg_u32 s2, s0
	s_cbranch_scc1 .LBB42_303
.LBB42_304:
	s_mov_b32 s0, exec_lo
	s_waitcnt lgkmcnt(0)
	v_cmpx_eq_f64_e32 0, v[0:1]
	s_xor_b32 s0, exec_lo, s0
; %bb.305:
	v_cmp_ne_u32_e32 vcc_lo, 0, v58
	v_cndmask_b32_e32 v58, 19, v58, vcc_lo
; %bb.306:
	s_andn2_saveexec_b32 s0, s0
	s_cbranch_execz .LBB42_308
; %bb.307:
	v_div_scale_f64 v[51:52], null, v[0:1], v[0:1], 1.0
	v_rcp_f64_e32 v[60:61], v[51:52]
	v_fma_f64 v[62:63], -v[51:52], v[60:61], 1.0
	v_fma_f64 v[60:61], v[60:61], v[62:63], v[60:61]
	v_fma_f64 v[62:63], -v[51:52], v[60:61], 1.0
	v_fma_f64 v[60:61], v[60:61], v[62:63], v[60:61]
	v_div_scale_f64 v[62:63], vcc_lo, 1.0, v[0:1], 1.0
	v_mul_f64 v[64:65], v[62:63], v[60:61]
	v_fma_f64 v[51:52], -v[51:52], v[64:65], v[62:63]
	v_div_fmas_f64 v[51:52], v[51:52], v[60:61], v[64:65]
	v_div_fixup_f64 v[0:1], v[51:52], v[0:1], 1.0
.LBB42_308:
	s_or_b32 exec_lo, exec_lo, s0
	s_mov_b32 s0, exec_lo
	v_cmpx_ne_u32_e64 v59, v50
	s_xor_b32 s0, exec_lo, s0
	s_cbranch_execz .LBB42_314
; %bb.309:
	s_mov_b32 s1, exec_lo
	v_cmpx_eq_u32_e32 18, v59
	s_cbranch_execz .LBB42_313
; %bb.310:
	v_cmp_ne_u32_e32 vcc_lo, 18, v50
	s_xor_b32 s3, s6, -1
	s_and_b32 s7, s3, vcc_lo
	s_and_saveexec_b32 s3, s7
	s_cbranch_execz .LBB42_312
; %bb.311:
	v_ashrrev_i32_e32 v51, 31, v50
	v_lshlrev_b64 v[51:52], 2, v[50:51]
	v_add_co_u32 v51, vcc_lo, v46, v51
	v_add_co_ci_u32_e64 v52, null, v47, v52, vcc_lo
	s_clause 0x1
	global_load_dword v53, v[51:52], off
	global_load_dword v59, v[46:47], off offset:72
	s_waitcnt vmcnt(1)
	global_store_dword v[46:47], v53, off offset:72
	s_waitcnt vmcnt(0)
	global_store_dword v[51:52], v59, off
.LBB42_312:
	s_or_b32 exec_lo, exec_lo, s3
	v_mov_b32_e32 v53, v50
	v_mov_b32_e32 v59, v50
.LBB42_313:
	s_or_b32 exec_lo, exec_lo, s1
.LBB42_314:
	s_andn2_saveexec_b32 s0, s0
	s_cbranch_execz .LBB42_316
; %bb.315:
	v_mov_b32_e32 v59, 18
	ds_write2_b64 v56, v[12:13], v[16:17] offset0:19 offset1:20
	ds_write_b64 v56, v[48:49] offset:168
.LBB42_316:
	s_or_b32 exec_lo, exec_lo, s0
	s_mov_b32 s0, exec_lo
	s_waitcnt lgkmcnt(0)
	s_waitcnt_vscnt null, 0x0
	s_barrier
	buffer_gl0_inv
	v_cmpx_lt_i32_e32 18, v59
	s_cbranch_execz .LBB42_318
; %bb.317:
	v_mul_f64 v[18:19], v[0:1], v[18:19]
	ds_read2_b64 v[60:63], v56 offset0:19 offset1:20
	ds_read_b64 v[0:1], v56 offset:168
	s_waitcnt lgkmcnt(1)
	v_fma_f64 v[12:13], -v[18:19], v[60:61], v[12:13]
	v_fma_f64 v[16:17], -v[18:19], v[62:63], v[16:17]
	s_waitcnt lgkmcnt(0)
	v_fma_f64 v[48:49], -v[18:19], v[0:1], v[48:49]
.LBB42_318:
	s_or_b32 exec_lo, exec_lo, s0
	v_lshl_add_u32 v0, v59, 3, v56
	s_barrier
	buffer_gl0_inv
	v_mov_b32_e32 v50, 19
	ds_write_b64 v0, v[12:13]
	s_waitcnt lgkmcnt(0)
	s_barrier
	buffer_gl0_inv
	ds_read_b64 v[0:1], v56 offset:152
	s_cmp_lt_i32 s2, 21
	s_cbranch_scc1 .LBB42_321
; %bb.319:
	v_add3_u32 v51, v57, 0, 0xa0
	v_mov_b32_e32 v50, 19
	s_mov_b32 s0, 20
.LBB42_320:                             ; =>This Inner Loop Header: Depth=1
	ds_read_b64 v[60:61], v51
	v_add_nc_u32_e32 v51, 8, v51
	s_waitcnt lgkmcnt(0)
	v_cmp_lt_f64_e64 vcc_lo, |v[0:1]|, |v[60:61]|
	v_cndmask_b32_e32 v1, v1, v61, vcc_lo
	v_cndmask_b32_e32 v0, v0, v60, vcc_lo
	v_cndmask_b32_e64 v50, v50, s0, vcc_lo
	s_add_i32 s0, s0, 1
	s_cmp_lg_u32 s2, s0
	s_cbranch_scc1 .LBB42_320
.LBB42_321:
	s_mov_b32 s0, exec_lo
	s_waitcnt lgkmcnt(0)
	v_cmpx_eq_f64_e32 0, v[0:1]
	s_xor_b32 s0, exec_lo, s0
; %bb.322:
	v_cmp_ne_u32_e32 vcc_lo, 0, v58
	v_cndmask_b32_e32 v58, 20, v58, vcc_lo
; %bb.323:
	s_andn2_saveexec_b32 s0, s0
	s_cbranch_execz .LBB42_325
; %bb.324:
	v_div_scale_f64 v[51:52], null, v[0:1], v[0:1], 1.0
	v_rcp_f64_e32 v[60:61], v[51:52]
	v_fma_f64 v[62:63], -v[51:52], v[60:61], 1.0
	v_fma_f64 v[60:61], v[60:61], v[62:63], v[60:61]
	v_fma_f64 v[62:63], -v[51:52], v[60:61], 1.0
	v_fma_f64 v[60:61], v[60:61], v[62:63], v[60:61]
	v_div_scale_f64 v[62:63], vcc_lo, 1.0, v[0:1], 1.0
	v_mul_f64 v[64:65], v[62:63], v[60:61]
	v_fma_f64 v[51:52], -v[51:52], v[64:65], v[62:63]
	v_div_fmas_f64 v[51:52], v[51:52], v[60:61], v[64:65]
	v_div_fixup_f64 v[0:1], v[51:52], v[0:1], 1.0
.LBB42_325:
	s_or_b32 exec_lo, exec_lo, s0
	s_mov_b32 s0, exec_lo
	v_cmpx_ne_u32_e64 v59, v50
	s_xor_b32 s0, exec_lo, s0
	s_cbranch_execz .LBB42_331
; %bb.326:
	s_mov_b32 s1, exec_lo
	v_cmpx_eq_u32_e32 19, v59
	s_cbranch_execz .LBB42_330
; %bb.327:
	v_cmp_ne_u32_e32 vcc_lo, 19, v50
	s_xor_b32 s3, s6, -1
	s_and_b32 s7, s3, vcc_lo
	s_and_saveexec_b32 s3, s7
	s_cbranch_execz .LBB42_329
; %bb.328:
	v_ashrrev_i32_e32 v51, 31, v50
	v_lshlrev_b64 v[51:52], 2, v[50:51]
	v_add_co_u32 v51, vcc_lo, v46, v51
	v_add_co_ci_u32_e64 v52, null, v47, v52, vcc_lo
	s_clause 0x1
	global_load_dword v53, v[51:52], off
	global_load_dword v59, v[46:47], off offset:76
	s_waitcnt vmcnt(1)
	global_store_dword v[46:47], v53, off offset:76
	s_waitcnt vmcnt(0)
	global_store_dword v[51:52], v59, off
.LBB42_329:
	s_or_b32 exec_lo, exec_lo, s3
	v_mov_b32_e32 v53, v50
	v_mov_b32_e32 v59, v50
.LBB42_330:
	s_or_b32 exec_lo, exec_lo, s1
.LBB42_331:
	s_andn2_saveexec_b32 s0, s0
	s_cbranch_execz .LBB42_333
; %bb.332:
	v_mov_b32_e32 v50, v16
	v_mov_b32_e32 v51, v17
	;; [unrolled: 1-line block ×3, first 2 shown]
	ds_write2_b64 v56, v[50:51], v[48:49] offset0:20 offset1:21
.LBB42_333:
	s_or_b32 exec_lo, exec_lo, s0
	s_mov_b32 s0, exec_lo
	s_waitcnt lgkmcnt(0)
	s_waitcnt_vscnt null, 0x0
	s_barrier
	buffer_gl0_inv
	v_cmpx_lt_i32_e32 19, v59
	s_cbranch_execz .LBB42_335
; %bb.334:
	v_mul_f64 v[12:13], v[0:1], v[12:13]
	ds_read2_b64 v[60:63], v56 offset0:20 offset1:21
	s_waitcnt lgkmcnt(0)
	v_fma_f64 v[16:17], -v[12:13], v[60:61], v[16:17]
	v_fma_f64 v[48:49], -v[12:13], v[62:63], v[48:49]
.LBB42_335:
	s_or_b32 exec_lo, exec_lo, s0
	v_lshl_add_u32 v0, v59, 3, v56
	s_barrier
	buffer_gl0_inv
	v_mov_b32_e32 v50, 20
	ds_write_b64 v0, v[16:17]
	s_waitcnt lgkmcnt(0)
	s_barrier
	buffer_gl0_inv
	ds_read_b64 v[0:1], v56 offset:160
	s_cmp_lt_i32 s2, 22
	s_cbranch_scc1 .LBB42_338
; %bb.336:
	v_add3_u32 v51, v57, 0, 0xa8
	v_mov_b32_e32 v50, 20
	s_mov_b32 s0, 21
.LBB42_337:                             ; =>This Inner Loop Header: Depth=1
	ds_read_b64 v[60:61], v51
	v_add_nc_u32_e32 v51, 8, v51
	s_waitcnt lgkmcnt(0)
	v_cmp_lt_f64_e64 vcc_lo, |v[0:1]|, |v[60:61]|
	v_cndmask_b32_e32 v1, v1, v61, vcc_lo
	v_cndmask_b32_e32 v0, v0, v60, vcc_lo
	v_cndmask_b32_e64 v50, v50, s0, vcc_lo
	s_add_i32 s0, s0, 1
	s_cmp_lg_u32 s2, s0
	s_cbranch_scc1 .LBB42_337
.LBB42_338:
	s_mov_b32 s0, exec_lo
	s_waitcnt lgkmcnt(0)
	v_cmpx_eq_f64_e32 0, v[0:1]
	s_xor_b32 s0, exec_lo, s0
; %bb.339:
	v_cmp_ne_u32_e32 vcc_lo, 0, v58
	v_cndmask_b32_e32 v58, 21, v58, vcc_lo
; %bb.340:
	s_andn2_saveexec_b32 s0, s0
	s_cbranch_execz .LBB42_342
; %bb.341:
	v_div_scale_f64 v[51:52], null, v[0:1], v[0:1], 1.0
	v_rcp_f64_e32 v[60:61], v[51:52]
	v_fma_f64 v[62:63], -v[51:52], v[60:61], 1.0
	v_fma_f64 v[60:61], v[60:61], v[62:63], v[60:61]
	v_fma_f64 v[62:63], -v[51:52], v[60:61], 1.0
	v_fma_f64 v[60:61], v[60:61], v[62:63], v[60:61]
	v_div_scale_f64 v[62:63], vcc_lo, 1.0, v[0:1], 1.0
	v_mul_f64 v[64:65], v[62:63], v[60:61]
	v_fma_f64 v[51:52], -v[51:52], v[64:65], v[62:63]
	v_div_fmas_f64 v[51:52], v[51:52], v[60:61], v[64:65]
	v_div_fixup_f64 v[0:1], v[51:52], v[0:1], 1.0
.LBB42_342:
	s_or_b32 exec_lo, exec_lo, s0
	s_mov_b32 s0, exec_lo
	v_cmpx_ne_u32_e64 v59, v50
	s_xor_b32 s0, exec_lo, s0
	s_cbranch_execz .LBB42_348
; %bb.343:
	s_mov_b32 s1, exec_lo
	v_cmpx_eq_u32_e32 20, v59
	s_cbranch_execz .LBB42_347
; %bb.344:
	v_cmp_ne_u32_e32 vcc_lo, 20, v50
	s_xor_b32 s3, s6, -1
	s_and_b32 s7, s3, vcc_lo
	s_and_saveexec_b32 s3, s7
	s_cbranch_execz .LBB42_346
; %bb.345:
	v_ashrrev_i32_e32 v51, 31, v50
	v_lshlrev_b64 v[51:52], 2, v[50:51]
	v_add_co_u32 v51, vcc_lo, v46, v51
	v_add_co_ci_u32_e64 v52, null, v47, v52, vcc_lo
	s_clause 0x1
	global_load_dword v53, v[51:52], off
	global_load_dword v59, v[46:47], off offset:80
	s_waitcnt vmcnt(1)
	global_store_dword v[46:47], v53, off offset:80
	s_waitcnt vmcnt(0)
	global_store_dword v[51:52], v59, off
.LBB42_346:
	s_or_b32 exec_lo, exec_lo, s3
	v_mov_b32_e32 v53, v50
	v_mov_b32_e32 v59, v50
.LBB42_347:
	s_or_b32 exec_lo, exec_lo, s1
.LBB42_348:
	s_andn2_saveexec_b32 s0, s0
; %bb.349:
	v_mov_b32_e32 v59, 20
	ds_write_b64 v56, v[48:49] offset:168
; %bb.350:
	s_or_b32 exec_lo, exec_lo, s0
	s_mov_b32 s0, exec_lo
	s_waitcnt lgkmcnt(0)
	s_waitcnt_vscnt null, 0x0
	s_barrier
	buffer_gl0_inv
	v_cmpx_lt_i32_e32 20, v59
	s_cbranch_execz .LBB42_352
; %bb.351:
	v_mul_f64 v[16:17], v[0:1], v[16:17]
	ds_read_b64 v[0:1], v56 offset:168
	s_waitcnt lgkmcnt(0)
	v_fma_f64 v[48:49], -v[16:17], v[0:1], v[48:49]
.LBB42_352:
	s_or_b32 exec_lo, exec_lo, s0
	v_lshl_add_u32 v0, v59, 3, v56
	s_barrier
	buffer_gl0_inv
	v_mov_b32_e32 v50, 21
	ds_write_b64 v0, v[48:49]
	s_waitcnt lgkmcnt(0)
	s_barrier
	buffer_gl0_inv
	ds_read_b64 v[0:1], v56 offset:168
	s_cmp_lt_i32 s2, 23
	s_cbranch_scc1 .LBB42_355
; %bb.353:
	v_add3_u32 v51, v57, 0, 0xb0
	v_mov_b32_e32 v50, 21
	s_mov_b32 s0, 22
.LBB42_354:                             ; =>This Inner Loop Header: Depth=1
	ds_read_b64 v[56:57], v51
	v_add_nc_u32_e32 v51, 8, v51
	s_waitcnt lgkmcnt(0)
	v_cmp_lt_f64_e64 vcc_lo, |v[0:1]|, |v[56:57]|
	v_cndmask_b32_e32 v1, v1, v57, vcc_lo
	v_cndmask_b32_e32 v0, v0, v56, vcc_lo
	v_cndmask_b32_e64 v50, v50, s0, vcc_lo
	s_add_i32 s0, s0, 1
	s_cmp_lg_u32 s2, s0
	s_cbranch_scc1 .LBB42_354
.LBB42_355:
	s_mov_b32 s0, exec_lo
	s_waitcnt lgkmcnt(0)
	v_cmpx_eq_f64_e32 0, v[0:1]
	s_xor_b32 s0, exec_lo, s0
; %bb.356:
	v_cmp_ne_u32_e32 vcc_lo, 0, v58
	v_cndmask_b32_e32 v58, 22, v58, vcc_lo
; %bb.357:
	s_andn2_saveexec_b32 s0, s0
	s_cbranch_execz .LBB42_359
; %bb.358:
	v_div_scale_f64 v[51:52], null, v[0:1], v[0:1], 1.0
	v_rcp_f64_e32 v[56:57], v[51:52]
	v_fma_f64 v[60:61], -v[51:52], v[56:57], 1.0
	v_fma_f64 v[56:57], v[56:57], v[60:61], v[56:57]
	v_fma_f64 v[60:61], -v[51:52], v[56:57], 1.0
	v_fma_f64 v[56:57], v[56:57], v[60:61], v[56:57]
	v_div_scale_f64 v[60:61], vcc_lo, 1.0, v[0:1], 1.0
	v_mul_f64 v[62:63], v[60:61], v[56:57]
	v_fma_f64 v[51:52], -v[51:52], v[62:63], v[60:61]
	v_div_fmas_f64 v[51:52], v[51:52], v[56:57], v[62:63]
	v_div_fixup_f64 v[0:1], v[51:52], v[0:1], 1.0
.LBB42_359:
	s_or_b32 exec_lo, exec_lo, s0
	v_mov_b32_e32 v51, 21
	s_mov_b32 s0, exec_lo
	v_cmpx_ne_u32_e64 v59, v50
	s_cbranch_execz .LBB42_365
; %bb.360:
	s_mov_b32 s1, exec_lo
	v_cmpx_eq_u32_e32 21, v59
	s_cbranch_execz .LBB42_364
; %bb.361:
	v_cmp_ne_u32_e32 vcc_lo, 21, v50
	s_xor_b32 s2, s6, -1
	s_and_b32 s3, s2, vcc_lo
	s_and_saveexec_b32 s2, s3
	s_cbranch_execz .LBB42_363
; %bb.362:
	v_ashrrev_i32_e32 v51, 31, v50
	v_lshlrev_b64 v[51:52], 2, v[50:51]
	v_add_co_u32 v51, vcc_lo, v46, v51
	v_add_co_ci_u32_e64 v52, null, v47, v52, vcc_lo
	s_clause 0x1
	global_load_dword v53, v[51:52], off
	global_load_dword v56, v[46:47], off offset:84
	s_waitcnt vmcnt(1)
	global_store_dword v[46:47], v53, off offset:84
	s_waitcnt vmcnt(0)
	global_store_dword v[51:52], v56, off
.LBB42_363:
	s_or_b32 exec_lo, exec_lo, s2
	v_mov_b32_e32 v53, v50
	v_mov_b32_e32 v59, v50
.LBB42_364:
	s_or_b32 exec_lo, exec_lo, s1
	v_mov_b32_e32 v51, v59
.LBB42_365:
	s_or_b32 exec_lo, exec_lo, s0
	s_load_dwordx8 s[0:7], s[4:5], 0x28
	v_ashrrev_i32_e32 v52, 31, v51
	s_mov_b32 s9, exec_lo
	s_waitcnt lgkmcnt(0)
	s_waitcnt_vscnt null, 0x0
	s_barrier
	buffer_gl0_inv
	s_barrier
	buffer_gl0_inv
	v_cmpx_gt_i32_e32 22, v51
	s_cbranch_execz .LBB42_367
; %bb.366:
	v_mul_lo_u32 v50, s5, v2
	v_mul_lo_u32 v56, s4, v3
	v_mad_u64_u32 v[46:47], null, s4, v2, 0
	s_lshl_b64 s[2:3], s[2:3], 2
	v_add3_u32 v47, v47, v56, v50
	v_lshlrev_b64 v[46:47], 2, v[46:47]
	v_add_co_u32 v50, vcc_lo, s0, v46
	v_add_co_ci_u32_e64 v56, null, s1, v47, vcc_lo
	v_lshlrev_b64 v[46:47], 2, v[51:52]
	v_add_co_u32 v50, vcc_lo, v50, s2
	v_add_co_ci_u32_e64 v56, null, s3, v56, vcc_lo
	v_add_co_u32 v46, vcc_lo, v50, v46
	v_add_co_ci_u32_e64 v47, null, v56, v47, vcc_lo
	v_add3_u32 v50, v53, s13, 1
	global_store_dword v[46:47], v50, off
.LBB42_367:
	s_or_b32 exec_lo, exec_lo, s9
	s_mov_b32 s1, exec_lo
	v_cmpx_eq_u32_e32 0, v51
	s_cbranch_execz .LBB42_370
; %bb.368:
	v_lshlrev_b64 v[2:3], 2, v[2:3]
	v_cmp_ne_u32_e64 s0, 0, v58
	v_add_co_u32 v2, vcc_lo, s6, v2
	v_add_co_ci_u32_e64 v3, null, s7, v3, vcc_lo
	global_load_dword v46, v[2:3], off
	s_waitcnt vmcnt(0)
	v_cmp_eq_u32_e32 vcc_lo, 0, v46
	s_and_b32 s0, vcc_lo, s0
	s_and_b32 exec_lo, exec_lo, s0
	s_cbranch_execz .LBB42_370
; %bb.369:
	v_add_nc_u32_e32 v46, s13, v58
	global_store_dword v[2:3], v46, off
.LBB42_370:
	s_or_b32 exec_lo, exec_lo, s1
	v_mul_f64 v[0:1], v[0:1], v[48:49]
	v_add3_u32 v2, s8, s8, v51
	v_lshlrev_b64 v[46:47], 3, v[51:52]
	v_cmp_lt_i32_e32 vcc_lo, 21, v51
	v_add_nc_u32_e32 v50, s8, v2
	v_ashrrev_i32_e32 v3, 31, v2
	v_add_co_u32 v46, s0, v54, v46
	v_add_co_ci_u32_e64 v47, null, v55, v47, s0
	v_add_nc_u32_e32 v52, s8, v50
	v_ashrrev_i32_e32 v51, 31, v50
	v_add_co_u32 v56, s0, v46, s10
	v_lshlrev_b64 v[2:3], 3, v[2:3]
	v_add_co_ci_u32_e64 v57, null, s11, v47, s0
	v_ashrrev_i32_e32 v53, 31, v52
	flat_store_dwordx2 v[46:47], v[40:41]
	v_add_nc_u32_e32 v46, s8, v52
	v_lshlrev_b64 v[40:41], 3, v[50:51]
	flat_store_dwordx2 v[56:57], v[36:37]
	v_cndmask_b32_e32 v1, v49, v1, vcc_lo
	v_cndmask_b32_e32 v0, v48, v0, vcc_lo
	v_add_co_u32 v2, vcc_lo, v54, v2
	v_lshlrev_b64 v[36:37], 3, v[52:53]
	v_add_co_ci_u32_e64 v3, null, v55, v3, vcc_lo
	v_add_nc_u32_e32 v48, s8, v46
	v_add_co_u32 v40, vcc_lo, v54, v40
	v_ashrrev_i32_e32 v47, 31, v46
	v_add_co_ci_u32_e64 v41, null, v55, v41, vcc_lo
	v_add_co_u32 v36, vcc_lo, v54, v36
	v_ashrrev_i32_e32 v49, 31, v48
	flat_store_dwordx2 v[2:3], v[22:23]
	v_add_nc_u32_e32 v22, s8, v48
	v_add_co_ci_u32_e64 v37, null, v55, v37, vcc_lo
	v_lshlrev_b64 v[2:3], 3, v[46:47]
	flat_store_dwordx2 v[40:41], v[20:21]
	flat_store_dwordx2 v[36:37], v[44:45]
	v_lshlrev_b64 v[20:21], 3, v[48:49]
	v_add_nc_u32_e32 v36, s8, v22
	v_ashrrev_i32_e32 v23, 31, v22
	v_add_co_u32 v2, vcc_lo, v54, v2
	v_add_co_ci_u32_e64 v3, null, v55, v3, vcc_lo
	v_add_nc_u32_e32 v40, s8, v36
	v_add_co_u32 v20, vcc_lo, v54, v20
	v_lshlrev_b64 v[22:23], 3, v[22:23]
	v_add_co_ci_u32_e64 v21, null, v55, v21, vcc_lo
	v_ashrrev_i32_e32 v37, 31, v36
	v_ashrrev_i32_e32 v41, 31, v40
	flat_store_dwordx2 v[2:3], v[24:25]
	flat_store_dwordx2 v[20:21], v[26:27]
	v_add_nc_u32_e32 v24, s8, v40
	v_add_co_u32 v20, vcc_lo, v54, v22
	v_lshlrev_b64 v[2:3], 3, v[36:37]
	v_add_co_ci_u32_e64 v21, null, v55, v23, vcc_lo
	v_lshlrev_b64 v[22:23], 3, v[40:41]
	v_add_nc_u32_e32 v26, s8, v24
	v_ashrrev_i32_e32 v25, 31, v24
	v_add_co_u32 v2, vcc_lo, v54, v2
	v_add_co_ci_u32_e64 v3, null, v55, v3, vcc_lo
	v_add_co_u32 v22, vcc_lo, v54, v22
	flat_store_dwordx2 v[20:21], v[4:5]
	v_add_nc_u32_e32 v20, s8, v26
	v_add_co_ci_u32_e64 v23, null, v55, v23, vcc_lo
	v_ashrrev_i32_e32 v27, 31, v26
	v_lshlrev_b64 v[4:5], 3, v[24:25]
	flat_store_dwordx2 v[2:3], v[38:39]
	flat_store_dwordx2 v[22:23], v[34:35]
	v_add_nc_u32_e32 v22, s8, v20
	v_ashrrev_i32_e32 v21, 31, v20
	v_lshlrev_b64 v[2:3], 3, v[26:27]
	v_add_co_u32 v4, vcc_lo, v54, v4
	v_add_nc_u32_e32 v24, s8, v22
	v_add_co_ci_u32_e64 v5, null, v55, v5, vcc_lo
	v_add_co_u32 v2, vcc_lo, v54, v2
	v_ashrrev_i32_e32 v23, 31, v22
	v_add_co_ci_u32_e64 v3, null, v55, v3, vcc_lo
	v_ashrrev_i32_e32 v25, 31, v24
	v_lshlrev_b64 v[20:21], 3, v[20:21]
	flat_store_dwordx2 v[4:5], v[10:11]
	flat_store_dwordx2 v[2:3], v[8:9]
	v_lshlrev_b64 v[2:3], 3, v[22:23]
	v_add_nc_u32_e32 v10, s8, v24
	v_lshlrev_b64 v[8:9], 3, v[24:25]
	v_add_co_u32 v4, vcc_lo, v54, v20
	v_add_co_ci_u32_e64 v5, null, v55, v21, vcc_lo
	v_add_co_u32 v2, vcc_lo, v54, v2
	v_add_co_ci_u32_e64 v3, null, v55, v3, vcc_lo
	v_add_co_u32 v8, vcc_lo, v54, v8
	v_add_nc_u32_e32 v20, s8, v10
	v_add_co_ci_u32_e64 v9, null, v55, v9, vcc_lo
	v_ashrrev_i32_e32 v11, 31, v10
	flat_store_dwordx2 v[4:5], v[32:33]
	flat_store_dwordx2 v[2:3], v[28:29]
	;; [unrolled: 1-line block ×3, first 2 shown]
	v_add_nc_u32_e32 v8, s8, v20
	v_ashrrev_i32_e32 v21, 31, v20
	v_lshlrev_b64 v[4:5], 3, v[10:11]
	v_add_nc_u32_e32 v10, s8, v8
	v_lshlrev_b64 v[2:3], 3, v[20:21]
	v_ashrrev_i32_e32 v9, 31, v8
	v_add_co_u32 v4, vcc_lo, v54, v4
	v_add_co_ci_u32_e64 v5, null, v55, v5, vcc_lo
	v_add_nc_u32_e32 v20, s8, v10
	v_add_co_u32 v2, vcc_lo, v54, v2
	v_add_co_ci_u32_e64 v3, null, v55, v3, vcc_lo
	v_ashrrev_i32_e32 v11, 31, v10
	flat_store_dwordx2 v[4:5], v[6:7]
	v_add_nc_u32_e32 v6, s8, v20
	flat_store_dwordx2 v[2:3], v[42:43]
	v_ashrrev_i32_e32 v21, 31, v20
	v_lshlrev_b64 v[2:3], 3, v[10:11]
	v_lshlrev_b64 v[4:5], 3, v[8:9]
	v_add_nc_u32_e32 v10, s8, v6
	v_ashrrev_i32_e32 v7, 31, v6
	v_lshlrev_b64 v[8:9], 3, v[20:21]
	v_ashrrev_i32_e32 v11, 31, v10
	v_add_co_u32 v4, vcc_lo, v54, v4
	v_lshlrev_b64 v[6:7], 3, v[6:7]
	v_add_co_ci_u32_e64 v5, null, v55, v5, vcc_lo
	v_add_co_u32 v2, vcc_lo, v54, v2
	v_lshlrev_b64 v[10:11], 3, v[10:11]
	v_add_co_ci_u32_e64 v3, null, v55, v3, vcc_lo
	v_add_co_u32 v8, vcc_lo, v54, v8
	v_add_co_ci_u32_e64 v9, null, v55, v9, vcc_lo
	v_add_co_u32 v6, vcc_lo, v54, v6
	;; [unrolled: 2-line block ×3, first 2 shown]
	v_add_co_ci_u32_e64 v11, null, v55, v11, vcc_lo
	flat_store_dwordx2 v[4:5], v[14:15]
	flat_store_dwordx2 v[2:3], v[18:19]
	;; [unrolled: 1-line block ×5, first 2 shown]
.LBB42_371:
	s_endpgm
	.section	.rodata,"a",@progbits
	.p2align	6, 0x0
	.amdhsa_kernel _ZN9rocsolver6v33100L18getf2_small_kernelILi22EdiiPKPdEEvT1_T3_lS5_lPS5_llPT2_S5_S5_S7_l
		.amdhsa_group_segment_fixed_size 0
		.amdhsa_private_segment_fixed_size 0
		.amdhsa_kernarg_size 352
		.amdhsa_user_sgpr_count 6
		.amdhsa_user_sgpr_private_segment_buffer 1
		.amdhsa_user_sgpr_dispatch_ptr 0
		.amdhsa_user_sgpr_queue_ptr 0
		.amdhsa_user_sgpr_kernarg_segment_ptr 1
		.amdhsa_user_sgpr_dispatch_id 0
		.amdhsa_user_sgpr_flat_scratch_init 0
		.amdhsa_user_sgpr_private_segment_size 0
		.amdhsa_wavefront_size32 1
		.amdhsa_uses_dynamic_stack 0
		.amdhsa_system_sgpr_private_segment_wavefront_offset 0
		.amdhsa_system_sgpr_workgroup_id_x 1
		.amdhsa_system_sgpr_workgroup_id_y 1
		.amdhsa_system_sgpr_workgroup_id_z 0
		.amdhsa_system_sgpr_workgroup_info 0
		.amdhsa_system_vgpr_workitem_id 1
		.amdhsa_next_free_vgpr 100
		.amdhsa_next_free_sgpr 14
		.amdhsa_reserve_vcc 1
		.amdhsa_reserve_flat_scratch 1
		.amdhsa_float_round_mode_32 0
		.amdhsa_float_round_mode_16_64 0
		.amdhsa_float_denorm_mode_32 3
		.amdhsa_float_denorm_mode_16_64 3
		.amdhsa_dx10_clamp 1
		.amdhsa_ieee_mode 1
		.amdhsa_fp16_overflow 0
		.amdhsa_workgroup_processor_mode 1
		.amdhsa_memory_ordered 1
		.amdhsa_forward_progress 1
		.amdhsa_shared_vgpr_count 0
		.amdhsa_exception_fp_ieee_invalid_op 0
		.amdhsa_exception_fp_denorm_src 0
		.amdhsa_exception_fp_ieee_div_zero 0
		.amdhsa_exception_fp_ieee_overflow 0
		.amdhsa_exception_fp_ieee_underflow 0
		.amdhsa_exception_fp_ieee_inexact 0
		.amdhsa_exception_int_div_zero 0
	.end_amdhsa_kernel
	.section	.text._ZN9rocsolver6v33100L18getf2_small_kernelILi22EdiiPKPdEEvT1_T3_lS5_lPS5_llPT2_S5_S5_S7_l,"axG",@progbits,_ZN9rocsolver6v33100L18getf2_small_kernelILi22EdiiPKPdEEvT1_T3_lS5_lPS5_llPT2_S5_S5_S7_l,comdat
.Lfunc_end42:
	.size	_ZN9rocsolver6v33100L18getf2_small_kernelILi22EdiiPKPdEEvT1_T3_lS5_lPS5_llPT2_S5_S5_S7_l, .Lfunc_end42-_ZN9rocsolver6v33100L18getf2_small_kernelILi22EdiiPKPdEEvT1_T3_lS5_lPS5_llPT2_S5_S5_S7_l
                                        ; -- End function
	.set _ZN9rocsolver6v33100L18getf2_small_kernelILi22EdiiPKPdEEvT1_T3_lS5_lPS5_llPT2_S5_S5_S7_l.num_vgpr, 100
	.set _ZN9rocsolver6v33100L18getf2_small_kernelILi22EdiiPKPdEEvT1_T3_lS5_lPS5_llPT2_S5_S5_S7_l.num_agpr, 0
	.set _ZN9rocsolver6v33100L18getf2_small_kernelILi22EdiiPKPdEEvT1_T3_lS5_lPS5_llPT2_S5_S5_S7_l.numbered_sgpr, 14
	.set _ZN9rocsolver6v33100L18getf2_small_kernelILi22EdiiPKPdEEvT1_T3_lS5_lPS5_llPT2_S5_S5_S7_l.num_named_barrier, 0
	.set _ZN9rocsolver6v33100L18getf2_small_kernelILi22EdiiPKPdEEvT1_T3_lS5_lPS5_llPT2_S5_S5_S7_l.private_seg_size, 0
	.set _ZN9rocsolver6v33100L18getf2_small_kernelILi22EdiiPKPdEEvT1_T3_lS5_lPS5_llPT2_S5_S5_S7_l.uses_vcc, 1
	.set _ZN9rocsolver6v33100L18getf2_small_kernelILi22EdiiPKPdEEvT1_T3_lS5_lPS5_llPT2_S5_S5_S7_l.uses_flat_scratch, 1
	.set _ZN9rocsolver6v33100L18getf2_small_kernelILi22EdiiPKPdEEvT1_T3_lS5_lPS5_llPT2_S5_S5_S7_l.has_dyn_sized_stack, 0
	.set _ZN9rocsolver6v33100L18getf2_small_kernelILi22EdiiPKPdEEvT1_T3_lS5_lPS5_llPT2_S5_S5_S7_l.has_recursion, 0
	.set _ZN9rocsolver6v33100L18getf2_small_kernelILi22EdiiPKPdEEvT1_T3_lS5_lPS5_llPT2_S5_S5_S7_l.has_indirect_call, 0
	.section	.AMDGPU.csdata,"",@progbits
; Kernel info:
; codeLenInByte = 17304
; TotalNumSgprs: 16
; NumVgprs: 100
; ScratchSize: 0
; MemoryBound: 0
; FloatMode: 240
; IeeeMode: 1
; LDSByteSize: 0 bytes/workgroup (compile time only)
; SGPRBlocks: 0
; VGPRBlocks: 12
; NumSGPRsForWavesPerEU: 16
; NumVGPRsForWavesPerEU: 100
; Occupancy: 9
; WaveLimiterHint : 1
; COMPUTE_PGM_RSRC2:SCRATCH_EN: 0
; COMPUTE_PGM_RSRC2:USER_SGPR: 6
; COMPUTE_PGM_RSRC2:TRAP_HANDLER: 0
; COMPUTE_PGM_RSRC2:TGID_X_EN: 1
; COMPUTE_PGM_RSRC2:TGID_Y_EN: 1
; COMPUTE_PGM_RSRC2:TGID_Z_EN: 0
; COMPUTE_PGM_RSRC2:TIDIG_COMP_CNT: 1
	.section	.text._ZN9rocsolver6v33100L23getf2_npvt_small_kernelILi22EdiiPKPdEEvT1_T3_lS5_lPT2_S5_S5_,"axG",@progbits,_ZN9rocsolver6v33100L23getf2_npvt_small_kernelILi22EdiiPKPdEEvT1_T3_lS5_lPT2_S5_S5_,comdat
	.globl	_ZN9rocsolver6v33100L23getf2_npvt_small_kernelILi22EdiiPKPdEEvT1_T3_lS5_lPT2_S5_S5_ ; -- Begin function _ZN9rocsolver6v33100L23getf2_npvt_small_kernelILi22EdiiPKPdEEvT1_T3_lS5_lPT2_S5_S5_
	.p2align	8
	.type	_ZN9rocsolver6v33100L23getf2_npvt_small_kernelILi22EdiiPKPdEEvT1_T3_lS5_lPT2_S5_S5_,@function
_ZN9rocsolver6v33100L23getf2_npvt_small_kernelILi22EdiiPKPdEEvT1_T3_lS5_lPT2_S5_S5_: ; @_ZN9rocsolver6v33100L23getf2_npvt_small_kernelILi22EdiiPKPdEEvT1_T3_lS5_lPT2_S5_S5_
; %bb.0:
	s_clause 0x1
	s_load_dword s0, s[4:5], 0x44
	s_load_dwordx2 s[8:9], s[4:5], 0x30
	s_waitcnt lgkmcnt(0)
	s_lshr_b32 s10, s0, 16
	s_mov_b32 s0, exec_lo
	v_mad_u64_u32 v[2:3], null, s7, s10, v[1:2]
	v_cmpx_gt_i32_e64 s8, v2
	s_cbranch_execz .LBB43_113
; %bb.1:
	s_clause 0x1
	s_load_dwordx4 s[0:3], s[4:5], 0x8
	s_load_dword s6, s[4:5], 0x18
	v_ashrrev_i32_e32 v3, 31, v2
	v_lshlrev_b32_e32 v48, 3, v0
	v_lshlrev_b32_e32 v92, 3, v1
	s_mulk_i32 s10, 0xb0
	v_mad_u32_u24 v134, 0xb0, v1, 0
	v_lshlrev_b64 v[4:5], 3, v[2:3]
	v_add3_u32 v1, 0, s10, v92
	s_waitcnt lgkmcnt(0)
	v_add_co_u32 v4, vcc_lo, s0, v4
	v_add_co_ci_u32_e64 v5, null, s1, v5, vcc_lo
	v_add3_u32 v6, s6, s6, v0
	s_lshl_b64 s[0:1], s[2:3], 3
	s_ashr_i32 s7, s6, 31
	global_load_dwordx2 v[4:5], v[4:5], off
	s_lshl_b64 s[2:3], s[6:7], 3
	v_add_nc_u32_e32 v8, s6, v6
	v_ashrrev_i32_e32 v7, 31, v6
	v_add_nc_u32_e32 v10, s6, v8
	v_ashrrev_i32_e32 v9, 31, v8
	v_lshlrev_b64 v[6:7], 3, v[6:7]
	v_add_nc_u32_e32 v12, s6, v10
	v_ashrrev_i32_e32 v11, 31, v10
	v_lshlrev_b64 v[8:9], 3, v[8:9]
	;; [unrolled: 3-line block ×14, first 2 shown]
	v_add_nc_u32_e32 v38, s6, v36
	v_lshlrev_b64 v[44:45], 3, v[34:35]
	v_ashrrev_i32_e32 v37, 31, v36
	v_add_nc_u32_e32 v40, s6, v38
	v_ashrrev_i32_e32 v39, 31, v38
	v_lshlrev_b64 v[36:37], 3, v[36:37]
	v_add_nc_u32_e32 v42, s6, v40
	v_ashrrev_i32_e32 v41, 31, v40
	v_lshlrev_b64 v[38:39], 3, v[38:39]
	;; [unrolled: 3-line block ×3, first 2 shown]
	v_ashrrev_i32_e32 v35, 31, v34
	v_lshlrev_b64 v[42:43], 3, v[42:43]
	v_lshlrev_b64 v[46:47], 3, v[34:35]
	s_waitcnt vmcnt(0)
	v_add_co_u32 v49, vcc_lo, v4, s0
	v_add_co_ci_u32_e64 v50, null, s1, v5, vcc_lo
	v_cmp_ne_u32_e64 s1, 0, v0
	v_add_co_u32 v4, vcc_lo, v49, v48
	v_add_co_ci_u32_e64 v5, null, 0, v50, vcc_lo
	v_add_co_u32 v6, vcc_lo, v49, v6
	v_add_co_ci_u32_e64 v7, null, v50, v7, vcc_lo
	;; [unrolled: 2-line block ×22, first 2 shown]
	s_clause 0x15
	flat_load_dwordx2 v[76:77], v[10:11]
	flat_load_dwordx2 v[64:65], v[12:13]
	;; [unrolled: 1-line block ×22, first 2 shown]
	v_cmp_eq_u32_e64 s0, 0, v0
	s_and_saveexec_b32 s2, s0
	s_cbranch_execz .LBB43_4
; %bb.2:
	s_waitcnt vmcnt(5) lgkmcnt(5)
	ds_write_b64 v1, v[84:85]
	s_waitcnt vmcnt(3) lgkmcnt(4)
	ds_write2_b64 v134, v[88:89], v[90:91] offset0:1 offset1:2
	s_waitcnt vmcnt(2) lgkmcnt(4)
	ds_write2_b64 v134, v[86:87], v[76:77] offset0:3 offset1:4
	ds_write2_b64 v134, v[64:65], v[74:75] offset0:5 offset1:6
	;; [unrolled: 1-line block ×8, first 2 shown]
	s_waitcnt vmcnt(1) lgkmcnt(11)
	ds_write2_b64 v134, v[46:47], v[80:81] offset0:19 offset1:20
	s_waitcnt vmcnt(0) lgkmcnt(11)
	ds_write_b64 v134, v[82:83] offset:168
	ds_read_b64 v[92:93], v1
	s_waitcnt lgkmcnt(0)
	v_cmp_neq_f64_e32 vcc_lo, 0, v[92:93]
	s_and_b32 exec_lo, exec_lo, vcc_lo
	s_cbranch_execz .LBB43_4
; %bb.3:
	v_div_scale_f64 v[94:95], null, v[92:93], v[92:93], 1.0
	v_rcp_f64_e32 v[96:97], v[94:95]
	v_fma_f64 v[98:99], -v[94:95], v[96:97], 1.0
	v_fma_f64 v[96:97], v[96:97], v[98:99], v[96:97]
	v_fma_f64 v[98:99], -v[94:95], v[96:97], 1.0
	v_fma_f64 v[96:97], v[96:97], v[98:99], v[96:97]
	v_div_scale_f64 v[98:99], vcc_lo, 1.0, v[92:93], 1.0
	v_mul_f64 v[100:101], v[98:99], v[96:97]
	v_fma_f64 v[94:95], -v[94:95], v[100:101], v[98:99]
	v_div_fmas_f64 v[94:95], v[94:95], v[96:97], v[100:101]
	v_div_fixup_f64 v[92:93], v[94:95], v[92:93], 1.0
	ds_write_b64 v1, v[92:93]
.LBB43_4:
	s_or_b32 exec_lo, exec_lo, s2
	s_waitcnt vmcnt(0) lgkmcnt(0)
	s_barrier
	buffer_gl0_inv
	ds_read_b64 v[92:93], v1
	s_and_saveexec_b32 s2, s1
	s_cbranch_execz .LBB43_6
; %bb.5:
	s_waitcnt lgkmcnt(0)
	v_mul_f64 v[84:85], v[92:93], v[84:85]
	ds_read2_b64 v[94:97], v134 offset0:1 offset1:2
	ds_read2_b64 v[98:101], v134 offset0:3 offset1:4
	;; [unrolled: 1-line block ×10, first 2 shown]
	ds_read_b64 v[135:136], v134 offset:168
	s_waitcnt lgkmcnt(10)
	v_fma_f64 v[88:89], -v[84:85], v[94:95], v[88:89]
	v_fma_f64 v[90:91], -v[84:85], v[96:97], v[90:91]
	s_waitcnt lgkmcnt(9)
	v_fma_f64 v[86:87], -v[84:85], v[98:99], v[86:87]
	v_fma_f64 v[76:77], -v[84:85], v[100:101], v[76:77]
	;; [unrolled: 3-line block ×10, first 2 shown]
	s_waitcnt lgkmcnt(0)
	v_fma_f64 v[82:83], -v[84:85], v[135:136], v[82:83]
.LBB43_6:
	s_or_b32 exec_lo, exec_lo, s2
	s_mov_b32 s1, exec_lo
	s_waitcnt lgkmcnt(0)
	s_barrier
	buffer_gl0_inv
	v_cmpx_eq_u32_e32 1, v0
	s_cbranch_execz .LBB43_9
; %bb.7:
	v_mov_b32_e32 v94, v90
	v_mov_b32_e32 v95, v91
	;; [unrolled: 1-line block ×20, first 2 shown]
	ds_write_b64 v1, v[88:89]
	ds_write2_b64 v134, v[94:95], v[96:97] offset0:2 offset1:3
	ds_write2_b64 v134, v[98:99], v[100:101] offset0:4 offset1:5
	;; [unrolled: 1-line block ×5, first 2 shown]
	v_mov_b32_e32 v94, v68
	v_mov_b32_e32 v95, v69
	;; [unrolled: 1-line block ×18, first 2 shown]
	ds_write2_b64 v134, v[94:95], v[96:97] offset0:12 offset1:13
	ds_write2_b64 v134, v[98:99], v[100:101] offset0:14 offset1:15
	;; [unrolled: 1-line block ×5, first 2 shown]
	ds_read_b64 v[94:95], v1
	s_waitcnt lgkmcnt(0)
	v_cmp_neq_f64_e32 vcc_lo, 0, v[94:95]
	s_and_b32 exec_lo, exec_lo, vcc_lo
	s_cbranch_execz .LBB43_9
; %bb.8:
	v_div_scale_f64 v[96:97], null, v[94:95], v[94:95], 1.0
	v_rcp_f64_e32 v[98:99], v[96:97]
	v_fma_f64 v[100:101], -v[96:97], v[98:99], 1.0
	v_fma_f64 v[98:99], v[98:99], v[100:101], v[98:99]
	v_fma_f64 v[100:101], -v[96:97], v[98:99], 1.0
	v_fma_f64 v[98:99], v[98:99], v[100:101], v[98:99]
	v_div_scale_f64 v[100:101], vcc_lo, 1.0, v[94:95], 1.0
	v_mul_f64 v[102:103], v[100:101], v[98:99]
	v_fma_f64 v[96:97], -v[96:97], v[102:103], v[100:101]
	v_div_fmas_f64 v[96:97], v[96:97], v[98:99], v[102:103]
	v_div_fixup_f64 v[94:95], v[96:97], v[94:95], 1.0
	ds_write_b64 v1, v[94:95]
.LBB43_9:
	s_or_b32 exec_lo, exec_lo, s1
	s_waitcnt lgkmcnt(0)
	s_barrier
	buffer_gl0_inv
	ds_read_b64 v[94:95], v1
	s_mov_b32 s1, exec_lo
	v_cmpx_lt_u32_e32 1, v0
	s_cbranch_execz .LBB43_11
; %bb.10:
	s_waitcnt lgkmcnt(0)
	v_mul_f64 v[88:89], v[94:95], v[88:89]
	ds_read2_b64 v[96:99], v134 offset0:2 offset1:3
	ds_read2_b64 v[100:103], v134 offset0:4 offset1:5
	;; [unrolled: 1-line block ×10, first 2 shown]
	s_waitcnt lgkmcnt(9)
	v_fma_f64 v[90:91], -v[88:89], v[96:97], v[90:91]
	v_fma_f64 v[86:87], -v[88:89], v[98:99], v[86:87]
	s_waitcnt lgkmcnt(8)
	v_fma_f64 v[76:77], -v[88:89], v[100:101], v[76:77]
	v_fma_f64 v[64:65], -v[88:89], v[102:103], v[64:65]
	;; [unrolled: 3-line block ×10, first 2 shown]
.LBB43_11:
	s_or_b32 exec_lo, exec_lo, s1
	s_mov_b32 s1, exec_lo
	s_waitcnt lgkmcnt(0)
	s_barrier
	buffer_gl0_inv
	v_cmpx_eq_u32_e32 2, v0
	s_cbranch_execz .LBB43_14
; %bb.12:
	ds_write_b64 v1, v[90:91]
	ds_write2_b64 v134, v[86:87], v[76:77] offset0:3 offset1:4
	ds_write2_b64 v134, v[64:65], v[74:75] offset0:5 offset1:6
	;; [unrolled: 1-line block ×9, first 2 shown]
	ds_write_b64 v134, v[82:83] offset:168
	ds_read_b64 v[96:97], v1
	s_waitcnt lgkmcnt(0)
	v_cmp_neq_f64_e32 vcc_lo, 0, v[96:97]
	s_and_b32 exec_lo, exec_lo, vcc_lo
	s_cbranch_execz .LBB43_14
; %bb.13:
	v_div_scale_f64 v[98:99], null, v[96:97], v[96:97], 1.0
	v_rcp_f64_e32 v[100:101], v[98:99]
	v_fma_f64 v[102:103], -v[98:99], v[100:101], 1.0
	v_fma_f64 v[100:101], v[100:101], v[102:103], v[100:101]
	v_fma_f64 v[102:103], -v[98:99], v[100:101], 1.0
	v_fma_f64 v[100:101], v[100:101], v[102:103], v[100:101]
	v_div_scale_f64 v[102:103], vcc_lo, 1.0, v[96:97], 1.0
	v_mul_f64 v[104:105], v[102:103], v[100:101]
	v_fma_f64 v[98:99], -v[98:99], v[104:105], v[102:103]
	v_div_fmas_f64 v[98:99], v[98:99], v[100:101], v[104:105]
	v_div_fixup_f64 v[96:97], v[98:99], v[96:97], 1.0
	ds_write_b64 v1, v[96:97]
.LBB43_14:
	s_or_b32 exec_lo, exec_lo, s1
	s_waitcnt lgkmcnt(0)
	s_barrier
	buffer_gl0_inv
	ds_read_b64 v[96:97], v1
	s_mov_b32 s1, exec_lo
	v_cmpx_lt_u32_e32 2, v0
	s_cbranch_execz .LBB43_16
; %bb.15:
	s_waitcnt lgkmcnt(0)
	v_mul_f64 v[90:91], v[96:97], v[90:91]
	ds_read2_b64 v[98:101], v134 offset0:3 offset1:4
	ds_read2_b64 v[102:105], v134 offset0:5 offset1:6
	;; [unrolled: 1-line block ×9, first 2 shown]
	ds_read_b64 v[135:136], v134 offset:168
	s_waitcnt lgkmcnt(9)
	v_fma_f64 v[86:87], -v[90:91], v[98:99], v[86:87]
	v_fma_f64 v[76:77], -v[90:91], v[100:101], v[76:77]
	s_waitcnt lgkmcnt(8)
	v_fma_f64 v[64:65], -v[90:91], v[102:103], v[64:65]
	v_fma_f64 v[74:75], -v[90:91], v[104:105], v[74:75]
	s_waitcnt lgkmcnt(7)
	v_fma_f64 v[62:63], -v[90:91], v[106:107], v[62:63]
	v_fma_f64 v[72:73], -v[90:91], v[108:109], v[72:73]
	s_waitcnt lgkmcnt(6)
	v_fma_f64 v[60:61], -v[90:91], v[110:111], v[60:61]
	v_fma_f64 v[70:71], -v[90:91], v[112:113], v[70:71]
	s_waitcnt lgkmcnt(5)
	v_fma_f64 v[58:59], -v[90:91], v[114:115], v[58:59]
	v_fma_f64 v[68:69], -v[90:91], v[116:117], v[68:69]
	s_waitcnt lgkmcnt(4)
	v_fma_f64 v[56:57], -v[90:91], v[118:119], v[56:57]
	v_fma_f64 v[66:67], -v[90:91], v[120:121], v[66:67]
	s_waitcnt lgkmcnt(3)
	v_fma_f64 v[54:55], -v[90:91], v[122:123], v[54:55]
	v_fma_f64 v[52:53], -v[90:91], v[124:125], v[52:53]
	s_waitcnt lgkmcnt(2)
	v_fma_f64 v[48:49], -v[90:91], v[126:127], v[48:49]
	v_fma_f64 v[50:51], -v[90:91], v[128:129], v[50:51]
	s_waitcnt lgkmcnt(1)
	v_fma_f64 v[46:47], -v[90:91], v[130:131], v[46:47]
	v_fma_f64 v[80:81], -v[90:91], v[132:133], v[80:81]
	s_waitcnt lgkmcnt(0)
	v_fma_f64 v[82:83], -v[90:91], v[135:136], v[82:83]
.LBB43_16:
	s_or_b32 exec_lo, exec_lo, s1
	s_mov_b32 s1, exec_lo
	s_waitcnt lgkmcnt(0)
	s_barrier
	buffer_gl0_inv
	v_cmpx_eq_u32_e32 3, v0
	s_cbranch_execz .LBB43_19
; %bb.17:
	v_mov_b32_e32 v98, v76
	v_mov_b32_e32 v99, v77
	;; [unrolled: 1-line block ×16, first 2 shown]
	ds_write_b64 v1, v[86:87]
	ds_write2_b64 v134, v[98:99], v[100:101] offset0:4 offset1:5
	ds_write2_b64 v134, v[102:103], v[104:105] offset0:6 offset1:7
	;; [unrolled: 1-line block ×4, first 2 shown]
	v_mov_b32_e32 v98, v68
	v_mov_b32_e32 v99, v69
	;; [unrolled: 1-line block ×18, first 2 shown]
	ds_write2_b64 v134, v[98:99], v[100:101] offset0:12 offset1:13
	ds_write2_b64 v134, v[102:103], v[104:105] offset0:14 offset1:15
	;; [unrolled: 1-line block ×5, first 2 shown]
	ds_read_b64 v[98:99], v1
	s_waitcnt lgkmcnt(0)
	v_cmp_neq_f64_e32 vcc_lo, 0, v[98:99]
	s_and_b32 exec_lo, exec_lo, vcc_lo
	s_cbranch_execz .LBB43_19
; %bb.18:
	v_div_scale_f64 v[100:101], null, v[98:99], v[98:99], 1.0
	v_rcp_f64_e32 v[102:103], v[100:101]
	v_fma_f64 v[104:105], -v[100:101], v[102:103], 1.0
	v_fma_f64 v[102:103], v[102:103], v[104:105], v[102:103]
	v_fma_f64 v[104:105], -v[100:101], v[102:103], 1.0
	v_fma_f64 v[102:103], v[102:103], v[104:105], v[102:103]
	v_div_scale_f64 v[104:105], vcc_lo, 1.0, v[98:99], 1.0
	v_mul_f64 v[106:107], v[104:105], v[102:103]
	v_fma_f64 v[100:101], -v[100:101], v[106:107], v[104:105]
	v_div_fmas_f64 v[100:101], v[100:101], v[102:103], v[106:107]
	v_div_fixup_f64 v[98:99], v[100:101], v[98:99], 1.0
	ds_write_b64 v1, v[98:99]
.LBB43_19:
	s_or_b32 exec_lo, exec_lo, s1
	s_waitcnt lgkmcnt(0)
	s_barrier
	buffer_gl0_inv
	ds_read_b64 v[98:99], v1
	s_mov_b32 s1, exec_lo
	v_cmpx_lt_u32_e32 3, v0
	s_cbranch_execz .LBB43_21
; %bb.20:
	s_waitcnt lgkmcnt(0)
	v_mul_f64 v[86:87], v[98:99], v[86:87]
	ds_read2_b64 v[100:103], v134 offset0:4 offset1:5
	ds_read2_b64 v[104:107], v134 offset0:6 offset1:7
	;; [unrolled: 1-line block ×9, first 2 shown]
	s_waitcnt lgkmcnt(8)
	v_fma_f64 v[76:77], -v[86:87], v[100:101], v[76:77]
	v_fma_f64 v[64:65], -v[86:87], v[102:103], v[64:65]
	s_waitcnt lgkmcnt(7)
	v_fma_f64 v[74:75], -v[86:87], v[104:105], v[74:75]
	v_fma_f64 v[62:63], -v[86:87], v[106:107], v[62:63]
	;; [unrolled: 3-line block ×9, first 2 shown]
.LBB43_21:
	s_or_b32 exec_lo, exec_lo, s1
	s_mov_b32 s1, exec_lo
	s_waitcnt lgkmcnt(0)
	s_barrier
	buffer_gl0_inv
	v_cmpx_eq_u32_e32 4, v0
	s_cbranch_execz .LBB43_24
; %bb.22:
	ds_write_b64 v1, v[76:77]
	ds_write2_b64 v134, v[64:65], v[74:75] offset0:5 offset1:6
	ds_write2_b64 v134, v[62:63], v[72:73] offset0:7 offset1:8
	;; [unrolled: 1-line block ×8, first 2 shown]
	ds_write_b64 v134, v[82:83] offset:168
	ds_read_b64 v[100:101], v1
	s_waitcnt lgkmcnt(0)
	v_cmp_neq_f64_e32 vcc_lo, 0, v[100:101]
	s_and_b32 exec_lo, exec_lo, vcc_lo
	s_cbranch_execz .LBB43_24
; %bb.23:
	v_div_scale_f64 v[102:103], null, v[100:101], v[100:101], 1.0
	v_rcp_f64_e32 v[104:105], v[102:103]
	v_fma_f64 v[106:107], -v[102:103], v[104:105], 1.0
	v_fma_f64 v[104:105], v[104:105], v[106:107], v[104:105]
	v_fma_f64 v[106:107], -v[102:103], v[104:105], 1.0
	v_fma_f64 v[104:105], v[104:105], v[106:107], v[104:105]
	v_div_scale_f64 v[106:107], vcc_lo, 1.0, v[100:101], 1.0
	v_mul_f64 v[108:109], v[106:107], v[104:105]
	v_fma_f64 v[102:103], -v[102:103], v[108:109], v[106:107]
	v_div_fmas_f64 v[102:103], v[102:103], v[104:105], v[108:109]
	v_div_fixup_f64 v[100:101], v[102:103], v[100:101], 1.0
	ds_write_b64 v1, v[100:101]
.LBB43_24:
	s_or_b32 exec_lo, exec_lo, s1
	s_waitcnt lgkmcnt(0)
	s_barrier
	buffer_gl0_inv
	ds_read_b64 v[100:101], v1
	s_mov_b32 s1, exec_lo
	v_cmpx_lt_u32_e32 4, v0
	s_cbranch_execz .LBB43_26
; %bb.25:
	s_waitcnt lgkmcnt(0)
	v_mul_f64 v[76:77], v[100:101], v[76:77]
	ds_read2_b64 v[102:105], v134 offset0:5 offset1:6
	ds_read2_b64 v[106:109], v134 offset0:7 offset1:8
	;; [unrolled: 1-line block ×8, first 2 shown]
	ds_read_b64 v[135:136], v134 offset:168
	s_waitcnt lgkmcnt(8)
	v_fma_f64 v[64:65], -v[76:77], v[102:103], v[64:65]
	v_fma_f64 v[74:75], -v[76:77], v[104:105], v[74:75]
	s_waitcnt lgkmcnt(7)
	v_fma_f64 v[62:63], -v[76:77], v[106:107], v[62:63]
	v_fma_f64 v[72:73], -v[76:77], v[108:109], v[72:73]
	;; [unrolled: 3-line block ×8, first 2 shown]
	s_waitcnt lgkmcnt(0)
	v_fma_f64 v[82:83], -v[76:77], v[135:136], v[82:83]
.LBB43_26:
	s_or_b32 exec_lo, exec_lo, s1
	s_mov_b32 s1, exec_lo
	s_waitcnt lgkmcnt(0)
	s_barrier
	buffer_gl0_inv
	v_cmpx_eq_u32_e32 5, v0
	s_cbranch_execz .LBB43_29
; %bb.27:
	v_mov_b32_e32 v102, v74
	v_mov_b32_e32 v103, v75
	;; [unrolled: 1-line block ×12, first 2 shown]
	ds_write_b64 v1, v[64:65]
	ds_write2_b64 v134, v[102:103], v[104:105] offset0:6 offset1:7
	ds_write2_b64 v134, v[106:107], v[108:109] offset0:8 offset1:9
	;; [unrolled: 1-line block ×3, first 2 shown]
	v_mov_b32_e32 v102, v68
	v_mov_b32_e32 v103, v69
	;; [unrolled: 1-line block ×18, first 2 shown]
	ds_write2_b64 v134, v[102:103], v[104:105] offset0:12 offset1:13
	ds_write2_b64 v134, v[106:107], v[108:109] offset0:14 offset1:15
	;; [unrolled: 1-line block ×5, first 2 shown]
	ds_read_b64 v[102:103], v1
	s_waitcnt lgkmcnt(0)
	v_cmp_neq_f64_e32 vcc_lo, 0, v[102:103]
	s_and_b32 exec_lo, exec_lo, vcc_lo
	s_cbranch_execz .LBB43_29
; %bb.28:
	v_div_scale_f64 v[104:105], null, v[102:103], v[102:103], 1.0
	v_rcp_f64_e32 v[106:107], v[104:105]
	v_fma_f64 v[108:109], -v[104:105], v[106:107], 1.0
	v_fma_f64 v[106:107], v[106:107], v[108:109], v[106:107]
	v_fma_f64 v[108:109], -v[104:105], v[106:107], 1.0
	v_fma_f64 v[106:107], v[106:107], v[108:109], v[106:107]
	v_div_scale_f64 v[108:109], vcc_lo, 1.0, v[102:103], 1.0
	v_mul_f64 v[110:111], v[108:109], v[106:107]
	v_fma_f64 v[104:105], -v[104:105], v[110:111], v[108:109]
	v_div_fmas_f64 v[104:105], v[104:105], v[106:107], v[110:111]
	v_div_fixup_f64 v[102:103], v[104:105], v[102:103], 1.0
	ds_write_b64 v1, v[102:103]
.LBB43_29:
	s_or_b32 exec_lo, exec_lo, s1
	s_waitcnt lgkmcnt(0)
	s_barrier
	buffer_gl0_inv
	ds_read_b64 v[102:103], v1
	s_mov_b32 s1, exec_lo
	v_cmpx_lt_u32_e32 5, v0
	s_cbranch_execz .LBB43_31
; %bb.30:
	s_waitcnt lgkmcnt(0)
	v_mul_f64 v[64:65], v[102:103], v[64:65]
	ds_read2_b64 v[104:107], v134 offset0:6 offset1:7
	ds_read2_b64 v[108:111], v134 offset0:8 offset1:9
	;; [unrolled: 1-line block ×8, first 2 shown]
	s_waitcnt lgkmcnt(7)
	v_fma_f64 v[74:75], -v[64:65], v[104:105], v[74:75]
	v_fma_f64 v[62:63], -v[64:65], v[106:107], v[62:63]
	s_waitcnt lgkmcnt(6)
	v_fma_f64 v[72:73], -v[64:65], v[108:109], v[72:73]
	v_fma_f64 v[60:61], -v[64:65], v[110:111], v[60:61]
	;; [unrolled: 3-line block ×8, first 2 shown]
.LBB43_31:
	s_or_b32 exec_lo, exec_lo, s1
	s_mov_b32 s1, exec_lo
	s_waitcnt lgkmcnt(0)
	s_barrier
	buffer_gl0_inv
	v_cmpx_eq_u32_e32 6, v0
	s_cbranch_execz .LBB43_34
; %bb.32:
	ds_write_b64 v1, v[74:75]
	ds_write2_b64 v134, v[62:63], v[72:73] offset0:7 offset1:8
	ds_write2_b64 v134, v[60:61], v[70:71] offset0:9 offset1:10
	;; [unrolled: 1-line block ×7, first 2 shown]
	ds_write_b64 v134, v[82:83] offset:168
	ds_read_b64 v[104:105], v1
	s_waitcnt lgkmcnt(0)
	v_cmp_neq_f64_e32 vcc_lo, 0, v[104:105]
	s_and_b32 exec_lo, exec_lo, vcc_lo
	s_cbranch_execz .LBB43_34
; %bb.33:
	v_div_scale_f64 v[106:107], null, v[104:105], v[104:105], 1.0
	v_rcp_f64_e32 v[108:109], v[106:107]
	v_fma_f64 v[110:111], -v[106:107], v[108:109], 1.0
	v_fma_f64 v[108:109], v[108:109], v[110:111], v[108:109]
	v_fma_f64 v[110:111], -v[106:107], v[108:109], 1.0
	v_fma_f64 v[108:109], v[108:109], v[110:111], v[108:109]
	v_div_scale_f64 v[110:111], vcc_lo, 1.0, v[104:105], 1.0
	v_mul_f64 v[112:113], v[110:111], v[108:109]
	v_fma_f64 v[106:107], -v[106:107], v[112:113], v[110:111]
	v_div_fmas_f64 v[106:107], v[106:107], v[108:109], v[112:113]
	v_div_fixup_f64 v[104:105], v[106:107], v[104:105], 1.0
	ds_write_b64 v1, v[104:105]
.LBB43_34:
	s_or_b32 exec_lo, exec_lo, s1
	s_waitcnt lgkmcnt(0)
	s_barrier
	buffer_gl0_inv
	ds_read_b64 v[104:105], v1
	s_mov_b32 s1, exec_lo
	v_cmpx_lt_u32_e32 6, v0
	s_cbranch_execz .LBB43_36
; %bb.35:
	s_waitcnt lgkmcnt(0)
	v_mul_f64 v[74:75], v[104:105], v[74:75]
	ds_read2_b64 v[106:109], v134 offset0:7 offset1:8
	ds_read2_b64 v[110:113], v134 offset0:9 offset1:10
	;; [unrolled: 1-line block ×7, first 2 shown]
	ds_read_b64 v[135:136], v134 offset:168
	s_waitcnt lgkmcnt(7)
	v_fma_f64 v[62:63], -v[74:75], v[106:107], v[62:63]
	v_fma_f64 v[72:73], -v[74:75], v[108:109], v[72:73]
	s_waitcnt lgkmcnt(6)
	v_fma_f64 v[60:61], -v[74:75], v[110:111], v[60:61]
	v_fma_f64 v[70:71], -v[74:75], v[112:113], v[70:71]
	;; [unrolled: 3-line block ×7, first 2 shown]
	s_waitcnt lgkmcnt(0)
	v_fma_f64 v[82:83], -v[74:75], v[135:136], v[82:83]
.LBB43_36:
	s_or_b32 exec_lo, exec_lo, s1
	s_mov_b32 s1, exec_lo
	s_waitcnt lgkmcnt(0)
	s_barrier
	buffer_gl0_inv
	v_cmpx_eq_u32_e32 7, v0
	s_cbranch_execz .LBB43_39
; %bb.37:
	v_mov_b32_e32 v106, v72
	v_mov_b32_e32 v107, v73
	;; [unrolled: 1-line block ×8, first 2 shown]
	ds_write_b64 v1, v[62:63]
	ds_write2_b64 v134, v[106:107], v[108:109] offset0:8 offset1:9
	ds_write2_b64 v134, v[110:111], v[112:113] offset0:10 offset1:11
	v_mov_b32_e32 v106, v68
	v_mov_b32_e32 v107, v69
	v_mov_b32_e32 v108, v56
	v_mov_b32_e32 v109, v57
	v_mov_b32_e32 v110, v66
	v_mov_b32_e32 v111, v67
	v_mov_b32_e32 v112, v54
	v_mov_b32_e32 v113, v55
	v_mov_b32_e32 v114, v52
	v_mov_b32_e32 v115, v53
	v_mov_b32_e32 v116, v48
	v_mov_b32_e32 v117, v49
	v_mov_b32_e32 v118, v50
	v_mov_b32_e32 v119, v51
	v_mov_b32_e32 v120, v46
	v_mov_b32_e32 v121, v47
	v_mov_b32_e32 v122, v80
	v_mov_b32_e32 v123, v81
	ds_write2_b64 v134, v[106:107], v[108:109] offset0:12 offset1:13
	ds_write2_b64 v134, v[110:111], v[112:113] offset0:14 offset1:15
	;; [unrolled: 1-line block ×5, first 2 shown]
	ds_read_b64 v[106:107], v1
	s_waitcnt lgkmcnt(0)
	v_cmp_neq_f64_e32 vcc_lo, 0, v[106:107]
	s_and_b32 exec_lo, exec_lo, vcc_lo
	s_cbranch_execz .LBB43_39
; %bb.38:
	v_div_scale_f64 v[108:109], null, v[106:107], v[106:107], 1.0
	v_rcp_f64_e32 v[110:111], v[108:109]
	v_fma_f64 v[112:113], -v[108:109], v[110:111], 1.0
	v_fma_f64 v[110:111], v[110:111], v[112:113], v[110:111]
	v_fma_f64 v[112:113], -v[108:109], v[110:111], 1.0
	v_fma_f64 v[110:111], v[110:111], v[112:113], v[110:111]
	v_div_scale_f64 v[112:113], vcc_lo, 1.0, v[106:107], 1.0
	v_mul_f64 v[114:115], v[112:113], v[110:111]
	v_fma_f64 v[108:109], -v[108:109], v[114:115], v[112:113]
	v_div_fmas_f64 v[108:109], v[108:109], v[110:111], v[114:115]
	v_div_fixup_f64 v[106:107], v[108:109], v[106:107], 1.0
	ds_write_b64 v1, v[106:107]
.LBB43_39:
	s_or_b32 exec_lo, exec_lo, s1
	s_waitcnt lgkmcnt(0)
	s_barrier
	buffer_gl0_inv
	ds_read_b64 v[106:107], v1
	s_mov_b32 s1, exec_lo
	v_cmpx_lt_u32_e32 7, v0
	s_cbranch_execz .LBB43_41
; %bb.40:
	s_waitcnt lgkmcnt(0)
	v_mul_f64 v[62:63], v[106:107], v[62:63]
	ds_read2_b64 v[108:111], v134 offset0:8 offset1:9
	ds_read2_b64 v[112:115], v134 offset0:10 offset1:11
	;; [unrolled: 1-line block ×7, first 2 shown]
	s_waitcnt lgkmcnt(6)
	v_fma_f64 v[72:73], -v[62:63], v[108:109], v[72:73]
	v_fma_f64 v[60:61], -v[62:63], v[110:111], v[60:61]
	s_waitcnt lgkmcnt(5)
	v_fma_f64 v[70:71], -v[62:63], v[112:113], v[70:71]
	v_fma_f64 v[58:59], -v[62:63], v[114:115], v[58:59]
	;; [unrolled: 3-line block ×7, first 2 shown]
.LBB43_41:
	s_or_b32 exec_lo, exec_lo, s1
	s_mov_b32 s1, exec_lo
	s_waitcnt lgkmcnt(0)
	s_barrier
	buffer_gl0_inv
	v_cmpx_eq_u32_e32 8, v0
	s_cbranch_execz .LBB43_44
; %bb.42:
	ds_write_b64 v1, v[72:73]
	ds_write2_b64 v134, v[60:61], v[70:71] offset0:9 offset1:10
	ds_write2_b64 v134, v[58:59], v[68:69] offset0:11 offset1:12
	;; [unrolled: 1-line block ×6, first 2 shown]
	ds_write_b64 v134, v[82:83] offset:168
	ds_read_b64 v[108:109], v1
	s_waitcnt lgkmcnt(0)
	v_cmp_neq_f64_e32 vcc_lo, 0, v[108:109]
	s_and_b32 exec_lo, exec_lo, vcc_lo
	s_cbranch_execz .LBB43_44
; %bb.43:
	v_div_scale_f64 v[110:111], null, v[108:109], v[108:109], 1.0
	v_rcp_f64_e32 v[112:113], v[110:111]
	v_fma_f64 v[114:115], -v[110:111], v[112:113], 1.0
	v_fma_f64 v[112:113], v[112:113], v[114:115], v[112:113]
	v_fma_f64 v[114:115], -v[110:111], v[112:113], 1.0
	v_fma_f64 v[112:113], v[112:113], v[114:115], v[112:113]
	v_div_scale_f64 v[114:115], vcc_lo, 1.0, v[108:109], 1.0
	v_mul_f64 v[116:117], v[114:115], v[112:113]
	v_fma_f64 v[110:111], -v[110:111], v[116:117], v[114:115]
	v_div_fmas_f64 v[110:111], v[110:111], v[112:113], v[116:117]
	v_div_fixup_f64 v[108:109], v[110:111], v[108:109], 1.0
	ds_write_b64 v1, v[108:109]
.LBB43_44:
	s_or_b32 exec_lo, exec_lo, s1
	s_waitcnt lgkmcnt(0)
	s_barrier
	buffer_gl0_inv
	ds_read_b64 v[108:109], v1
	s_mov_b32 s1, exec_lo
	v_cmpx_lt_u32_e32 8, v0
	s_cbranch_execz .LBB43_46
; %bb.45:
	s_waitcnt lgkmcnt(0)
	v_mul_f64 v[72:73], v[108:109], v[72:73]
	ds_read2_b64 v[110:113], v134 offset0:9 offset1:10
	ds_read2_b64 v[114:117], v134 offset0:11 offset1:12
	;; [unrolled: 1-line block ×6, first 2 shown]
	ds_read_b64 v[135:136], v134 offset:168
	s_waitcnt lgkmcnt(6)
	v_fma_f64 v[60:61], -v[72:73], v[110:111], v[60:61]
	v_fma_f64 v[70:71], -v[72:73], v[112:113], v[70:71]
	s_waitcnt lgkmcnt(5)
	v_fma_f64 v[58:59], -v[72:73], v[114:115], v[58:59]
	v_fma_f64 v[68:69], -v[72:73], v[116:117], v[68:69]
	;; [unrolled: 3-line block ×6, first 2 shown]
	s_waitcnt lgkmcnt(0)
	v_fma_f64 v[82:83], -v[72:73], v[135:136], v[82:83]
.LBB43_46:
	s_or_b32 exec_lo, exec_lo, s1
	s_mov_b32 s1, exec_lo
	s_waitcnt lgkmcnt(0)
	s_barrier
	buffer_gl0_inv
	v_cmpx_eq_u32_e32 9, v0
	s_cbranch_execz .LBB43_49
; %bb.47:
	v_mov_b32_e32 v110, v70
	v_mov_b32_e32 v111, v71
	v_mov_b32_e32 v112, v58
	v_mov_b32_e32 v113, v59
	ds_write_b64 v1, v[60:61]
	ds_write2_b64 v134, v[110:111], v[112:113] offset0:10 offset1:11
	v_mov_b32_e32 v110, v68
	v_mov_b32_e32 v111, v69
	;; [unrolled: 1-line block ×18, first 2 shown]
	ds_write2_b64 v134, v[110:111], v[112:113] offset0:12 offset1:13
	ds_write2_b64 v134, v[114:115], v[116:117] offset0:14 offset1:15
	;; [unrolled: 1-line block ×5, first 2 shown]
	ds_read_b64 v[110:111], v1
	s_waitcnt lgkmcnt(0)
	v_cmp_neq_f64_e32 vcc_lo, 0, v[110:111]
	s_and_b32 exec_lo, exec_lo, vcc_lo
	s_cbranch_execz .LBB43_49
; %bb.48:
	v_div_scale_f64 v[112:113], null, v[110:111], v[110:111], 1.0
	v_rcp_f64_e32 v[114:115], v[112:113]
	v_fma_f64 v[116:117], -v[112:113], v[114:115], 1.0
	v_fma_f64 v[114:115], v[114:115], v[116:117], v[114:115]
	v_fma_f64 v[116:117], -v[112:113], v[114:115], 1.0
	v_fma_f64 v[114:115], v[114:115], v[116:117], v[114:115]
	v_div_scale_f64 v[116:117], vcc_lo, 1.0, v[110:111], 1.0
	v_mul_f64 v[118:119], v[116:117], v[114:115]
	v_fma_f64 v[112:113], -v[112:113], v[118:119], v[116:117]
	v_div_fmas_f64 v[112:113], v[112:113], v[114:115], v[118:119]
	v_div_fixup_f64 v[110:111], v[112:113], v[110:111], 1.0
	ds_write_b64 v1, v[110:111]
.LBB43_49:
	s_or_b32 exec_lo, exec_lo, s1
	s_waitcnt lgkmcnt(0)
	s_barrier
	buffer_gl0_inv
	ds_read_b64 v[110:111], v1
	s_mov_b32 s1, exec_lo
	v_cmpx_lt_u32_e32 9, v0
	s_cbranch_execz .LBB43_51
; %bb.50:
	s_waitcnt lgkmcnt(0)
	v_mul_f64 v[60:61], v[110:111], v[60:61]
	ds_read2_b64 v[112:115], v134 offset0:10 offset1:11
	ds_read2_b64 v[116:119], v134 offset0:12 offset1:13
	;; [unrolled: 1-line block ×6, first 2 shown]
	s_waitcnt lgkmcnt(5)
	v_fma_f64 v[70:71], -v[60:61], v[112:113], v[70:71]
	v_fma_f64 v[58:59], -v[60:61], v[114:115], v[58:59]
	s_waitcnt lgkmcnt(4)
	v_fma_f64 v[68:69], -v[60:61], v[116:117], v[68:69]
	v_fma_f64 v[56:57], -v[60:61], v[118:119], v[56:57]
	;; [unrolled: 3-line block ×6, first 2 shown]
.LBB43_51:
	s_or_b32 exec_lo, exec_lo, s1
	s_mov_b32 s1, exec_lo
	s_waitcnt lgkmcnt(0)
	s_barrier
	buffer_gl0_inv
	v_cmpx_eq_u32_e32 10, v0
	s_cbranch_execz .LBB43_54
; %bb.52:
	ds_write_b64 v1, v[70:71]
	ds_write2_b64 v134, v[58:59], v[68:69] offset0:11 offset1:12
	ds_write2_b64 v134, v[56:57], v[66:67] offset0:13 offset1:14
	;; [unrolled: 1-line block ×5, first 2 shown]
	ds_write_b64 v134, v[82:83] offset:168
	ds_read_b64 v[112:113], v1
	s_waitcnt lgkmcnt(0)
	v_cmp_neq_f64_e32 vcc_lo, 0, v[112:113]
	s_and_b32 exec_lo, exec_lo, vcc_lo
	s_cbranch_execz .LBB43_54
; %bb.53:
	v_div_scale_f64 v[114:115], null, v[112:113], v[112:113], 1.0
	v_rcp_f64_e32 v[116:117], v[114:115]
	v_fma_f64 v[118:119], -v[114:115], v[116:117], 1.0
	v_fma_f64 v[116:117], v[116:117], v[118:119], v[116:117]
	v_fma_f64 v[118:119], -v[114:115], v[116:117], 1.0
	v_fma_f64 v[116:117], v[116:117], v[118:119], v[116:117]
	v_div_scale_f64 v[118:119], vcc_lo, 1.0, v[112:113], 1.0
	v_mul_f64 v[120:121], v[118:119], v[116:117]
	v_fma_f64 v[114:115], -v[114:115], v[120:121], v[118:119]
	v_div_fmas_f64 v[114:115], v[114:115], v[116:117], v[120:121]
	v_div_fixup_f64 v[112:113], v[114:115], v[112:113], 1.0
	ds_write_b64 v1, v[112:113]
.LBB43_54:
	s_or_b32 exec_lo, exec_lo, s1
	s_waitcnt lgkmcnt(0)
	s_barrier
	buffer_gl0_inv
	ds_read_b64 v[112:113], v1
	s_mov_b32 s1, exec_lo
	v_cmpx_lt_u32_e32 10, v0
	s_cbranch_execz .LBB43_56
; %bb.55:
	s_waitcnt lgkmcnt(0)
	v_mul_f64 v[70:71], v[112:113], v[70:71]
	ds_read2_b64 v[114:117], v134 offset0:11 offset1:12
	ds_read2_b64 v[118:121], v134 offset0:13 offset1:14
	;; [unrolled: 1-line block ×5, first 2 shown]
	ds_read_b64 v[135:136], v134 offset:168
	s_waitcnt lgkmcnt(5)
	v_fma_f64 v[58:59], -v[70:71], v[114:115], v[58:59]
	v_fma_f64 v[68:69], -v[70:71], v[116:117], v[68:69]
	s_waitcnt lgkmcnt(4)
	v_fma_f64 v[56:57], -v[70:71], v[118:119], v[56:57]
	v_fma_f64 v[66:67], -v[70:71], v[120:121], v[66:67]
	s_waitcnt lgkmcnt(3)
	v_fma_f64 v[54:55], -v[70:71], v[122:123], v[54:55]
	v_fma_f64 v[52:53], -v[70:71], v[124:125], v[52:53]
	s_waitcnt lgkmcnt(2)
	v_fma_f64 v[48:49], -v[70:71], v[126:127], v[48:49]
	v_fma_f64 v[50:51], -v[70:71], v[128:129], v[50:51]
	s_waitcnt lgkmcnt(1)
	v_fma_f64 v[46:47], -v[70:71], v[130:131], v[46:47]
	v_fma_f64 v[80:81], -v[70:71], v[132:133], v[80:81]
	s_waitcnt lgkmcnt(0)
	v_fma_f64 v[82:83], -v[70:71], v[135:136], v[82:83]
.LBB43_56:
	s_or_b32 exec_lo, exec_lo, s1
	s_mov_b32 s1, exec_lo
	s_waitcnt lgkmcnt(0)
	s_barrier
	buffer_gl0_inv
	v_cmpx_eq_u32_e32 11, v0
	s_cbranch_execz .LBB43_59
; %bb.57:
	v_mov_b32_e32 v114, v68
	v_mov_b32_e32 v115, v69
	;; [unrolled: 1-line block ×18, first 2 shown]
	ds_write_b64 v1, v[58:59]
	ds_write2_b64 v134, v[114:115], v[116:117] offset0:12 offset1:13
	ds_write2_b64 v134, v[118:119], v[120:121] offset0:14 offset1:15
	ds_write2_b64 v134, v[122:123], v[124:125] offset0:16 offset1:17
	ds_write2_b64 v134, v[126:127], v[128:129] offset0:18 offset1:19
	ds_write2_b64 v134, v[130:131], v[82:83] offset0:20 offset1:21
	ds_read_b64 v[114:115], v1
	s_waitcnt lgkmcnt(0)
	v_cmp_neq_f64_e32 vcc_lo, 0, v[114:115]
	s_and_b32 exec_lo, exec_lo, vcc_lo
	s_cbranch_execz .LBB43_59
; %bb.58:
	v_div_scale_f64 v[116:117], null, v[114:115], v[114:115], 1.0
	v_rcp_f64_e32 v[118:119], v[116:117]
	v_fma_f64 v[120:121], -v[116:117], v[118:119], 1.0
	v_fma_f64 v[118:119], v[118:119], v[120:121], v[118:119]
	v_fma_f64 v[120:121], -v[116:117], v[118:119], 1.0
	v_fma_f64 v[118:119], v[118:119], v[120:121], v[118:119]
	v_div_scale_f64 v[120:121], vcc_lo, 1.0, v[114:115], 1.0
	v_mul_f64 v[122:123], v[120:121], v[118:119]
	v_fma_f64 v[116:117], -v[116:117], v[122:123], v[120:121]
	v_div_fmas_f64 v[116:117], v[116:117], v[118:119], v[122:123]
	v_div_fixup_f64 v[114:115], v[116:117], v[114:115], 1.0
	ds_write_b64 v1, v[114:115]
.LBB43_59:
	s_or_b32 exec_lo, exec_lo, s1
	s_waitcnt lgkmcnt(0)
	s_barrier
	buffer_gl0_inv
	ds_read_b64 v[114:115], v1
	s_mov_b32 s1, exec_lo
	v_cmpx_lt_u32_e32 11, v0
	s_cbranch_execz .LBB43_61
; %bb.60:
	s_waitcnt lgkmcnt(0)
	v_mul_f64 v[58:59], v[114:115], v[58:59]
	ds_read2_b64 v[116:119], v134 offset0:12 offset1:13
	ds_read2_b64 v[120:123], v134 offset0:14 offset1:15
	;; [unrolled: 1-line block ×5, first 2 shown]
	s_waitcnt lgkmcnt(4)
	v_fma_f64 v[68:69], -v[58:59], v[116:117], v[68:69]
	v_fma_f64 v[56:57], -v[58:59], v[118:119], v[56:57]
	s_waitcnt lgkmcnt(3)
	v_fma_f64 v[66:67], -v[58:59], v[120:121], v[66:67]
	v_fma_f64 v[54:55], -v[58:59], v[122:123], v[54:55]
	;; [unrolled: 3-line block ×5, first 2 shown]
.LBB43_61:
	s_or_b32 exec_lo, exec_lo, s1
	s_mov_b32 s1, exec_lo
	s_waitcnt lgkmcnt(0)
	s_barrier
	buffer_gl0_inv
	v_cmpx_eq_u32_e32 12, v0
	s_cbranch_execz .LBB43_64
; %bb.62:
	ds_write_b64 v1, v[68:69]
	ds_write2_b64 v134, v[56:57], v[66:67] offset0:13 offset1:14
	ds_write2_b64 v134, v[54:55], v[52:53] offset0:15 offset1:16
	;; [unrolled: 1-line block ×4, first 2 shown]
	ds_write_b64 v134, v[82:83] offset:168
	ds_read_b64 v[116:117], v1
	s_waitcnt lgkmcnt(0)
	v_cmp_neq_f64_e32 vcc_lo, 0, v[116:117]
	s_and_b32 exec_lo, exec_lo, vcc_lo
	s_cbranch_execz .LBB43_64
; %bb.63:
	v_div_scale_f64 v[118:119], null, v[116:117], v[116:117], 1.0
	v_rcp_f64_e32 v[120:121], v[118:119]
	v_fma_f64 v[122:123], -v[118:119], v[120:121], 1.0
	v_fma_f64 v[120:121], v[120:121], v[122:123], v[120:121]
	v_fma_f64 v[122:123], -v[118:119], v[120:121], 1.0
	v_fma_f64 v[120:121], v[120:121], v[122:123], v[120:121]
	v_div_scale_f64 v[122:123], vcc_lo, 1.0, v[116:117], 1.0
	v_mul_f64 v[124:125], v[122:123], v[120:121]
	v_fma_f64 v[118:119], -v[118:119], v[124:125], v[122:123]
	v_div_fmas_f64 v[118:119], v[118:119], v[120:121], v[124:125]
	v_div_fixup_f64 v[116:117], v[118:119], v[116:117], 1.0
	ds_write_b64 v1, v[116:117]
.LBB43_64:
	s_or_b32 exec_lo, exec_lo, s1
	s_waitcnt lgkmcnt(0)
	s_barrier
	buffer_gl0_inv
	ds_read_b64 v[116:117], v1
	s_mov_b32 s1, exec_lo
	v_cmpx_lt_u32_e32 12, v0
	s_cbranch_execz .LBB43_66
; %bb.65:
	s_waitcnt lgkmcnt(0)
	v_mul_f64 v[68:69], v[116:117], v[68:69]
	ds_read2_b64 v[118:121], v134 offset0:13 offset1:14
	ds_read2_b64 v[122:125], v134 offset0:15 offset1:16
	;; [unrolled: 1-line block ×4, first 2 shown]
	ds_read_b64 v[135:136], v134 offset:168
	s_waitcnt lgkmcnt(4)
	v_fma_f64 v[56:57], -v[68:69], v[118:119], v[56:57]
	v_fma_f64 v[66:67], -v[68:69], v[120:121], v[66:67]
	s_waitcnt lgkmcnt(3)
	v_fma_f64 v[54:55], -v[68:69], v[122:123], v[54:55]
	v_fma_f64 v[52:53], -v[68:69], v[124:125], v[52:53]
	;; [unrolled: 3-line block ×4, first 2 shown]
	s_waitcnt lgkmcnt(0)
	v_fma_f64 v[82:83], -v[68:69], v[135:136], v[82:83]
.LBB43_66:
	s_or_b32 exec_lo, exec_lo, s1
	s_mov_b32 s1, exec_lo
	s_waitcnt lgkmcnt(0)
	s_barrier
	buffer_gl0_inv
	v_cmpx_eq_u32_e32 13, v0
	s_cbranch_execz .LBB43_69
; %bb.67:
	v_mov_b32_e32 v118, v66
	v_mov_b32_e32 v119, v67
	;; [unrolled: 1-line block ×14, first 2 shown]
	ds_write_b64 v1, v[56:57]
	ds_write2_b64 v134, v[118:119], v[120:121] offset0:14 offset1:15
	ds_write2_b64 v134, v[122:123], v[124:125] offset0:16 offset1:17
	;; [unrolled: 1-line block ×4, first 2 shown]
	ds_read_b64 v[118:119], v1
	s_waitcnt lgkmcnt(0)
	v_cmp_neq_f64_e32 vcc_lo, 0, v[118:119]
	s_and_b32 exec_lo, exec_lo, vcc_lo
	s_cbranch_execz .LBB43_69
; %bb.68:
	v_div_scale_f64 v[120:121], null, v[118:119], v[118:119], 1.0
	v_rcp_f64_e32 v[122:123], v[120:121]
	v_fma_f64 v[124:125], -v[120:121], v[122:123], 1.0
	v_fma_f64 v[122:123], v[122:123], v[124:125], v[122:123]
	v_fma_f64 v[124:125], -v[120:121], v[122:123], 1.0
	v_fma_f64 v[122:123], v[122:123], v[124:125], v[122:123]
	v_div_scale_f64 v[124:125], vcc_lo, 1.0, v[118:119], 1.0
	v_mul_f64 v[126:127], v[124:125], v[122:123]
	v_fma_f64 v[120:121], -v[120:121], v[126:127], v[124:125]
	v_div_fmas_f64 v[120:121], v[120:121], v[122:123], v[126:127]
	v_div_fixup_f64 v[118:119], v[120:121], v[118:119], 1.0
	ds_write_b64 v1, v[118:119]
.LBB43_69:
	s_or_b32 exec_lo, exec_lo, s1
	s_waitcnt lgkmcnt(0)
	s_barrier
	buffer_gl0_inv
	ds_read_b64 v[118:119], v1
	s_mov_b32 s1, exec_lo
	v_cmpx_lt_u32_e32 13, v0
	s_cbranch_execz .LBB43_71
; %bb.70:
	s_waitcnt lgkmcnt(0)
	v_mul_f64 v[56:57], v[118:119], v[56:57]
	ds_read2_b64 v[120:123], v134 offset0:14 offset1:15
	ds_read2_b64 v[124:127], v134 offset0:16 offset1:17
	ds_read2_b64 v[128:131], v134 offset0:18 offset1:19
	ds_read2_b64 v[135:138], v134 offset0:20 offset1:21
	s_waitcnt lgkmcnt(3)
	v_fma_f64 v[66:67], -v[56:57], v[120:121], v[66:67]
	v_fma_f64 v[54:55], -v[56:57], v[122:123], v[54:55]
	s_waitcnt lgkmcnt(2)
	v_fma_f64 v[52:53], -v[56:57], v[124:125], v[52:53]
	v_fma_f64 v[48:49], -v[56:57], v[126:127], v[48:49]
	s_waitcnt lgkmcnt(1)
	v_fma_f64 v[50:51], -v[56:57], v[128:129], v[50:51]
	v_fma_f64 v[46:47], -v[56:57], v[130:131], v[46:47]
	s_waitcnt lgkmcnt(0)
	v_fma_f64 v[80:81], -v[56:57], v[135:136], v[80:81]
	v_fma_f64 v[82:83], -v[56:57], v[137:138], v[82:83]
.LBB43_71:
	s_or_b32 exec_lo, exec_lo, s1
	s_mov_b32 s1, exec_lo
	s_waitcnt lgkmcnt(0)
	s_barrier
	buffer_gl0_inv
	v_cmpx_eq_u32_e32 14, v0
	s_cbranch_execz .LBB43_74
; %bb.72:
	ds_write_b64 v1, v[66:67]
	ds_write2_b64 v134, v[54:55], v[52:53] offset0:15 offset1:16
	ds_write2_b64 v134, v[48:49], v[50:51] offset0:17 offset1:18
	;; [unrolled: 1-line block ×3, first 2 shown]
	ds_write_b64 v134, v[82:83] offset:168
	ds_read_b64 v[120:121], v1
	s_waitcnt lgkmcnt(0)
	v_cmp_neq_f64_e32 vcc_lo, 0, v[120:121]
	s_and_b32 exec_lo, exec_lo, vcc_lo
	s_cbranch_execz .LBB43_74
; %bb.73:
	v_div_scale_f64 v[122:123], null, v[120:121], v[120:121], 1.0
	v_rcp_f64_e32 v[124:125], v[122:123]
	v_fma_f64 v[126:127], -v[122:123], v[124:125], 1.0
	v_fma_f64 v[124:125], v[124:125], v[126:127], v[124:125]
	v_fma_f64 v[126:127], -v[122:123], v[124:125], 1.0
	v_fma_f64 v[124:125], v[124:125], v[126:127], v[124:125]
	v_div_scale_f64 v[126:127], vcc_lo, 1.0, v[120:121], 1.0
	v_mul_f64 v[128:129], v[126:127], v[124:125]
	v_fma_f64 v[122:123], -v[122:123], v[128:129], v[126:127]
	v_div_fmas_f64 v[122:123], v[122:123], v[124:125], v[128:129]
	v_div_fixup_f64 v[120:121], v[122:123], v[120:121], 1.0
	ds_write_b64 v1, v[120:121]
.LBB43_74:
	s_or_b32 exec_lo, exec_lo, s1
	s_waitcnt lgkmcnt(0)
	s_barrier
	buffer_gl0_inv
	ds_read_b64 v[120:121], v1
	s_mov_b32 s1, exec_lo
	v_cmpx_lt_u32_e32 14, v0
	s_cbranch_execz .LBB43_76
; %bb.75:
	s_waitcnt lgkmcnt(0)
	v_mul_f64 v[66:67], v[120:121], v[66:67]
	ds_read2_b64 v[122:125], v134 offset0:15 offset1:16
	ds_read2_b64 v[126:129], v134 offset0:17 offset1:18
	;; [unrolled: 1-line block ×3, first 2 shown]
	ds_read_b64 v[135:136], v134 offset:168
	s_waitcnt lgkmcnt(3)
	v_fma_f64 v[54:55], -v[66:67], v[122:123], v[54:55]
	v_fma_f64 v[52:53], -v[66:67], v[124:125], v[52:53]
	s_waitcnt lgkmcnt(2)
	v_fma_f64 v[48:49], -v[66:67], v[126:127], v[48:49]
	v_fma_f64 v[50:51], -v[66:67], v[128:129], v[50:51]
	;; [unrolled: 3-line block ×3, first 2 shown]
	s_waitcnt lgkmcnt(0)
	v_fma_f64 v[82:83], -v[66:67], v[135:136], v[82:83]
.LBB43_76:
	s_or_b32 exec_lo, exec_lo, s1
	s_mov_b32 s1, exec_lo
	s_waitcnt lgkmcnt(0)
	s_barrier
	buffer_gl0_inv
	v_cmpx_eq_u32_e32 15, v0
	s_cbranch_execz .LBB43_79
; %bb.77:
	v_mov_b32_e32 v122, v52
	v_mov_b32_e32 v123, v53
	;; [unrolled: 1-line block ×10, first 2 shown]
	ds_write_b64 v1, v[54:55]
	ds_write2_b64 v134, v[122:123], v[124:125] offset0:16 offset1:17
	ds_write2_b64 v134, v[126:127], v[128:129] offset0:18 offset1:19
	;; [unrolled: 1-line block ×3, first 2 shown]
	ds_read_b64 v[122:123], v1
	s_waitcnt lgkmcnt(0)
	v_cmp_neq_f64_e32 vcc_lo, 0, v[122:123]
	s_and_b32 exec_lo, exec_lo, vcc_lo
	s_cbranch_execz .LBB43_79
; %bb.78:
	v_div_scale_f64 v[124:125], null, v[122:123], v[122:123], 1.0
	v_rcp_f64_e32 v[126:127], v[124:125]
	v_fma_f64 v[128:129], -v[124:125], v[126:127], 1.0
	v_fma_f64 v[126:127], v[126:127], v[128:129], v[126:127]
	v_fma_f64 v[128:129], -v[124:125], v[126:127], 1.0
	v_fma_f64 v[126:127], v[126:127], v[128:129], v[126:127]
	v_div_scale_f64 v[128:129], vcc_lo, 1.0, v[122:123], 1.0
	v_mul_f64 v[130:131], v[128:129], v[126:127]
	v_fma_f64 v[124:125], -v[124:125], v[130:131], v[128:129]
	v_div_fmas_f64 v[124:125], v[124:125], v[126:127], v[130:131]
	v_div_fixup_f64 v[122:123], v[124:125], v[122:123], 1.0
	ds_write_b64 v1, v[122:123]
.LBB43_79:
	s_or_b32 exec_lo, exec_lo, s1
	s_waitcnt lgkmcnt(0)
	s_barrier
	buffer_gl0_inv
	ds_read_b64 v[122:123], v1
	s_mov_b32 s1, exec_lo
	v_cmpx_lt_u32_e32 15, v0
	s_cbranch_execz .LBB43_81
; %bb.80:
	s_waitcnt lgkmcnt(0)
	v_mul_f64 v[54:55], v[122:123], v[54:55]
	ds_read2_b64 v[124:127], v134 offset0:16 offset1:17
	ds_read2_b64 v[128:131], v134 offset0:18 offset1:19
	;; [unrolled: 1-line block ×3, first 2 shown]
	s_waitcnt lgkmcnt(2)
	v_fma_f64 v[52:53], -v[54:55], v[124:125], v[52:53]
	v_fma_f64 v[48:49], -v[54:55], v[126:127], v[48:49]
	s_waitcnt lgkmcnt(1)
	v_fma_f64 v[50:51], -v[54:55], v[128:129], v[50:51]
	v_fma_f64 v[46:47], -v[54:55], v[130:131], v[46:47]
	;; [unrolled: 3-line block ×3, first 2 shown]
.LBB43_81:
	s_or_b32 exec_lo, exec_lo, s1
	s_mov_b32 s1, exec_lo
	s_waitcnt lgkmcnt(0)
	s_barrier
	buffer_gl0_inv
	v_cmpx_eq_u32_e32 16, v0
	s_cbranch_execz .LBB43_84
; %bb.82:
	ds_write_b64 v1, v[52:53]
	ds_write2_b64 v134, v[48:49], v[50:51] offset0:17 offset1:18
	ds_write2_b64 v134, v[46:47], v[80:81] offset0:19 offset1:20
	ds_write_b64 v134, v[82:83] offset:168
	ds_read_b64 v[124:125], v1
	s_waitcnt lgkmcnt(0)
	v_cmp_neq_f64_e32 vcc_lo, 0, v[124:125]
	s_and_b32 exec_lo, exec_lo, vcc_lo
	s_cbranch_execz .LBB43_84
; %bb.83:
	v_div_scale_f64 v[126:127], null, v[124:125], v[124:125], 1.0
	v_rcp_f64_e32 v[128:129], v[126:127]
	v_fma_f64 v[130:131], -v[126:127], v[128:129], 1.0
	v_fma_f64 v[128:129], v[128:129], v[130:131], v[128:129]
	v_fma_f64 v[130:131], -v[126:127], v[128:129], 1.0
	v_fma_f64 v[128:129], v[128:129], v[130:131], v[128:129]
	v_div_scale_f64 v[130:131], vcc_lo, 1.0, v[124:125], 1.0
	v_mul_f64 v[132:133], v[130:131], v[128:129]
	v_fma_f64 v[126:127], -v[126:127], v[132:133], v[130:131]
	v_div_fmas_f64 v[126:127], v[126:127], v[128:129], v[132:133]
	v_div_fixup_f64 v[124:125], v[126:127], v[124:125], 1.0
	ds_write_b64 v1, v[124:125]
.LBB43_84:
	s_or_b32 exec_lo, exec_lo, s1
	s_waitcnt lgkmcnt(0)
	s_barrier
	buffer_gl0_inv
	ds_read_b64 v[124:125], v1
	s_mov_b32 s1, exec_lo
	v_cmpx_lt_u32_e32 16, v0
	s_cbranch_execz .LBB43_86
; %bb.85:
	s_waitcnt lgkmcnt(0)
	v_mul_f64 v[52:53], v[124:125], v[52:53]
	ds_read2_b64 v[126:129], v134 offset0:17 offset1:18
	ds_read2_b64 v[130:133], v134 offset0:19 offset1:20
	ds_read_b64 v[135:136], v134 offset:168
	s_waitcnt lgkmcnt(2)
	v_fma_f64 v[48:49], -v[52:53], v[126:127], v[48:49]
	v_fma_f64 v[50:51], -v[52:53], v[128:129], v[50:51]
	s_waitcnt lgkmcnt(1)
	v_fma_f64 v[46:47], -v[52:53], v[130:131], v[46:47]
	v_fma_f64 v[80:81], -v[52:53], v[132:133], v[80:81]
	s_waitcnt lgkmcnt(0)
	v_fma_f64 v[82:83], -v[52:53], v[135:136], v[82:83]
.LBB43_86:
	s_or_b32 exec_lo, exec_lo, s1
	s_mov_b32 s1, exec_lo
	s_waitcnt lgkmcnt(0)
	s_barrier
	buffer_gl0_inv
	v_cmpx_eq_u32_e32 17, v0
	s_cbranch_execz .LBB43_89
; %bb.87:
	v_mov_b32_e32 v126, v50
	v_mov_b32_e32 v127, v51
	v_mov_b32_e32 v128, v46
	v_mov_b32_e32 v129, v47
	v_mov_b32_e32 v130, v80
	v_mov_b32_e32 v131, v81
	ds_write_b64 v1, v[48:49]
	ds_write2_b64 v134, v[126:127], v[128:129] offset0:18 offset1:19
	ds_write2_b64 v134, v[130:131], v[82:83] offset0:20 offset1:21
	ds_read_b64 v[126:127], v1
	s_waitcnt lgkmcnt(0)
	v_cmp_neq_f64_e32 vcc_lo, 0, v[126:127]
	s_and_b32 exec_lo, exec_lo, vcc_lo
	s_cbranch_execz .LBB43_89
; %bb.88:
	v_div_scale_f64 v[128:129], null, v[126:127], v[126:127], 1.0
	v_rcp_f64_e32 v[130:131], v[128:129]
	v_fma_f64 v[132:133], -v[128:129], v[130:131], 1.0
	v_fma_f64 v[130:131], v[130:131], v[132:133], v[130:131]
	v_fma_f64 v[132:133], -v[128:129], v[130:131], 1.0
	v_fma_f64 v[130:131], v[130:131], v[132:133], v[130:131]
	v_div_scale_f64 v[132:133], vcc_lo, 1.0, v[126:127], 1.0
	v_mul_f64 v[135:136], v[132:133], v[130:131]
	v_fma_f64 v[128:129], -v[128:129], v[135:136], v[132:133]
	v_div_fmas_f64 v[128:129], v[128:129], v[130:131], v[135:136]
	v_div_fixup_f64 v[126:127], v[128:129], v[126:127], 1.0
	ds_write_b64 v1, v[126:127]
.LBB43_89:
	s_or_b32 exec_lo, exec_lo, s1
	s_waitcnt lgkmcnt(0)
	s_barrier
	buffer_gl0_inv
	ds_read_b64 v[126:127], v1
	s_mov_b32 s1, exec_lo
	v_cmpx_lt_u32_e32 17, v0
	s_cbranch_execz .LBB43_91
; %bb.90:
	s_waitcnt lgkmcnt(0)
	v_mul_f64 v[48:49], v[126:127], v[48:49]
	ds_read2_b64 v[128:131], v134 offset0:18 offset1:19
	ds_read2_b64 v[135:138], v134 offset0:20 offset1:21
	s_waitcnt lgkmcnt(1)
	v_fma_f64 v[50:51], -v[48:49], v[128:129], v[50:51]
	v_fma_f64 v[46:47], -v[48:49], v[130:131], v[46:47]
	s_waitcnt lgkmcnt(0)
	v_fma_f64 v[80:81], -v[48:49], v[135:136], v[80:81]
	v_fma_f64 v[82:83], -v[48:49], v[137:138], v[82:83]
.LBB43_91:
	s_or_b32 exec_lo, exec_lo, s1
	s_mov_b32 s1, exec_lo
	s_waitcnt lgkmcnt(0)
	s_barrier
	buffer_gl0_inv
	v_cmpx_eq_u32_e32 18, v0
	s_cbranch_execz .LBB43_94
; %bb.92:
	ds_write_b64 v1, v[50:51]
	ds_write2_b64 v134, v[46:47], v[80:81] offset0:19 offset1:20
	ds_write_b64 v134, v[82:83] offset:168
	ds_read_b64 v[128:129], v1
	s_waitcnt lgkmcnt(0)
	v_cmp_neq_f64_e32 vcc_lo, 0, v[128:129]
	s_and_b32 exec_lo, exec_lo, vcc_lo
	s_cbranch_execz .LBB43_94
; %bb.93:
	v_div_scale_f64 v[130:131], null, v[128:129], v[128:129], 1.0
	v_rcp_f64_e32 v[132:133], v[130:131]
	v_fma_f64 v[135:136], -v[130:131], v[132:133], 1.0
	v_fma_f64 v[132:133], v[132:133], v[135:136], v[132:133]
	v_fma_f64 v[135:136], -v[130:131], v[132:133], 1.0
	v_fma_f64 v[132:133], v[132:133], v[135:136], v[132:133]
	v_div_scale_f64 v[135:136], vcc_lo, 1.0, v[128:129], 1.0
	v_mul_f64 v[137:138], v[135:136], v[132:133]
	v_fma_f64 v[130:131], -v[130:131], v[137:138], v[135:136]
	v_div_fmas_f64 v[130:131], v[130:131], v[132:133], v[137:138]
	v_div_fixup_f64 v[128:129], v[130:131], v[128:129], 1.0
	ds_write_b64 v1, v[128:129]
.LBB43_94:
	s_or_b32 exec_lo, exec_lo, s1
	s_waitcnt lgkmcnt(0)
	s_barrier
	buffer_gl0_inv
	ds_read_b64 v[128:129], v1
	s_mov_b32 s1, exec_lo
	v_cmpx_lt_u32_e32 18, v0
	s_cbranch_execz .LBB43_96
; %bb.95:
	s_waitcnt lgkmcnt(0)
	v_mul_f64 v[50:51], v[128:129], v[50:51]
	ds_read2_b64 v[130:133], v134 offset0:19 offset1:20
	ds_read_b64 v[135:136], v134 offset:168
	s_waitcnt lgkmcnt(1)
	v_fma_f64 v[46:47], -v[50:51], v[130:131], v[46:47]
	v_fma_f64 v[80:81], -v[50:51], v[132:133], v[80:81]
	s_waitcnt lgkmcnt(0)
	v_fma_f64 v[82:83], -v[50:51], v[135:136], v[82:83]
.LBB43_96:
	s_or_b32 exec_lo, exec_lo, s1
	s_mov_b32 s1, exec_lo
	s_waitcnt lgkmcnt(0)
	s_barrier
	buffer_gl0_inv
	v_cmpx_eq_u32_e32 19, v0
	s_cbranch_execz .LBB43_99
; %bb.97:
	v_mov_b32_e32 v130, v80
	v_mov_b32_e32 v131, v81
	ds_write_b64 v1, v[46:47]
	ds_write2_b64 v134, v[130:131], v[82:83] offset0:20 offset1:21
	ds_read_b64 v[130:131], v1
	s_waitcnt lgkmcnt(0)
	v_cmp_neq_f64_e32 vcc_lo, 0, v[130:131]
	s_and_b32 exec_lo, exec_lo, vcc_lo
	s_cbranch_execz .LBB43_99
; %bb.98:
	v_div_scale_f64 v[132:133], null, v[130:131], v[130:131], 1.0
	v_rcp_f64_e32 v[135:136], v[132:133]
	v_fma_f64 v[137:138], -v[132:133], v[135:136], 1.0
	v_fma_f64 v[135:136], v[135:136], v[137:138], v[135:136]
	v_fma_f64 v[137:138], -v[132:133], v[135:136], 1.0
	v_fma_f64 v[135:136], v[135:136], v[137:138], v[135:136]
	v_div_scale_f64 v[137:138], vcc_lo, 1.0, v[130:131], 1.0
	v_mul_f64 v[139:140], v[137:138], v[135:136]
	v_fma_f64 v[132:133], -v[132:133], v[139:140], v[137:138]
	v_div_fmas_f64 v[132:133], v[132:133], v[135:136], v[139:140]
	v_div_fixup_f64 v[130:131], v[132:133], v[130:131], 1.0
	ds_write_b64 v1, v[130:131]
.LBB43_99:
	s_or_b32 exec_lo, exec_lo, s1
	s_waitcnt lgkmcnt(0)
	s_barrier
	buffer_gl0_inv
	ds_read_b64 v[130:131], v1
	s_mov_b32 s1, exec_lo
	v_cmpx_lt_u32_e32 19, v0
	s_cbranch_execz .LBB43_101
; %bb.100:
	s_waitcnt lgkmcnt(0)
	v_mul_f64 v[46:47], v[130:131], v[46:47]
	ds_read2_b64 v[135:138], v134 offset0:20 offset1:21
	s_waitcnt lgkmcnt(0)
	v_fma_f64 v[80:81], -v[46:47], v[135:136], v[80:81]
	v_fma_f64 v[82:83], -v[46:47], v[137:138], v[82:83]
.LBB43_101:
	s_or_b32 exec_lo, exec_lo, s1
	s_mov_b32 s1, exec_lo
	s_waitcnt lgkmcnt(0)
	s_barrier
	buffer_gl0_inv
	v_cmpx_eq_u32_e32 20, v0
	s_cbranch_execz .LBB43_104
; %bb.102:
	ds_write_b64 v1, v[80:81]
	ds_write_b64 v134, v[82:83] offset:168
	ds_read_b64 v[132:133], v1
	s_waitcnt lgkmcnt(0)
	v_cmp_neq_f64_e32 vcc_lo, 0, v[132:133]
	s_and_b32 exec_lo, exec_lo, vcc_lo
	s_cbranch_execz .LBB43_104
; %bb.103:
	v_div_scale_f64 v[135:136], null, v[132:133], v[132:133], 1.0
	v_rcp_f64_e32 v[137:138], v[135:136]
	v_fma_f64 v[139:140], -v[135:136], v[137:138], 1.0
	v_fma_f64 v[137:138], v[137:138], v[139:140], v[137:138]
	v_fma_f64 v[139:140], -v[135:136], v[137:138], 1.0
	v_fma_f64 v[137:138], v[137:138], v[139:140], v[137:138]
	v_div_scale_f64 v[139:140], vcc_lo, 1.0, v[132:133], 1.0
	v_mul_f64 v[141:142], v[139:140], v[137:138]
	v_fma_f64 v[135:136], -v[135:136], v[141:142], v[139:140]
	v_div_fmas_f64 v[135:136], v[135:136], v[137:138], v[141:142]
	v_div_fixup_f64 v[132:133], v[135:136], v[132:133], 1.0
	ds_write_b64 v1, v[132:133]
.LBB43_104:
	s_or_b32 exec_lo, exec_lo, s1
	s_waitcnt lgkmcnt(0)
	s_barrier
	buffer_gl0_inv
	ds_read_b64 v[132:133], v1
	s_mov_b32 s1, exec_lo
	v_cmpx_lt_u32_e32 20, v0
	s_cbranch_execz .LBB43_106
; %bb.105:
	s_waitcnt lgkmcnt(0)
	v_mul_f64 v[80:81], v[132:133], v[80:81]
	ds_read_b64 v[134:135], v134 offset:168
	s_waitcnt lgkmcnt(0)
	v_fma_f64 v[82:83], -v[80:81], v[134:135], v[82:83]
.LBB43_106:
	s_or_b32 exec_lo, exec_lo, s1
	s_mov_b32 s1, exec_lo
	s_waitcnt lgkmcnt(0)
	s_barrier
	buffer_gl0_inv
	v_cmpx_eq_u32_e32 21, v0
	s_cbranch_execz .LBB43_109
; %bb.107:
	v_cmp_neq_f64_e32 vcc_lo, 0, v[82:83]
	ds_write_b64 v1, v[82:83]
	s_and_b32 exec_lo, exec_lo, vcc_lo
	s_cbranch_execz .LBB43_109
; %bb.108:
	v_div_scale_f64 v[134:135], null, v[82:83], v[82:83], 1.0
	v_rcp_f64_e32 v[136:137], v[134:135]
	v_fma_f64 v[138:139], -v[134:135], v[136:137], 1.0
	v_fma_f64 v[136:137], v[136:137], v[138:139], v[136:137]
	v_fma_f64 v[138:139], -v[134:135], v[136:137], 1.0
	v_fma_f64 v[136:137], v[136:137], v[138:139], v[136:137]
	v_div_scale_f64 v[138:139], vcc_lo, 1.0, v[82:83], 1.0
	v_mul_f64 v[140:141], v[138:139], v[136:137]
	v_fma_f64 v[134:135], -v[134:135], v[140:141], v[138:139]
	v_div_fmas_f64 v[134:135], v[134:135], v[136:137], v[140:141]
	v_div_fixup_f64 v[134:135], v[134:135], v[82:83], 1.0
	ds_write_b64 v1, v[134:135]
.LBB43_109:
	s_or_b32 exec_lo, exec_lo, s1
	s_waitcnt lgkmcnt(0)
	s_barrier
	buffer_gl0_inv
	ds_read_b64 v[134:135], v1
	s_waitcnt lgkmcnt(0)
	s_barrier
	buffer_gl0_inv
	s_and_saveexec_b32 s3, s0
	s_cbranch_execz .LBB43_112
; %bb.110:
	s_load_dwordx2 s[0:1], s[4:5], 0x28
	v_lshlrev_b64 v[1:2], 2, v[2:3]
	v_cmp_eq_f64_e64 s2, 0, v[98:99]
	s_waitcnt lgkmcnt(0)
	v_add_co_u32 v1, vcc_lo, s0, v1
	v_add_co_ci_u32_e64 v2, null, s1, v2, vcc_lo
	v_cmp_eq_f64_e32 vcc_lo, 0, v[92:93]
	v_cmp_neq_f64_e64 s0, 0, v[94:95]
	v_cmp_eq_f64_e64 s1, 0, v[96:97]
	global_load_dword v136, v[1:2], off
	v_cndmask_b32_e64 v3, 0, 1, vcc_lo
	s_or_b32 vcc_lo, s0, vcc_lo
	v_cmp_eq_f64_e64 s0, 0, v[100:101]
	v_cndmask_b32_e32 v3, 2, v3, vcc_lo
	v_cmp_eq_u32_e32 vcc_lo, 0, v3
	s_and_b32 s1, s1, vcc_lo
	v_cndmask_b32_e64 v3, v3, 3, s1
	v_cmp_eq_f64_e64 s1, 0, v[102:103]
	v_cmp_eq_u32_e32 vcc_lo, 0, v3
	s_and_b32 s2, s2, vcc_lo
	v_cndmask_b32_e64 v3, v3, 4, s2
	v_cmp_eq_f64_e64 s2, 0, v[104:105]
	;; [unrolled: 4-line block ×17, first 2 shown]
	v_cmp_eq_u32_e32 vcc_lo, 0, v3
	s_and_b32 s0, s0, vcc_lo
	v_cndmask_b32_e64 v3, v3, 20, s0
	v_cmp_eq_u32_e32 vcc_lo, 0, v3
	s_and_b32 s0, s1, vcc_lo
	v_cndmask_b32_e64 v3, v3, 21, s0
	v_cmp_eq_u32_e32 vcc_lo, 0, v3
	s_and_b32 s0, s2, vcc_lo
	v_cndmask_b32_e64 v3, v3, 22, s0
	v_cmp_ne_u32_e64 s0, 0, v3
	s_waitcnt vmcnt(0)
	v_cmp_eq_u32_e32 vcc_lo, 0, v136
	s_and_b32 s0, vcc_lo, s0
	s_and_b32 exec_lo, exec_lo, s0
	s_cbranch_execz .LBB43_112
; %bb.111:
	v_add_nc_u32_e32 v3, s9, v3
	global_store_dword v[1:2], v3, off
.LBB43_112:
	s_or_b32 exec_lo, exec_lo, s3
	v_mul_f64 v[1:2], v[134:135], v[82:83]
	v_cmp_lt_u32_e32 vcc_lo, 21, v0
	flat_store_dwordx2 v[4:5], v[84:85]
	flat_store_dwordx2 v[78:79], v[88:89]
	;; [unrolled: 1-line block ×16, first 2 shown]
	v_cndmask_b32_e32 v2, v83, v2, vcc_lo
	v_cndmask_b32_e32 v1, v82, v1, vcc_lo
	flat_store_dwordx2 v[32:33], v[52:53]
	flat_store_dwordx2 v[36:37], v[48:49]
	;; [unrolled: 1-line block ×6, first 2 shown]
.LBB43_113:
	s_endpgm
	.section	.rodata,"a",@progbits
	.p2align	6, 0x0
	.amdhsa_kernel _ZN9rocsolver6v33100L23getf2_npvt_small_kernelILi22EdiiPKPdEEvT1_T3_lS5_lPT2_S5_S5_
		.amdhsa_group_segment_fixed_size 0
		.amdhsa_private_segment_fixed_size 0
		.amdhsa_kernarg_size 312
		.amdhsa_user_sgpr_count 6
		.amdhsa_user_sgpr_private_segment_buffer 1
		.amdhsa_user_sgpr_dispatch_ptr 0
		.amdhsa_user_sgpr_queue_ptr 0
		.amdhsa_user_sgpr_kernarg_segment_ptr 1
		.amdhsa_user_sgpr_dispatch_id 0
		.amdhsa_user_sgpr_flat_scratch_init 0
		.amdhsa_user_sgpr_private_segment_size 0
		.amdhsa_wavefront_size32 1
		.amdhsa_uses_dynamic_stack 0
		.amdhsa_system_sgpr_private_segment_wavefront_offset 0
		.amdhsa_system_sgpr_workgroup_id_x 1
		.amdhsa_system_sgpr_workgroup_id_y 1
		.amdhsa_system_sgpr_workgroup_id_z 0
		.amdhsa_system_sgpr_workgroup_info 0
		.amdhsa_system_vgpr_workitem_id 1
		.amdhsa_next_free_vgpr 143
		.amdhsa_next_free_sgpr 11
		.amdhsa_reserve_vcc 1
		.amdhsa_reserve_flat_scratch 1
		.amdhsa_float_round_mode_32 0
		.amdhsa_float_round_mode_16_64 0
		.amdhsa_float_denorm_mode_32 3
		.amdhsa_float_denorm_mode_16_64 3
		.amdhsa_dx10_clamp 1
		.amdhsa_ieee_mode 1
		.amdhsa_fp16_overflow 0
		.amdhsa_workgroup_processor_mode 1
		.amdhsa_memory_ordered 1
		.amdhsa_forward_progress 1
		.amdhsa_shared_vgpr_count 0
		.amdhsa_exception_fp_ieee_invalid_op 0
		.amdhsa_exception_fp_denorm_src 0
		.amdhsa_exception_fp_ieee_div_zero 0
		.amdhsa_exception_fp_ieee_overflow 0
		.amdhsa_exception_fp_ieee_underflow 0
		.amdhsa_exception_fp_ieee_inexact 0
		.amdhsa_exception_int_div_zero 0
	.end_amdhsa_kernel
	.section	.text._ZN9rocsolver6v33100L23getf2_npvt_small_kernelILi22EdiiPKPdEEvT1_T3_lS5_lPT2_S5_S5_,"axG",@progbits,_ZN9rocsolver6v33100L23getf2_npvt_small_kernelILi22EdiiPKPdEEvT1_T3_lS5_lPT2_S5_S5_,comdat
.Lfunc_end43:
	.size	_ZN9rocsolver6v33100L23getf2_npvt_small_kernelILi22EdiiPKPdEEvT1_T3_lS5_lPT2_S5_S5_, .Lfunc_end43-_ZN9rocsolver6v33100L23getf2_npvt_small_kernelILi22EdiiPKPdEEvT1_T3_lS5_lPT2_S5_S5_
                                        ; -- End function
	.set _ZN9rocsolver6v33100L23getf2_npvt_small_kernelILi22EdiiPKPdEEvT1_T3_lS5_lPT2_S5_S5_.num_vgpr, 143
	.set _ZN9rocsolver6v33100L23getf2_npvt_small_kernelILi22EdiiPKPdEEvT1_T3_lS5_lPT2_S5_S5_.num_agpr, 0
	.set _ZN9rocsolver6v33100L23getf2_npvt_small_kernelILi22EdiiPKPdEEvT1_T3_lS5_lPT2_S5_S5_.numbered_sgpr, 11
	.set _ZN9rocsolver6v33100L23getf2_npvt_small_kernelILi22EdiiPKPdEEvT1_T3_lS5_lPT2_S5_S5_.num_named_barrier, 0
	.set _ZN9rocsolver6v33100L23getf2_npvt_small_kernelILi22EdiiPKPdEEvT1_T3_lS5_lPT2_S5_S5_.private_seg_size, 0
	.set _ZN9rocsolver6v33100L23getf2_npvt_small_kernelILi22EdiiPKPdEEvT1_T3_lS5_lPT2_S5_S5_.uses_vcc, 1
	.set _ZN9rocsolver6v33100L23getf2_npvt_small_kernelILi22EdiiPKPdEEvT1_T3_lS5_lPT2_S5_S5_.uses_flat_scratch, 1
	.set _ZN9rocsolver6v33100L23getf2_npvt_small_kernelILi22EdiiPKPdEEvT1_T3_lS5_lPT2_S5_S5_.has_dyn_sized_stack, 0
	.set _ZN9rocsolver6v33100L23getf2_npvt_small_kernelILi22EdiiPKPdEEvT1_T3_lS5_lPT2_S5_S5_.has_recursion, 0
	.set _ZN9rocsolver6v33100L23getf2_npvt_small_kernelILi22EdiiPKPdEEvT1_T3_lS5_lPT2_S5_S5_.has_indirect_call, 0
	.section	.AMDGPU.csdata,"",@progbits
; Kernel info:
; codeLenInByte = 11468
; TotalNumSgprs: 13
; NumVgprs: 143
; ScratchSize: 0
; MemoryBound: 0
; FloatMode: 240
; IeeeMode: 1
; LDSByteSize: 0 bytes/workgroup (compile time only)
; SGPRBlocks: 0
; VGPRBlocks: 17
; NumSGPRsForWavesPerEU: 13
; NumVGPRsForWavesPerEU: 143
; Occupancy: 7
; WaveLimiterHint : 1
; COMPUTE_PGM_RSRC2:SCRATCH_EN: 0
; COMPUTE_PGM_RSRC2:USER_SGPR: 6
; COMPUTE_PGM_RSRC2:TRAP_HANDLER: 0
; COMPUTE_PGM_RSRC2:TGID_X_EN: 1
; COMPUTE_PGM_RSRC2:TGID_Y_EN: 1
; COMPUTE_PGM_RSRC2:TGID_Z_EN: 0
; COMPUTE_PGM_RSRC2:TIDIG_COMP_CNT: 1
	.section	.text._ZN9rocsolver6v33100L18getf2_small_kernelILi23EdiiPKPdEEvT1_T3_lS5_lPS5_llPT2_S5_S5_S7_l,"axG",@progbits,_ZN9rocsolver6v33100L18getf2_small_kernelILi23EdiiPKPdEEvT1_T3_lS5_lPS5_llPT2_S5_S5_S7_l,comdat
	.globl	_ZN9rocsolver6v33100L18getf2_small_kernelILi23EdiiPKPdEEvT1_T3_lS5_lPS5_llPT2_S5_S5_S7_l ; -- Begin function _ZN9rocsolver6v33100L18getf2_small_kernelILi23EdiiPKPdEEvT1_T3_lS5_lPS5_llPT2_S5_S5_S7_l
	.p2align	8
	.type	_ZN9rocsolver6v33100L18getf2_small_kernelILi23EdiiPKPdEEvT1_T3_lS5_lPS5_llPT2_S5_S5_S7_l,@function
_ZN9rocsolver6v33100L18getf2_small_kernelILi23EdiiPKPdEEvT1_T3_lS5_lPS5_llPT2_S5_S5_S7_l: ; @_ZN9rocsolver6v33100L18getf2_small_kernelILi23EdiiPKPdEEvT1_T3_lS5_lPS5_llPT2_S5_S5_S7_l
; %bb.0:
	s_clause 0x1
	s_load_dword s0, s[4:5], 0x6c
	s_load_dwordx2 s[12:13], s[4:5], 0x48
	s_waitcnt lgkmcnt(0)
	s_lshr_b32 s0, s0, 16
	v_mad_u64_u32 v[2:3], null, s7, s0, v[1:2]
	s_mov_b32 s0, exec_lo
	v_cmpx_gt_i32_e64 s12, v2
	s_cbranch_execz .LBB44_388
; %bb.1:
	s_clause 0x1
	s_load_dwordx4 s[0:3], s[4:5], 0x8
	s_load_dwordx4 s[8:11], s[4:5], 0x50
	v_ashrrev_i32_e32 v3, 31, v2
	v_mov_b32_e32 v48, 0
	v_mov_b32_e32 v49, 0
	v_lshlrev_b64 v[4:5], 3, v[2:3]
	s_waitcnt lgkmcnt(0)
	v_add_co_u32 v4, vcc_lo, s0, v4
	v_add_co_ci_u32_e64 v5, null, s1, v5, vcc_lo
	s_cmp_eq_u64 s[8:9], 0
	s_cselect_b32 s6, -1, 0
	global_load_dwordx2 v[4:5], v[4:5], off
	s_and_b32 vcc_lo, exec_lo, s6
	s_cbranch_vccnz .LBB44_3
; %bb.2:
	v_mul_lo_u32 v8, s11, v2
	v_mul_lo_u32 v9, s10, v3
	v_mad_u64_u32 v[6:7], null, s10, v2, 0
	v_add3_u32 v7, v7, v9, v8
	v_lshlrev_b64 v[6:7], 2, v[6:7]
	v_add_co_u32 v48, vcc_lo, s8, v6
	v_add_co_ci_u32_e64 v49, null, s9, v7, vcc_lo
.LBB44_3:
	s_load_dword s8, s[4:5], 0x18
	s_lshl_b64 s[0:1], s[2:3], 3
	s_load_dword s2, s[4:5], 0x0
	s_waitcnt vmcnt(0)
	v_add_co_u32 v56, vcc_lo, v4, s0
	v_lshlrev_b32_e32 v59, 3, v0
	v_add_co_ci_u32_e64 v57, null, s1, v5, vcc_lo
	v_add_co_u32 v8, vcc_lo, v56, v59
	v_add_co_ci_u32_e64 v9, null, 0, v57, vcc_lo
	s_waitcnt lgkmcnt(0)
	v_add3_u32 v6, s8, s8, v0
	s_ashr_i32 s9, s8, 31
	s_max_i32 s0, s2, 23
	s_lshl_b64 s[10:11], s[8:9], 3
	v_mul_lo_u32 v1, s0, v1
	v_add_nc_u32_e32 v4, s8, v6
	v_ashrrev_i32_e32 v7, 31, v6
	v_add_co_u32 v12, vcc_lo, v8, s10
	v_add_co_ci_u32_e64 v13, null, s11, v9, vcc_lo
	v_add_nc_u32_e32 v10, s8, v4
	v_ashrrev_i32_e32 v5, 31, v4
	v_lshlrev_b64 v[6:7], 3, v[6:7]
	v_lshl_add_u32 v58, v1, 3, 0
	s_cmp_lt_i32 s2, 2
	v_add_nc_u32_e32 v14, s8, v10
	v_ashrrev_i32_e32 v11, 31, v10
	v_lshlrev_b64 v[4:5], 3, v[4:5]
	v_add_co_u32 v6, vcc_lo, v56, v6
	v_add_nc_u32_e32 v16, s8, v14
	v_ashrrev_i32_e32 v15, 31, v14
	v_lshlrev_b64 v[10:11], 3, v[10:11]
	v_add_co_ci_u32_e64 v7, null, v57, v7, vcc_lo
	v_add_nc_u32_e32 v18, s8, v16
	v_add_co_u32 v4, vcc_lo, v56, v4
	v_lshlrev_b64 v[14:15], 3, v[14:15]
	v_add_co_ci_u32_e64 v5, null, v57, v5, vcc_lo
	v_ashrrev_i32_e32 v17, 31, v16
	s_clause 0x3
	flat_load_dwordx2 v[40:41], v[8:9]
	flat_load_dwordx2 v[28:29], v[12:13]
	;; [unrolled: 1-line block ×4, first 2 shown]
	v_add_co_u32 v4, vcc_lo, v56, v10
	v_ashrrev_i32_e32 v19, 31, v18
	v_add_nc_u32_e32 v10, s8, v18
	v_add_co_ci_u32_e64 v5, null, v57, v11, vcc_lo
	v_lshlrev_b64 v[8:9], 3, v[16:17]
	v_add_co_u32 v12, vcc_lo, v56, v14
	v_add_co_ci_u32_e64 v13, null, v57, v15, vcc_lo
	v_lshlrev_b64 v[14:15], 3, v[18:19]
	v_add_nc_u32_e32 v16, s8, v10
	v_add_co_u32 v8, vcc_lo, v56, v8
	v_ashrrev_i32_e32 v11, 31, v10
	v_add_co_ci_u32_e64 v9, null, v57, v9, vcc_lo
	v_add_nc_u32_e32 v20, s8, v16
	v_add_co_u32 v14, vcc_lo, v56, v14
	v_add_co_ci_u32_e64 v15, null, v57, v15, vcc_lo
	v_lshlrev_b64 v[18:19], 3, v[10:11]
	s_clause 0x3
	flat_load_dwordx2 v[38:39], v[4:5]
	flat_load_dwordx2 v[36:37], v[12:13]
	;; [unrolled: 1-line block ×4, first 2 shown]
	v_add_nc_u32_e32 v12, s8, v20
	v_ashrrev_i32_e32 v17, 31, v16
	v_ashrrev_i32_e32 v21, 31, v20
	v_add_co_u32 v14, vcc_lo, v56, v18
	v_ashrrev_i32_e32 v13, 31, v12
	v_add_co_ci_u32_e64 v15, null, v57, v19, vcc_lo
	v_lshlrev_b64 v[4:5], 3, v[16:17]
	v_lshlrev_b64 v[16:17], 3, v[20:21]
	;; [unrolled: 1-line block ×3, first 2 shown]
	v_add_nc_u32_e32 v12, s8, v12
	v_add_co_u32 v4, vcc_lo, v56, v4
	v_add_nc_u32_e32 v20, s8, v12
	v_add_co_ci_u32_e64 v5, null, v57, v5, vcc_lo
	v_add_co_u32 v16, vcc_lo, v56, v16
	v_add_nc_u32_e32 v22, s8, v20
	v_add_co_ci_u32_e64 v17, null, v57, v17, vcc_lo
	v_add_co_u32 v18, vcc_lo, v56, v18
	v_add_co_ci_u32_e64 v19, null, v57, v19, vcc_lo
	s_clause 0x3
	flat_load_dwordx2 v[34:35], v[14:15]
	flat_load_dwordx2 v[26:27], v[4:5]
	flat_load_dwordx2 v[30:31], v[16:17]
	flat_load_dwordx2 v[4:5], v[18:19]
	v_add_nc_u32_e32 v16, s8, v22
	v_ashrrev_i32_e32 v13, 31, v12
	v_ashrrev_i32_e32 v21, 31, v20
	;; [unrolled: 1-line block ×4, first 2 shown]
	v_lshlrev_b64 v[12:13], 3, v[12:13]
	v_lshlrev_b64 v[14:15], 3, v[20:21]
	v_lshlrev_b64 v[18:19], 3, v[22:23]
	v_lshlrev_b64 v[20:21], 3, v[16:17]
	v_add_nc_u32_e32 v16, s8, v16
	v_add_co_u32 v12, vcc_lo, v56, v12
	v_add_co_ci_u32_e64 v13, null, v57, v13, vcc_lo
	v_add_nc_u32_e32 v42, s8, v16
	v_add_co_u32 v14, vcc_lo, v56, v14
	v_add_co_ci_u32_e64 v15, null, v57, v15, vcc_lo
	v_add_co_u32 v18, vcc_lo, v56, v18
	v_add_nc_u32_e32 v46, s8, v42
	v_add_co_ci_u32_e64 v19, null, v57, v19, vcc_lo
	v_add_co_u32 v20, vcc_lo, v56, v20
	v_add_co_ci_u32_e64 v21, null, v57, v21, vcc_lo
	v_ashrrev_i32_e32 v43, 31, v42
	s_clause 0x3
	flat_load_dwordx2 v[44:45], v[12:13]
	flat_load_dwordx2 v[24:25], v[14:15]
	flat_load_dwordx2 v[22:23], v[18:19]
	flat_load_dwordx2 v[20:21], v[20:21]
	v_add_nc_u32_e32 v14, s8, v46
	v_ashrrev_i32_e32 v17, 31, v16
	v_ashrrev_i32_e32 v47, 31, v46
	v_lshlrev_b64 v[12:13], 3, v[42:43]
	v_add_nc_u32_e32 v42, s8, v14
	v_lshlrev_b64 v[16:17], 3, v[16:17]
	v_lshlrev_b64 v[18:19], 3, v[46:47]
	v_ashrrev_i32_e32 v15, 31, v14
	v_add_nc_u32_e32 v46, s8, v42
	v_ashrrev_i32_e32 v43, 31, v42
	v_add_co_u32 v16, vcc_lo, v56, v16
	v_lshlrev_b64 v[14:15], 3, v[14:15]
	v_add_nc_u32_e32 v50, s8, v46
	v_add_co_ci_u32_e64 v17, null, v57, v17, vcc_lo
	v_add_co_u32 v12, vcc_lo, v56, v12
	v_lshlrev_b64 v[42:43], 3, v[42:43]
	v_ashrrev_i32_e32 v47, 31, v46
	v_add_co_ci_u32_e64 v13, null, v57, v13, vcc_lo
	v_add_co_u32 v18, vcc_lo, v56, v18
	v_ashrrev_i32_e32 v51, 31, v50
	v_add_co_ci_u32_e64 v19, null, v57, v19, vcc_lo
	v_add_co_u32 v14, vcc_lo, v56, v14
	v_add_co_ci_u32_e64 v15, null, v57, v15, vcc_lo
	v_lshlrev_b64 v[46:47], 3, v[46:47]
	v_add_co_u32 v52, vcc_lo, v56, v42
	v_add_co_ci_u32_e64 v53, null, v57, v43, vcc_lo
	v_lshlrev_b64 v[42:43], 3, v[50:51]
	v_add_co_u32 v50, vcc_lo, v56, v46
	v_add_co_ci_u32_e64 v51, null, v57, v47, vcc_lo
	v_add_co_u32 v54, vcc_lo, v56, v42
	v_add_co_ci_u32_e64 v55, null, v57, v43, vcc_lo
	s_clause 0x6
	flat_load_dwordx2 v[46:47], v[16:17]
	flat_load_dwordx2 v[42:43], v[12:13]
	;; [unrolled: 1-line block ×7, first 2 shown]
	v_add_nc_u32_e32 v52, v58, v59
	v_mov_b32_e32 v54, 0
	v_lshlrev_b32_e32 v59, 3, v1
	s_waitcnt vmcnt(22) lgkmcnt(22)
	ds_write_b64 v52, v[40:41]
	s_waitcnt vmcnt(0) lgkmcnt(0)
	s_barrier
	buffer_gl0_inv
	ds_read_b64 v[52:53], v58
	s_cbranch_scc1 .LBB44_6
; %bb.4:
	v_add3_u32 v1, v59, 0, 8
	v_mov_b32_e32 v54, 0
	s_mov_b32 s0, 1
.LBB44_5:                               ; =>This Inner Loop Header: Depth=1
	ds_read_b64 v[60:61], v1
	v_add_nc_u32_e32 v1, 8, v1
	s_waitcnt lgkmcnt(0)
	v_cmp_lt_f64_e64 vcc_lo, |v[52:53]|, |v[60:61]|
	v_cndmask_b32_e32 v53, v53, v61, vcc_lo
	v_cndmask_b32_e32 v52, v52, v60, vcc_lo
	v_cndmask_b32_e64 v54, v54, s0, vcc_lo
	s_add_i32 s0, s0, 1
	s_cmp_eq_u32 s2, s0
	s_cbranch_scc0 .LBB44_5
.LBB44_6:
	s_mov_b32 s0, exec_lo
                                        ; implicit-def: $vgpr61
	v_cmpx_ne_u32_e64 v0, v54
	s_xor_b32 s0, exec_lo, s0
	s_cbranch_execz .LBB44_12
; %bb.7:
	s_mov_b32 s1, exec_lo
	v_cmpx_eq_u32_e32 0, v0
	s_cbranch_execz .LBB44_11
; %bb.8:
	v_cmp_ne_u32_e32 vcc_lo, 0, v54
	s_xor_b32 s3, s6, -1
	s_and_b32 s7, s3, vcc_lo
	s_and_saveexec_b32 s3, s7
	s_cbranch_execz .LBB44_10
; %bb.9:
	v_ashrrev_i32_e32 v55, 31, v54
	v_lshlrev_b64 v[0:1], 2, v[54:55]
	v_add_co_u32 v0, vcc_lo, v48, v0
	v_add_co_ci_u32_e64 v1, null, v49, v1, vcc_lo
	s_clause 0x1
	global_load_dword v55, v[0:1], off
	global_load_dword v60, v[48:49], off
	s_waitcnt vmcnt(1)
	global_store_dword v[48:49], v55, off
	s_waitcnt vmcnt(0)
	global_store_dword v[0:1], v60, off
.LBB44_10:
	s_or_b32 exec_lo, exec_lo, s3
	v_mov_b32_e32 v0, v54
.LBB44_11:
	s_or_b32 exec_lo, exec_lo, s1
	v_mov_b32_e32 v61, v0
                                        ; implicit-def: $vgpr0
.LBB44_12:
	s_or_saveexec_b32 s0, s0
	v_mov_b32_e32 v55, v61
	s_xor_b32 exec_lo, exec_lo, s0
	s_cbranch_execz .LBB44_14
; %bb.13:
	v_mov_b32_e32 v61, 0
	v_mov_b32_e32 v55, v0
	ds_write2_b64 v58, v[28:29], v[32:33] offset0:1 offset1:2
	ds_write2_b64 v58, v[6:7], v[38:39] offset0:3 offset1:4
	;; [unrolled: 1-line block ×11, first 2 shown]
.LBB44_14:
	s_or_b32 exec_lo, exec_lo, s0
	s_waitcnt lgkmcnt(0)
	v_cmp_eq_f64_e64 s0, 0, v[52:53]
	s_mov_b32 s1, exec_lo
	s_waitcnt_vscnt null, 0x0
	s_barrier
	buffer_gl0_inv
	v_cmpx_lt_i32_e32 0, v61
	s_cbranch_execz .LBB44_16
; %bb.15:
	v_div_scale_f64 v[0:1], null, v[52:53], v[52:53], 1.0
	v_div_scale_f64 v[66:67], vcc_lo, 1.0, v[52:53], 1.0
	v_rcp_f64_e32 v[62:63], v[0:1]
	v_fma_f64 v[64:65], -v[0:1], v[62:63], 1.0
	v_fma_f64 v[62:63], v[62:63], v[64:65], v[62:63]
	v_fma_f64 v[64:65], -v[0:1], v[62:63], 1.0
	v_fma_f64 v[62:63], v[62:63], v[64:65], v[62:63]
	v_mul_f64 v[64:65], v[66:67], v[62:63]
	v_fma_f64 v[0:1], -v[0:1], v[64:65], v[66:67]
	v_div_fmas_f64 v[0:1], v[0:1], v[62:63], v[64:65]
	ds_read2_b64 v[62:65], v58 offset0:1 offset1:2
	ds_read2_b64 v[66:69], v58 offset0:3 offset1:4
	;; [unrolled: 1-line block ×11, first 2 shown]
	v_div_fixup_f64 v[0:1], v[0:1], v[52:53], 1.0
	v_cndmask_b32_e64 v1, v1, v53, s0
	v_cndmask_b32_e64 v0, v0, v52, s0
	v_mul_f64 v[40:41], v[0:1], v[40:41]
	s_waitcnt lgkmcnt(10)
	v_fma_f64 v[28:29], -v[40:41], v[62:63], v[28:29]
	v_fma_f64 v[32:33], -v[40:41], v[64:65], v[32:33]
	s_waitcnt lgkmcnt(9)
	v_fma_f64 v[6:7], -v[40:41], v[66:67], v[6:7]
	v_fma_f64 v[38:39], -v[40:41], v[68:69], v[38:39]
	;; [unrolled: 3-line block ×11, first 2 shown]
.LBB44_16:
	s_or_b32 exec_lo, exec_lo, s1
	v_lshl_add_u32 v0, v61, 3, v58
	s_barrier
	buffer_gl0_inv
	v_mov_b32_e32 v52, 1
	ds_write_b64 v0, v[28:29]
	s_waitcnt lgkmcnt(0)
	s_barrier
	buffer_gl0_inv
	ds_read_b64 v[0:1], v58 offset:8
	s_cmp_lt_i32 s2, 3
	s_cbranch_scc1 .LBB44_19
; %bb.17:
	v_add3_u32 v53, v59, 0, 16
	v_mov_b32_e32 v52, 1
	s_mov_b32 s1, 2
.LBB44_18:                              ; =>This Inner Loop Header: Depth=1
	ds_read_b64 v[62:63], v53
	v_add_nc_u32_e32 v53, 8, v53
	s_waitcnt lgkmcnt(0)
	v_cmp_lt_f64_e64 vcc_lo, |v[0:1]|, |v[62:63]|
	v_cndmask_b32_e32 v1, v1, v63, vcc_lo
	v_cndmask_b32_e32 v0, v0, v62, vcc_lo
	v_cndmask_b32_e64 v52, v52, s1, vcc_lo
	s_add_i32 s1, s1, 1
	s_cmp_lg_u32 s2, s1
	s_cbranch_scc1 .LBB44_18
.LBB44_19:
	s_mov_b32 s1, exec_lo
	v_cmpx_ne_u32_e64 v61, v52
	s_xor_b32 s1, exec_lo, s1
	s_cbranch_execz .LBB44_25
; %bb.20:
	s_mov_b32 s3, exec_lo
	v_cmpx_eq_u32_e32 1, v61
	s_cbranch_execz .LBB44_24
; %bb.21:
	v_cmp_ne_u32_e32 vcc_lo, 1, v52
	s_xor_b32 s7, s6, -1
	s_and_b32 s9, s7, vcc_lo
	s_and_saveexec_b32 s7, s9
	s_cbranch_execz .LBB44_23
; %bb.22:
	v_ashrrev_i32_e32 v53, 31, v52
	v_lshlrev_b64 v[53:54], 2, v[52:53]
	v_add_co_u32 v53, vcc_lo, v48, v53
	v_add_co_ci_u32_e64 v54, null, v49, v54, vcc_lo
	s_clause 0x1
	global_load_dword v55, v[53:54], off
	global_load_dword v60, v[48:49], off offset:4
	s_waitcnt vmcnt(1)
	global_store_dword v[48:49], v55, off offset:4
	s_waitcnt vmcnt(0)
	global_store_dword v[53:54], v60, off
.LBB44_23:
	s_or_b32 exec_lo, exec_lo, s7
	v_mov_b32_e32 v55, v52
	v_mov_b32_e32 v61, v52
.LBB44_24:
	s_or_b32 exec_lo, exec_lo, s3
.LBB44_25:
	s_andn2_saveexec_b32 s1, s1
	s_cbranch_execz .LBB44_27
; %bb.26:
	v_mov_b32_e32 v52, v32
	v_mov_b32_e32 v53, v33
	v_mov_b32_e32 v60, v6
	v_mov_b32_e32 v61, v7
	v_mov_b32_e32 v62, v38
	v_mov_b32_e32 v63, v39
	v_mov_b32_e32 v64, v8
	v_mov_b32_e32 v65, v9
	ds_write2_b64 v58, v[52:53], v[60:61] offset0:2 offset1:3
	v_mov_b32_e32 v52, v36
	v_mov_b32_e32 v53, v37
	;; [unrolled: 1-line block ×16, first 2 shown]
	ds_write2_b64 v58, v[62:63], v[52:53] offset0:4 offset1:5
	ds_write2_b64 v58, v[60:61], v[64:65] offset0:6 offset1:7
	;; [unrolled: 1-line block ×5, first 2 shown]
	v_mov_b32_e32 v52, v22
	v_mov_b32_e32 v53, v23
	;; [unrolled: 1-line block ×8, first 2 shown]
	ds_write2_b64 v58, v[52:53], v[60:61] offset0:14 offset1:15
	v_mov_b32_e32 v61, 1
	v_mov_b32_e32 v66, v18
	;; [unrolled: 1-line block ×9, first 2 shown]
	ds_write2_b64 v58, v[62:63], v[64:65] offset0:16 offset1:17
	ds_write2_b64 v58, v[66:67], v[68:69] offset0:18 offset1:19
	;; [unrolled: 1-line block ×3, first 2 shown]
	ds_write_b64 v58, v[50:51] offset:176
.LBB44_27:
	s_or_b32 exec_lo, exec_lo, s1
	s_waitcnt lgkmcnt(0)
	v_cmp_neq_f64_e64 s1, 0, v[0:1]
	s_mov_b32 s3, exec_lo
	s_waitcnt_vscnt null, 0x0
	s_barrier
	buffer_gl0_inv
	v_cmpx_lt_i32_e32 1, v61
	s_cbranch_execz .LBB44_29
; %bb.28:
	v_div_scale_f64 v[52:53], null, v[0:1], v[0:1], 1.0
	v_div_scale_f64 v[66:67], vcc_lo, 1.0, v[0:1], 1.0
	v_rcp_f64_e32 v[62:63], v[52:53]
	v_fma_f64 v[64:65], -v[52:53], v[62:63], 1.0
	v_fma_f64 v[62:63], v[62:63], v[64:65], v[62:63]
	v_fma_f64 v[64:65], -v[52:53], v[62:63], 1.0
	v_fma_f64 v[62:63], v[62:63], v[64:65], v[62:63]
	v_mul_f64 v[64:65], v[66:67], v[62:63]
	v_fma_f64 v[52:53], -v[52:53], v[64:65], v[66:67]
	v_div_fmas_f64 v[52:53], v[52:53], v[62:63], v[64:65]
	v_div_fixup_f64 v[52:53], v[52:53], v[0:1], 1.0
	v_cndmask_b32_e64 v1, v1, v53, s1
	v_cndmask_b32_e64 v0, v0, v52, s1
	v_mul_f64 v[28:29], v[0:1], v[28:29]
	ds_read2_b64 v[62:65], v58 offset0:2 offset1:3
	ds_read2_b64 v[66:69], v58 offset0:4 offset1:5
	ds_read2_b64 v[70:73], v58 offset0:6 offset1:7
	ds_read2_b64 v[74:77], v58 offset0:8 offset1:9
	ds_read2_b64 v[78:81], v58 offset0:10 offset1:11
	ds_read2_b64 v[82:85], v58 offset0:12 offset1:13
	ds_read2_b64 v[86:89], v58 offset0:14 offset1:15
	ds_read2_b64 v[90:93], v58 offset0:16 offset1:17
	ds_read2_b64 v[94:97], v58 offset0:18 offset1:19
	ds_read2_b64 v[98:101], v58 offset0:20 offset1:21
	ds_read_b64 v[0:1], v58 offset:176
	s_waitcnt lgkmcnt(10)
	v_fma_f64 v[32:33], -v[28:29], v[62:63], v[32:33]
	v_fma_f64 v[6:7], -v[28:29], v[64:65], v[6:7]
	s_waitcnt lgkmcnt(9)
	v_fma_f64 v[38:39], -v[28:29], v[66:67], v[38:39]
	v_fma_f64 v[36:37], -v[28:29], v[68:69], v[36:37]
	;; [unrolled: 3-line block ×10, first 2 shown]
	s_waitcnt lgkmcnt(0)
	v_fma_f64 v[50:51], -v[28:29], v[0:1], v[50:51]
.LBB44_29:
	s_or_b32 exec_lo, exec_lo, s3
	v_lshl_add_u32 v0, v61, 3, v58
	s_barrier
	buffer_gl0_inv
	v_mov_b32_e32 v52, 2
	ds_write_b64 v0, v[32:33]
	s_waitcnt lgkmcnt(0)
	s_barrier
	buffer_gl0_inv
	ds_read_b64 v[0:1], v58 offset:16
	s_cmp_lt_i32 s2, 4
	s_mov_b32 s3, 3
	s_cbranch_scc1 .LBB44_32
; %bb.30:
	v_add3_u32 v53, v59, 0, 24
	v_mov_b32_e32 v52, 2
.LBB44_31:                              ; =>This Inner Loop Header: Depth=1
	ds_read_b64 v[62:63], v53
	v_add_nc_u32_e32 v53, 8, v53
	s_waitcnt lgkmcnt(0)
	v_cmp_lt_f64_e64 vcc_lo, |v[0:1]|, |v[62:63]|
	v_cndmask_b32_e32 v1, v1, v63, vcc_lo
	v_cndmask_b32_e32 v0, v0, v62, vcc_lo
	v_cndmask_b32_e64 v52, v52, s3, vcc_lo
	s_add_i32 s3, s3, 1
	s_cmp_lg_u32 s2, s3
	s_cbranch_scc1 .LBB44_31
.LBB44_32:
	v_cndmask_b32_e64 v53, 2, 1, s0
	v_cndmask_b32_e64 v54, 0, 1, s0
	s_mov_b32 s0, exec_lo
	v_cndmask_b32_e64 v60, v53, v54, s1
	s_waitcnt lgkmcnt(0)
	v_cmpx_eq_f64_e32 0, v[0:1]
	s_xor_b32 s0, exec_lo, s0
; %bb.33:
	v_cmp_ne_u32_e32 vcc_lo, 0, v60
	v_cndmask_b32_e32 v60, 3, v60, vcc_lo
; %bb.34:
	s_andn2_saveexec_b32 s0, s0
	s_cbranch_execz .LBB44_36
; %bb.35:
	v_div_scale_f64 v[53:54], null, v[0:1], v[0:1], 1.0
	v_rcp_f64_e32 v[62:63], v[53:54]
	v_fma_f64 v[64:65], -v[53:54], v[62:63], 1.0
	v_fma_f64 v[62:63], v[62:63], v[64:65], v[62:63]
	v_fma_f64 v[64:65], -v[53:54], v[62:63], 1.0
	v_fma_f64 v[62:63], v[62:63], v[64:65], v[62:63]
	v_div_scale_f64 v[64:65], vcc_lo, 1.0, v[0:1], 1.0
	v_mul_f64 v[66:67], v[64:65], v[62:63]
	v_fma_f64 v[53:54], -v[53:54], v[66:67], v[64:65]
	v_div_fmas_f64 v[53:54], v[53:54], v[62:63], v[66:67]
	v_div_fixup_f64 v[0:1], v[53:54], v[0:1], 1.0
.LBB44_36:
	s_or_b32 exec_lo, exec_lo, s0
	s_mov_b32 s0, exec_lo
	v_cmpx_ne_u32_e64 v61, v52
	s_xor_b32 s0, exec_lo, s0
	s_cbranch_execz .LBB44_42
; %bb.37:
	s_mov_b32 s1, exec_lo
	v_cmpx_eq_u32_e32 2, v61
	s_cbranch_execz .LBB44_41
; %bb.38:
	v_cmp_ne_u32_e32 vcc_lo, 2, v52
	s_xor_b32 s3, s6, -1
	s_and_b32 s7, s3, vcc_lo
	s_and_saveexec_b32 s3, s7
	s_cbranch_execz .LBB44_40
; %bb.39:
	v_ashrrev_i32_e32 v53, 31, v52
	v_lshlrev_b64 v[53:54], 2, v[52:53]
	v_add_co_u32 v53, vcc_lo, v48, v53
	v_add_co_ci_u32_e64 v54, null, v49, v54, vcc_lo
	s_clause 0x1
	global_load_dword v55, v[53:54], off
	global_load_dword v61, v[48:49], off offset:8
	s_waitcnt vmcnt(1)
	global_store_dword v[48:49], v55, off offset:8
	s_waitcnt vmcnt(0)
	global_store_dword v[53:54], v61, off
.LBB44_40:
	s_or_b32 exec_lo, exec_lo, s3
	v_mov_b32_e32 v55, v52
	v_mov_b32_e32 v61, v52
.LBB44_41:
	s_or_b32 exec_lo, exec_lo, s1
.LBB44_42:
	s_andn2_saveexec_b32 s0, s0
	s_cbranch_execz .LBB44_44
; %bb.43:
	v_mov_b32_e32 v61, 2
	ds_write2_b64 v58, v[6:7], v[38:39] offset0:3 offset1:4
	ds_write2_b64 v58, v[36:37], v[10:11] offset0:5 offset1:6
	;; [unrolled: 1-line block ×10, first 2 shown]
.LBB44_44:
	s_or_b32 exec_lo, exec_lo, s0
	s_mov_b32 s0, exec_lo
	s_waitcnt lgkmcnt(0)
	s_waitcnt_vscnt null, 0x0
	s_barrier
	buffer_gl0_inv
	v_cmpx_lt_i32_e32 2, v61
	s_cbranch_execz .LBB44_46
; %bb.45:
	v_mul_f64 v[32:33], v[0:1], v[32:33]
	ds_read2_b64 v[62:65], v58 offset0:3 offset1:4
	ds_read2_b64 v[66:69], v58 offset0:5 offset1:6
	;; [unrolled: 1-line block ×10, first 2 shown]
	s_waitcnt lgkmcnt(9)
	v_fma_f64 v[6:7], -v[32:33], v[62:63], v[6:7]
	v_fma_f64 v[38:39], -v[32:33], v[64:65], v[38:39]
	s_waitcnt lgkmcnt(8)
	v_fma_f64 v[36:37], -v[32:33], v[66:67], v[36:37]
	v_fma_f64 v[10:11], -v[32:33], v[68:69], v[10:11]
	;; [unrolled: 3-line block ×10, first 2 shown]
.LBB44_46:
	s_or_b32 exec_lo, exec_lo, s0
	v_lshl_add_u32 v0, v61, 3, v58
	s_barrier
	buffer_gl0_inv
	v_mov_b32_e32 v52, 3
	ds_write_b64 v0, v[6:7]
	s_waitcnt lgkmcnt(0)
	s_barrier
	buffer_gl0_inv
	ds_read_b64 v[0:1], v58 offset:24
	s_cmp_lt_i32 s2, 5
	s_cbranch_scc1 .LBB44_49
; %bb.47:
	v_mov_b32_e32 v52, 3
	v_add3_u32 v53, v59, 0, 32
	s_mov_b32 s0, 4
.LBB44_48:                              ; =>This Inner Loop Header: Depth=1
	ds_read_b64 v[62:63], v53
	v_add_nc_u32_e32 v53, 8, v53
	s_waitcnt lgkmcnt(0)
	v_cmp_lt_f64_e64 vcc_lo, |v[0:1]|, |v[62:63]|
	v_cndmask_b32_e32 v1, v1, v63, vcc_lo
	v_cndmask_b32_e32 v0, v0, v62, vcc_lo
	v_cndmask_b32_e64 v52, v52, s0, vcc_lo
	s_add_i32 s0, s0, 1
	s_cmp_lg_u32 s2, s0
	s_cbranch_scc1 .LBB44_48
.LBB44_49:
	s_mov_b32 s0, exec_lo
	s_waitcnt lgkmcnt(0)
	v_cmpx_eq_f64_e32 0, v[0:1]
	s_xor_b32 s0, exec_lo, s0
; %bb.50:
	v_cmp_ne_u32_e32 vcc_lo, 0, v60
	v_cndmask_b32_e32 v60, 4, v60, vcc_lo
; %bb.51:
	s_andn2_saveexec_b32 s0, s0
	s_cbranch_execz .LBB44_53
; %bb.52:
	v_div_scale_f64 v[53:54], null, v[0:1], v[0:1], 1.0
	v_rcp_f64_e32 v[62:63], v[53:54]
	v_fma_f64 v[64:65], -v[53:54], v[62:63], 1.0
	v_fma_f64 v[62:63], v[62:63], v[64:65], v[62:63]
	v_fma_f64 v[64:65], -v[53:54], v[62:63], 1.0
	v_fma_f64 v[62:63], v[62:63], v[64:65], v[62:63]
	v_div_scale_f64 v[64:65], vcc_lo, 1.0, v[0:1], 1.0
	v_mul_f64 v[66:67], v[64:65], v[62:63]
	v_fma_f64 v[53:54], -v[53:54], v[66:67], v[64:65]
	v_div_fmas_f64 v[53:54], v[53:54], v[62:63], v[66:67]
	v_div_fixup_f64 v[0:1], v[53:54], v[0:1], 1.0
.LBB44_53:
	s_or_b32 exec_lo, exec_lo, s0
	s_mov_b32 s0, exec_lo
	v_cmpx_ne_u32_e64 v61, v52
	s_xor_b32 s0, exec_lo, s0
	s_cbranch_execz .LBB44_59
; %bb.54:
	s_mov_b32 s1, exec_lo
	v_cmpx_eq_u32_e32 3, v61
	s_cbranch_execz .LBB44_58
; %bb.55:
	v_cmp_ne_u32_e32 vcc_lo, 3, v52
	s_xor_b32 s3, s6, -1
	s_and_b32 s7, s3, vcc_lo
	s_and_saveexec_b32 s3, s7
	s_cbranch_execz .LBB44_57
; %bb.56:
	v_ashrrev_i32_e32 v53, 31, v52
	v_lshlrev_b64 v[53:54], 2, v[52:53]
	v_add_co_u32 v53, vcc_lo, v48, v53
	v_add_co_ci_u32_e64 v54, null, v49, v54, vcc_lo
	s_clause 0x1
	global_load_dword v55, v[53:54], off
	global_load_dword v61, v[48:49], off offset:12
	s_waitcnt vmcnt(1)
	global_store_dword v[48:49], v55, off offset:12
	s_waitcnt vmcnt(0)
	global_store_dword v[53:54], v61, off
.LBB44_57:
	s_or_b32 exec_lo, exec_lo, s3
	v_mov_b32_e32 v55, v52
	v_mov_b32_e32 v61, v52
.LBB44_58:
	s_or_b32 exec_lo, exec_lo, s1
.LBB44_59:
	s_andn2_saveexec_b32 s0, s0
	s_cbranch_execz .LBB44_61
; %bb.60:
	v_mov_b32_e32 v52, v38
	v_mov_b32_e32 v53, v39
	;; [unrolled: 1-line block ×20, first 2 shown]
	ds_write2_b64 v58, v[52:53], v[61:62] offset0:4 offset1:5
	ds_write2_b64 v58, v[63:64], v[65:66] offset0:6 offset1:7
	;; [unrolled: 1-line block ×5, first 2 shown]
	v_mov_b32_e32 v52, v22
	v_mov_b32_e32 v53, v23
	v_mov_b32_e32 v61, v20
	v_mov_b32_e32 v62, v21
	v_mov_b32_e32 v63, v46
	v_mov_b32_e32 v64, v47
	v_mov_b32_e32 v65, v42
	v_mov_b32_e32 v66, v43
	ds_write2_b64 v58, v[52:53], v[61:62] offset0:14 offset1:15
	v_mov_b32_e32 v61, 3
	v_mov_b32_e32 v67, v18
	;; [unrolled: 1-line block ×9, first 2 shown]
	ds_write2_b64 v58, v[63:64], v[65:66] offset0:16 offset1:17
	ds_write2_b64 v58, v[67:68], v[69:70] offset0:18 offset1:19
	;; [unrolled: 1-line block ×3, first 2 shown]
	ds_write_b64 v58, v[50:51] offset:176
.LBB44_61:
	s_or_b32 exec_lo, exec_lo, s0
	s_mov_b32 s0, exec_lo
	s_waitcnt lgkmcnt(0)
	s_waitcnt_vscnt null, 0x0
	s_barrier
	buffer_gl0_inv
	v_cmpx_lt_i32_e32 3, v61
	s_cbranch_execz .LBB44_63
; %bb.62:
	v_mul_f64 v[6:7], v[0:1], v[6:7]
	ds_read2_b64 v[62:65], v58 offset0:4 offset1:5
	ds_read2_b64 v[66:69], v58 offset0:6 offset1:7
	;; [unrolled: 1-line block ×9, first 2 shown]
	ds_read_b64 v[0:1], v58 offset:176
	s_waitcnt lgkmcnt(9)
	v_fma_f64 v[38:39], -v[6:7], v[62:63], v[38:39]
	v_fma_f64 v[36:37], -v[6:7], v[64:65], v[36:37]
	s_waitcnt lgkmcnt(8)
	v_fma_f64 v[10:11], -v[6:7], v[66:67], v[10:11]
	v_fma_f64 v[8:9], -v[6:7], v[68:69], v[8:9]
	;; [unrolled: 3-line block ×9, first 2 shown]
	s_waitcnt lgkmcnt(0)
	v_fma_f64 v[50:51], -v[6:7], v[0:1], v[50:51]
.LBB44_63:
	s_or_b32 exec_lo, exec_lo, s0
	v_lshl_add_u32 v0, v61, 3, v58
	s_barrier
	buffer_gl0_inv
	v_mov_b32_e32 v52, 4
	ds_write_b64 v0, v[38:39]
	s_waitcnt lgkmcnt(0)
	s_barrier
	buffer_gl0_inv
	ds_read_b64 v[0:1], v58 offset:32
	s_cmp_lt_i32 s2, 6
	s_cbranch_scc1 .LBB44_66
; %bb.64:
	v_add3_u32 v53, v59, 0, 40
	v_mov_b32_e32 v52, 4
	s_mov_b32 s0, 5
.LBB44_65:                              ; =>This Inner Loop Header: Depth=1
	ds_read_b64 v[62:63], v53
	v_add_nc_u32_e32 v53, 8, v53
	s_waitcnt lgkmcnt(0)
	v_cmp_lt_f64_e64 vcc_lo, |v[0:1]|, |v[62:63]|
	v_cndmask_b32_e32 v1, v1, v63, vcc_lo
	v_cndmask_b32_e32 v0, v0, v62, vcc_lo
	v_cndmask_b32_e64 v52, v52, s0, vcc_lo
	s_add_i32 s0, s0, 1
	s_cmp_lg_u32 s2, s0
	s_cbranch_scc1 .LBB44_65
.LBB44_66:
	s_mov_b32 s0, exec_lo
	s_waitcnt lgkmcnt(0)
	v_cmpx_eq_f64_e32 0, v[0:1]
	s_xor_b32 s0, exec_lo, s0
; %bb.67:
	v_cmp_ne_u32_e32 vcc_lo, 0, v60
	v_cndmask_b32_e32 v60, 5, v60, vcc_lo
; %bb.68:
	s_andn2_saveexec_b32 s0, s0
	s_cbranch_execz .LBB44_70
; %bb.69:
	v_div_scale_f64 v[53:54], null, v[0:1], v[0:1], 1.0
	v_rcp_f64_e32 v[62:63], v[53:54]
	v_fma_f64 v[64:65], -v[53:54], v[62:63], 1.0
	v_fma_f64 v[62:63], v[62:63], v[64:65], v[62:63]
	v_fma_f64 v[64:65], -v[53:54], v[62:63], 1.0
	v_fma_f64 v[62:63], v[62:63], v[64:65], v[62:63]
	v_div_scale_f64 v[64:65], vcc_lo, 1.0, v[0:1], 1.0
	v_mul_f64 v[66:67], v[64:65], v[62:63]
	v_fma_f64 v[53:54], -v[53:54], v[66:67], v[64:65]
	v_div_fmas_f64 v[53:54], v[53:54], v[62:63], v[66:67]
	v_div_fixup_f64 v[0:1], v[53:54], v[0:1], 1.0
.LBB44_70:
	s_or_b32 exec_lo, exec_lo, s0
	s_mov_b32 s0, exec_lo
	v_cmpx_ne_u32_e64 v61, v52
	s_xor_b32 s0, exec_lo, s0
	s_cbranch_execz .LBB44_76
; %bb.71:
	s_mov_b32 s1, exec_lo
	v_cmpx_eq_u32_e32 4, v61
	s_cbranch_execz .LBB44_75
; %bb.72:
	v_cmp_ne_u32_e32 vcc_lo, 4, v52
	s_xor_b32 s3, s6, -1
	s_and_b32 s7, s3, vcc_lo
	s_and_saveexec_b32 s3, s7
	s_cbranch_execz .LBB44_74
; %bb.73:
	v_ashrrev_i32_e32 v53, 31, v52
	v_lshlrev_b64 v[53:54], 2, v[52:53]
	v_add_co_u32 v53, vcc_lo, v48, v53
	v_add_co_ci_u32_e64 v54, null, v49, v54, vcc_lo
	s_clause 0x1
	global_load_dword v55, v[53:54], off
	global_load_dword v61, v[48:49], off offset:16
	s_waitcnt vmcnt(1)
	global_store_dword v[48:49], v55, off offset:16
	s_waitcnt vmcnt(0)
	global_store_dword v[53:54], v61, off
.LBB44_74:
	s_or_b32 exec_lo, exec_lo, s3
	v_mov_b32_e32 v55, v52
	v_mov_b32_e32 v61, v52
.LBB44_75:
	s_or_b32 exec_lo, exec_lo, s1
.LBB44_76:
	s_andn2_saveexec_b32 s0, s0
	s_cbranch_execz .LBB44_78
; %bb.77:
	v_mov_b32_e32 v61, 4
	ds_write2_b64 v58, v[36:37], v[10:11] offset0:5 offset1:6
	ds_write2_b64 v58, v[8:9], v[34:35] offset0:7 offset1:8
	;; [unrolled: 1-line block ×9, first 2 shown]
.LBB44_78:
	s_or_b32 exec_lo, exec_lo, s0
	s_mov_b32 s0, exec_lo
	s_waitcnt lgkmcnt(0)
	s_waitcnt_vscnt null, 0x0
	s_barrier
	buffer_gl0_inv
	v_cmpx_lt_i32_e32 4, v61
	s_cbranch_execz .LBB44_80
; %bb.79:
	v_mul_f64 v[38:39], v[0:1], v[38:39]
	ds_read2_b64 v[62:65], v58 offset0:5 offset1:6
	ds_read2_b64 v[66:69], v58 offset0:7 offset1:8
	;; [unrolled: 1-line block ×9, first 2 shown]
	s_waitcnt lgkmcnt(8)
	v_fma_f64 v[36:37], -v[38:39], v[62:63], v[36:37]
	v_fma_f64 v[10:11], -v[38:39], v[64:65], v[10:11]
	s_waitcnt lgkmcnt(7)
	v_fma_f64 v[8:9], -v[38:39], v[66:67], v[8:9]
	v_fma_f64 v[34:35], -v[38:39], v[68:69], v[34:35]
	;; [unrolled: 3-line block ×9, first 2 shown]
.LBB44_80:
	s_or_b32 exec_lo, exec_lo, s0
	v_lshl_add_u32 v0, v61, 3, v58
	s_barrier
	buffer_gl0_inv
	v_mov_b32_e32 v52, 5
	ds_write_b64 v0, v[36:37]
	s_waitcnt lgkmcnt(0)
	s_barrier
	buffer_gl0_inv
	ds_read_b64 v[0:1], v58 offset:40
	s_cmp_lt_i32 s2, 7
	s_cbranch_scc1 .LBB44_83
; %bb.81:
	v_add3_u32 v53, v59, 0, 48
	v_mov_b32_e32 v52, 5
	s_mov_b32 s0, 6
.LBB44_82:                              ; =>This Inner Loop Header: Depth=1
	ds_read_b64 v[62:63], v53
	v_add_nc_u32_e32 v53, 8, v53
	s_waitcnt lgkmcnt(0)
	v_cmp_lt_f64_e64 vcc_lo, |v[0:1]|, |v[62:63]|
	v_cndmask_b32_e32 v1, v1, v63, vcc_lo
	v_cndmask_b32_e32 v0, v0, v62, vcc_lo
	v_cndmask_b32_e64 v52, v52, s0, vcc_lo
	s_add_i32 s0, s0, 1
	s_cmp_lg_u32 s2, s0
	s_cbranch_scc1 .LBB44_82
.LBB44_83:
	s_mov_b32 s0, exec_lo
	s_waitcnt lgkmcnt(0)
	v_cmpx_eq_f64_e32 0, v[0:1]
	s_xor_b32 s0, exec_lo, s0
; %bb.84:
	v_cmp_ne_u32_e32 vcc_lo, 0, v60
	v_cndmask_b32_e32 v60, 6, v60, vcc_lo
; %bb.85:
	s_andn2_saveexec_b32 s0, s0
	s_cbranch_execz .LBB44_87
; %bb.86:
	v_div_scale_f64 v[53:54], null, v[0:1], v[0:1], 1.0
	v_rcp_f64_e32 v[62:63], v[53:54]
	v_fma_f64 v[64:65], -v[53:54], v[62:63], 1.0
	v_fma_f64 v[62:63], v[62:63], v[64:65], v[62:63]
	v_fma_f64 v[64:65], -v[53:54], v[62:63], 1.0
	v_fma_f64 v[62:63], v[62:63], v[64:65], v[62:63]
	v_div_scale_f64 v[64:65], vcc_lo, 1.0, v[0:1], 1.0
	v_mul_f64 v[66:67], v[64:65], v[62:63]
	v_fma_f64 v[53:54], -v[53:54], v[66:67], v[64:65]
	v_div_fmas_f64 v[53:54], v[53:54], v[62:63], v[66:67]
	v_div_fixup_f64 v[0:1], v[53:54], v[0:1], 1.0
.LBB44_87:
	s_or_b32 exec_lo, exec_lo, s0
	s_mov_b32 s0, exec_lo
	v_cmpx_ne_u32_e64 v61, v52
	s_xor_b32 s0, exec_lo, s0
	s_cbranch_execz .LBB44_93
; %bb.88:
	s_mov_b32 s1, exec_lo
	v_cmpx_eq_u32_e32 5, v61
	s_cbranch_execz .LBB44_92
; %bb.89:
	v_cmp_ne_u32_e32 vcc_lo, 5, v52
	s_xor_b32 s3, s6, -1
	s_and_b32 s7, s3, vcc_lo
	s_and_saveexec_b32 s3, s7
	s_cbranch_execz .LBB44_91
; %bb.90:
	v_ashrrev_i32_e32 v53, 31, v52
	v_lshlrev_b64 v[53:54], 2, v[52:53]
	v_add_co_u32 v53, vcc_lo, v48, v53
	v_add_co_ci_u32_e64 v54, null, v49, v54, vcc_lo
	s_clause 0x1
	global_load_dword v55, v[53:54], off
	global_load_dword v61, v[48:49], off offset:20
	s_waitcnt vmcnt(1)
	global_store_dword v[48:49], v55, off offset:20
	s_waitcnt vmcnt(0)
	global_store_dword v[53:54], v61, off
.LBB44_91:
	s_or_b32 exec_lo, exec_lo, s3
	v_mov_b32_e32 v55, v52
	v_mov_b32_e32 v61, v52
.LBB44_92:
	s_or_b32 exec_lo, exec_lo, s1
.LBB44_93:
	s_andn2_saveexec_b32 s0, s0
	s_cbranch_execz .LBB44_95
; %bb.94:
	v_mov_b32_e32 v52, v10
	v_mov_b32_e32 v53, v11
	;; [unrolled: 1-line block ×16, first 2 shown]
	ds_write2_b64 v58, v[52:53], v[61:62] offset0:6 offset1:7
	ds_write2_b64 v58, v[63:64], v[65:66] offset0:8 offset1:9
	;; [unrolled: 1-line block ×4, first 2 shown]
	v_mov_b32_e32 v52, v22
	v_mov_b32_e32 v53, v23
	;; [unrolled: 1-line block ×8, first 2 shown]
	ds_write2_b64 v58, v[52:53], v[61:62] offset0:14 offset1:15
	v_mov_b32_e32 v61, 5
	v_mov_b32_e32 v67, v18
	;; [unrolled: 1-line block ×9, first 2 shown]
	ds_write2_b64 v58, v[63:64], v[65:66] offset0:16 offset1:17
	ds_write2_b64 v58, v[67:68], v[69:70] offset0:18 offset1:19
	ds_write2_b64 v58, v[71:72], v[73:74] offset0:20 offset1:21
	ds_write_b64 v58, v[50:51] offset:176
.LBB44_95:
	s_or_b32 exec_lo, exec_lo, s0
	s_mov_b32 s0, exec_lo
	s_waitcnt lgkmcnt(0)
	s_waitcnt_vscnt null, 0x0
	s_barrier
	buffer_gl0_inv
	v_cmpx_lt_i32_e32 5, v61
	s_cbranch_execz .LBB44_97
; %bb.96:
	v_mul_f64 v[36:37], v[0:1], v[36:37]
	ds_read2_b64 v[62:65], v58 offset0:6 offset1:7
	ds_read2_b64 v[66:69], v58 offset0:8 offset1:9
	;; [unrolled: 1-line block ×8, first 2 shown]
	ds_read_b64 v[0:1], v58 offset:176
	s_waitcnt lgkmcnt(8)
	v_fma_f64 v[10:11], -v[36:37], v[62:63], v[10:11]
	v_fma_f64 v[8:9], -v[36:37], v[64:65], v[8:9]
	s_waitcnt lgkmcnt(7)
	v_fma_f64 v[34:35], -v[36:37], v[66:67], v[34:35]
	v_fma_f64 v[26:27], -v[36:37], v[68:69], v[26:27]
	;; [unrolled: 3-line block ×8, first 2 shown]
	s_waitcnt lgkmcnt(0)
	v_fma_f64 v[50:51], -v[36:37], v[0:1], v[50:51]
.LBB44_97:
	s_or_b32 exec_lo, exec_lo, s0
	v_lshl_add_u32 v0, v61, 3, v58
	s_barrier
	buffer_gl0_inv
	v_mov_b32_e32 v52, 6
	ds_write_b64 v0, v[10:11]
	s_waitcnt lgkmcnt(0)
	s_barrier
	buffer_gl0_inv
	ds_read_b64 v[0:1], v58 offset:48
	s_cmp_lt_i32 s2, 8
	s_cbranch_scc1 .LBB44_100
; %bb.98:
	v_add3_u32 v53, v59, 0, 56
	v_mov_b32_e32 v52, 6
	s_mov_b32 s0, 7
.LBB44_99:                              ; =>This Inner Loop Header: Depth=1
	ds_read_b64 v[62:63], v53
	v_add_nc_u32_e32 v53, 8, v53
	s_waitcnt lgkmcnt(0)
	v_cmp_lt_f64_e64 vcc_lo, |v[0:1]|, |v[62:63]|
	v_cndmask_b32_e32 v1, v1, v63, vcc_lo
	v_cndmask_b32_e32 v0, v0, v62, vcc_lo
	v_cndmask_b32_e64 v52, v52, s0, vcc_lo
	s_add_i32 s0, s0, 1
	s_cmp_lg_u32 s2, s0
	s_cbranch_scc1 .LBB44_99
.LBB44_100:
	s_mov_b32 s0, exec_lo
	s_waitcnt lgkmcnt(0)
	v_cmpx_eq_f64_e32 0, v[0:1]
	s_xor_b32 s0, exec_lo, s0
; %bb.101:
	v_cmp_ne_u32_e32 vcc_lo, 0, v60
	v_cndmask_b32_e32 v60, 7, v60, vcc_lo
; %bb.102:
	s_andn2_saveexec_b32 s0, s0
	s_cbranch_execz .LBB44_104
; %bb.103:
	v_div_scale_f64 v[53:54], null, v[0:1], v[0:1], 1.0
	v_rcp_f64_e32 v[62:63], v[53:54]
	v_fma_f64 v[64:65], -v[53:54], v[62:63], 1.0
	v_fma_f64 v[62:63], v[62:63], v[64:65], v[62:63]
	v_fma_f64 v[64:65], -v[53:54], v[62:63], 1.0
	v_fma_f64 v[62:63], v[62:63], v[64:65], v[62:63]
	v_div_scale_f64 v[64:65], vcc_lo, 1.0, v[0:1], 1.0
	v_mul_f64 v[66:67], v[64:65], v[62:63]
	v_fma_f64 v[53:54], -v[53:54], v[66:67], v[64:65]
	v_div_fmas_f64 v[53:54], v[53:54], v[62:63], v[66:67]
	v_div_fixup_f64 v[0:1], v[53:54], v[0:1], 1.0
.LBB44_104:
	s_or_b32 exec_lo, exec_lo, s0
	s_mov_b32 s0, exec_lo
	v_cmpx_ne_u32_e64 v61, v52
	s_xor_b32 s0, exec_lo, s0
	s_cbranch_execz .LBB44_110
; %bb.105:
	s_mov_b32 s1, exec_lo
	v_cmpx_eq_u32_e32 6, v61
	s_cbranch_execz .LBB44_109
; %bb.106:
	v_cmp_ne_u32_e32 vcc_lo, 6, v52
	s_xor_b32 s3, s6, -1
	s_and_b32 s7, s3, vcc_lo
	s_and_saveexec_b32 s3, s7
	s_cbranch_execz .LBB44_108
; %bb.107:
	v_ashrrev_i32_e32 v53, 31, v52
	v_lshlrev_b64 v[53:54], 2, v[52:53]
	v_add_co_u32 v53, vcc_lo, v48, v53
	v_add_co_ci_u32_e64 v54, null, v49, v54, vcc_lo
	s_clause 0x1
	global_load_dword v55, v[53:54], off
	global_load_dword v61, v[48:49], off offset:24
	s_waitcnt vmcnt(1)
	global_store_dword v[48:49], v55, off offset:24
	s_waitcnt vmcnt(0)
	global_store_dword v[53:54], v61, off
.LBB44_108:
	s_or_b32 exec_lo, exec_lo, s3
	v_mov_b32_e32 v55, v52
	v_mov_b32_e32 v61, v52
.LBB44_109:
	s_or_b32 exec_lo, exec_lo, s1
.LBB44_110:
	s_andn2_saveexec_b32 s0, s0
	s_cbranch_execz .LBB44_112
; %bb.111:
	v_mov_b32_e32 v61, 6
	ds_write2_b64 v58, v[8:9], v[34:35] offset0:7 offset1:8
	ds_write2_b64 v58, v[26:27], v[30:31] offset0:9 offset1:10
	;; [unrolled: 1-line block ×8, first 2 shown]
.LBB44_112:
	s_or_b32 exec_lo, exec_lo, s0
	s_mov_b32 s0, exec_lo
	s_waitcnt lgkmcnt(0)
	s_waitcnt_vscnt null, 0x0
	s_barrier
	buffer_gl0_inv
	v_cmpx_lt_i32_e32 6, v61
	s_cbranch_execz .LBB44_114
; %bb.113:
	v_mul_f64 v[10:11], v[0:1], v[10:11]
	ds_read2_b64 v[62:65], v58 offset0:7 offset1:8
	ds_read2_b64 v[66:69], v58 offset0:9 offset1:10
	;; [unrolled: 1-line block ×8, first 2 shown]
	s_waitcnt lgkmcnt(7)
	v_fma_f64 v[8:9], -v[10:11], v[62:63], v[8:9]
	v_fma_f64 v[34:35], -v[10:11], v[64:65], v[34:35]
	s_waitcnt lgkmcnt(6)
	v_fma_f64 v[26:27], -v[10:11], v[66:67], v[26:27]
	v_fma_f64 v[30:31], -v[10:11], v[68:69], v[30:31]
	;; [unrolled: 3-line block ×8, first 2 shown]
.LBB44_114:
	s_or_b32 exec_lo, exec_lo, s0
	v_lshl_add_u32 v0, v61, 3, v58
	s_barrier
	buffer_gl0_inv
	v_mov_b32_e32 v52, 7
	ds_write_b64 v0, v[8:9]
	s_waitcnt lgkmcnt(0)
	s_barrier
	buffer_gl0_inv
	ds_read_b64 v[0:1], v58 offset:56
	s_cmp_lt_i32 s2, 9
	s_cbranch_scc1 .LBB44_117
; %bb.115:
	v_add3_u32 v53, v59, 0, 64
	v_mov_b32_e32 v52, 7
	s_mov_b32 s0, 8
.LBB44_116:                             ; =>This Inner Loop Header: Depth=1
	ds_read_b64 v[62:63], v53
	v_add_nc_u32_e32 v53, 8, v53
	s_waitcnt lgkmcnt(0)
	v_cmp_lt_f64_e64 vcc_lo, |v[0:1]|, |v[62:63]|
	v_cndmask_b32_e32 v1, v1, v63, vcc_lo
	v_cndmask_b32_e32 v0, v0, v62, vcc_lo
	v_cndmask_b32_e64 v52, v52, s0, vcc_lo
	s_add_i32 s0, s0, 1
	s_cmp_lg_u32 s2, s0
	s_cbranch_scc1 .LBB44_116
.LBB44_117:
	s_mov_b32 s0, exec_lo
	s_waitcnt lgkmcnt(0)
	v_cmpx_eq_f64_e32 0, v[0:1]
	s_xor_b32 s0, exec_lo, s0
; %bb.118:
	v_cmp_ne_u32_e32 vcc_lo, 0, v60
	v_cndmask_b32_e32 v60, 8, v60, vcc_lo
; %bb.119:
	s_andn2_saveexec_b32 s0, s0
	s_cbranch_execz .LBB44_121
; %bb.120:
	v_div_scale_f64 v[53:54], null, v[0:1], v[0:1], 1.0
	v_rcp_f64_e32 v[62:63], v[53:54]
	v_fma_f64 v[64:65], -v[53:54], v[62:63], 1.0
	v_fma_f64 v[62:63], v[62:63], v[64:65], v[62:63]
	v_fma_f64 v[64:65], -v[53:54], v[62:63], 1.0
	v_fma_f64 v[62:63], v[62:63], v[64:65], v[62:63]
	v_div_scale_f64 v[64:65], vcc_lo, 1.0, v[0:1], 1.0
	v_mul_f64 v[66:67], v[64:65], v[62:63]
	v_fma_f64 v[53:54], -v[53:54], v[66:67], v[64:65]
	v_div_fmas_f64 v[53:54], v[53:54], v[62:63], v[66:67]
	v_div_fixup_f64 v[0:1], v[53:54], v[0:1], 1.0
.LBB44_121:
	s_or_b32 exec_lo, exec_lo, s0
	s_mov_b32 s0, exec_lo
	v_cmpx_ne_u32_e64 v61, v52
	s_xor_b32 s0, exec_lo, s0
	s_cbranch_execz .LBB44_127
; %bb.122:
	s_mov_b32 s1, exec_lo
	v_cmpx_eq_u32_e32 7, v61
	s_cbranch_execz .LBB44_126
; %bb.123:
	v_cmp_ne_u32_e32 vcc_lo, 7, v52
	s_xor_b32 s3, s6, -1
	s_and_b32 s7, s3, vcc_lo
	s_and_saveexec_b32 s3, s7
	s_cbranch_execz .LBB44_125
; %bb.124:
	v_ashrrev_i32_e32 v53, 31, v52
	v_lshlrev_b64 v[53:54], 2, v[52:53]
	v_add_co_u32 v53, vcc_lo, v48, v53
	v_add_co_ci_u32_e64 v54, null, v49, v54, vcc_lo
	s_clause 0x1
	global_load_dword v55, v[53:54], off
	global_load_dword v61, v[48:49], off offset:28
	s_waitcnt vmcnt(1)
	global_store_dword v[48:49], v55, off offset:28
	s_waitcnt vmcnt(0)
	global_store_dword v[53:54], v61, off
.LBB44_125:
	s_or_b32 exec_lo, exec_lo, s3
	v_mov_b32_e32 v55, v52
	v_mov_b32_e32 v61, v52
.LBB44_126:
	s_or_b32 exec_lo, exec_lo, s1
.LBB44_127:
	s_andn2_saveexec_b32 s0, s0
	s_cbranch_execz .LBB44_129
; %bb.128:
	v_mov_b32_e32 v52, v34
	v_mov_b32_e32 v53, v35
	v_mov_b32_e32 v61, v26
	v_mov_b32_e32 v62, v27
	v_mov_b32_e32 v63, v30
	v_mov_b32_e32 v64, v31
	v_mov_b32_e32 v65, v4
	v_mov_b32_e32 v66, v5
	v_mov_b32_e32 v67, v44
	v_mov_b32_e32 v68, v45
	v_mov_b32_e32 v69, v24
	v_mov_b32_e32 v70, v25
	ds_write2_b64 v58, v[52:53], v[61:62] offset0:8 offset1:9
	ds_write2_b64 v58, v[63:64], v[65:66] offset0:10 offset1:11
	;; [unrolled: 1-line block ×3, first 2 shown]
	v_mov_b32_e32 v52, v22
	v_mov_b32_e32 v53, v23
	;; [unrolled: 1-line block ×8, first 2 shown]
	ds_write2_b64 v58, v[52:53], v[61:62] offset0:14 offset1:15
	v_mov_b32_e32 v61, 7
	v_mov_b32_e32 v67, v18
	;; [unrolled: 1-line block ×9, first 2 shown]
	ds_write2_b64 v58, v[63:64], v[65:66] offset0:16 offset1:17
	ds_write2_b64 v58, v[67:68], v[69:70] offset0:18 offset1:19
	ds_write2_b64 v58, v[71:72], v[73:74] offset0:20 offset1:21
	ds_write_b64 v58, v[50:51] offset:176
.LBB44_129:
	s_or_b32 exec_lo, exec_lo, s0
	s_mov_b32 s0, exec_lo
	s_waitcnt lgkmcnt(0)
	s_waitcnt_vscnt null, 0x0
	s_barrier
	buffer_gl0_inv
	v_cmpx_lt_i32_e32 7, v61
	s_cbranch_execz .LBB44_131
; %bb.130:
	v_mul_f64 v[8:9], v[0:1], v[8:9]
	ds_read2_b64 v[62:65], v58 offset0:8 offset1:9
	ds_read2_b64 v[66:69], v58 offset0:10 offset1:11
	;; [unrolled: 1-line block ×7, first 2 shown]
	ds_read_b64 v[0:1], v58 offset:176
	s_waitcnt lgkmcnt(7)
	v_fma_f64 v[34:35], -v[8:9], v[62:63], v[34:35]
	v_fma_f64 v[26:27], -v[8:9], v[64:65], v[26:27]
	s_waitcnt lgkmcnt(6)
	v_fma_f64 v[30:31], -v[8:9], v[66:67], v[30:31]
	v_fma_f64 v[4:5], -v[8:9], v[68:69], v[4:5]
	;; [unrolled: 3-line block ×7, first 2 shown]
	s_waitcnt lgkmcnt(0)
	v_fma_f64 v[50:51], -v[8:9], v[0:1], v[50:51]
.LBB44_131:
	s_or_b32 exec_lo, exec_lo, s0
	v_lshl_add_u32 v0, v61, 3, v58
	s_barrier
	buffer_gl0_inv
	v_mov_b32_e32 v52, 8
	ds_write_b64 v0, v[34:35]
	s_waitcnt lgkmcnt(0)
	s_barrier
	buffer_gl0_inv
	ds_read_b64 v[0:1], v58 offset:64
	s_cmp_lt_i32 s2, 10
	s_cbranch_scc1 .LBB44_134
; %bb.132:
	v_add3_u32 v53, v59, 0, 0x48
	v_mov_b32_e32 v52, 8
	s_mov_b32 s0, 9
.LBB44_133:                             ; =>This Inner Loop Header: Depth=1
	ds_read_b64 v[62:63], v53
	v_add_nc_u32_e32 v53, 8, v53
	s_waitcnt lgkmcnt(0)
	v_cmp_lt_f64_e64 vcc_lo, |v[0:1]|, |v[62:63]|
	v_cndmask_b32_e32 v1, v1, v63, vcc_lo
	v_cndmask_b32_e32 v0, v0, v62, vcc_lo
	v_cndmask_b32_e64 v52, v52, s0, vcc_lo
	s_add_i32 s0, s0, 1
	s_cmp_lg_u32 s2, s0
	s_cbranch_scc1 .LBB44_133
.LBB44_134:
	s_mov_b32 s0, exec_lo
	s_waitcnt lgkmcnt(0)
	v_cmpx_eq_f64_e32 0, v[0:1]
	s_xor_b32 s0, exec_lo, s0
; %bb.135:
	v_cmp_ne_u32_e32 vcc_lo, 0, v60
	v_cndmask_b32_e32 v60, 9, v60, vcc_lo
; %bb.136:
	s_andn2_saveexec_b32 s0, s0
	s_cbranch_execz .LBB44_138
; %bb.137:
	v_div_scale_f64 v[53:54], null, v[0:1], v[0:1], 1.0
	v_rcp_f64_e32 v[62:63], v[53:54]
	v_fma_f64 v[64:65], -v[53:54], v[62:63], 1.0
	v_fma_f64 v[62:63], v[62:63], v[64:65], v[62:63]
	v_fma_f64 v[64:65], -v[53:54], v[62:63], 1.0
	v_fma_f64 v[62:63], v[62:63], v[64:65], v[62:63]
	v_div_scale_f64 v[64:65], vcc_lo, 1.0, v[0:1], 1.0
	v_mul_f64 v[66:67], v[64:65], v[62:63]
	v_fma_f64 v[53:54], -v[53:54], v[66:67], v[64:65]
	v_div_fmas_f64 v[53:54], v[53:54], v[62:63], v[66:67]
	v_div_fixup_f64 v[0:1], v[53:54], v[0:1], 1.0
.LBB44_138:
	s_or_b32 exec_lo, exec_lo, s0
	s_mov_b32 s0, exec_lo
	v_cmpx_ne_u32_e64 v61, v52
	s_xor_b32 s0, exec_lo, s0
	s_cbranch_execz .LBB44_144
; %bb.139:
	s_mov_b32 s1, exec_lo
	v_cmpx_eq_u32_e32 8, v61
	s_cbranch_execz .LBB44_143
; %bb.140:
	v_cmp_ne_u32_e32 vcc_lo, 8, v52
	s_xor_b32 s3, s6, -1
	s_and_b32 s7, s3, vcc_lo
	s_and_saveexec_b32 s3, s7
	s_cbranch_execz .LBB44_142
; %bb.141:
	v_ashrrev_i32_e32 v53, 31, v52
	v_lshlrev_b64 v[53:54], 2, v[52:53]
	v_add_co_u32 v53, vcc_lo, v48, v53
	v_add_co_ci_u32_e64 v54, null, v49, v54, vcc_lo
	s_clause 0x1
	global_load_dword v55, v[53:54], off
	global_load_dword v61, v[48:49], off offset:32
	s_waitcnt vmcnt(1)
	global_store_dword v[48:49], v55, off offset:32
	s_waitcnt vmcnt(0)
	global_store_dword v[53:54], v61, off
.LBB44_142:
	s_or_b32 exec_lo, exec_lo, s3
	v_mov_b32_e32 v55, v52
	v_mov_b32_e32 v61, v52
.LBB44_143:
	s_or_b32 exec_lo, exec_lo, s1
.LBB44_144:
	s_andn2_saveexec_b32 s0, s0
	s_cbranch_execz .LBB44_146
; %bb.145:
	v_mov_b32_e32 v61, 8
	ds_write2_b64 v58, v[26:27], v[30:31] offset0:9 offset1:10
	ds_write2_b64 v58, v[4:5], v[44:45] offset0:11 offset1:12
	ds_write2_b64 v58, v[24:25], v[22:23] offset0:13 offset1:14
	ds_write2_b64 v58, v[20:21], v[46:47] offset0:15 offset1:16
	ds_write2_b64 v58, v[42:43], v[18:19] offset0:17 offset1:18
	ds_write2_b64 v58, v[14:15], v[16:17] offset0:19 offset1:20
	ds_write2_b64 v58, v[12:13], v[50:51] offset0:21 offset1:22
.LBB44_146:
	s_or_b32 exec_lo, exec_lo, s0
	s_mov_b32 s0, exec_lo
	s_waitcnt lgkmcnt(0)
	s_waitcnt_vscnt null, 0x0
	s_barrier
	buffer_gl0_inv
	v_cmpx_lt_i32_e32 8, v61
	s_cbranch_execz .LBB44_148
; %bb.147:
	v_mul_f64 v[34:35], v[0:1], v[34:35]
	ds_read2_b64 v[62:65], v58 offset0:9 offset1:10
	ds_read2_b64 v[66:69], v58 offset0:11 offset1:12
	;; [unrolled: 1-line block ×7, first 2 shown]
	s_waitcnt lgkmcnt(6)
	v_fma_f64 v[26:27], -v[34:35], v[62:63], v[26:27]
	v_fma_f64 v[30:31], -v[34:35], v[64:65], v[30:31]
	s_waitcnt lgkmcnt(5)
	v_fma_f64 v[4:5], -v[34:35], v[66:67], v[4:5]
	v_fma_f64 v[44:45], -v[34:35], v[68:69], v[44:45]
	;; [unrolled: 3-line block ×7, first 2 shown]
.LBB44_148:
	s_or_b32 exec_lo, exec_lo, s0
	v_lshl_add_u32 v0, v61, 3, v58
	s_barrier
	buffer_gl0_inv
	v_mov_b32_e32 v52, 9
	ds_write_b64 v0, v[26:27]
	s_waitcnt lgkmcnt(0)
	s_barrier
	buffer_gl0_inv
	ds_read_b64 v[0:1], v58 offset:72
	s_cmp_lt_i32 s2, 11
	s_cbranch_scc1 .LBB44_151
; %bb.149:
	v_add3_u32 v53, v59, 0, 0x50
	v_mov_b32_e32 v52, 9
	s_mov_b32 s0, 10
.LBB44_150:                             ; =>This Inner Loop Header: Depth=1
	ds_read_b64 v[62:63], v53
	v_add_nc_u32_e32 v53, 8, v53
	s_waitcnt lgkmcnt(0)
	v_cmp_lt_f64_e64 vcc_lo, |v[0:1]|, |v[62:63]|
	v_cndmask_b32_e32 v1, v1, v63, vcc_lo
	v_cndmask_b32_e32 v0, v0, v62, vcc_lo
	v_cndmask_b32_e64 v52, v52, s0, vcc_lo
	s_add_i32 s0, s0, 1
	s_cmp_lg_u32 s2, s0
	s_cbranch_scc1 .LBB44_150
.LBB44_151:
	s_mov_b32 s0, exec_lo
	s_waitcnt lgkmcnt(0)
	v_cmpx_eq_f64_e32 0, v[0:1]
	s_xor_b32 s0, exec_lo, s0
; %bb.152:
	v_cmp_ne_u32_e32 vcc_lo, 0, v60
	v_cndmask_b32_e32 v60, 10, v60, vcc_lo
; %bb.153:
	s_andn2_saveexec_b32 s0, s0
	s_cbranch_execz .LBB44_155
; %bb.154:
	v_div_scale_f64 v[53:54], null, v[0:1], v[0:1], 1.0
	v_rcp_f64_e32 v[62:63], v[53:54]
	v_fma_f64 v[64:65], -v[53:54], v[62:63], 1.0
	v_fma_f64 v[62:63], v[62:63], v[64:65], v[62:63]
	v_fma_f64 v[64:65], -v[53:54], v[62:63], 1.0
	v_fma_f64 v[62:63], v[62:63], v[64:65], v[62:63]
	v_div_scale_f64 v[64:65], vcc_lo, 1.0, v[0:1], 1.0
	v_mul_f64 v[66:67], v[64:65], v[62:63]
	v_fma_f64 v[53:54], -v[53:54], v[66:67], v[64:65]
	v_div_fmas_f64 v[53:54], v[53:54], v[62:63], v[66:67]
	v_div_fixup_f64 v[0:1], v[53:54], v[0:1], 1.0
.LBB44_155:
	s_or_b32 exec_lo, exec_lo, s0
	s_mov_b32 s0, exec_lo
	v_cmpx_ne_u32_e64 v61, v52
	s_xor_b32 s0, exec_lo, s0
	s_cbranch_execz .LBB44_161
; %bb.156:
	s_mov_b32 s1, exec_lo
	v_cmpx_eq_u32_e32 9, v61
	s_cbranch_execz .LBB44_160
; %bb.157:
	v_cmp_ne_u32_e32 vcc_lo, 9, v52
	s_xor_b32 s3, s6, -1
	s_and_b32 s7, s3, vcc_lo
	s_and_saveexec_b32 s3, s7
	s_cbranch_execz .LBB44_159
; %bb.158:
	v_ashrrev_i32_e32 v53, 31, v52
	v_lshlrev_b64 v[53:54], 2, v[52:53]
	v_add_co_u32 v53, vcc_lo, v48, v53
	v_add_co_ci_u32_e64 v54, null, v49, v54, vcc_lo
	s_clause 0x1
	global_load_dword v55, v[53:54], off
	global_load_dword v61, v[48:49], off offset:36
	s_waitcnt vmcnt(1)
	global_store_dword v[48:49], v55, off offset:36
	s_waitcnt vmcnt(0)
	global_store_dword v[53:54], v61, off
.LBB44_159:
	s_or_b32 exec_lo, exec_lo, s3
	v_mov_b32_e32 v55, v52
	v_mov_b32_e32 v61, v52
.LBB44_160:
	s_or_b32 exec_lo, exec_lo, s1
.LBB44_161:
	s_andn2_saveexec_b32 s0, s0
	s_cbranch_execz .LBB44_163
; %bb.162:
	v_mov_b32_e32 v52, v30
	v_mov_b32_e32 v53, v31
	;; [unrolled: 1-line block ×8, first 2 shown]
	ds_write2_b64 v58, v[52:53], v[61:62] offset0:10 offset1:11
	ds_write2_b64 v58, v[63:64], v[65:66] offset0:12 offset1:13
	v_mov_b32_e32 v52, v22
	v_mov_b32_e32 v53, v23
	;; [unrolled: 1-line block ×8, first 2 shown]
	ds_write2_b64 v58, v[52:53], v[61:62] offset0:14 offset1:15
	v_mov_b32_e32 v61, 9
	v_mov_b32_e32 v67, v18
	;; [unrolled: 1-line block ×9, first 2 shown]
	ds_write2_b64 v58, v[63:64], v[65:66] offset0:16 offset1:17
	ds_write2_b64 v58, v[67:68], v[69:70] offset0:18 offset1:19
	;; [unrolled: 1-line block ×3, first 2 shown]
	ds_write_b64 v58, v[50:51] offset:176
.LBB44_163:
	s_or_b32 exec_lo, exec_lo, s0
	s_mov_b32 s0, exec_lo
	s_waitcnt lgkmcnt(0)
	s_waitcnt_vscnt null, 0x0
	s_barrier
	buffer_gl0_inv
	v_cmpx_lt_i32_e32 9, v61
	s_cbranch_execz .LBB44_165
; %bb.164:
	v_mul_f64 v[26:27], v[0:1], v[26:27]
	ds_read2_b64 v[62:65], v58 offset0:10 offset1:11
	ds_read2_b64 v[66:69], v58 offset0:12 offset1:13
	;; [unrolled: 1-line block ×6, first 2 shown]
	ds_read_b64 v[0:1], v58 offset:176
	s_waitcnt lgkmcnt(6)
	v_fma_f64 v[30:31], -v[26:27], v[62:63], v[30:31]
	v_fma_f64 v[4:5], -v[26:27], v[64:65], v[4:5]
	s_waitcnt lgkmcnt(5)
	v_fma_f64 v[44:45], -v[26:27], v[66:67], v[44:45]
	v_fma_f64 v[24:25], -v[26:27], v[68:69], v[24:25]
	;; [unrolled: 3-line block ×6, first 2 shown]
	s_waitcnt lgkmcnt(0)
	v_fma_f64 v[50:51], -v[26:27], v[0:1], v[50:51]
.LBB44_165:
	s_or_b32 exec_lo, exec_lo, s0
	v_lshl_add_u32 v0, v61, 3, v58
	s_barrier
	buffer_gl0_inv
	v_mov_b32_e32 v52, 10
	ds_write_b64 v0, v[30:31]
	s_waitcnt lgkmcnt(0)
	s_barrier
	buffer_gl0_inv
	ds_read_b64 v[0:1], v58 offset:80
	s_cmp_lt_i32 s2, 12
	s_cbranch_scc1 .LBB44_168
; %bb.166:
	v_add3_u32 v53, v59, 0, 0x58
	v_mov_b32_e32 v52, 10
	s_mov_b32 s0, 11
.LBB44_167:                             ; =>This Inner Loop Header: Depth=1
	ds_read_b64 v[62:63], v53
	v_add_nc_u32_e32 v53, 8, v53
	s_waitcnt lgkmcnt(0)
	v_cmp_lt_f64_e64 vcc_lo, |v[0:1]|, |v[62:63]|
	v_cndmask_b32_e32 v1, v1, v63, vcc_lo
	v_cndmask_b32_e32 v0, v0, v62, vcc_lo
	v_cndmask_b32_e64 v52, v52, s0, vcc_lo
	s_add_i32 s0, s0, 1
	s_cmp_lg_u32 s2, s0
	s_cbranch_scc1 .LBB44_167
.LBB44_168:
	s_mov_b32 s0, exec_lo
	s_waitcnt lgkmcnt(0)
	v_cmpx_eq_f64_e32 0, v[0:1]
	s_xor_b32 s0, exec_lo, s0
; %bb.169:
	v_cmp_ne_u32_e32 vcc_lo, 0, v60
	v_cndmask_b32_e32 v60, 11, v60, vcc_lo
; %bb.170:
	s_andn2_saveexec_b32 s0, s0
	s_cbranch_execz .LBB44_172
; %bb.171:
	v_div_scale_f64 v[53:54], null, v[0:1], v[0:1], 1.0
	v_rcp_f64_e32 v[62:63], v[53:54]
	v_fma_f64 v[64:65], -v[53:54], v[62:63], 1.0
	v_fma_f64 v[62:63], v[62:63], v[64:65], v[62:63]
	v_fma_f64 v[64:65], -v[53:54], v[62:63], 1.0
	v_fma_f64 v[62:63], v[62:63], v[64:65], v[62:63]
	v_div_scale_f64 v[64:65], vcc_lo, 1.0, v[0:1], 1.0
	v_mul_f64 v[66:67], v[64:65], v[62:63]
	v_fma_f64 v[53:54], -v[53:54], v[66:67], v[64:65]
	v_div_fmas_f64 v[53:54], v[53:54], v[62:63], v[66:67]
	v_div_fixup_f64 v[0:1], v[53:54], v[0:1], 1.0
.LBB44_172:
	s_or_b32 exec_lo, exec_lo, s0
	s_mov_b32 s0, exec_lo
	v_cmpx_ne_u32_e64 v61, v52
	s_xor_b32 s0, exec_lo, s0
	s_cbranch_execz .LBB44_178
; %bb.173:
	s_mov_b32 s1, exec_lo
	v_cmpx_eq_u32_e32 10, v61
	s_cbranch_execz .LBB44_177
; %bb.174:
	v_cmp_ne_u32_e32 vcc_lo, 10, v52
	s_xor_b32 s3, s6, -1
	s_and_b32 s7, s3, vcc_lo
	s_and_saveexec_b32 s3, s7
	s_cbranch_execz .LBB44_176
; %bb.175:
	v_ashrrev_i32_e32 v53, 31, v52
	v_lshlrev_b64 v[53:54], 2, v[52:53]
	v_add_co_u32 v53, vcc_lo, v48, v53
	v_add_co_ci_u32_e64 v54, null, v49, v54, vcc_lo
	s_clause 0x1
	global_load_dword v55, v[53:54], off
	global_load_dword v61, v[48:49], off offset:40
	s_waitcnt vmcnt(1)
	global_store_dword v[48:49], v55, off offset:40
	s_waitcnt vmcnt(0)
	global_store_dword v[53:54], v61, off
.LBB44_176:
	s_or_b32 exec_lo, exec_lo, s3
	v_mov_b32_e32 v55, v52
	v_mov_b32_e32 v61, v52
.LBB44_177:
	s_or_b32 exec_lo, exec_lo, s1
.LBB44_178:
	s_andn2_saveexec_b32 s0, s0
	s_cbranch_execz .LBB44_180
; %bb.179:
	v_mov_b32_e32 v61, 10
	ds_write2_b64 v58, v[4:5], v[44:45] offset0:11 offset1:12
	ds_write2_b64 v58, v[24:25], v[22:23] offset0:13 offset1:14
	;; [unrolled: 1-line block ×6, first 2 shown]
.LBB44_180:
	s_or_b32 exec_lo, exec_lo, s0
	s_mov_b32 s0, exec_lo
	s_waitcnt lgkmcnt(0)
	s_waitcnt_vscnt null, 0x0
	s_barrier
	buffer_gl0_inv
	v_cmpx_lt_i32_e32 10, v61
	s_cbranch_execz .LBB44_182
; %bb.181:
	v_mul_f64 v[30:31], v[0:1], v[30:31]
	ds_read2_b64 v[62:65], v58 offset0:11 offset1:12
	ds_read2_b64 v[66:69], v58 offset0:13 offset1:14
	;; [unrolled: 1-line block ×6, first 2 shown]
	s_waitcnt lgkmcnt(5)
	v_fma_f64 v[4:5], -v[30:31], v[62:63], v[4:5]
	v_fma_f64 v[44:45], -v[30:31], v[64:65], v[44:45]
	s_waitcnt lgkmcnt(4)
	v_fma_f64 v[24:25], -v[30:31], v[66:67], v[24:25]
	v_fma_f64 v[22:23], -v[30:31], v[68:69], v[22:23]
	;; [unrolled: 3-line block ×6, first 2 shown]
.LBB44_182:
	s_or_b32 exec_lo, exec_lo, s0
	v_lshl_add_u32 v0, v61, 3, v58
	s_barrier
	buffer_gl0_inv
	v_mov_b32_e32 v52, 11
	ds_write_b64 v0, v[4:5]
	s_waitcnt lgkmcnt(0)
	s_barrier
	buffer_gl0_inv
	ds_read_b64 v[0:1], v58 offset:88
	s_cmp_lt_i32 s2, 13
	s_cbranch_scc1 .LBB44_185
; %bb.183:
	v_add3_u32 v53, v59, 0, 0x60
	v_mov_b32_e32 v52, 11
	s_mov_b32 s0, 12
.LBB44_184:                             ; =>This Inner Loop Header: Depth=1
	ds_read_b64 v[62:63], v53
	v_add_nc_u32_e32 v53, 8, v53
	s_waitcnt lgkmcnt(0)
	v_cmp_lt_f64_e64 vcc_lo, |v[0:1]|, |v[62:63]|
	v_cndmask_b32_e32 v1, v1, v63, vcc_lo
	v_cndmask_b32_e32 v0, v0, v62, vcc_lo
	v_cndmask_b32_e64 v52, v52, s0, vcc_lo
	s_add_i32 s0, s0, 1
	s_cmp_lg_u32 s2, s0
	s_cbranch_scc1 .LBB44_184
.LBB44_185:
	s_mov_b32 s0, exec_lo
	s_waitcnt lgkmcnt(0)
	v_cmpx_eq_f64_e32 0, v[0:1]
	s_xor_b32 s0, exec_lo, s0
; %bb.186:
	v_cmp_ne_u32_e32 vcc_lo, 0, v60
	v_cndmask_b32_e32 v60, 12, v60, vcc_lo
; %bb.187:
	s_andn2_saveexec_b32 s0, s0
	s_cbranch_execz .LBB44_189
; %bb.188:
	v_div_scale_f64 v[53:54], null, v[0:1], v[0:1], 1.0
	v_rcp_f64_e32 v[62:63], v[53:54]
	v_fma_f64 v[64:65], -v[53:54], v[62:63], 1.0
	v_fma_f64 v[62:63], v[62:63], v[64:65], v[62:63]
	v_fma_f64 v[64:65], -v[53:54], v[62:63], 1.0
	v_fma_f64 v[62:63], v[62:63], v[64:65], v[62:63]
	v_div_scale_f64 v[64:65], vcc_lo, 1.0, v[0:1], 1.0
	v_mul_f64 v[66:67], v[64:65], v[62:63]
	v_fma_f64 v[53:54], -v[53:54], v[66:67], v[64:65]
	v_div_fmas_f64 v[53:54], v[53:54], v[62:63], v[66:67]
	v_div_fixup_f64 v[0:1], v[53:54], v[0:1], 1.0
.LBB44_189:
	s_or_b32 exec_lo, exec_lo, s0
	s_mov_b32 s0, exec_lo
	v_cmpx_ne_u32_e64 v61, v52
	s_xor_b32 s0, exec_lo, s0
	s_cbranch_execz .LBB44_195
; %bb.190:
	s_mov_b32 s1, exec_lo
	v_cmpx_eq_u32_e32 11, v61
	s_cbranch_execz .LBB44_194
; %bb.191:
	v_cmp_ne_u32_e32 vcc_lo, 11, v52
	s_xor_b32 s3, s6, -1
	s_and_b32 s7, s3, vcc_lo
	s_and_saveexec_b32 s3, s7
	s_cbranch_execz .LBB44_193
; %bb.192:
	v_ashrrev_i32_e32 v53, 31, v52
	v_lshlrev_b64 v[53:54], 2, v[52:53]
	v_add_co_u32 v53, vcc_lo, v48, v53
	v_add_co_ci_u32_e64 v54, null, v49, v54, vcc_lo
	s_clause 0x1
	global_load_dword v55, v[53:54], off
	global_load_dword v61, v[48:49], off offset:44
	s_waitcnt vmcnt(1)
	global_store_dword v[48:49], v55, off offset:44
	s_waitcnt vmcnt(0)
	global_store_dword v[53:54], v61, off
.LBB44_193:
	s_or_b32 exec_lo, exec_lo, s3
	v_mov_b32_e32 v55, v52
	v_mov_b32_e32 v61, v52
.LBB44_194:
	s_or_b32 exec_lo, exec_lo, s1
.LBB44_195:
	s_andn2_saveexec_b32 s0, s0
	s_cbranch_execz .LBB44_197
; %bb.196:
	v_mov_b32_e32 v52, v44
	v_mov_b32_e32 v53, v45
	;; [unrolled: 1-line block ×8, first 2 shown]
	ds_write2_b64 v58, v[52:53], v[61:62] offset0:12 offset1:13
	v_mov_b32_e32 v52, v20
	v_mov_b32_e32 v53, v21
	;; [unrolled: 1-line block ×13, first 2 shown]
	ds_write2_b64 v58, v[63:64], v[52:53] offset0:14 offset1:15
	ds_write2_b64 v58, v[65:66], v[67:68] offset0:16 offset1:17
	;; [unrolled: 1-line block ×4, first 2 shown]
	ds_write_b64 v58, v[50:51] offset:176
.LBB44_197:
	s_or_b32 exec_lo, exec_lo, s0
	s_mov_b32 s0, exec_lo
	s_waitcnt lgkmcnt(0)
	s_waitcnt_vscnt null, 0x0
	s_barrier
	buffer_gl0_inv
	v_cmpx_lt_i32_e32 11, v61
	s_cbranch_execz .LBB44_199
; %bb.198:
	v_mul_f64 v[4:5], v[0:1], v[4:5]
	ds_read2_b64 v[62:65], v58 offset0:12 offset1:13
	ds_read2_b64 v[66:69], v58 offset0:14 offset1:15
	ds_read2_b64 v[70:73], v58 offset0:16 offset1:17
	ds_read2_b64 v[74:77], v58 offset0:18 offset1:19
	ds_read2_b64 v[78:81], v58 offset0:20 offset1:21
	ds_read_b64 v[0:1], v58 offset:176
	s_waitcnt lgkmcnt(5)
	v_fma_f64 v[44:45], -v[4:5], v[62:63], v[44:45]
	v_fma_f64 v[24:25], -v[4:5], v[64:65], v[24:25]
	s_waitcnt lgkmcnt(4)
	v_fma_f64 v[22:23], -v[4:5], v[66:67], v[22:23]
	v_fma_f64 v[20:21], -v[4:5], v[68:69], v[20:21]
	;; [unrolled: 3-line block ×5, first 2 shown]
	s_waitcnt lgkmcnt(0)
	v_fma_f64 v[50:51], -v[4:5], v[0:1], v[50:51]
.LBB44_199:
	s_or_b32 exec_lo, exec_lo, s0
	v_lshl_add_u32 v0, v61, 3, v58
	s_barrier
	buffer_gl0_inv
	v_mov_b32_e32 v52, 12
	ds_write_b64 v0, v[44:45]
	s_waitcnt lgkmcnt(0)
	s_barrier
	buffer_gl0_inv
	ds_read_b64 v[0:1], v58 offset:96
	s_cmp_lt_i32 s2, 14
	s_cbranch_scc1 .LBB44_202
; %bb.200:
	v_add3_u32 v53, v59, 0, 0x68
	v_mov_b32_e32 v52, 12
	s_mov_b32 s0, 13
.LBB44_201:                             ; =>This Inner Loop Header: Depth=1
	ds_read_b64 v[62:63], v53
	v_add_nc_u32_e32 v53, 8, v53
	s_waitcnt lgkmcnt(0)
	v_cmp_lt_f64_e64 vcc_lo, |v[0:1]|, |v[62:63]|
	v_cndmask_b32_e32 v1, v1, v63, vcc_lo
	v_cndmask_b32_e32 v0, v0, v62, vcc_lo
	v_cndmask_b32_e64 v52, v52, s0, vcc_lo
	s_add_i32 s0, s0, 1
	s_cmp_lg_u32 s2, s0
	s_cbranch_scc1 .LBB44_201
.LBB44_202:
	s_mov_b32 s0, exec_lo
	s_waitcnt lgkmcnt(0)
	v_cmpx_eq_f64_e32 0, v[0:1]
	s_xor_b32 s0, exec_lo, s0
; %bb.203:
	v_cmp_ne_u32_e32 vcc_lo, 0, v60
	v_cndmask_b32_e32 v60, 13, v60, vcc_lo
; %bb.204:
	s_andn2_saveexec_b32 s0, s0
	s_cbranch_execz .LBB44_206
; %bb.205:
	v_div_scale_f64 v[53:54], null, v[0:1], v[0:1], 1.0
	v_rcp_f64_e32 v[62:63], v[53:54]
	v_fma_f64 v[64:65], -v[53:54], v[62:63], 1.0
	v_fma_f64 v[62:63], v[62:63], v[64:65], v[62:63]
	v_fma_f64 v[64:65], -v[53:54], v[62:63], 1.0
	v_fma_f64 v[62:63], v[62:63], v[64:65], v[62:63]
	v_div_scale_f64 v[64:65], vcc_lo, 1.0, v[0:1], 1.0
	v_mul_f64 v[66:67], v[64:65], v[62:63]
	v_fma_f64 v[53:54], -v[53:54], v[66:67], v[64:65]
	v_div_fmas_f64 v[53:54], v[53:54], v[62:63], v[66:67]
	v_div_fixup_f64 v[0:1], v[53:54], v[0:1], 1.0
.LBB44_206:
	s_or_b32 exec_lo, exec_lo, s0
	s_mov_b32 s0, exec_lo
	v_cmpx_ne_u32_e64 v61, v52
	s_xor_b32 s0, exec_lo, s0
	s_cbranch_execz .LBB44_212
; %bb.207:
	s_mov_b32 s1, exec_lo
	v_cmpx_eq_u32_e32 12, v61
	s_cbranch_execz .LBB44_211
; %bb.208:
	v_cmp_ne_u32_e32 vcc_lo, 12, v52
	s_xor_b32 s3, s6, -1
	s_and_b32 s7, s3, vcc_lo
	s_and_saveexec_b32 s3, s7
	s_cbranch_execz .LBB44_210
; %bb.209:
	v_ashrrev_i32_e32 v53, 31, v52
	v_lshlrev_b64 v[53:54], 2, v[52:53]
	v_add_co_u32 v53, vcc_lo, v48, v53
	v_add_co_ci_u32_e64 v54, null, v49, v54, vcc_lo
	s_clause 0x1
	global_load_dword v55, v[53:54], off
	global_load_dword v61, v[48:49], off offset:48
	s_waitcnt vmcnt(1)
	global_store_dword v[48:49], v55, off offset:48
	s_waitcnt vmcnt(0)
	global_store_dword v[53:54], v61, off
.LBB44_210:
	s_or_b32 exec_lo, exec_lo, s3
	v_mov_b32_e32 v55, v52
	v_mov_b32_e32 v61, v52
.LBB44_211:
	s_or_b32 exec_lo, exec_lo, s1
.LBB44_212:
	s_andn2_saveexec_b32 s0, s0
	s_cbranch_execz .LBB44_214
; %bb.213:
	v_mov_b32_e32 v61, 12
	ds_write2_b64 v58, v[24:25], v[22:23] offset0:13 offset1:14
	ds_write2_b64 v58, v[20:21], v[46:47] offset0:15 offset1:16
	;; [unrolled: 1-line block ×5, first 2 shown]
.LBB44_214:
	s_or_b32 exec_lo, exec_lo, s0
	s_mov_b32 s0, exec_lo
	s_waitcnt lgkmcnt(0)
	s_waitcnt_vscnt null, 0x0
	s_barrier
	buffer_gl0_inv
	v_cmpx_lt_i32_e32 12, v61
	s_cbranch_execz .LBB44_216
; %bb.215:
	v_mul_f64 v[44:45], v[0:1], v[44:45]
	ds_read2_b64 v[62:65], v58 offset0:13 offset1:14
	ds_read2_b64 v[66:69], v58 offset0:15 offset1:16
	ds_read2_b64 v[70:73], v58 offset0:17 offset1:18
	ds_read2_b64 v[74:77], v58 offset0:19 offset1:20
	ds_read2_b64 v[78:81], v58 offset0:21 offset1:22
	s_waitcnt lgkmcnt(4)
	v_fma_f64 v[24:25], -v[44:45], v[62:63], v[24:25]
	v_fma_f64 v[22:23], -v[44:45], v[64:65], v[22:23]
	s_waitcnt lgkmcnt(3)
	v_fma_f64 v[20:21], -v[44:45], v[66:67], v[20:21]
	v_fma_f64 v[46:47], -v[44:45], v[68:69], v[46:47]
	;; [unrolled: 3-line block ×5, first 2 shown]
.LBB44_216:
	s_or_b32 exec_lo, exec_lo, s0
	v_lshl_add_u32 v0, v61, 3, v58
	s_barrier
	buffer_gl0_inv
	v_mov_b32_e32 v52, 13
	ds_write_b64 v0, v[24:25]
	s_waitcnt lgkmcnt(0)
	s_barrier
	buffer_gl0_inv
	ds_read_b64 v[0:1], v58 offset:104
	s_cmp_lt_i32 s2, 15
	s_cbranch_scc1 .LBB44_219
; %bb.217:
	v_add3_u32 v53, v59, 0, 0x70
	v_mov_b32_e32 v52, 13
	s_mov_b32 s0, 14
.LBB44_218:                             ; =>This Inner Loop Header: Depth=1
	ds_read_b64 v[62:63], v53
	v_add_nc_u32_e32 v53, 8, v53
	s_waitcnt lgkmcnt(0)
	v_cmp_lt_f64_e64 vcc_lo, |v[0:1]|, |v[62:63]|
	v_cndmask_b32_e32 v1, v1, v63, vcc_lo
	v_cndmask_b32_e32 v0, v0, v62, vcc_lo
	v_cndmask_b32_e64 v52, v52, s0, vcc_lo
	s_add_i32 s0, s0, 1
	s_cmp_lg_u32 s2, s0
	s_cbranch_scc1 .LBB44_218
.LBB44_219:
	s_mov_b32 s0, exec_lo
	s_waitcnt lgkmcnt(0)
	v_cmpx_eq_f64_e32 0, v[0:1]
	s_xor_b32 s0, exec_lo, s0
; %bb.220:
	v_cmp_ne_u32_e32 vcc_lo, 0, v60
	v_cndmask_b32_e32 v60, 14, v60, vcc_lo
; %bb.221:
	s_andn2_saveexec_b32 s0, s0
	s_cbranch_execz .LBB44_223
; %bb.222:
	v_div_scale_f64 v[53:54], null, v[0:1], v[0:1], 1.0
	v_rcp_f64_e32 v[62:63], v[53:54]
	v_fma_f64 v[64:65], -v[53:54], v[62:63], 1.0
	v_fma_f64 v[62:63], v[62:63], v[64:65], v[62:63]
	v_fma_f64 v[64:65], -v[53:54], v[62:63], 1.0
	v_fma_f64 v[62:63], v[62:63], v[64:65], v[62:63]
	v_div_scale_f64 v[64:65], vcc_lo, 1.0, v[0:1], 1.0
	v_mul_f64 v[66:67], v[64:65], v[62:63]
	v_fma_f64 v[53:54], -v[53:54], v[66:67], v[64:65]
	v_div_fmas_f64 v[53:54], v[53:54], v[62:63], v[66:67]
	v_div_fixup_f64 v[0:1], v[53:54], v[0:1], 1.0
.LBB44_223:
	s_or_b32 exec_lo, exec_lo, s0
	s_mov_b32 s0, exec_lo
	v_cmpx_ne_u32_e64 v61, v52
	s_xor_b32 s0, exec_lo, s0
	s_cbranch_execz .LBB44_229
; %bb.224:
	s_mov_b32 s1, exec_lo
	v_cmpx_eq_u32_e32 13, v61
	s_cbranch_execz .LBB44_228
; %bb.225:
	v_cmp_ne_u32_e32 vcc_lo, 13, v52
	s_xor_b32 s3, s6, -1
	s_and_b32 s7, s3, vcc_lo
	s_and_saveexec_b32 s3, s7
	s_cbranch_execz .LBB44_227
; %bb.226:
	v_ashrrev_i32_e32 v53, 31, v52
	v_lshlrev_b64 v[53:54], 2, v[52:53]
	v_add_co_u32 v53, vcc_lo, v48, v53
	v_add_co_ci_u32_e64 v54, null, v49, v54, vcc_lo
	s_clause 0x1
	global_load_dword v55, v[53:54], off
	global_load_dword v61, v[48:49], off offset:52
	s_waitcnt vmcnt(1)
	global_store_dword v[48:49], v55, off offset:52
	s_waitcnt vmcnt(0)
	global_store_dword v[53:54], v61, off
.LBB44_227:
	s_or_b32 exec_lo, exec_lo, s3
	v_mov_b32_e32 v55, v52
	v_mov_b32_e32 v61, v52
.LBB44_228:
	s_or_b32 exec_lo, exec_lo, s1
.LBB44_229:
	s_andn2_saveexec_b32 s0, s0
	s_cbranch_execz .LBB44_231
; %bb.230:
	v_mov_b32_e32 v52, v22
	v_mov_b32_e32 v53, v23
	;; [unrolled: 1-line block ×8, first 2 shown]
	ds_write2_b64 v58, v[52:53], v[61:62] offset0:14 offset1:15
	v_mov_b32_e32 v61, 13
	v_mov_b32_e32 v67, v18
	;; [unrolled: 1-line block ×9, first 2 shown]
	ds_write2_b64 v58, v[63:64], v[65:66] offset0:16 offset1:17
	ds_write2_b64 v58, v[67:68], v[69:70] offset0:18 offset1:19
	;; [unrolled: 1-line block ×3, first 2 shown]
	ds_write_b64 v58, v[50:51] offset:176
.LBB44_231:
	s_or_b32 exec_lo, exec_lo, s0
	s_mov_b32 s0, exec_lo
	s_waitcnt lgkmcnt(0)
	s_waitcnt_vscnt null, 0x0
	s_barrier
	buffer_gl0_inv
	v_cmpx_lt_i32_e32 13, v61
	s_cbranch_execz .LBB44_233
; %bb.232:
	v_mul_f64 v[24:25], v[0:1], v[24:25]
	ds_read2_b64 v[62:65], v58 offset0:14 offset1:15
	ds_read2_b64 v[66:69], v58 offset0:16 offset1:17
	;; [unrolled: 1-line block ×4, first 2 shown]
	ds_read_b64 v[0:1], v58 offset:176
	s_waitcnt lgkmcnt(4)
	v_fma_f64 v[22:23], -v[24:25], v[62:63], v[22:23]
	v_fma_f64 v[20:21], -v[24:25], v[64:65], v[20:21]
	s_waitcnt lgkmcnt(3)
	v_fma_f64 v[46:47], -v[24:25], v[66:67], v[46:47]
	v_fma_f64 v[42:43], -v[24:25], v[68:69], v[42:43]
	;; [unrolled: 3-line block ×4, first 2 shown]
	s_waitcnt lgkmcnt(0)
	v_fma_f64 v[50:51], -v[24:25], v[0:1], v[50:51]
.LBB44_233:
	s_or_b32 exec_lo, exec_lo, s0
	v_lshl_add_u32 v0, v61, 3, v58
	s_barrier
	buffer_gl0_inv
	v_mov_b32_e32 v52, 14
	ds_write_b64 v0, v[22:23]
	s_waitcnt lgkmcnt(0)
	s_barrier
	buffer_gl0_inv
	ds_read_b64 v[0:1], v58 offset:112
	s_cmp_lt_i32 s2, 16
	s_cbranch_scc1 .LBB44_236
; %bb.234:
	v_add3_u32 v53, v59, 0, 0x78
	v_mov_b32_e32 v52, 14
	s_mov_b32 s0, 15
.LBB44_235:                             ; =>This Inner Loop Header: Depth=1
	ds_read_b64 v[62:63], v53
	v_add_nc_u32_e32 v53, 8, v53
	s_waitcnt lgkmcnt(0)
	v_cmp_lt_f64_e64 vcc_lo, |v[0:1]|, |v[62:63]|
	v_cndmask_b32_e32 v1, v1, v63, vcc_lo
	v_cndmask_b32_e32 v0, v0, v62, vcc_lo
	v_cndmask_b32_e64 v52, v52, s0, vcc_lo
	s_add_i32 s0, s0, 1
	s_cmp_lg_u32 s2, s0
	s_cbranch_scc1 .LBB44_235
.LBB44_236:
	s_mov_b32 s0, exec_lo
	s_waitcnt lgkmcnt(0)
	v_cmpx_eq_f64_e32 0, v[0:1]
	s_xor_b32 s0, exec_lo, s0
; %bb.237:
	v_cmp_ne_u32_e32 vcc_lo, 0, v60
	v_cndmask_b32_e32 v60, 15, v60, vcc_lo
; %bb.238:
	s_andn2_saveexec_b32 s0, s0
	s_cbranch_execz .LBB44_240
; %bb.239:
	v_div_scale_f64 v[53:54], null, v[0:1], v[0:1], 1.0
	v_rcp_f64_e32 v[62:63], v[53:54]
	v_fma_f64 v[64:65], -v[53:54], v[62:63], 1.0
	v_fma_f64 v[62:63], v[62:63], v[64:65], v[62:63]
	v_fma_f64 v[64:65], -v[53:54], v[62:63], 1.0
	v_fma_f64 v[62:63], v[62:63], v[64:65], v[62:63]
	v_div_scale_f64 v[64:65], vcc_lo, 1.0, v[0:1], 1.0
	v_mul_f64 v[66:67], v[64:65], v[62:63]
	v_fma_f64 v[53:54], -v[53:54], v[66:67], v[64:65]
	v_div_fmas_f64 v[53:54], v[53:54], v[62:63], v[66:67]
	v_div_fixup_f64 v[0:1], v[53:54], v[0:1], 1.0
.LBB44_240:
	s_or_b32 exec_lo, exec_lo, s0
	s_mov_b32 s0, exec_lo
	v_cmpx_ne_u32_e64 v61, v52
	s_xor_b32 s0, exec_lo, s0
	s_cbranch_execz .LBB44_246
; %bb.241:
	s_mov_b32 s1, exec_lo
	v_cmpx_eq_u32_e32 14, v61
	s_cbranch_execz .LBB44_245
; %bb.242:
	v_cmp_ne_u32_e32 vcc_lo, 14, v52
	s_xor_b32 s3, s6, -1
	s_and_b32 s7, s3, vcc_lo
	s_and_saveexec_b32 s3, s7
	s_cbranch_execz .LBB44_244
; %bb.243:
	v_ashrrev_i32_e32 v53, 31, v52
	v_lshlrev_b64 v[53:54], 2, v[52:53]
	v_add_co_u32 v53, vcc_lo, v48, v53
	v_add_co_ci_u32_e64 v54, null, v49, v54, vcc_lo
	s_clause 0x1
	global_load_dword v55, v[53:54], off
	global_load_dword v61, v[48:49], off offset:56
	s_waitcnt vmcnt(1)
	global_store_dword v[48:49], v55, off offset:56
	s_waitcnt vmcnt(0)
	global_store_dword v[53:54], v61, off
.LBB44_244:
	s_or_b32 exec_lo, exec_lo, s3
	v_mov_b32_e32 v55, v52
	v_mov_b32_e32 v61, v52
.LBB44_245:
	s_or_b32 exec_lo, exec_lo, s1
.LBB44_246:
	s_andn2_saveexec_b32 s0, s0
	s_cbranch_execz .LBB44_248
; %bb.247:
	v_mov_b32_e32 v61, 14
	ds_write2_b64 v58, v[20:21], v[46:47] offset0:15 offset1:16
	ds_write2_b64 v58, v[42:43], v[18:19] offset0:17 offset1:18
	ds_write2_b64 v58, v[14:15], v[16:17] offset0:19 offset1:20
	ds_write2_b64 v58, v[12:13], v[50:51] offset0:21 offset1:22
.LBB44_248:
	s_or_b32 exec_lo, exec_lo, s0
	s_mov_b32 s0, exec_lo
	s_waitcnt lgkmcnt(0)
	s_waitcnt_vscnt null, 0x0
	s_barrier
	buffer_gl0_inv
	v_cmpx_lt_i32_e32 14, v61
	s_cbranch_execz .LBB44_250
; %bb.249:
	v_mul_f64 v[22:23], v[0:1], v[22:23]
	ds_read2_b64 v[62:65], v58 offset0:15 offset1:16
	ds_read2_b64 v[66:69], v58 offset0:17 offset1:18
	;; [unrolled: 1-line block ×4, first 2 shown]
	s_waitcnt lgkmcnt(3)
	v_fma_f64 v[20:21], -v[22:23], v[62:63], v[20:21]
	v_fma_f64 v[46:47], -v[22:23], v[64:65], v[46:47]
	s_waitcnt lgkmcnt(2)
	v_fma_f64 v[42:43], -v[22:23], v[66:67], v[42:43]
	v_fma_f64 v[18:19], -v[22:23], v[68:69], v[18:19]
	;; [unrolled: 3-line block ×4, first 2 shown]
.LBB44_250:
	s_or_b32 exec_lo, exec_lo, s0
	v_lshl_add_u32 v0, v61, 3, v58
	s_barrier
	buffer_gl0_inv
	v_mov_b32_e32 v52, 15
	ds_write_b64 v0, v[20:21]
	s_waitcnt lgkmcnt(0)
	s_barrier
	buffer_gl0_inv
	ds_read_b64 v[0:1], v58 offset:120
	s_cmp_lt_i32 s2, 17
	s_cbranch_scc1 .LBB44_253
; %bb.251:
	v_add3_u32 v53, v59, 0, 0x80
	v_mov_b32_e32 v52, 15
	s_mov_b32 s0, 16
.LBB44_252:                             ; =>This Inner Loop Header: Depth=1
	ds_read_b64 v[62:63], v53
	v_add_nc_u32_e32 v53, 8, v53
	s_waitcnt lgkmcnt(0)
	v_cmp_lt_f64_e64 vcc_lo, |v[0:1]|, |v[62:63]|
	v_cndmask_b32_e32 v1, v1, v63, vcc_lo
	v_cndmask_b32_e32 v0, v0, v62, vcc_lo
	v_cndmask_b32_e64 v52, v52, s0, vcc_lo
	s_add_i32 s0, s0, 1
	s_cmp_lg_u32 s2, s0
	s_cbranch_scc1 .LBB44_252
.LBB44_253:
	s_mov_b32 s0, exec_lo
	s_waitcnt lgkmcnt(0)
	v_cmpx_eq_f64_e32 0, v[0:1]
	s_xor_b32 s0, exec_lo, s0
; %bb.254:
	v_cmp_ne_u32_e32 vcc_lo, 0, v60
	v_cndmask_b32_e32 v60, 16, v60, vcc_lo
; %bb.255:
	s_andn2_saveexec_b32 s0, s0
	s_cbranch_execz .LBB44_257
; %bb.256:
	v_div_scale_f64 v[53:54], null, v[0:1], v[0:1], 1.0
	v_rcp_f64_e32 v[62:63], v[53:54]
	v_fma_f64 v[64:65], -v[53:54], v[62:63], 1.0
	v_fma_f64 v[62:63], v[62:63], v[64:65], v[62:63]
	v_fma_f64 v[64:65], -v[53:54], v[62:63], 1.0
	v_fma_f64 v[62:63], v[62:63], v[64:65], v[62:63]
	v_div_scale_f64 v[64:65], vcc_lo, 1.0, v[0:1], 1.0
	v_mul_f64 v[66:67], v[64:65], v[62:63]
	v_fma_f64 v[53:54], -v[53:54], v[66:67], v[64:65]
	v_div_fmas_f64 v[53:54], v[53:54], v[62:63], v[66:67]
	v_div_fixup_f64 v[0:1], v[53:54], v[0:1], 1.0
.LBB44_257:
	s_or_b32 exec_lo, exec_lo, s0
	s_mov_b32 s0, exec_lo
	v_cmpx_ne_u32_e64 v61, v52
	s_xor_b32 s0, exec_lo, s0
	s_cbranch_execz .LBB44_263
; %bb.258:
	s_mov_b32 s1, exec_lo
	v_cmpx_eq_u32_e32 15, v61
	s_cbranch_execz .LBB44_262
; %bb.259:
	v_cmp_ne_u32_e32 vcc_lo, 15, v52
	s_xor_b32 s3, s6, -1
	s_and_b32 s7, s3, vcc_lo
	s_and_saveexec_b32 s3, s7
	s_cbranch_execz .LBB44_261
; %bb.260:
	v_ashrrev_i32_e32 v53, 31, v52
	v_lshlrev_b64 v[53:54], 2, v[52:53]
	v_add_co_u32 v53, vcc_lo, v48, v53
	v_add_co_ci_u32_e64 v54, null, v49, v54, vcc_lo
	s_clause 0x1
	global_load_dword v55, v[53:54], off
	global_load_dword v61, v[48:49], off offset:60
	s_waitcnt vmcnt(1)
	global_store_dword v[48:49], v55, off offset:60
	s_waitcnt vmcnt(0)
	global_store_dword v[53:54], v61, off
.LBB44_261:
	s_or_b32 exec_lo, exec_lo, s3
	v_mov_b32_e32 v55, v52
	v_mov_b32_e32 v61, v52
.LBB44_262:
	s_or_b32 exec_lo, exec_lo, s1
.LBB44_263:
	s_andn2_saveexec_b32 s0, s0
	s_cbranch_execz .LBB44_265
; %bb.264:
	v_mov_b32_e32 v52, v46
	v_mov_b32_e32 v53, v47
	;; [unrolled: 1-line block ×13, first 2 shown]
	ds_write2_b64 v58, v[52:53], v[62:63] offset0:16 offset1:17
	ds_write2_b64 v58, v[64:65], v[66:67] offset0:18 offset1:19
	;; [unrolled: 1-line block ×3, first 2 shown]
	ds_write_b64 v58, v[50:51] offset:176
.LBB44_265:
	s_or_b32 exec_lo, exec_lo, s0
	s_mov_b32 s0, exec_lo
	s_waitcnt lgkmcnt(0)
	s_waitcnt_vscnt null, 0x0
	s_barrier
	buffer_gl0_inv
	v_cmpx_lt_i32_e32 15, v61
	s_cbranch_execz .LBB44_267
; %bb.266:
	v_mul_f64 v[20:21], v[0:1], v[20:21]
	ds_read2_b64 v[62:65], v58 offset0:16 offset1:17
	ds_read2_b64 v[66:69], v58 offset0:18 offset1:19
	;; [unrolled: 1-line block ×3, first 2 shown]
	ds_read_b64 v[0:1], v58 offset:176
	s_waitcnt lgkmcnt(3)
	v_fma_f64 v[46:47], -v[20:21], v[62:63], v[46:47]
	v_fma_f64 v[42:43], -v[20:21], v[64:65], v[42:43]
	s_waitcnt lgkmcnt(2)
	v_fma_f64 v[18:19], -v[20:21], v[66:67], v[18:19]
	v_fma_f64 v[14:15], -v[20:21], v[68:69], v[14:15]
	;; [unrolled: 3-line block ×3, first 2 shown]
	s_waitcnt lgkmcnt(0)
	v_fma_f64 v[50:51], -v[20:21], v[0:1], v[50:51]
.LBB44_267:
	s_or_b32 exec_lo, exec_lo, s0
	v_lshl_add_u32 v0, v61, 3, v58
	s_barrier
	buffer_gl0_inv
	v_mov_b32_e32 v52, 16
	ds_write_b64 v0, v[46:47]
	s_waitcnt lgkmcnt(0)
	s_barrier
	buffer_gl0_inv
	ds_read_b64 v[0:1], v58 offset:128
	s_cmp_lt_i32 s2, 18
	s_cbranch_scc1 .LBB44_270
; %bb.268:
	v_add3_u32 v53, v59, 0, 0x88
	v_mov_b32_e32 v52, 16
	s_mov_b32 s0, 17
.LBB44_269:                             ; =>This Inner Loop Header: Depth=1
	ds_read_b64 v[62:63], v53
	v_add_nc_u32_e32 v53, 8, v53
	s_waitcnt lgkmcnt(0)
	v_cmp_lt_f64_e64 vcc_lo, |v[0:1]|, |v[62:63]|
	v_cndmask_b32_e32 v1, v1, v63, vcc_lo
	v_cndmask_b32_e32 v0, v0, v62, vcc_lo
	v_cndmask_b32_e64 v52, v52, s0, vcc_lo
	s_add_i32 s0, s0, 1
	s_cmp_lg_u32 s2, s0
	s_cbranch_scc1 .LBB44_269
.LBB44_270:
	s_mov_b32 s0, exec_lo
	s_waitcnt lgkmcnt(0)
	v_cmpx_eq_f64_e32 0, v[0:1]
	s_xor_b32 s0, exec_lo, s0
; %bb.271:
	v_cmp_ne_u32_e32 vcc_lo, 0, v60
	v_cndmask_b32_e32 v60, 17, v60, vcc_lo
; %bb.272:
	s_andn2_saveexec_b32 s0, s0
	s_cbranch_execz .LBB44_274
; %bb.273:
	v_div_scale_f64 v[53:54], null, v[0:1], v[0:1], 1.0
	v_rcp_f64_e32 v[62:63], v[53:54]
	v_fma_f64 v[64:65], -v[53:54], v[62:63], 1.0
	v_fma_f64 v[62:63], v[62:63], v[64:65], v[62:63]
	v_fma_f64 v[64:65], -v[53:54], v[62:63], 1.0
	v_fma_f64 v[62:63], v[62:63], v[64:65], v[62:63]
	v_div_scale_f64 v[64:65], vcc_lo, 1.0, v[0:1], 1.0
	v_mul_f64 v[66:67], v[64:65], v[62:63]
	v_fma_f64 v[53:54], -v[53:54], v[66:67], v[64:65]
	v_div_fmas_f64 v[53:54], v[53:54], v[62:63], v[66:67]
	v_div_fixup_f64 v[0:1], v[53:54], v[0:1], 1.0
.LBB44_274:
	s_or_b32 exec_lo, exec_lo, s0
	s_mov_b32 s0, exec_lo
	v_cmpx_ne_u32_e64 v61, v52
	s_xor_b32 s0, exec_lo, s0
	s_cbranch_execz .LBB44_280
; %bb.275:
	s_mov_b32 s1, exec_lo
	v_cmpx_eq_u32_e32 16, v61
	s_cbranch_execz .LBB44_279
; %bb.276:
	v_cmp_ne_u32_e32 vcc_lo, 16, v52
	s_xor_b32 s3, s6, -1
	s_and_b32 s7, s3, vcc_lo
	s_and_saveexec_b32 s3, s7
	s_cbranch_execz .LBB44_278
; %bb.277:
	v_ashrrev_i32_e32 v53, 31, v52
	v_lshlrev_b64 v[53:54], 2, v[52:53]
	v_add_co_u32 v53, vcc_lo, v48, v53
	v_add_co_ci_u32_e64 v54, null, v49, v54, vcc_lo
	s_clause 0x1
	global_load_dword v55, v[53:54], off
	global_load_dword v61, v[48:49], off offset:64
	s_waitcnt vmcnt(1)
	global_store_dword v[48:49], v55, off offset:64
	s_waitcnt vmcnt(0)
	global_store_dword v[53:54], v61, off
.LBB44_278:
	s_or_b32 exec_lo, exec_lo, s3
	v_mov_b32_e32 v55, v52
	v_mov_b32_e32 v61, v52
.LBB44_279:
	s_or_b32 exec_lo, exec_lo, s1
.LBB44_280:
	s_andn2_saveexec_b32 s0, s0
	s_cbranch_execz .LBB44_282
; %bb.281:
	v_mov_b32_e32 v61, 16
	ds_write2_b64 v58, v[42:43], v[18:19] offset0:17 offset1:18
	ds_write2_b64 v58, v[14:15], v[16:17] offset0:19 offset1:20
	;; [unrolled: 1-line block ×3, first 2 shown]
.LBB44_282:
	s_or_b32 exec_lo, exec_lo, s0
	s_mov_b32 s0, exec_lo
	s_waitcnt lgkmcnt(0)
	s_waitcnt_vscnt null, 0x0
	s_barrier
	buffer_gl0_inv
	v_cmpx_lt_i32_e32 16, v61
	s_cbranch_execz .LBB44_284
; %bb.283:
	v_mul_f64 v[46:47], v[0:1], v[46:47]
	ds_read2_b64 v[62:65], v58 offset0:17 offset1:18
	ds_read2_b64 v[66:69], v58 offset0:19 offset1:20
	;; [unrolled: 1-line block ×3, first 2 shown]
	s_waitcnt lgkmcnt(2)
	v_fma_f64 v[42:43], -v[46:47], v[62:63], v[42:43]
	v_fma_f64 v[18:19], -v[46:47], v[64:65], v[18:19]
	s_waitcnt lgkmcnt(1)
	v_fma_f64 v[14:15], -v[46:47], v[66:67], v[14:15]
	v_fma_f64 v[16:17], -v[46:47], v[68:69], v[16:17]
	;; [unrolled: 3-line block ×3, first 2 shown]
.LBB44_284:
	s_or_b32 exec_lo, exec_lo, s0
	v_lshl_add_u32 v0, v61, 3, v58
	s_barrier
	buffer_gl0_inv
	v_mov_b32_e32 v52, 17
	ds_write_b64 v0, v[42:43]
	s_waitcnt lgkmcnt(0)
	s_barrier
	buffer_gl0_inv
	ds_read_b64 v[0:1], v58 offset:136
	s_cmp_lt_i32 s2, 19
	s_cbranch_scc1 .LBB44_287
; %bb.285:
	v_add3_u32 v53, v59, 0, 0x90
	v_mov_b32_e32 v52, 17
	s_mov_b32 s0, 18
.LBB44_286:                             ; =>This Inner Loop Header: Depth=1
	ds_read_b64 v[62:63], v53
	v_add_nc_u32_e32 v53, 8, v53
	s_waitcnt lgkmcnt(0)
	v_cmp_lt_f64_e64 vcc_lo, |v[0:1]|, |v[62:63]|
	v_cndmask_b32_e32 v1, v1, v63, vcc_lo
	v_cndmask_b32_e32 v0, v0, v62, vcc_lo
	v_cndmask_b32_e64 v52, v52, s0, vcc_lo
	s_add_i32 s0, s0, 1
	s_cmp_lg_u32 s2, s0
	s_cbranch_scc1 .LBB44_286
.LBB44_287:
	s_mov_b32 s0, exec_lo
	s_waitcnt lgkmcnt(0)
	v_cmpx_eq_f64_e32 0, v[0:1]
	s_xor_b32 s0, exec_lo, s0
; %bb.288:
	v_cmp_ne_u32_e32 vcc_lo, 0, v60
	v_cndmask_b32_e32 v60, 18, v60, vcc_lo
; %bb.289:
	s_andn2_saveexec_b32 s0, s0
	s_cbranch_execz .LBB44_291
; %bb.290:
	v_div_scale_f64 v[53:54], null, v[0:1], v[0:1], 1.0
	v_rcp_f64_e32 v[62:63], v[53:54]
	v_fma_f64 v[64:65], -v[53:54], v[62:63], 1.0
	v_fma_f64 v[62:63], v[62:63], v[64:65], v[62:63]
	v_fma_f64 v[64:65], -v[53:54], v[62:63], 1.0
	v_fma_f64 v[62:63], v[62:63], v[64:65], v[62:63]
	v_div_scale_f64 v[64:65], vcc_lo, 1.0, v[0:1], 1.0
	v_mul_f64 v[66:67], v[64:65], v[62:63]
	v_fma_f64 v[53:54], -v[53:54], v[66:67], v[64:65]
	v_div_fmas_f64 v[53:54], v[53:54], v[62:63], v[66:67]
	v_div_fixup_f64 v[0:1], v[53:54], v[0:1], 1.0
.LBB44_291:
	s_or_b32 exec_lo, exec_lo, s0
	s_mov_b32 s0, exec_lo
	v_cmpx_ne_u32_e64 v61, v52
	s_xor_b32 s0, exec_lo, s0
	s_cbranch_execz .LBB44_297
; %bb.292:
	s_mov_b32 s1, exec_lo
	v_cmpx_eq_u32_e32 17, v61
	s_cbranch_execz .LBB44_296
; %bb.293:
	v_cmp_ne_u32_e32 vcc_lo, 17, v52
	s_xor_b32 s3, s6, -1
	s_and_b32 s7, s3, vcc_lo
	s_and_saveexec_b32 s3, s7
	s_cbranch_execz .LBB44_295
; %bb.294:
	v_ashrrev_i32_e32 v53, 31, v52
	v_lshlrev_b64 v[53:54], 2, v[52:53]
	v_add_co_u32 v53, vcc_lo, v48, v53
	v_add_co_ci_u32_e64 v54, null, v49, v54, vcc_lo
	s_clause 0x1
	global_load_dword v55, v[53:54], off
	global_load_dword v61, v[48:49], off offset:68
	s_waitcnt vmcnt(1)
	global_store_dword v[48:49], v55, off offset:68
	s_waitcnt vmcnt(0)
	global_store_dword v[53:54], v61, off
.LBB44_295:
	s_or_b32 exec_lo, exec_lo, s3
	v_mov_b32_e32 v55, v52
	v_mov_b32_e32 v61, v52
.LBB44_296:
	s_or_b32 exec_lo, exec_lo, s1
.LBB44_297:
	s_andn2_saveexec_b32 s0, s0
	s_cbranch_execz .LBB44_299
; %bb.298:
	v_mov_b32_e32 v52, v18
	v_mov_b32_e32 v53, v19
	;; [unrolled: 1-line block ×9, first 2 shown]
	ds_write2_b64 v58, v[52:53], v[62:63] offset0:18 offset1:19
	ds_write2_b64 v58, v[64:65], v[66:67] offset0:20 offset1:21
	ds_write_b64 v58, v[50:51] offset:176
.LBB44_299:
	s_or_b32 exec_lo, exec_lo, s0
	s_mov_b32 s0, exec_lo
	s_waitcnt lgkmcnt(0)
	s_waitcnt_vscnt null, 0x0
	s_barrier
	buffer_gl0_inv
	v_cmpx_lt_i32_e32 17, v61
	s_cbranch_execz .LBB44_301
; %bb.300:
	v_mul_f64 v[42:43], v[0:1], v[42:43]
	ds_read2_b64 v[62:65], v58 offset0:18 offset1:19
	ds_read2_b64 v[66:69], v58 offset0:20 offset1:21
	ds_read_b64 v[0:1], v58 offset:176
	s_waitcnt lgkmcnt(2)
	v_fma_f64 v[18:19], -v[42:43], v[62:63], v[18:19]
	v_fma_f64 v[14:15], -v[42:43], v[64:65], v[14:15]
	s_waitcnt lgkmcnt(1)
	v_fma_f64 v[16:17], -v[42:43], v[66:67], v[16:17]
	v_fma_f64 v[12:13], -v[42:43], v[68:69], v[12:13]
	s_waitcnt lgkmcnt(0)
	v_fma_f64 v[50:51], -v[42:43], v[0:1], v[50:51]
.LBB44_301:
	s_or_b32 exec_lo, exec_lo, s0
	v_lshl_add_u32 v0, v61, 3, v58
	s_barrier
	buffer_gl0_inv
	v_mov_b32_e32 v52, 18
	ds_write_b64 v0, v[18:19]
	s_waitcnt lgkmcnt(0)
	s_barrier
	buffer_gl0_inv
	ds_read_b64 v[0:1], v58 offset:144
	s_cmp_lt_i32 s2, 20
	s_cbranch_scc1 .LBB44_304
; %bb.302:
	v_add3_u32 v53, v59, 0, 0x98
	v_mov_b32_e32 v52, 18
	s_mov_b32 s0, 19
.LBB44_303:                             ; =>This Inner Loop Header: Depth=1
	ds_read_b64 v[62:63], v53
	v_add_nc_u32_e32 v53, 8, v53
	s_waitcnt lgkmcnt(0)
	v_cmp_lt_f64_e64 vcc_lo, |v[0:1]|, |v[62:63]|
	v_cndmask_b32_e32 v1, v1, v63, vcc_lo
	v_cndmask_b32_e32 v0, v0, v62, vcc_lo
	v_cndmask_b32_e64 v52, v52, s0, vcc_lo
	s_add_i32 s0, s0, 1
	s_cmp_lg_u32 s2, s0
	s_cbranch_scc1 .LBB44_303
.LBB44_304:
	s_mov_b32 s0, exec_lo
	s_waitcnt lgkmcnt(0)
	v_cmpx_eq_f64_e32 0, v[0:1]
	s_xor_b32 s0, exec_lo, s0
; %bb.305:
	v_cmp_ne_u32_e32 vcc_lo, 0, v60
	v_cndmask_b32_e32 v60, 19, v60, vcc_lo
; %bb.306:
	s_andn2_saveexec_b32 s0, s0
	s_cbranch_execz .LBB44_308
; %bb.307:
	v_div_scale_f64 v[53:54], null, v[0:1], v[0:1], 1.0
	v_rcp_f64_e32 v[62:63], v[53:54]
	v_fma_f64 v[64:65], -v[53:54], v[62:63], 1.0
	v_fma_f64 v[62:63], v[62:63], v[64:65], v[62:63]
	v_fma_f64 v[64:65], -v[53:54], v[62:63], 1.0
	v_fma_f64 v[62:63], v[62:63], v[64:65], v[62:63]
	v_div_scale_f64 v[64:65], vcc_lo, 1.0, v[0:1], 1.0
	v_mul_f64 v[66:67], v[64:65], v[62:63]
	v_fma_f64 v[53:54], -v[53:54], v[66:67], v[64:65]
	v_div_fmas_f64 v[53:54], v[53:54], v[62:63], v[66:67]
	v_div_fixup_f64 v[0:1], v[53:54], v[0:1], 1.0
.LBB44_308:
	s_or_b32 exec_lo, exec_lo, s0
	s_mov_b32 s0, exec_lo
	v_cmpx_ne_u32_e64 v61, v52
	s_xor_b32 s0, exec_lo, s0
	s_cbranch_execz .LBB44_314
; %bb.309:
	s_mov_b32 s1, exec_lo
	v_cmpx_eq_u32_e32 18, v61
	s_cbranch_execz .LBB44_313
; %bb.310:
	v_cmp_ne_u32_e32 vcc_lo, 18, v52
	s_xor_b32 s3, s6, -1
	s_and_b32 s7, s3, vcc_lo
	s_and_saveexec_b32 s3, s7
	s_cbranch_execz .LBB44_312
; %bb.311:
	v_ashrrev_i32_e32 v53, 31, v52
	v_lshlrev_b64 v[53:54], 2, v[52:53]
	v_add_co_u32 v53, vcc_lo, v48, v53
	v_add_co_ci_u32_e64 v54, null, v49, v54, vcc_lo
	s_clause 0x1
	global_load_dword v55, v[53:54], off
	global_load_dword v61, v[48:49], off offset:72
	s_waitcnt vmcnt(1)
	global_store_dword v[48:49], v55, off offset:72
	s_waitcnt vmcnt(0)
	global_store_dword v[53:54], v61, off
.LBB44_312:
	s_or_b32 exec_lo, exec_lo, s3
	v_mov_b32_e32 v55, v52
	v_mov_b32_e32 v61, v52
.LBB44_313:
	s_or_b32 exec_lo, exec_lo, s1
.LBB44_314:
	s_andn2_saveexec_b32 s0, s0
	s_cbranch_execz .LBB44_316
; %bb.315:
	v_mov_b32_e32 v61, 18
	ds_write2_b64 v58, v[14:15], v[16:17] offset0:19 offset1:20
	ds_write2_b64 v58, v[12:13], v[50:51] offset0:21 offset1:22
.LBB44_316:
	s_or_b32 exec_lo, exec_lo, s0
	s_mov_b32 s0, exec_lo
	s_waitcnt lgkmcnt(0)
	s_waitcnt_vscnt null, 0x0
	s_barrier
	buffer_gl0_inv
	v_cmpx_lt_i32_e32 18, v61
	s_cbranch_execz .LBB44_318
; %bb.317:
	v_mul_f64 v[18:19], v[0:1], v[18:19]
	ds_read2_b64 v[62:65], v58 offset0:19 offset1:20
	ds_read2_b64 v[66:69], v58 offset0:21 offset1:22
	s_waitcnt lgkmcnt(1)
	v_fma_f64 v[14:15], -v[18:19], v[62:63], v[14:15]
	v_fma_f64 v[16:17], -v[18:19], v[64:65], v[16:17]
	s_waitcnt lgkmcnt(0)
	v_fma_f64 v[12:13], -v[18:19], v[66:67], v[12:13]
	v_fma_f64 v[50:51], -v[18:19], v[68:69], v[50:51]
.LBB44_318:
	s_or_b32 exec_lo, exec_lo, s0
	v_lshl_add_u32 v0, v61, 3, v58
	s_barrier
	buffer_gl0_inv
	v_mov_b32_e32 v52, 19
	ds_write_b64 v0, v[14:15]
	s_waitcnt lgkmcnt(0)
	s_barrier
	buffer_gl0_inv
	ds_read_b64 v[0:1], v58 offset:152
	s_cmp_lt_i32 s2, 21
	s_cbranch_scc1 .LBB44_321
; %bb.319:
	v_add3_u32 v53, v59, 0, 0xa0
	v_mov_b32_e32 v52, 19
	s_mov_b32 s0, 20
.LBB44_320:                             ; =>This Inner Loop Header: Depth=1
	ds_read_b64 v[62:63], v53
	v_add_nc_u32_e32 v53, 8, v53
	s_waitcnt lgkmcnt(0)
	v_cmp_lt_f64_e64 vcc_lo, |v[0:1]|, |v[62:63]|
	v_cndmask_b32_e32 v1, v1, v63, vcc_lo
	v_cndmask_b32_e32 v0, v0, v62, vcc_lo
	v_cndmask_b32_e64 v52, v52, s0, vcc_lo
	s_add_i32 s0, s0, 1
	s_cmp_lg_u32 s2, s0
	s_cbranch_scc1 .LBB44_320
.LBB44_321:
	s_mov_b32 s0, exec_lo
	s_waitcnt lgkmcnt(0)
	v_cmpx_eq_f64_e32 0, v[0:1]
	s_xor_b32 s0, exec_lo, s0
; %bb.322:
	v_cmp_ne_u32_e32 vcc_lo, 0, v60
	v_cndmask_b32_e32 v60, 20, v60, vcc_lo
; %bb.323:
	s_andn2_saveexec_b32 s0, s0
	s_cbranch_execz .LBB44_325
; %bb.324:
	v_div_scale_f64 v[53:54], null, v[0:1], v[0:1], 1.0
	v_rcp_f64_e32 v[62:63], v[53:54]
	v_fma_f64 v[64:65], -v[53:54], v[62:63], 1.0
	v_fma_f64 v[62:63], v[62:63], v[64:65], v[62:63]
	v_fma_f64 v[64:65], -v[53:54], v[62:63], 1.0
	v_fma_f64 v[62:63], v[62:63], v[64:65], v[62:63]
	v_div_scale_f64 v[64:65], vcc_lo, 1.0, v[0:1], 1.0
	v_mul_f64 v[66:67], v[64:65], v[62:63]
	v_fma_f64 v[53:54], -v[53:54], v[66:67], v[64:65]
	v_div_fmas_f64 v[53:54], v[53:54], v[62:63], v[66:67]
	v_div_fixup_f64 v[0:1], v[53:54], v[0:1], 1.0
.LBB44_325:
	s_or_b32 exec_lo, exec_lo, s0
	s_mov_b32 s0, exec_lo
	v_cmpx_ne_u32_e64 v61, v52
	s_xor_b32 s0, exec_lo, s0
	s_cbranch_execz .LBB44_331
; %bb.326:
	s_mov_b32 s1, exec_lo
	v_cmpx_eq_u32_e32 19, v61
	s_cbranch_execz .LBB44_330
; %bb.327:
	v_cmp_ne_u32_e32 vcc_lo, 19, v52
	s_xor_b32 s3, s6, -1
	s_and_b32 s7, s3, vcc_lo
	s_and_saveexec_b32 s3, s7
	s_cbranch_execz .LBB44_329
; %bb.328:
	v_ashrrev_i32_e32 v53, 31, v52
	v_lshlrev_b64 v[53:54], 2, v[52:53]
	v_add_co_u32 v53, vcc_lo, v48, v53
	v_add_co_ci_u32_e64 v54, null, v49, v54, vcc_lo
	s_clause 0x1
	global_load_dword v55, v[53:54], off
	global_load_dword v61, v[48:49], off offset:76
	s_waitcnt vmcnt(1)
	global_store_dword v[48:49], v55, off offset:76
	s_waitcnt vmcnt(0)
	global_store_dword v[53:54], v61, off
.LBB44_329:
	s_or_b32 exec_lo, exec_lo, s3
	v_mov_b32_e32 v55, v52
	v_mov_b32_e32 v61, v52
.LBB44_330:
	s_or_b32 exec_lo, exec_lo, s1
.LBB44_331:
	s_andn2_saveexec_b32 s0, s0
	s_cbranch_execz .LBB44_333
; %bb.332:
	v_mov_b32_e32 v52, v16
	v_mov_b32_e32 v53, v17
	;; [unrolled: 1-line block ×5, first 2 shown]
	ds_write2_b64 v58, v[52:53], v[62:63] offset0:20 offset1:21
	ds_write_b64 v58, v[50:51] offset:176
.LBB44_333:
	s_or_b32 exec_lo, exec_lo, s0
	s_mov_b32 s0, exec_lo
	s_waitcnt lgkmcnt(0)
	s_waitcnt_vscnt null, 0x0
	s_barrier
	buffer_gl0_inv
	v_cmpx_lt_i32_e32 19, v61
	s_cbranch_execz .LBB44_335
; %bb.334:
	v_mul_f64 v[14:15], v[0:1], v[14:15]
	ds_read2_b64 v[62:65], v58 offset0:20 offset1:21
	ds_read_b64 v[0:1], v58 offset:176
	s_waitcnt lgkmcnt(1)
	v_fma_f64 v[16:17], -v[14:15], v[62:63], v[16:17]
	v_fma_f64 v[12:13], -v[14:15], v[64:65], v[12:13]
	s_waitcnt lgkmcnt(0)
	v_fma_f64 v[50:51], -v[14:15], v[0:1], v[50:51]
.LBB44_335:
	s_or_b32 exec_lo, exec_lo, s0
	v_lshl_add_u32 v0, v61, 3, v58
	s_barrier
	buffer_gl0_inv
	v_mov_b32_e32 v52, 20
	ds_write_b64 v0, v[16:17]
	s_waitcnt lgkmcnt(0)
	s_barrier
	buffer_gl0_inv
	ds_read_b64 v[0:1], v58 offset:160
	s_cmp_lt_i32 s2, 22
	s_cbranch_scc1 .LBB44_338
; %bb.336:
	v_add3_u32 v53, v59, 0, 0xa8
	v_mov_b32_e32 v52, 20
	s_mov_b32 s0, 21
.LBB44_337:                             ; =>This Inner Loop Header: Depth=1
	ds_read_b64 v[62:63], v53
	v_add_nc_u32_e32 v53, 8, v53
	s_waitcnt lgkmcnt(0)
	v_cmp_lt_f64_e64 vcc_lo, |v[0:1]|, |v[62:63]|
	v_cndmask_b32_e32 v1, v1, v63, vcc_lo
	v_cndmask_b32_e32 v0, v0, v62, vcc_lo
	v_cndmask_b32_e64 v52, v52, s0, vcc_lo
	s_add_i32 s0, s0, 1
	s_cmp_lg_u32 s2, s0
	s_cbranch_scc1 .LBB44_337
.LBB44_338:
	s_mov_b32 s0, exec_lo
	s_waitcnt lgkmcnt(0)
	v_cmpx_eq_f64_e32 0, v[0:1]
	s_xor_b32 s0, exec_lo, s0
; %bb.339:
	v_cmp_ne_u32_e32 vcc_lo, 0, v60
	v_cndmask_b32_e32 v60, 21, v60, vcc_lo
; %bb.340:
	s_andn2_saveexec_b32 s0, s0
	s_cbranch_execz .LBB44_342
; %bb.341:
	v_div_scale_f64 v[53:54], null, v[0:1], v[0:1], 1.0
	v_rcp_f64_e32 v[62:63], v[53:54]
	v_fma_f64 v[64:65], -v[53:54], v[62:63], 1.0
	v_fma_f64 v[62:63], v[62:63], v[64:65], v[62:63]
	v_fma_f64 v[64:65], -v[53:54], v[62:63], 1.0
	v_fma_f64 v[62:63], v[62:63], v[64:65], v[62:63]
	v_div_scale_f64 v[64:65], vcc_lo, 1.0, v[0:1], 1.0
	v_mul_f64 v[66:67], v[64:65], v[62:63]
	v_fma_f64 v[53:54], -v[53:54], v[66:67], v[64:65]
	v_div_fmas_f64 v[53:54], v[53:54], v[62:63], v[66:67]
	v_div_fixup_f64 v[0:1], v[53:54], v[0:1], 1.0
.LBB44_342:
	s_or_b32 exec_lo, exec_lo, s0
	s_mov_b32 s0, exec_lo
	v_cmpx_ne_u32_e64 v61, v52
	s_xor_b32 s0, exec_lo, s0
	s_cbranch_execz .LBB44_348
; %bb.343:
	s_mov_b32 s1, exec_lo
	v_cmpx_eq_u32_e32 20, v61
	s_cbranch_execz .LBB44_347
; %bb.344:
	v_cmp_ne_u32_e32 vcc_lo, 20, v52
	s_xor_b32 s3, s6, -1
	s_and_b32 s7, s3, vcc_lo
	s_and_saveexec_b32 s3, s7
	s_cbranch_execz .LBB44_346
; %bb.345:
	v_ashrrev_i32_e32 v53, 31, v52
	v_lshlrev_b64 v[53:54], 2, v[52:53]
	v_add_co_u32 v53, vcc_lo, v48, v53
	v_add_co_ci_u32_e64 v54, null, v49, v54, vcc_lo
	s_clause 0x1
	global_load_dword v55, v[53:54], off
	global_load_dword v61, v[48:49], off offset:80
	s_waitcnt vmcnt(1)
	global_store_dword v[48:49], v55, off offset:80
	s_waitcnt vmcnt(0)
	global_store_dword v[53:54], v61, off
.LBB44_346:
	s_or_b32 exec_lo, exec_lo, s3
	v_mov_b32_e32 v55, v52
	v_mov_b32_e32 v61, v52
.LBB44_347:
	s_or_b32 exec_lo, exec_lo, s1
.LBB44_348:
	s_andn2_saveexec_b32 s0, s0
; %bb.349:
	v_mov_b32_e32 v61, 20
	ds_write2_b64 v58, v[12:13], v[50:51] offset0:21 offset1:22
; %bb.350:
	s_or_b32 exec_lo, exec_lo, s0
	s_mov_b32 s0, exec_lo
	s_waitcnt lgkmcnt(0)
	s_waitcnt_vscnt null, 0x0
	s_barrier
	buffer_gl0_inv
	v_cmpx_lt_i32_e32 20, v61
	s_cbranch_execz .LBB44_352
; %bb.351:
	v_mul_f64 v[16:17], v[0:1], v[16:17]
	ds_read2_b64 v[62:65], v58 offset0:21 offset1:22
	s_waitcnt lgkmcnt(0)
	v_fma_f64 v[12:13], -v[16:17], v[62:63], v[12:13]
	v_fma_f64 v[50:51], -v[16:17], v[64:65], v[50:51]
.LBB44_352:
	s_or_b32 exec_lo, exec_lo, s0
	v_lshl_add_u32 v0, v61, 3, v58
	s_barrier
	buffer_gl0_inv
	v_mov_b32_e32 v52, 21
	ds_write_b64 v0, v[12:13]
	s_waitcnt lgkmcnt(0)
	s_barrier
	buffer_gl0_inv
	ds_read_b64 v[0:1], v58 offset:168
	s_cmp_lt_i32 s2, 23
	s_cbranch_scc1 .LBB44_355
; %bb.353:
	v_add3_u32 v53, v59, 0, 0xb0
	v_mov_b32_e32 v52, 21
	s_mov_b32 s0, 22
.LBB44_354:                             ; =>This Inner Loop Header: Depth=1
	ds_read_b64 v[62:63], v53
	v_add_nc_u32_e32 v53, 8, v53
	s_waitcnt lgkmcnt(0)
	v_cmp_lt_f64_e64 vcc_lo, |v[0:1]|, |v[62:63]|
	v_cndmask_b32_e32 v1, v1, v63, vcc_lo
	v_cndmask_b32_e32 v0, v0, v62, vcc_lo
	v_cndmask_b32_e64 v52, v52, s0, vcc_lo
	s_add_i32 s0, s0, 1
	s_cmp_lg_u32 s2, s0
	s_cbranch_scc1 .LBB44_354
.LBB44_355:
	s_mov_b32 s0, exec_lo
	s_waitcnt lgkmcnt(0)
	v_cmpx_eq_f64_e32 0, v[0:1]
	s_xor_b32 s0, exec_lo, s0
; %bb.356:
	v_cmp_ne_u32_e32 vcc_lo, 0, v60
	v_cndmask_b32_e32 v60, 22, v60, vcc_lo
; %bb.357:
	s_andn2_saveexec_b32 s0, s0
	s_cbranch_execz .LBB44_359
; %bb.358:
	v_div_scale_f64 v[53:54], null, v[0:1], v[0:1], 1.0
	v_rcp_f64_e32 v[62:63], v[53:54]
	v_fma_f64 v[64:65], -v[53:54], v[62:63], 1.0
	v_fma_f64 v[62:63], v[62:63], v[64:65], v[62:63]
	v_fma_f64 v[64:65], -v[53:54], v[62:63], 1.0
	v_fma_f64 v[62:63], v[62:63], v[64:65], v[62:63]
	v_div_scale_f64 v[64:65], vcc_lo, 1.0, v[0:1], 1.0
	v_mul_f64 v[66:67], v[64:65], v[62:63]
	v_fma_f64 v[53:54], -v[53:54], v[66:67], v[64:65]
	v_div_fmas_f64 v[53:54], v[53:54], v[62:63], v[66:67]
	v_div_fixup_f64 v[0:1], v[53:54], v[0:1], 1.0
.LBB44_359:
	s_or_b32 exec_lo, exec_lo, s0
	s_mov_b32 s0, exec_lo
	v_cmpx_ne_u32_e64 v61, v52
	s_xor_b32 s0, exec_lo, s0
	s_cbranch_execz .LBB44_365
; %bb.360:
	s_mov_b32 s1, exec_lo
	v_cmpx_eq_u32_e32 21, v61
	s_cbranch_execz .LBB44_364
; %bb.361:
	v_cmp_ne_u32_e32 vcc_lo, 21, v52
	s_xor_b32 s3, s6, -1
	s_and_b32 s7, s3, vcc_lo
	s_and_saveexec_b32 s3, s7
	s_cbranch_execz .LBB44_363
; %bb.362:
	v_ashrrev_i32_e32 v53, 31, v52
	v_lshlrev_b64 v[53:54], 2, v[52:53]
	v_add_co_u32 v53, vcc_lo, v48, v53
	v_add_co_ci_u32_e64 v54, null, v49, v54, vcc_lo
	s_clause 0x1
	global_load_dword v55, v[53:54], off
	global_load_dword v61, v[48:49], off offset:84
	s_waitcnt vmcnt(1)
	global_store_dword v[48:49], v55, off offset:84
	s_waitcnt vmcnt(0)
	global_store_dword v[53:54], v61, off
.LBB44_363:
	s_or_b32 exec_lo, exec_lo, s3
	v_mov_b32_e32 v55, v52
	v_mov_b32_e32 v61, v52
.LBB44_364:
	s_or_b32 exec_lo, exec_lo, s1
.LBB44_365:
	s_andn2_saveexec_b32 s0, s0
; %bb.366:
	v_mov_b32_e32 v61, 21
	ds_write_b64 v58, v[50:51] offset:176
; %bb.367:
	s_or_b32 exec_lo, exec_lo, s0
	s_mov_b32 s0, exec_lo
	s_waitcnt lgkmcnt(0)
	s_waitcnt_vscnt null, 0x0
	s_barrier
	buffer_gl0_inv
	v_cmpx_lt_i32_e32 21, v61
	s_cbranch_execz .LBB44_369
; %bb.368:
	v_mul_f64 v[12:13], v[0:1], v[12:13]
	ds_read_b64 v[0:1], v58 offset:176
	s_waitcnt lgkmcnt(0)
	v_fma_f64 v[50:51], -v[12:13], v[0:1], v[50:51]
.LBB44_369:
	s_or_b32 exec_lo, exec_lo, s0
	v_lshl_add_u32 v0, v61, 3, v58
	s_barrier
	buffer_gl0_inv
	v_mov_b32_e32 v52, 22
	ds_write_b64 v0, v[50:51]
	s_waitcnt lgkmcnt(0)
	s_barrier
	buffer_gl0_inv
	ds_read_b64 v[0:1], v58 offset:176
	s_cmp_lt_i32 s2, 24
	s_cbranch_scc1 .LBB44_372
; %bb.370:
	v_add3_u32 v53, v59, 0, 0xb8
	v_mov_b32_e32 v52, 22
	s_mov_b32 s0, 23
.LBB44_371:                             ; =>This Inner Loop Header: Depth=1
	ds_read_b64 v[58:59], v53
	v_add_nc_u32_e32 v53, 8, v53
	s_waitcnt lgkmcnt(0)
	v_cmp_lt_f64_e64 vcc_lo, |v[0:1]|, |v[58:59]|
	v_cndmask_b32_e32 v1, v1, v59, vcc_lo
	v_cndmask_b32_e32 v0, v0, v58, vcc_lo
	v_cndmask_b32_e64 v52, v52, s0, vcc_lo
	s_add_i32 s0, s0, 1
	s_cmp_lg_u32 s2, s0
	s_cbranch_scc1 .LBB44_371
.LBB44_372:
	s_mov_b32 s0, exec_lo
	s_waitcnt lgkmcnt(0)
	v_cmpx_eq_f64_e32 0, v[0:1]
	s_xor_b32 s0, exec_lo, s0
; %bb.373:
	v_cmp_ne_u32_e32 vcc_lo, 0, v60
	v_cndmask_b32_e32 v60, 23, v60, vcc_lo
; %bb.374:
	s_andn2_saveexec_b32 s0, s0
	s_cbranch_execz .LBB44_376
; %bb.375:
	v_div_scale_f64 v[53:54], null, v[0:1], v[0:1], 1.0
	v_rcp_f64_e32 v[58:59], v[53:54]
	v_fma_f64 v[62:63], -v[53:54], v[58:59], 1.0
	v_fma_f64 v[58:59], v[58:59], v[62:63], v[58:59]
	v_fma_f64 v[62:63], -v[53:54], v[58:59], 1.0
	v_fma_f64 v[58:59], v[58:59], v[62:63], v[58:59]
	v_div_scale_f64 v[62:63], vcc_lo, 1.0, v[0:1], 1.0
	v_mul_f64 v[64:65], v[62:63], v[58:59]
	v_fma_f64 v[53:54], -v[53:54], v[64:65], v[62:63]
	v_div_fmas_f64 v[53:54], v[53:54], v[58:59], v[64:65]
	v_div_fixup_f64 v[0:1], v[53:54], v[0:1], 1.0
.LBB44_376:
	s_or_b32 exec_lo, exec_lo, s0
	v_mov_b32_e32 v53, 22
	s_mov_b32 s0, exec_lo
	v_cmpx_ne_u32_e64 v61, v52
	s_cbranch_execz .LBB44_382
; %bb.377:
	s_mov_b32 s1, exec_lo
	v_cmpx_eq_u32_e32 22, v61
	s_cbranch_execz .LBB44_381
; %bb.378:
	v_cmp_ne_u32_e32 vcc_lo, 22, v52
	s_xor_b32 s2, s6, -1
	s_and_b32 s3, s2, vcc_lo
	s_and_saveexec_b32 s2, s3
	s_cbranch_execz .LBB44_380
; %bb.379:
	v_ashrrev_i32_e32 v53, 31, v52
	v_lshlrev_b64 v[53:54], 2, v[52:53]
	v_add_co_u32 v53, vcc_lo, v48, v53
	v_add_co_ci_u32_e64 v54, null, v49, v54, vcc_lo
	s_clause 0x1
	global_load_dword v55, v[53:54], off
	global_load_dword v58, v[48:49], off offset:88
	s_waitcnt vmcnt(1)
	global_store_dword v[48:49], v55, off offset:88
	s_waitcnt vmcnt(0)
	global_store_dword v[53:54], v58, off
.LBB44_380:
	s_or_b32 exec_lo, exec_lo, s2
	v_mov_b32_e32 v55, v52
	v_mov_b32_e32 v61, v52
.LBB44_381:
	s_or_b32 exec_lo, exec_lo, s1
	v_mov_b32_e32 v53, v61
.LBB44_382:
	s_or_b32 exec_lo, exec_lo, s0
	s_load_dwordx8 s[0:7], s[4:5], 0x28
	v_ashrrev_i32_e32 v54, 31, v53
	s_mov_b32 s9, exec_lo
	s_waitcnt lgkmcnt(0)
	s_waitcnt_vscnt null, 0x0
	s_barrier
	buffer_gl0_inv
	s_barrier
	buffer_gl0_inv
	v_cmpx_gt_i32_e32 23, v53
	s_cbranch_execz .LBB44_384
; %bb.383:
	v_mul_lo_u32 v52, s5, v2
	v_mul_lo_u32 v58, s4, v3
	v_mad_u64_u32 v[48:49], null, s4, v2, 0
	s_lshl_b64 s[2:3], s[2:3], 2
	v_add3_u32 v49, v49, v58, v52
	v_lshlrev_b64 v[48:49], 2, v[48:49]
	v_add_co_u32 v52, vcc_lo, s0, v48
	v_add_co_ci_u32_e64 v58, null, s1, v49, vcc_lo
	v_lshlrev_b64 v[48:49], 2, v[53:54]
	v_add_co_u32 v52, vcc_lo, v52, s2
	v_add_co_ci_u32_e64 v58, null, s3, v58, vcc_lo
	v_add_co_u32 v48, vcc_lo, v52, v48
	v_add_co_ci_u32_e64 v49, null, v58, v49, vcc_lo
	v_add3_u32 v52, v55, s13, 1
	global_store_dword v[48:49], v52, off
.LBB44_384:
	s_or_b32 exec_lo, exec_lo, s9
	s_mov_b32 s1, exec_lo
	v_cmpx_eq_u32_e32 0, v53
	s_cbranch_execz .LBB44_387
; %bb.385:
	v_lshlrev_b64 v[2:3], 2, v[2:3]
	v_cmp_ne_u32_e64 s0, 0, v60
	v_add_co_u32 v2, vcc_lo, s6, v2
	v_add_co_ci_u32_e64 v3, null, s7, v3, vcc_lo
	global_load_dword v48, v[2:3], off
	s_waitcnt vmcnt(0)
	v_cmp_eq_u32_e32 vcc_lo, 0, v48
	s_and_b32 s0, vcc_lo, s0
	s_and_b32 exec_lo, exec_lo, s0
	s_cbranch_execz .LBB44_387
; %bb.386:
	v_add_nc_u32_e32 v48, s13, v60
	global_store_dword v[2:3], v48, off
.LBB44_387:
	s_or_b32 exec_lo, exec_lo, s1
	v_mul_f64 v[0:1], v[0:1], v[50:51]
	v_add3_u32 v2, s8, s8, v53
	v_lshlrev_b64 v[48:49], 3, v[53:54]
	v_ashrrev_i32_e32 v3, 31, v2
	v_add_nc_u32_e32 v52, s8, v2
	v_add_co_u32 v48, vcc_lo, v56, v48
	v_add_co_ci_u32_e64 v49, null, v57, v49, vcc_lo
	v_lshlrev_b64 v[2:3], 3, v[2:3]
	v_add_nc_u32_e32 v54, s8, v52
	v_cmp_lt_i32_e32 vcc_lo, 22, v53
	v_ashrrev_i32_e32 v53, 31, v52
	flat_store_dwordx2 v[48:49], v[40:41]
	v_add_co_u32 v40, s0, v48, s10
	v_add_nc_u32_e32 v48, s8, v54
	v_add_co_ci_u32_e64 v41, null, s11, v49, s0
	v_cndmask_b32_e32 v1, v51, v1, vcc_lo
	v_cndmask_b32_e32 v0, v50, v0, vcc_lo
	v_add_co_u32 v2, vcc_lo, v56, v2
	v_add_co_ci_u32_e64 v3, null, v57, v3, vcc_lo
	v_ashrrev_i32_e32 v55, 31, v54
	v_lshlrev_b64 v[50:51], 3, v[52:53]
	v_ashrrev_i32_e32 v49, 31, v48
	flat_store_dwordx2 v[40:41], v[28:29]
	flat_store_dwordx2 v[2:3], v[32:33]
	v_add_nc_u32_e32 v40, s8, v48
	v_lshlrev_b64 v[2:3], 3, v[54:55]
	v_add_co_u32 v28, vcc_lo, v56, v50
	v_lshlrev_b64 v[32:33], 3, v[48:49]
	v_add_co_ci_u32_e64 v29, null, v57, v51, vcc_lo
	v_add_nc_u32_e32 v48, s8, v40
	v_add_co_u32 v2, vcc_lo, v56, v2
	v_add_co_ci_u32_e64 v3, null, v57, v3, vcc_lo
	v_ashrrev_i32_e32 v41, 31, v40
	v_add_co_u32 v32, vcc_lo, v56, v32
	flat_store_dwordx2 v[28:29], v[6:7]
	v_add_nc_u32_e32 v28, s8, v48
	v_add_co_ci_u32_e64 v33, null, v57, v33, vcc_lo
	v_ashrrev_i32_e32 v49, 31, v48
	v_lshlrev_b64 v[6:7], 3, v[40:41]
	flat_store_dwordx2 v[2:3], v[38:39]
	flat_store_dwordx2 v[32:33], v[36:37]
	v_add_nc_u32_e32 v32, s8, v28
	v_ashrrev_i32_e32 v29, 31, v28
	v_lshlrev_b64 v[2:3], 3, v[48:49]
	v_add_co_u32 v6, vcc_lo, v56, v6
	v_add_nc_u32_e32 v36, s8, v32
	v_add_co_ci_u32_e64 v7, null, v57, v7, vcc_lo
	v_add_co_u32 v2, vcc_lo, v56, v2
	v_ashrrev_i32_e32 v33, 31, v32
	v_add_co_ci_u32_e64 v3, null, v57, v3, vcc_lo
	v_ashrrev_i32_e32 v37, 31, v36
	v_lshlrev_b64 v[28:29], 3, v[28:29]
	flat_store_dwordx2 v[6:7], v[10:11]
	flat_store_dwordx2 v[2:3], v[8:9]
	v_lshlrev_b64 v[2:3], 3, v[32:33]
	v_add_nc_u32_e32 v10, s8, v36
	v_lshlrev_b64 v[8:9], 3, v[36:37]
	v_add_co_u32 v6, vcc_lo, v56, v28
	v_add_co_ci_u32_e64 v7, null, v57, v29, vcc_lo
	v_add_co_u32 v2, vcc_lo, v56, v2
	v_add_co_ci_u32_e64 v3, null, v57, v3, vcc_lo
	v_add_co_u32 v8, vcc_lo, v56, v8
	v_add_nc_u32_e32 v28, s8, v10
	v_add_co_ci_u32_e64 v9, null, v57, v9, vcc_lo
	v_ashrrev_i32_e32 v11, 31, v10
	flat_store_dwordx2 v[6:7], v[34:35]
	flat_store_dwordx2 v[2:3], v[26:27]
	;; [unrolled: 1-line block ×3, first 2 shown]
	v_add_nc_u32_e32 v8, s8, v28
	v_ashrrev_i32_e32 v29, 31, v28
	v_lshlrev_b64 v[6:7], 3, v[10:11]
	v_add_nc_u32_e32 v10, s8, v8
	v_lshlrev_b64 v[2:3], 3, v[28:29]
	v_ashrrev_i32_e32 v9, 31, v8
	v_add_co_u32 v6, vcc_lo, v56, v6
	v_add_nc_u32_e32 v26, s8, v10
	v_add_co_ci_u32_e64 v7, null, v57, v7, vcc_lo
	v_add_co_u32 v2, vcc_lo, v56, v2
	v_ashrrev_i32_e32 v11, 31, v10
	v_add_co_ci_u32_e64 v3, null, v57, v3, vcc_lo
	v_ashrrev_i32_e32 v27, 31, v26
	v_lshlrev_b64 v[8:9], 3, v[8:9]
	flat_store_dwordx2 v[6:7], v[4:5]
	flat_store_dwordx2 v[2:3], v[44:45]
	v_lshlrev_b64 v[2:3], 3, v[10:11]
	v_lshlrev_b64 v[6:7], 3, v[26:27]
	v_add_co_u32 v4, vcc_lo, v56, v8
	v_add_nc_u32_e32 v8, s8, v26
	v_add_co_ci_u32_e64 v5, null, v57, v9, vcc_lo
	v_add_co_u32 v2, vcc_lo, v56, v2
	v_add_co_ci_u32_e64 v3, null, v57, v3, vcc_lo
	v_add_co_u32 v6, vcc_lo, v56, v6
	v_add_nc_u32_e32 v10, s8, v8
	v_add_co_ci_u32_e64 v7, null, v57, v7, vcc_lo
	v_ashrrev_i32_e32 v9, 31, v8
	flat_store_dwordx2 v[4:5], v[24:25]
	flat_store_dwordx2 v[2:3], v[22:23]
	;; [unrolled: 1-line block ×3, first 2 shown]
	v_add_nc_u32_e32 v6, s8, v10
	v_ashrrev_i32_e32 v11, 31, v10
	v_lshlrev_b64 v[4:5], 3, v[8:9]
	v_add_nc_u32_e32 v8, s8, v6
	v_lshlrev_b64 v[2:3], 3, v[10:11]
	v_ashrrev_i32_e32 v7, 31, v6
	v_add_co_u32 v4, vcc_lo, v56, v4
	v_add_co_ci_u32_e64 v5, null, v57, v5, vcc_lo
	v_add_nc_u32_e32 v10, s8, v8
	v_add_co_u32 v2, vcc_lo, v56, v2
	v_add_co_ci_u32_e64 v3, null, v57, v3, vcc_lo
	v_ashrrev_i32_e32 v9, 31, v8
	flat_store_dwordx2 v[4:5], v[46:47]
	v_lshlrev_b64 v[4:5], 3, v[6:7]
	v_ashrrev_i32_e32 v11, 31, v10
	v_add_nc_u32_e32 v6, s8, v10
	flat_store_dwordx2 v[2:3], v[42:43]
	v_lshlrev_b64 v[2:3], 3, v[8:9]
	v_lshlrev_b64 v[8:9], 3, v[10:11]
	v_add_nc_u32_e32 v10, s8, v6
	v_ashrrev_i32_e32 v7, 31, v6
	v_add_co_u32 v4, vcc_lo, v56, v4
	v_add_co_ci_u32_e64 v5, null, v57, v5, vcc_lo
	v_ashrrev_i32_e32 v11, 31, v10
	v_lshlrev_b64 v[6:7], 3, v[6:7]
	v_add_co_u32 v2, vcc_lo, v56, v2
	v_add_co_ci_u32_e64 v3, null, v57, v3, vcc_lo
	v_lshlrev_b64 v[10:11], 3, v[10:11]
	v_add_co_u32 v8, vcc_lo, v56, v8
	v_add_co_ci_u32_e64 v9, null, v57, v9, vcc_lo
	v_add_co_u32 v6, vcc_lo, v56, v6
	v_add_co_ci_u32_e64 v7, null, v57, v7, vcc_lo
	;; [unrolled: 2-line block ×3, first 2 shown]
	flat_store_dwordx2 v[4:5], v[18:19]
	flat_store_dwordx2 v[2:3], v[14:15]
	;; [unrolled: 1-line block ×5, first 2 shown]
.LBB44_388:
	s_endpgm
	.section	.rodata,"a",@progbits
	.p2align	6, 0x0
	.amdhsa_kernel _ZN9rocsolver6v33100L18getf2_small_kernelILi23EdiiPKPdEEvT1_T3_lS5_lPS5_llPT2_S5_S5_S7_l
		.amdhsa_group_segment_fixed_size 0
		.amdhsa_private_segment_fixed_size 0
		.amdhsa_kernarg_size 352
		.amdhsa_user_sgpr_count 6
		.amdhsa_user_sgpr_private_segment_buffer 1
		.amdhsa_user_sgpr_dispatch_ptr 0
		.amdhsa_user_sgpr_queue_ptr 0
		.amdhsa_user_sgpr_kernarg_segment_ptr 1
		.amdhsa_user_sgpr_dispatch_id 0
		.amdhsa_user_sgpr_flat_scratch_init 0
		.amdhsa_user_sgpr_private_segment_size 0
		.amdhsa_wavefront_size32 1
		.amdhsa_uses_dynamic_stack 0
		.amdhsa_system_sgpr_private_segment_wavefront_offset 0
		.amdhsa_system_sgpr_workgroup_id_x 1
		.amdhsa_system_sgpr_workgroup_id_y 1
		.amdhsa_system_sgpr_workgroup_id_z 0
		.amdhsa_system_sgpr_workgroup_info 0
		.amdhsa_system_vgpr_workitem_id 1
		.amdhsa_next_free_vgpr 106
		.amdhsa_next_free_sgpr 14
		.amdhsa_reserve_vcc 1
		.amdhsa_reserve_flat_scratch 1
		.amdhsa_float_round_mode_32 0
		.amdhsa_float_round_mode_16_64 0
		.amdhsa_float_denorm_mode_32 3
		.amdhsa_float_denorm_mode_16_64 3
		.amdhsa_dx10_clamp 1
		.amdhsa_ieee_mode 1
		.amdhsa_fp16_overflow 0
		.amdhsa_workgroup_processor_mode 1
		.amdhsa_memory_ordered 1
		.amdhsa_forward_progress 1
		.amdhsa_shared_vgpr_count 0
		.amdhsa_exception_fp_ieee_invalid_op 0
		.amdhsa_exception_fp_denorm_src 0
		.amdhsa_exception_fp_ieee_div_zero 0
		.amdhsa_exception_fp_ieee_overflow 0
		.amdhsa_exception_fp_ieee_underflow 0
		.amdhsa_exception_fp_ieee_inexact 0
		.amdhsa_exception_int_div_zero 0
	.end_amdhsa_kernel
	.section	.text._ZN9rocsolver6v33100L18getf2_small_kernelILi23EdiiPKPdEEvT1_T3_lS5_lPS5_llPT2_S5_S5_S7_l,"axG",@progbits,_ZN9rocsolver6v33100L18getf2_small_kernelILi23EdiiPKPdEEvT1_T3_lS5_lPS5_llPT2_S5_S5_S7_l,comdat
.Lfunc_end44:
	.size	_ZN9rocsolver6v33100L18getf2_small_kernelILi23EdiiPKPdEEvT1_T3_lS5_lPS5_llPT2_S5_S5_S7_l, .Lfunc_end44-_ZN9rocsolver6v33100L18getf2_small_kernelILi23EdiiPKPdEEvT1_T3_lS5_lPS5_llPT2_S5_S5_S7_l
                                        ; -- End function
	.set _ZN9rocsolver6v33100L18getf2_small_kernelILi23EdiiPKPdEEvT1_T3_lS5_lPS5_llPT2_S5_S5_S7_l.num_vgpr, 106
	.set _ZN9rocsolver6v33100L18getf2_small_kernelILi23EdiiPKPdEEvT1_T3_lS5_lPS5_llPT2_S5_S5_S7_l.num_agpr, 0
	.set _ZN9rocsolver6v33100L18getf2_small_kernelILi23EdiiPKPdEEvT1_T3_lS5_lPS5_llPT2_S5_S5_S7_l.numbered_sgpr, 14
	.set _ZN9rocsolver6v33100L18getf2_small_kernelILi23EdiiPKPdEEvT1_T3_lS5_lPS5_llPT2_S5_S5_S7_l.num_named_barrier, 0
	.set _ZN9rocsolver6v33100L18getf2_small_kernelILi23EdiiPKPdEEvT1_T3_lS5_lPS5_llPT2_S5_S5_S7_l.private_seg_size, 0
	.set _ZN9rocsolver6v33100L18getf2_small_kernelILi23EdiiPKPdEEvT1_T3_lS5_lPS5_llPT2_S5_S5_S7_l.uses_vcc, 1
	.set _ZN9rocsolver6v33100L18getf2_small_kernelILi23EdiiPKPdEEvT1_T3_lS5_lPS5_llPT2_S5_S5_S7_l.uses_flat_scratch, 1
	.set _ZN9rocsolver6v33100L18getf2_small_kernelILi23EdiiPKPdEEvT1_T3_lS5_lPS5_llPT2_S5_S5_S7_l.has_dyn_sized_stack, 0
	.set _ZN9rocsolver6v33100L18getf2_small_kernelILi23EdiiPKPdEEvT1_T3_lS5_lPS5_llPT2_S5_S5_S7_l.has_recursion, 0
	.set _ZN9rocsolver6v33100L18getf2_small_kernelILi23EdiiPKPdEEvT1_T3_lS5_lPS5_llPT2_S5_S5_S7_l.has_indirect_call, 0
	.section	.AMDGPU.csdata,"",@progbits
; Kernel info:
; codeLenInByte = 18312
; TotalNumSgprs: 16
; NumVgprs: 106
; ScratchSize: 0
; MemoryBound: 0
; FloatMode: 240
; IeeeMode: 1
; LDSByteSize: 0 bytes/workgroup (compile time only)
; SGPRBlocks: 0
; VGPRBlocks: 13
; NumSGPRsForWavesPerEU: 16
; NumVGPRsForWavesPerEU: 106
; Occupancy: 9
; WaveLimiterHint : 1
; COMPUTE_PGM_RSRC2:SCRATCH_EN: 0
; COMPUTE_PGM_RSRC2:USER_SGPR: 6
; COMPUTE_PGM_RSRC2:TRAP_HANDLER: 0
; COMPUTE_PGM_RSRC2:TGID_X_EN: 1
; COMPUTE_PGM_RSRC2:TGID_Y_EN: 1
; COMPUTE_PGM_RSRC2:TGID_Z_EN: 0
; COMPUTE_PGM_RSRC2:TIDIG_COMP_CNT: 1
	.section	.text._ZN9rocsolver6v33100L23getf2_npvt_small_kernelILi23EdiiPKPdEEvT1_T3_lS5_lPT2_S5_S5_,"axG",@progbits,_ZN9rocsolver6v33100L23getf2_npvt_small_kernelILi23EdiiPKPdEEvT1_T3_lS5_lPT2_S5_S5_,comdat
	.globl	_ZN9rocsolver6v33100L23getf2_npvt_small_kernelILi23EdiiPKPdEEvT1_T3_lS5_lPT2_S5_S5_ ; -- Begin function _ZN9rocsolver6v33100L23getf2_npvt_small_kernelILi23EdiiPKPdEEvT1_T3_lS5_lPT2_S5_S5_
	.p2align	8
	.type	_ZN9rocsolver6v33100L23getf2_npvt_small_kernelILi23EdiiPKPdEEvT1_T3_lS5_lPT2_S5_S5_,@function
_ZN9rocsolver6v33100L23getf2_npvt_small_kernelILi23EdiiPKPdEEvT1_T3_lS5_lPT2_S5_S5_: ; @_ZN9rocsolver6v33100L23getf2_npvt_small_kernelILi23EdiiPKPdEEvT1_T3_lS5_lPT2_S5_S5_
; %bb.0:
	s_clause 0x1
	s_load_dword s0, s[4:5], 0x44
	s_load_dwordx2 s[8:9], s[4:5], 0x30
	s_waitcnt lgkmcnt(0)
	s_lshr_b32 s10, s0, 16
	s_mov_b32 s0, exec_lo
	v_mad_u64_u32 v[2:3], null, s7, s10, v[1:2]
	v_cmpx_gt_i32_e64 s8, v2
	s_cbranch_execz .LBB45_118
; %bb.1:
	s_clause 0x1
	s_load_dwordx4 s[0:3], s[4:5], 0x8
	s_load_dword s6, s[4:5], 0x18
	v_ashrrev_i32_e32 v3, 31, v2
	v_lshlrev_b32_e32 v50, 3, v0
	v_lshlrev_b32_e32 v96, 3, v1
	s_mulk_i32 s10, 0xb8
	v_mad_u32_u24 v140, 0xb8, v1, 0
	v_lshlrev_b64 v[4:5], 3, v[2:3]
	v_add3_u32 v1, 0, s10, v96
	s_waitcnt lgkmcnt(0)
	v_add_co_u32 v4, vcc_lo, s0, v4
	v_add_co_ci_u32_e64 v5, null, s1, v5, vcc_lo
	v_add3_u32 v6, s6, s6, v0
	s_lshl_b64 s[0:1], s[2:3], 3
	s_ashr_i32 s7, s6, 31
	global_load_dwordx2 v[4:5], v[4:5], off
	s_lshl_b64 s[2:3], s[6:7], 3
	v_add_nc_u32_e32 v8, s6, v6
	v_ashrrev_i32_e32 v7, 31, v6
	v_add_nc_u32_e32 v10, s6, v8
	v_ashrrev_i32_e32 v9, 31, v8
	v_lshlrev_b64 v[6:7], 3, v[6:7]
	v_add_nc_u32_e32 v12, s6, v10
	v_ashrrev_i32_e32 v11, 31, v10
	v_lshlrev_b64 v[8:9], 3, v[8:9]
	;; [unrolled: 3-line block ×15, first 2 shown]
	v_add_nc_u32_e32 v40, s6, v38
	v_lshlrev_b64 v[46:47], 3, v[36:37]
	v_ashrrev_i32_e32 v39, 31, v38
	v_add_nc_u32_e32 v42, s6, v40
	v_ashrrev_i32_e32 v41, 31, v40
	v_lshlrev_b64 v[38:39], 3, v[38:39]
	v_add_nc_u32_e32 v44, s6, v42
	v_ashrrev_i32_e32 v43, 31, v42
	v_lshlrev_b64 v[40:41], 3, v[40:41]
	;; [unrolled: 3-line block ×3, first 2 shown]
	v_ashrrev_i32_e32 v37, 31, v36
	v_lshlrev_b64 v[44:45], 3, v[44:45]
	v_lshlrev_b64 v[48:49], 3, v[36:37]
	s_waitcnt vmcnt(0)
	v_add_co_u32 v51, vcc_lo, v4, s0
	v_add_co_ci_u32_e64 v52, null, s1, v5, vcc_lo
	v_cmp_ne_u32_e64 s1, 0, v0
	v_add_co_u32 v4, vcc_lo, v51, v50
	v_add_co_ci_u32_e64 v5, null, 0, v52, vcc_lo
	v_add_co_u32 v6, vcc_lo, v51, v6
	v_add_co_ci_u32_e64 v7, null, v52, v7, vcc_lo
	;; [unrolled: 2-line block ×23, first 2 shown]
	s_clause 0x16
	flat_load_dwordx2 v[78:79], v[10:11]
	flat_load_dwordx2 v[64:65], v[12:13]
	;; [unrolled: 1-line block ×23, first 2 shown]
	v_cmp_eq_u32_e64 s0, 0, v0
	s_and_saveexec_b32 s2, s0
	s_cbranch_execz .LBB45_4
; %bb.2:
	s_waitcnt vmcnt(6) lgkmcnt(6)
	ds_write_b64 v1, v[88:89]
	s_waitcnt vmcnt(4) lgkmcnt(5)
	ds_write2_b64 v140, v[92:93], v[94:95] offset0:1 offset1:2
	s_waitcnt vmcnt(3) lgkmcnt(5)
	ds_write2_b64 v140, v[90:91], v[78:79] offset0:3 offset1:4
	ds_write2_b64 v140, v[64:65], v[76:77] offset0:5 offset1:6
	;; [unrolled: 1-line block ×8, first 2 shown]
	s_waitcnt vmcnt(2) lgkmcnt(12)
	ds_write2_b64 v140, v[48:49], v[84:85] offset0:19 offset1:20
	s_waitcnt vmcnt(0) lgkmcnt(11)
	ds_write2_b64 v140, v[82:83], v[86:87] offset0:21 offset1:22
	ds_read_b64 v[96:97], v1
	s_waitcnt lgkmcnt(0)
	v_cmp_neq_f64_e32 vcc_lo, 0, v[96:97]
	s_and_b32 exec_lo, exec_lo, vcc_lo
	s_cbranch_execz .LBB45_4
; %bb.3:
	v_div_scale_f64 v[98:99], null, v[96:97], v[96:97], 1.0
	v_rcp_f64_e32 v[100:101], v[98:99]
	v_fma_f64 v[102:103], -v[98:99], v[100:101], 1.0
	v_fma_f64 v[100:101], v[100:101], v[102:103], v[100:101]
	v_fma_f64 v[102:103], -v[98:99], v[100:101], 1.0
	v_fma_f64 v[100:101], v[100:101], v[102:103], v[100:101]
	v_div_scale_f64 v[102:103], vcc_lo, 1.0, v[96:97], 1.0
	v_mul_f64 v[104:105], v[102:103], v[100:101]
	v_fma_f64 v[98:99], -v[98:99], v[104:105], v[102:103]
	v_div_fmas_f64 v[98:99], v[98:99], v[100:101], v[104:105]
	v_div_fixup_f64 v[96:97], v[98:99], v[96:97], 1.0
	ds_write_b64 v1, v[96:97]
.LBB45_4:
	s_or_b32 exec_lo, exec_lo, s2
	s_waitcnt vmcnt(0) lgkmcnt(0)
	s_barrier
	buffer_gl0_inv
	ds_read_b64 v[96:97], v1
	s_and_saveexec_b32 s2, s1
	s_cbranch_execz .LBB45_6
; %bb.5:
	s_waitcnt lgkmcnt(0)
	v_mul_f64 v[88:89], v[96:97], v[88:89]
	ds_read2_b64 v[98:101], v140 offset0:1 offset1:2
	ds_read2_b64 v[102:105], v140 offset0:3 offset1:4
	;; [unrolled: 1-line block ×11, first 2 shown]
	s_waitcnt lgkmcnt(10)
	v_fma_f64 v[92:93], -v[88:89], v[98:99], v[92:93]
	v_fma_f64 v[94:95], -v[88:89], v[100:101], v[94:95]
	s_waitcnt lgkmcnt(9)
	v_fma_f64 v[90:91], -v[88:89], v[102:103], v[90:91]
	v_fma_f64 v[78:79], -v[88:89], v[104:105], v[78:79]
	;; [unrolled: 3-line block ×11, first 2 shown]
.LBB45_6:
	s_or_b32 exec_lo, exec_lo, s2
	s_mov_b32 s1, exec_lo
	s_waitcnt lgkmcnt(0)
	s_barrier
	buffer_gl0_inv
	v_cmpx_eq_u32_e32 1, v0
	s_cbranch_execz .LBB45_9
; %bb.7:
	v_mov_b32_e32 v98, v94
	v_mov_b32_e32 v99, v95
	;; [unrolled: 1-line block ×20, first 2 shown]
	ds_write_b64 v1, v[92:93]
	ds_write2_b64 v140, v[98:99], v[100:101] offset0:2 offset1:3
	ds_write2_b64 v140, v[102:103], v[104:105] offset0:4 offset1:5
	;; [unrolled: 1-line block ×5, first 2 shown]
	v_mov_b32_e32 v98, v70
	v_mov_b32_e32 v99, v71
	;; [unrolled: 1-line block ×20, first 2 shown]
	ds_write2_b64 v140, v[98:99], v[100:101] offset0:12 offset1:13
	ds_write2_b64 v140, v[102:103], v[104:105] offset0:14 offset1:15
	;; [unrolled: 1-line block ×5, first 2 shown]
	ds_write_b64 v140, v[86:87] offset:176
	ds_read_b64 v[98:99], v1
	s_waitcnt lgkmcnt(0)
	v_cmp_neq_f64_e32 vcc_lo, 0, v[98:99]
	s_and_b32 exec_lo, exec_lo, vcc_lo
	s_cbranch_execz .LBB45_9
; %bb.8:
	v_div_scale_f64 v[100:101], null, v[98:99], v[98:99], 1.0
	v_rcp_f64_e32 v[102:103], v[100:101]
	v_fma_f64 v[104:105], -v[100:101], v[102:103], 1.0
	v_fma_f64 v[102:103], v[102:103], v[104:105], v[102:103]
	v_fma_f64 v[104:105], -v[100:101], v[102:103], 1.0
	v_fma_f64 v[102:103], v[102:103], v[104:105], v[102:103]
	v_div_scale_f64 v[104:105], vcc_lo, 1.0, v[98:99], 1.0
	v_mul_f64 v[106:107], v[104:105], v[102:103]
	v_fma_f64 v[100:101], -v[100:101], v[106:107], v[104:105]
	v_div_fmas_f64 v[100:101], v[100:101], v[102:103], v[106:107]
	v_div_fixup_f64 v[98:99], v[100:101], v[98:99], 1.0
	ds_write_b64 v1, v[98:99]
.LBB45_9:
	s_or_b32 exec_lo, exec_lo, s1
	s_waitcnt lgkmcnt(0)
	s_barrier
	buffer_gl0_inv
	ds_read_b64 v[98:99], v1
	s_mov_b32 s1, exec_lo
	v_cmpx_lt_u32_e32 1, v0
	s_cbranch_execz .LBB45_11
; %bb.10:
	s_waitcnt lgkmcnt(0)
	v_mul_f64 v[92:93], v[98:99], v[92:93]
	ds_read2_b64 v[100:103], v140 offset0:2 offset1:3
	ds_read2_b64 v[104:107], v140 offset0:4 offset1:5
	;; [unrolled: 1-line block ×10, first 2 shown]
	ds_read_b64 v[141:142], v140 offset:176
	s_waitcnt lgkmcnt(10)
	v_fma_f64 v[94:95], -v[92:93], v[100:101], v[94:95]
	v_fma_f64 v[90:91], -v[92:93], v[102:103], v[90:91]
	s_waitcnt lgkmcnt(9)
	v_fma_f64 v[78:79], -v[92:93], v[104:105], v[78:79]
	v_fma_f64 v[64:65], -v[92:93], v[106:107], v[64:65]
	;; [unrolled: 3-line block ×10, first 2 shown]
	s_waitcnt lgkmcnt(0)
	v_fma_f64 v[86:87], -v[92:93], v[141:142], v[86:87]
.LBB45_11:
	s_or_b32 exec_lo, exec_lo, s1
	s_mov_b32 s1, exec_lo
	s_waitcnt lgkmcnt(0)
	s_barrier
	buffer_gl0_inv
	v_cmpx_eq_u32_e32 2, v0
	s_cbranch_execz .LBB45_14
; %bb.12:
	ds_write_b64 v1, v[94:95]
	ds_write2_b64 v140, v[90:91], v[78:79] offset0:3 offset1:4
	ds_write2_b64 v140, v[64:65], v[76:77] offset0:5 offset1:6
	;; [unrolled: 1-line block ×10, first 2 shown]
	ds_read_b64 v[100:101], v1
	s_waitcnt lgkmcnt(0)
	v_cmp_neq_f64_e32 vcc_lo, 0, v[100:101]
	s_and_b32 exec_lo, exec_lo, vcc_lo
	s_cbranch_execz .LBB45_14
; %bb.13:
	v_div_scale_f64 v[102:103], null, v[100:101], v[100:101], 1.0
	v_rcp_f64_e32 v[104:105], v[102:103]
	v_fma_f64 v[106:107], -v[102:103], v[104:105], 1.0
	v_fma_f64 v[104:105], v[104:105], v[106:107], v[104:105]
	v_fma_f64 v[106:107], -v[102:103], v[104:105], 1.0
	v_fma_f64 v[104:105], v[104:105], v[106:107], v[104:105]
	v_div_scale_f64 v[106:107], vcc_lo, 1.0, v[100:101], 1.0
	v_mul_f64 v[108:109], v[106:107], v[104:105]
	v_fma_f64 v[102:103], -v[102:103], v[108:109], v[106:107]
	v_div_fmas_f64 v[102:103], v[102:103], v[104:105], v[108:109]
	v_div_fixup_f64 v[100:101], v[102:103], v[100:101], 1.0
	ds_write_b64 v1, v[100:101]
.LBB45_14:
	s_or_b32 exec_lo, exec_lo, s1
	s_waitcnt lgkmcnt(0)
	s_barrier
	buffer_gl0_inv
	ds_read_b64 v[100:101], v1
	s_mov_b32 s1, exec_lo
	v_cmpx_lt_u32_e32 2, v0
	s_cbranch_execz .LBB45_16
; %bb.15:
	s_waitcnt lgkmcnt(0)
	v_mul_f64 v[94:95], v[100:101], v[94:95]
	ds_read2_b64 v[102:105], v140 offset0:3 offset1:4
	ds_read2_b64 v[106:109], v140 offset0:5 offset1:6
	;; [unrolled: 1-line block ×10, first 2 shown]
	s_waitcnt lgkmcnt(9)
	v_fma_f64 v[90:91], -v[94:95], v[102:103], v[90:91]
	v_fma_f64 v[78:79], -v[94:95], v[104:105], v[78:79]
	s_waitcnt lgkmcnt(8)
	v_fma_f64 v[64:65], -v[94:95], v[106:107], v[64:65]
	v_fma_f64 v[76:77], -v[94:95], v[108:109], v[76:77]
	;; [unrolled: 3-line block ×10, first 2 shown]
.LBB45_16:
	s_or_b32 exec_lo, exec_lo, s1
	s_mov_b32 s1, exec_lo
	s_waitcnt lgkmcnt(0)
	s_barrier
	buffer_gl0_inv
	v_cmpx_eq_u32_e32 3, v0
	s_cbranch_execz .LBB45_19
; %bb.17:
	v_mov_b32_e32 v102, v78
	v_mov_b32_e32 v103, v79
	;; [unrolled: 1-line block ×16, first 2 shown]
	ds_write_b64 v1, v[90:91]
	ds_write2_b64 v140, v[102:103], v[104:105] offset0:4 offset1:5
	ds_write2_b64 v140, v[106:107], v[108:109] offset0:6 offset1:7
	;; [unrolled: 1-line block ×4, first 2 shown]
	v_mov_b32_e32 v102, v70
	v_mov_b32_e32 v103, v71
	;; [unrolled: 1-line block ×20, first 2 shown]
	ds_write2_b64 v140, v[102:103], v[104:105] offset0:12 offset1:13
	ds_write2_b64 v140, v[106:107], v[108:109] offset0:14 offset1:15
	;; [unrolled: 1-line block ×5, first 2 shown]
	ds_write_b64 v140, v[86:87] offset:176
	ds_read_b64 v[102:103], v1
	s_waitcnt lgkmcnt(0)
	v_cmp_neq_f64_e32 vcc_lo, 0, v[102:103]
	s_and_b32 exec_lo, exec_lo, vcc_lo
	s_cbranch_execz .LBB45_19
; %bb.18:
	v_div_scale_f64 v[104:105], null, v[102:103], v[102:103], 1.0
	v_rcp_f64_e32 v[106:107], v[104:105]
	v_fma_f64 v[108:109], -v[104:105], v[106:107], 1.0
	v_fma_f64 v[106:107], v[106:107], v[108:109], v[106:107]
	v_fma_f64 v[108:109], -v[104:105], v[106:107], 1.0
	v_fma_f64 v[106:107], v[106:107], v[108:109], v[106:107]
	v_div_scale_f64 v[108:109], vcc_lo, 1.0, v[102:103], 1.0
	v_mul_f64 v[110:111], v[108:109], v[106:107]
	v_fma_f64 v[104:105], -v[104:105], v[110:111], v[108:109]
	v_div_fmas_f64 v[104:105], v[104:105], v[106:107], v[110:111]
	v_div_fixup_f64 v[102:103], v[104:105], v[102:103], 1.0
	ds_write_b64 v1, v[102:103]
.LBB45_19:
	s_or_b32 exec_lo, exec_lo, s1
	s_waitcnt lgkmcnt(0)
	s_barrier
	buffer_gl0_inv
	ds_read_b64 v[102:103], v1
	s_mov_b32 s1, exec_lo
	v_cmpx_lt_u32_e32 3, v0
	s_cbranch_execz .LBB45_21
; %bb.20:
	s_waitcnt lgkmcnt(0)
	v_mul_f64 v[90:91], v[102:103], v[90:91]
	ds_read2_b64 v[104:107], v140 offset0:4 offset1:5
	ds_read2_b64 v[108:111], v140 offset0:6 offset1:7
	;; [unrolled: 1-line block ×9, first 2 shown]
	ds_read_b64 v[141:142], v140 offset:176
	s_waitcnt lgkmcnt(9)
	v_fma_f64 v[78:79], -v[90:91], v[104:105], v[78:79]
	v_fma_f64 v[64:65], -v[90:91], v[106:107], v[64:65]
	s_waitcnt lgkmcnt(8)
	v_fma_f64 v[76:77], -v[90:91], v[108:109], v[76:77]
	v_fma_f64 v[62:63], -v[90:91], v[110:111], v[62:63]
	;; [unrolled: 3-line block ×9, first 2 shown]
	s_waitcnt lgkmcnt(0)
	v_fma_f64 v[86:87], -v[90:91], v[141:142], v[86:87]
.LBB45_21:
	s_or_b32 exec_lo, exec_lo, s1
	s_mov_b32 s1, exec_lo
	s_waitcnt lgkmcnt(0)
	s_barrier
	buffer_gl0_inv
	v_cmpx_eq_u32_e32 4, v0
	s_cbranch_execz .LBB45_24
; %bb.22:
	ds_write_b64 v1, v[78:79]
	ds_write2_b64 v140, v[64:65], v[76:77] offset0:5 offset1:6
	ds_write2_b64 v140, v[62:63], v[74:75] offset0:7 offset1:8
	ds_write2_b64 v140, v[60:61], v[72:73] offset0:9 offset1:10
	ds_write2_b64 v140, v[58:59], v[70:71] offset0:11 offset1:12
	ds_write2_b64 v140, v[56:57], v[68:69] offset0:13 offset1:14
	ds_write2_b64 v140, v[54:55], v[66:67] offset0:15 offset1:16
	ds_write2_b64 v140, v[50:51], v[52:53] offset0:17 offset1:18
	ds_write2_b64 v140, v[48:49], v[84:85] offset0:19 offset1:20
	ds_write2_b64 v140, v[82:83], v[86:87] offset0:21 offset1:22
	ds_read_b64 v[104:105], v1
	s_waitcnt lgkmcnt(0)
	v_cmp_neq_f64_e32 vcc_lo, 0, v[104:105]
	s_and_b32 exec_lo, exec_lo, vcc_lo
	s_cbranch_execz .LBB45_24
; %bb.23:
	v_div_scale_f64 v[106:107], null, v[104:105], v[104:105], 1.0
	v_rcp_f64_e32 v[108:109], v[106:107]
	v_fma_f64 v[110:111], -v[106:107], v[108:109], 1.0
	v_fma_f64 v[108:109], v[108:109], v[110:111], v[108:109]
	v_fma_f64 v[110:111], -v[106:107], v[108:109], 1.0
	v_fma_f64 v[108:109], v[108:109], v[110:111], v[108:109]
	v_div_scale_f64 v[110:111], vcc_lo, 1.0, v[104:105], 1.0
	v_mul_f64 v[112:113], v[110:111], v[108:109]
	v_fma_f64 v[106:107], -v[106:107], v[112:113], v[110:111]
	v_div_fmas_f64 v[106:107], v[106:107], v[108:109], v[112:113]
	v_div_fixup_f64 v[104:105], v[106:107], v[104:105], 1.0
	ds_write_b64 v1, v[104:105]
.LBB45_24:
	s_or_b32 exec_lo, exec_lo, s1
	s_waitcnt lgkmcnt(0)
	s_barrier
	buffer_gl0_inv
	ds_read_b64 v[104:105], v1
	s_mov_b32 s1, exec_lo
	v_cmpx_lt_u32_e32 4, v0
	s_cbranch_execz .LBB45_26
; %bb.25:
	s_waitcnt lgkmcnt(0)
	v_mul_f64 v[78:79], v[104:105], v[78:79]
	ds_read2_b64 v[106:109], v140 offset0:5 offset1:6
	ds_read2_b64 v[110:113], v140 offset0:7 offset1:8
	;; [unrolled: 1-line block ×9, first 2 shown]
	s_waitcnt lgkmcnt(8)
	v_fma_f64 v[64:65], -v[78:79], v[106:107], v[64:65]
	v_fma_f64 v[76:77], -v[78:79], v[108:109], v[76:77]
	s_waitcnt lgkmcnt(7)
	v_fma_f64 v[62:63], -v[78:79], v[110:111], v[62:63]
	v_fma_f64 v[74:75], -v[78:79], v[112:113], v[74:75]
	;; [unrolled: 3-line block ×9, first 2 shown]
.LBB45_26:
	s_or_b32 exec_lo, exec_lo, s1
	s_mov_b32 s1, exec_lo
	s_waitcnt lgkmcnt(0)
	s_barrier
	buffer_gl0_inv
	v_cmpx_eq_u32_e32 5, v0
	s_cbranch_execz .LBB45_29
; %bb.27:
	v_mov_b32_e32 v106, v76
	v_mov_b32_e32 v107, v77
	;; [unrolled: 1-line block ×12, first 2 shown]
	ds_write_b64 v1, v[64:65]
	ds_write2_b64 v140, v[106:107], v[108:109] offset0:6 offset1:7
	ds_write2_b64 v140, v[110:111], v[112:113] offset0:8 offset1:9
	;; [unrolled: 1-line block ×3, first 2 shown]
	v_mov_b32_e32 v106, v70
	v_mov_b32_e32 v107, v71
	;; [unrolled: 1-line block ×20, first 2 shown]
	ds_write2_b64 v140, v[106:107], v[108:109] offset0:12 offset1:13
	ds_write2_b64 v140, v[110:111], v[112:113] offset0:14 offset1:15
	;; [unrolled: 1-line block ×5, first 2 shown]
	ds_write_b64 v140, v[86:87] offset:176
	ds_read_b64 v[106:107], v1
	s_waitcnt lgkmcnt(0)
	v_cmp_neq_f64_e32 vcc_lo, 0, v[106:107]
	s_and_b32 exec_lo, exec_lo, vcc_lo
	s_cbranch_execz .LBB45_29
; %bb.28:
	v_div_scale_f64 v[108:109], null, v[106:107], v[106:107], 1.0
	v_rcp_f64_e32 v[110:111], v[108:109]
	v_fma_f64 v[112:113], -v[108:109], v[110:111], 1.0
	v_fma_f64 v[110:111], v[110:111], v[112:113], v[110:111]
	v_fma_f64 v[112:113], -v[108:109], v[110:111], 1.0
	v_fma_f64 v[110:111], v[110:111], v[112:113], v[110:111]
	v_div_scale_f64 v[112:113], vcc_lo, 1.0, v[106:107], 1.0
	v_mul_f64 v[114:115], v[112:113], v[110:111]
	v_fma_f64 v[108:109], -v[108:109], v[114:115], v[112:113]
	v_div_fmas_f64 v[108:109], v[108:109], v[110:111], v[114:115]
	v_div_fixup_f64 v[106:107], v[108:109], v[106:107], 1.0
	ds_write_b64 v1, v[106:107]
.LBB45_29:
	s_or_b32 exec_lo, exec_lo, s1
	s_waitcnt lgkmcnt(0)
	s_barrier
	buffer_gl0_inv
	ds_read_b64 v[106:107], v1
	s_mov_b32 s1, exec_lo
	v_cmpx_lt_u32_e32 5, v0
	s_cbranch_execz .LBB45_31
; %bb.30:
	s_waitcnt lgkmcnt(0)
	v_mul_f64 v[64:65], v[106:107], v[64:65]
	ds_read2_b64 v[108:111], v140 offset0:6 offset1:7
	ds_read2_b64 v[112:115], v140 offset0:8 offset1:9
	;; [unrolled: 1-line block ×8, first 2 shown]
	ds_read_b64 v[141:142], v140 offset:176
	s_waitcnt lgkmcnt(8)
	v_fma_f64 v[76:77], -v[64:65], v[108:109], v[76:77]
	v_fma_f64 v[62:63], -v[64:65], v[110:111], v[62:63]
	s_waitcnt lgkmcnt(7)
	v_fma_f64 v[74:75], -v[64:65], v[112:113], v[74:75]
	v_fma_f64 v[60:61], -v[64:65], v[114:115], v[60:61]
	;; [unrolled: 3-line block ×8, first 2 shown]
	s_waitcnt lgkmcnt(0)
	v_fma_f64 v[86:87], -v[64:65], v[141:142], v[86:87]
.LBB45_31:
	s_or_b32 exec_lo, exec_lo, s1
	s_mov_b32 s1, exec_lo
	s_waitcnt lgkmcnt(0)
	s_barrier
	buffer_gl0_inv
	v_cmpx_eq_u32_e32 6, v0
	s_cbranch_execz .LBB45_34
; %bb.32:
	ds_write_b64 v1, v[76:77]
	ds_write2_b64 v140, v[62:63], v[74:75] offset0:7 offset1:8
	ds_write2_b64 v140, v[60:61], v[72:73] offset0:9 offset1:10
	;; [unrolled: 1-line block ×8, first 2 shown]
	ds_read_b64 v[108:109], v1
	s_waitcnt lgkmcnt(0)
	v_cmp_neq_f64_e32 vcc_lo, 0, v[108:109]
	s_and_b32 exec_lo, exec_lo, vcc_lo
	s_cbranch_execz .LBB45_34
; %bb.33:
	v_div_scale_f64 v[110:111], null, v[108:109], v[108:109], 1.0
	v_rcp_f64_e32 v[112:113], v[110:111]
	v_fma_f64 v[114:115], -v[110:111], v[112:113], 1.0
	v_fma_f64 v[112:113], v[112:113], v[114:115], v[112:113]
	v_fma_f64 v[114:115], -v[110:111], v[112:113], 1.0
	v_fma_f64 v[112:113], v[112:113], v[114:115], v[112:113]
	v_div_scale_f64 v[114:115], vcc_lo, 1.0, v[108:109], 1.0
	v_mul_f64 v[116:117], v[114:115], v[112:113]
	v_fma_f64 v[110:111], -v[110:111], v[116:117], v[114:115]
	v_div_fmas_f64 v[110:111], v[110:111], v[112:113], v[116:117]
	v_div_fixup_f64 v[108:109], v[110:111], v[108:109], 1.0
	ds_write_b64 v1, v[108:109]
.LBB45_34:
	s_or_b32 exec_lo, exec_lo, s1
	s_waitcnt lgkmcnt(0)
	s_barrier
	buffer_gl0_inv
	ds_read_b64 v[108:109], v1
	s_mov_b32 s1, exec_lo
	v_cmpx_lt_u32_e32 6, v0
	s_cbranch_execz .LBB45_36
; %bb.35:
	s_waitcnt lgkmcnt(0)
	v_mul_f64 v[76:77], v[108:109], v[76:77]
	ds_read2_b64 v[110:113], v140 offset0:7 offset1:8
	ds_read2_b64 v[114:117], v140 offset0:9 offset1:10
	;; [unrolled: 1-line block ×8, first 2 shown]
	s_waitcnt lgkmcnt(7)
	v_fma_f64 v[62:63], -v[76:77], v[110:111], v[62:63]
	v_fma_f64 v[74:75], -v[76:77], v[112:113], v[74:75]
	s_waitcnt lgkmcnt(6)
	v_fma_f64 v[60:61], -v[76:77], v[114:115], v[60:61]
	v_fma_f64 v[72:73], -v[76:77], v[116:117], v[72:73]
	;; [unrolled: 3-line block ×8, first 2 shown]
.LBB45_36:
	s_or_b32 exec_lo, exec_lo, s1
	s_mov_b32 s1, exec_lo
	s_waitcnt lgkmcnt(0)
	s_barrier
	buffer_gl0_inv
	v_cmpx_eq_u32_e32 7, v0
	s_cbranch_execz .LBB45_39
; %bb.37:
	v_mov_b32_e32 v110, v74
	v_mov_b32_e32 v111, v75
	;; [unrolled: 1-line block ×8, first 2 shown]
	ds_write_b64 v1, v[62:63]
	ds_write2_b64 v140, v[110:111], v[112:113] offset0:8 offset1:9
	ds_write2_b64 v140, v[114:115], v[116:117] offset0:10 offset1:11
	v_mov_b32_e32 v110, v70
	v_mov_b32_e32 v111, v71
	;; [unrolled: 1-line block ×20, first 2 shown]
	ds_write2_b64 v140, v[110:111], v[112:113] offset0:12 offset1:13
	ds_write2_b64 v140, v[114:115], v[116:117] offset0:14 offset1:15
	;; [unrolled: 1-line block ×5, first 2 shown]
	ds_write_b64 v140, v[86:87] offset:176
	ds_read_b64 v[110:111], v1
	s_waitcnt lgkmcnt(0)
	v_cmp_neq_f64_e32 vcc_lo, 0, v[110:111]
	s_and_b32 exec_lo, exec_lo, vcc_lo
	s_cbranch_execz .LBB45_39
; %bb.38:
	v_div_scale_f64 v[112:113], null, v[110:111], v[110:111], 1.0
	v_rcp_f64_e32 v[114:115], v[112:113]
	v_fma_f64 v[116:117], -v[112:113], v[114:115], 1.0
	v_fma_f64 v[114:115], v[114:115], v[116:117], v[114:115]
	v_fma_f64 v[116:117], -v[112:113], v[114:115], 1.0
	v_fma_f64 v[114:115], v[114:115], v[116:117], v[114:115]
	v_div_scale_f64 v[116:117], vcc_lo, 1.0, v[110:111], 1.0
	v_mul_f64 v[118:119], v[116:117], v[114:115]
	v_fma_f64 v[112:113], -v[112:113], v[118:119], v[116:117]
	v_div_fmas_f64 v[112:113], v[112:113], v[114:115], v[118:119]
	v_div_fixup_f64 v[110:111], v[112:113], v[110:111], 1.0
	ds_write_b64 v1, v[110:111]
.LBB45_39:
	s_or_b32 exec_lo, exec_lo, s1
	s_waitcnt lgkmcnt(0)
	s_barrier
	buffer_gl0_inv
	ds_read_b64 v[110:111], v1
	s_mov_b32 s1, exec_lo
	v_cmpx_lt_u32_e32 7, v0
	s_cbranch_execz .LBB45_41
; %bb.40:
	s_waitcnt lgkmcnt(0)
	v_mul_f64 v[62:63], v[110:111], v[62:63]
	ds_read2_b64 v[112:115], v140 offset0:8 offset1:9
	ds_read2_b64 v[116:119], v140 offset0:10 offset1:11
	;; [unrolled: 1-line block ×7, first 2 shown]
	ds_read_b64 v[141:142], v140 offset:176
	s_waitcnt lgkmcnt(7)
	v_fma_f64 v[74:75], -v[62:63], v[112:113], v[74:75]
	v_fma_f64 v[60:61], -v[62:63], v[114:115], v[60:61]
	s_waitcnt lgkmcnt(6)
	v_fma_f64 v[72:73], -v[62:63], v[116:117], v[72:73]
	v_fma_f64 v[58:59], -v[62:63], v[118:119], v[58:59]
	;; [unrolled: 3-line block ×7, first 2 shown]
	s_waitcnt lgkmcnt(0)
	v_fma_f64 v[86:87], -v[62:63], v[141:142], v[86:87]
.LBB45_41:
	s_or_b32 exec_lo, exec_lo, s1
	s_mov_b32 s1, exec_lo
	s_waitcnt lgkmcnt(0)
	s_barrier
	buffer_gl0_inv
	v_cmpx_eq_u32_e32 8, v0
	s_cbranch_execz .LBB45_44
; %bb.42:
	ds_write_b64 v1, v[74:75]
	ds_write2_b64 v140, v[60:61], v[72:73] offset0:9 offset1:10
	ds_write2_b64 v140, v[58:59], v[70:71] offset0:11 offset1:12
	;; [unrolled: 1-line block ×7, first 2 shown]
	ds_read_b64 v[112:113], v1
	s_waitcnt lgkmcnt(0)
	v_cmp_neq_f64_e32 vcc_lo, 0, v[112:113]
	s_and_b32 exec_lo, exec_lo, vcc_lo
	s_cbranch_execz .LBB45_44
; %bb.43:
	v_div_scale_f64 v[114:115], null, v[112:113], v[112:113], 1.0
	v_rcp_f64_e32 v[116:117], v[114:115]
	v_fma_f64 v[118:119], -v[114:115], v[116:117], 1.0
	v_fma_f64 v[116:117], v[116:117], v[118:119], v[116:117]
	v_fma_f64 v[118:119], -v[114:115], v[116:117], 1.0
	v_fma_f64 v[116:117], v[116:117], v[118:119], v[116:117]
	v_div_scale_f64 v[118:119], vcc_lo, 1.0, v[112:113], 1.0
	v_mul_f64 v[120:121], v[118:119], v[116:117]
	v_fma_f64 v[114:115], -v[114:115], v[120:121], v[118:119]
	v_div_fmas_f64 v[114:115], v[114:115], v[116:117], v[120:121]
	v_div_fixup_f64 v[112:113], v[114:115], v[112:113], 1.0
	ds_write_b64 v1, v[112:113]
.LBB45_44:
	s_or_b32 exec_lo, exec_lo, s1
	s_waitcnt lgkmcnt(0)
	s_barrier
	buffer_gl0_inv
	ds_read_b64 v[112:113], v1
	s_mov_b32 s1, exec_lo
	v_cmpx_lt_u32_e32 8, v0
	s_cbranch_execz .LBB45_46
; %bb.45:
	s_waitcnt lgkmcnt(0)
	v_mul_f64 v[74:75], v[112:113], v[74:75]
	ds_read2_b64 v[114:117], v140 offset0:9 offset1:10
	ds_read2_b64 v[118:121], v140 offset0:11 offset1:12
	;; [unrolled: 1-line block ×7, first 2 shown]
	s_waitcnt lgkmcnt(6)
	v_fma_f64 v[60:61], -v[74:75], v[114:115], v[60:61]
	v_fma_f64 v[72:73], -v[74:75], v[116:117], v[72:73]
	s_waitcnt lgkmcnt(5)
	v_fma_f64 v[58:59], -v[74:75], v[118:119], v[58:59]
	v_fma_f64 v[70:71], -v[74:75], v[120:121], v[70:71]
	;; [unrolled: 3-line block ×7, first 2 shown]
.LBB45_46:
	s_or_b32 exec_lo, exec_lo, s1
	s_mov_b32 s1, exec_lo
	s_waitcnt lgkmcnt(0)
	s_barrier
	buffer_gl0_inv
	v_cmpx_eq_u32_e32 9, v0
	s_cbranch_execz .LBB45_49
; %bb.47:
	v_mov_b32_e32 v114, v72
	v_mov_b32_e32 v115, v73
	;; [unrolled: 1-line block ×4, first 2 shown]
	ds_write_b64 v1, v[60:61]
	ds_write2_b64 v140, v[114:115], v[116:117] offset0:10 offset1:11
	v_mov_b32_e32 v114, v70
	v_mov_b32_e32 v115, v71
	;; [unrolled: 1-line block ×20, first 2 shown]
	ds_write2_b64 v140, v[114:115], v[116:117] offset0:12 offset1:13
	ds_write2_b64 v140, v[118:119], v[120:121] offset0:14 offset1:15
	;; [unrolled: 1-line block ×5, first 2 shown]
	ds_write_b64 v140, v[86:87] offset:176
	ds_read_b64 v[114:115], v1
	s_waitcnt lgkmcnt(0)
	v_cmp_neq_f64_e32 vcc_lo, 0, v[114:115]
	s_and_b32 exec_lo, exec_lo, vcc_lo
	s_cbranch_execz .LBB45_49
; %bb.48:
	v_div_scale_f64 v[116:117], null, v[114:115], v[114:115], 1.0
	v_rcp_f64_e32 v[118:119], v[116:117]
	v_fma_f64 v[120:121], -v[116:117], v[118:119], 1.0
	v_fma_f64 v[118:119], v[118:119], v[120:121], v[118:119]
	v_fma_f64 v[120:121], -v[116:117], v[118:119], 1.0
	v_fma_f64 v[118:119], v[118:119], v[120:121], v[118:119]
	v_div_scale_f64 v[120:121], vcc_lo, 1.0, v[114:115], 1.0
	v_mul_f64 v[122:123], v[120:121], v[118:119]
	v_fma_f64 v[116:117], -v[116:117], v[122:123], v[120:121]
	v_div_fmas_f64 v[116:117], v[116:117], v[118:119], v[122:123]
	v_div_fixup_f64 v[114:115], v[116:117], v[114:115], 1.0
	ds_write_b64 v1, v[114:115]
.LBB45_49:
	s_or_b32 exec_lo, exec_lo, s1
	s_waitcnt lgkmcnt(0)
	s_barrier
	buffer_gl0_inv
	ds_read_b64 v[114:115], v1
	s_mov_b32 s1, exec_lo
	v_cmpx_lt_u32_e32 9, v0
	s_cbranch_execz .LBB45_51
; %bb.50:
	s_waitcnt lgkmcnt(0)
	v_mul_f64 v[60:61], v[114:115], v[60:61]
	ds_read2_b64 v[116:119], v140 offset0:10 offset1:11
	ds_read2_b64 v[120:123], v140 offset0:12 offset1:13
	;; [unrolled: 1-line block ×6, first 2 shown]
	ds_read_b64 v[141:142], v140 offset:176
	s_waitcnt lgkmcnt(6)
	v_fma_f64 v[72:73], -v[60:61], v[116:117], v[72:73]
	v_fma_f64 v[58:59], -v[60:61], v[118:119], v[58:59]
	s_waitcnt lgkmcnt(5)
	v_fma_f64 v[70:71], -v[60:61], v[120:121], v[70:71]
	v_fma_f64 v[56:57], -v[60:61], v[122:123], v[56:57]
	;; [unrolled: 3-line block ×6, first 2 shown]
	s_waitcnt lgkmcnt(0)
	v_fma_f64 v[86:87], -v[60:61], v[141:142], v[86:87]
.LBB45_51:
	s_or_b32 exec_lo, exec_lo, s1
	s_mov_b32 s1, exec_lo
	s_waitcnt lgkmcnt(0)
	s_barrier
	buffer_gl0_inv
	v_cmpx_eq_u32_e32 10, v0
	s_cbranch_execz .LBB45_54
; %bb.52:
	ds_write_b64 v1, v[72:73]
	ds_write2_b64 v140, v[58:59], v[70:71] offset0:11 offset1:12
	ds_write2_b64 v140, v[56:57], v[68:69] offset0:13 offset1:14
	;; [unrolled: 1-line block ×6, first 2 shown]
	ds_read_b64 v[116:117], v1
	s_waitcnt lgkmcnt(0)
	v_cmp_neq_f64_e32 vcc_lo, 0, v[116:117]
	s_and_b32 exec_lo, exec_lo, vcc_lo
	s_cbranch_execz .LBB45_54
; %bb.53:
	v_div_scale_f64 v[118:119], null, v[116:117], v[116:117], 1.0
	v_rcp_f64_e32 v[120:121], v[118:119]
	v_fma_f64 v[122:123], -v[118:119], v[120:121], 1.0
	v_fma_f64 v[120:121], v[120:121], v[122:123], v[120:121]
	v_fma_f64 v[122:123], -v[118:119], v[120:121], 1.0
	v_fma_f64 v[120:121], v[120:121], v[122:123], v[120:121]
	v_div_scale_f64 v[122:123], vcc_lo, 1.0, v[116:117], 1.0
	v_mul_f64 v[124:125], v[122:123], v[120:121]
	v_fma_f64 v[118:119], -v[118:119], v[124:125], v[122:123]
	v_div_fmas_f64 v[118:119], v[118:119], v[120:121], v[124:125]
	v_div_fixup_f64 v[116:117], v[118:119], v[116:117], 1.0
	ds_write_b64 v1, v[116:117]
.LBB45_54:
	s_or_b32 exec_lo, exec_lo, s1
	s_waitcnt lgkmcnt(0)
	s_barrier
	buffer_gl0_inv
	ds_read_b64 v[116:117], v1
	s_mov_b32 s1, exec_lo
	v_cmpx_lt_u32_e32 10, v0
	s_cbranch_execz .LBB45_56
; %bb.55:
	s_waitcnt lgkmcnt(0)
	v_mul_f64 v[72:73], v[116:117], v[72:73]
	ds_read2_b64 v[118:121], v140 offset0:11 offset1:12
	ds_read2_b64 v[122:125], v140 offset0:13 offset1:14
	;; [unrolled: 1-line block ×6, first 2 shown]
	s_waitcnt lgkmcnt(5)
	v_fma_f64 v[58:59], -v[72:73], v[118:119], v[58:59]
	v_fma_f64 v[70:71], -v[72:73], v[120:121], v[70:71]
	s_waitcnt lgkmcnt(4)
	v_fma_f64 v[56:57], -v[72:73], v[122:123], v[56:57]
	v_fma_f64 v[68:69], -v[72:73], v[124:125], v[68:69]
	;; [unrolled: 3-line block ×6, first 2 shown]
.LBB45_56:
	s_or_b32 exec_lo, exec_lo, s1
	s_mov_b32 s1, exec_lo
	s_waitcnt lgkmcnt(0)
	s_barrier
	buffer_gl0_inv
	v_cmpx_eq_u32_e32 11, v0
	s_cbranch_execz .LBB45_59
; %bb.57:
	v_mov_b32_e32 v118, v70
	v_mov_b32_e32 v119, v71
	;; [unrolled: 1-line block ×20, first 2 shown]
	ds_write_b64 v1, v[58:59]
	ds_write2_b64 v140, v[118:119], v[120:121] offset0:12 offset1:13
	ds_write2_b64 v140, v[122:123], v[124:125] offset0:14 offset1:15
	;; [unrolled: 1-line block ×5, first 2 shown]
	ds_write_b64 v140, v[86:87] offset:176
	ds_read_b64 v[118:119], v1
	s_waitcnt lgkmcnt(0)
	v_cmp_neq_f64_e32 vcc_lo, 0, v[118:119]
	s_and_b32 exec_lo, exec_lo, vcc_lo
	s_cbranch_execz .LBB45_59
; %bb.58:
	v_div_scale_f64 v[120:121], null, v[118:119], v[118:119], 1.0
	v_rcp_f64_e32 v[122:123], v[120:121]
	v_fma_f64 v[124:125], -v[120:121], v[122:123], 1.0
	v_fma_f64 v[122:123], v[122:123], v[124:125], v[122:123]
	v_fma_f64 v[124:125], -v[120:121], v[122:123], 1.0
	v_fma_f64 v[122:123], v[122:123], v[124:125], v[122:123]
	v_div_scale_f64 v[124:125], vcc_lo, 1.0, v[118:119], 1.0
	v_mul_f64 v[126:127], v[124:125], v[122:123]
	v_fma_f64 v[120:121], -v[120:121], v[126:127], v[124:125]
	v_div_fmas_f64 v[120:121], v[120:121], v[122:123], v[126:127]
	v_div_fixup_f64 v[118:119], v[120:121], v[118:119], 1.0
	ds_write_b64 v1, v[118:119]
.LBB45_59:
	s_or_b32 exec_lo, exec_lo, s1
	s_waitcnt lgkmcnt(0)
	s_barrier
	buffer_gl0_inv
	ds_read_b64 v[118:119], v1
	s_mov_b32 s1, exec_lo
	v_cmpx_lt_u32_e32 11, v0
	s_cbranch_execz .LBB45_61
; %bb.60:
	s_waitcnt lgkmcnt(0)
	v_mul_f64 v[58:59], v[118:119], v[58:59]
	ds_read2_b64 v[120:123], v140 offset0:12 offset1:13
	ds_read2_b64 v[124:127], v140 offset0:14 offset1:15
	;; [unrolled: 1-line block ×5, first 2 shown]
	ds_read_b64 v[141:142], v140 offset:176
	s_waitcnt lgkmcnt(5)
	v_fma_f64 v[70:71], -v[58:59], v[120:121], v[70:71]
	v_fma_f64 v[56:57], -v[58:59], v[122:123], v[56:57]
	s_waitcnt lgkmcnt(4)
	v_fma_f64 v[68:69], -v[58:59], v[124:125], v[68:69]
	v_fma_f64 v[54:55], -v[58:59], v[126:127], v[54:55]
	;; [unrolled: 3-line block ×5, first 2 shown]
	s_waitcnt lgkmcnt(0)
	v_fma_f64 v[86:87], -v[58:59], v[141:142], v[86:87]
.LBB45_61:
	s_or_b32 exec_lo, exec_lo, s1
	s_mov_b32 s1, exec_lo
	s_waitcnt lgkmcnt(0)
	s_barrier
	buffer_gl0_inv
	v_cmpx_eq_u32_e32 12, v0
	s_cbranch_execz .LBB45_64
; %bb.62:
	ds_write_b64 v1, v[70:71]
	ds_write2_b64 v140, v[56:57], v[68:69] offset0:13 offset1:14
	ds_write2_b64 v140, v[54:55], v[66:67] offset0:15 offset1:16
	;; [unrolled: 1-line block ×5, first 2 shown]
	ds_read_b64 v[120:121], v1
	s_waitcnt lgkmcnt(0)
	v_cmp_neq_f64_e32 vcc_lo, 0, v[120:121]
	s_and_b32 exec_lo, exec_lo, vcc_lo
	s_cbranch_execz .LBB45_64
; %bb.63:
	v_div_scale_f64 v[122:123], null, v[120:121], v[120:121], 1.0
	v_rcp_f64_e32 v[124:125], v[122:123]
	v_fma_f64 v[126:127], -v[122:123], v[124:125], 1.0
	v_fma_f64 v[124:125], v[124:125], v[126:127], v[124:125]
	v_fma_f64 v[126:127], -v[122:123], v[124:125], 1.0
	v_fma_f64 v[124:125], v[124:125], v[126:127], v[124:125]
	v_div_scale_f64 v[126:127], vcc_lo, 1.0, v[120:121], 1.0
	v_mul_f64 v[128:129], v[126:127], v[124:125]
	v_fma_f64 v[122:123], -v[122:123], v[128:129], v[126:127]
	v_div_fmas_f64 v[122:123], v[122:123], v[124:125], v[128:129]
	v_div_fixup_f64 v[120:121], v[122:123], v[120:121], 1.0
	ds_write_b64 v1, v[120:121]
.LBB45_64:
	s_or_b32 exec_lo, exec_lo, s1
	s_waitcnt lgkmcnt(0)
	s_barrier
	buffer_gl0_inv
	ds_read_b64 v[120:121], v1
	s_mov_b32 s1, exec_lo
	v_cmpx_lt_u32_e32 12, v0
	s_cbranch_execz .LBB45_66
; %bb.65:
	s_waitcnt lgkmcnt(0)
	v_mul_f64 v[70:71], v[120:121], v[70:71]
	ds_read2_b64 v[122:125], v140 offset0:13 offset1:14
	ds_read2_b64 v[126:129], v140 offset0:15 offset1:16
	;; [unrolled: 1-line block ×5, first 2 shown]
	s_waitcnt lgkmcnt(4)
	v_fma_f64 v[56:57], -v[70:71], v[122:123], v[56:57]
	v_fma_f64 v[68:69], -v[70:71], v[124:125], v[68:69]
	s_waitcnt lgkmcnt(3)
	v_fma_f64 v[54:55], -v[70:71], v[126:127], v[54:55]
	v_fma_f64 v[66:67], -v[70:71], v[128:129], v[66:67]
	;; [unrolled: 3-line block ×5, first 2 shown]
.LBB45_66:
	s_or_b32 exec_lo, exec_lo, s1
	s_mov_b32 s1, exec_lo
	s_waitcnt lgkmcnt(0)
	s_barrier
	buffer_gl0_inv
	v_cmpx_eq_u32_e32 13, v0
	s_cbranch_execz .LBB45_69
; %bb.67:
	v_mov_b32_e32 v122, v68
	v_mov_b32_e32 v123, v69
	;; [unrolled: 1-line block ×16, first 2 shown]
	ds_write_b64 v1, v[56:57]
	ds_write2_b64 v140, v[122:123], v[124:125] offset0:14 offset1:15
	ds_write2_b64 v140, v[126:127], v[128:129] offset0:16 offset1:17
	;; [unrolled: 1-line block ×4, first 2 shown]
	ds_write_b64 v140, v[86:87] offset:176
	ds_read_b64 v[122:123], v1
	s_waitcnt lgkmcnt(0)
	v_cmp_neq_f64_e32 vcc_lo, 0, v[122:123]
	s_and_b32 exec_lo, exec_lo, vcc_lo
	s_cbranch_execz .LBB45_69
; %bb.68:
	v_div_scale_f64 v[124:125], null, v[122:123], v[122:123], 1.0
	v_rcp_f64_e32 v[126:127], v[124:125]
	v_fma_f64 v[128:129], -v[124:125], v[126:127], 1.0
	v_fma_f64 v[126:127], v[126:127], v[128:129], v[126:127]
	v_fma_f64 v[128:129], -v[124:125], v[126:127], 1.0
	v_fma_f64 v[126:127], v[126:127], v[128:129], v[126:127]
	v_div_scale_f64 v[128:129], vcc_lo, 1.0, v[122:123], 1.0
	v_mul_f64 v[130:131], v[128:129], v[126:127]
	v_fma_f64 v[124:125], -v[124:125], v[130:131], v[128:129]
	v_div_fmas_f64 v[124:125], v[124:125], v[126:127], v[130:131]
	v_div_fixup_f64 v[122:123], v[124:125], v[122:123], 1.0
	ds_write_b64 v1, v[122:123]
.LBB45_69:
	s_or_b32 exec_lo, exec_lo, s1
	s_waitcnt lgkmcnt(0)
	s_barrier
	buffer_gl0_inv
	ds_read_b64 v[122:123], v1
	s_mov_b32 s1, exec_lo
	v_cmpx_lt_u32_e32 13, v0
	s_cbranch_execz .LBB45_71
; %bb.70:
	s_waitcnt lgkmcnt(0)
	v_mul_f64 v[56:57], v[122:123], v[56:57]
	ds_read2_b64 v[124:127], v140 offset0:14 offset1:15
	ds_read2_b64 v[128:131], v140 offset0:16 offset1:17
	ds_read2_b64 v[132:135], v140 offset0:18 offset1:19
	ds_read2_b64 v[136:139], v140 offset0:20 offset1:21
	ds_read_b64 v[141:142], v140 offset:176
	s_waitcnt lgkmcnt(4)
	v_fma_f64 v[68:69], -v[56:57], v[124:125], v[68:69]
	v_fma_f64 v[54:55], -v[56:57], v[126:127], v[54:55]
	s_waitcnt lgkmcnt(3)
	v_fma_f64 v[66:67], -v[56:57], v[128:129], v[66:67]
	v_fma_f64 v[50:51], -v[56:57], v[130:131], v[50:51]
	;; [unrolled: 3-line block ×4, first 2 shown]
	s_waitcnt lgkmcnt(0)
	v_fma_f64 v[86:87], -v[56:57], v[141:142], v[86:87]
.LBB45_71:
	s_or_b32 exec_lo, exec_lo, s1
	s_mov_b32 s1, exec_lo
	s_waitcnt lgkmcnt(0)
	s_barrier
	buffer_gl0_inv
	v_cmpx_eq_u32_e32 14, v0
	s_cbranch_execz .LBB45_74
; %bb.72:
	ds_write_b64 v1, v[68:69]
	ds_write2_b64 v140, v[54:55], v[66:67] offset0:15 offset1:16
	ds_write2_b64 v140, v[50:51], v[52:53] offset0:17 offset1:18
	;; [unrolled: 1-line block ×4, first 2 shown]
	ds_read_b64 v[124:125], v1
	s_waitcnt lgkmcnt(0)
	v_cmp_neq_f64_e32 vcc_lo, 0, v[124:125]
	s_and_b32 exec_lo, exec_lo, vcc_lo
	s_cbranch_execz .LBB45_74
; %bb.73:
	v_div_scale_f64 v[126:127], null, v[124:125], v[124:125], 1.0
	v_rcp_f64_e32 v[128:129], v[126:127]
	v_fma_f64 v[130:131], -v[126:127], v[128:129], 1.0
	v_fma_f64 v[128:129], v[128:129], v[130:131], v[128:129]
	v_fma_f64 v[130:131], -v[126:127], v[128:129], 1.0
	v_fma_f64 v[128:129], v[128:129], v[130:131], v[128:129]
	v_div_scale_f64 v[130:131], vcc_lo, 1.0, v[124:125], 1.0
	v_mul_f64 v[132:133], v[130:131], v[128:129]
	v_fma_f64 v[126:127], -v[126:127], v[132:133], v[130:131]
	v_div_fmas_f64 v[126:127], v[126:127], v[128:129], v[132:133]
	v_div_fixup_f64 v[124:125], v[126:127], v[124:125], 1.0
	ds_write_b64 v1, v[124:125]
.LBB45_74:
	s_or_b32 exec_lo, exec_lo, s1
	s_waitcnt lgkmcnt(0)
	s_barrier
	buffer_gl0_inv
	ds_read_b64 v[124:125], v1
	s_mov_b32 s1, exec_lo
	v_cmpx_lt_u32_e32 14, v0
	s_cbranch_execz .LBB45_76
; %bb.75:
	s_waitcnt lgkmcnt(0)
	v_mul_f64 v[68:69], v[124:125], v[68:69]
	ds_read2_b64 v[126:129], v140 offset0:15 offset1:16
	ds_read2_b64 v[130:133], v140 offset0:17 offset1:18
	;; [unrolled: 1-line block ×4, first 2 shown]
	s_waitcnt lgkmcnt(3)
	v_fma_f64 v[54:55], -v[68:69], v[126:127], v[54:55]
	v_fma_f64 v[66:67], -v[68:69], v[128:129], v[66:67]
	s_waitcnt lgkmcnt(2)
	v_fma_f64 v[50:51], -v[68:69], v[130:131], v[50:51]
	v_fma_f64 v[52:53], -v[68:69], v[132:133], v[52:53]
	s_waitcnt lgkmcnt(1)
	v_fma_f64 v[48:49], -v[68:69], v[134:135], v[48:49]
	v_fma_f64 v[84:85], -v[68:69], v[136:137], v[84:85]
	s_waitcnt lgkmcnt(0)
	v_fma_f64 v[82:83], -v[68:69], v[141:142], v[82:83]
	v_fma_f64 v[86:87], -v[68:69], v[143:144], v[86:87]
.LBB45_76:
	s_or_b32 exec_lo, exec_lo, s1
	s_mov_b32 s1, exec_lo
	s_waitcnt lgkmcnt(0)
	s_barrier
	buffer_gl0_inv
	v_cmpx_eq_u32_e32 15, v0
	s_cbranch_execz .LBB45_79
; %bb.77:
	v_mov_b32_e32 v126, v66
	v_mov_b32_e32 v127, v67
	;; [unrolled: 1-line block ×12, first 2 shown]
	ds_write_b64 v1, v[54:55]
	ds_write2_b64 v140, v[126:127], v[128:129] offset0:16 offset1:17
	ds_write2_b64 v140, v[130:131], v[132:133] offset0:18 offset1:19
	;; [unrolled: 1-line block ×3, first 2 shown]
	ds_write_b64 v140, v[86:87] offset:176
	ds_read_b64 v[126:127], v1
	s_waitcnt lgkmcnt(0)
	v_cmp_neq_f64_e32 vcc_lo, 0, v[126:127]
	s_and_b32 exec_lo, exec_lo, vcc_lo
	s_cbranch_execz .LBB45_79
; %bb.78:
	v_div_scale_f64 v[128:129], null, v[126:127], v[126:127], 1.0
	v_rcp_f64_e32 v[130:131], v[128:129]
	v_fma_f64 v[132:133], -v[128:129], v[130:131], 1.0
	v_fma_f64 v[130:131], v[130:131], v[132:133], v[130:131]
	v_fma_f64 v[132:133], -v[128:129], v[130:131], 1.0
	v_fma_f64 v[130:131], v[130:131], v[132:133], v[130:131]
	v_div_scale_f64 v[132:133], vcc_lo, 1.0, v[126:127], 1.0
	v_mul_f64 v[134:135], v[132:133], v[130:131]
	v_fma_f64 v[128:129], -v[128:129], v[134:135], v[132:133]
	v_div_fmas_f64 v[128:129], v[128:129], v[130:131], v[134:135]
	v_div_fixup_f64 v[126:127], v[128:129], v[126:127], 1.0
	ds_write_b64 v1, v[126:127]
.LBB45_79:
	s_or_b32 exec_lo, exec_lo, s1
	s_waitcnt lgkmcnt(0)
	s_barrier
	buffer_gl0_inv
	ds_read_b64 v[126:127], v1
	s_mov_b32 s1, exec_lo
	v_cmpx_lt_u32_e32 15, v0
	s_cbranch_execz .LBB45_81
; %bb.80:
	s_waitcnt lgkmcnt(0)
	v_mul_f64 v[54:55], v[126:127], v[54:55]
	ds_read2_b64 v[128:131], v140 offset0:16 offset1:17
	ds_read2_b64 v[132:135], v140 offset0:18 offset1:19
	;; [unrolled: 1-line block ×3, first 2 shown]
	ds_read_b64 v[141:142], v140 offset:176
	s_waitcnt lgkmcnt(3)
	v_fma_f64 v[66:67], -v[54:55], v[128:129], v[66:67]
	v_fma_f64 v[50:51], -v[54:55], v[130:131], v[50:51]
	s_waitcnt lgkmcnt(2)
	v_fma_f64 v[52:53], -v[54:55], v[132:133], v[52:53]
	v_fma_f64 v[48:49], -v[54:55], v[134:135], v[48:49]
	;; [unrolled: 3-line block ×3, first 2 shown]
	s_waitcnt lgkmcnt(0)
	v_fma_f64 v[86:87], -v[54:55], v[141:142], v[86:87]
.LBB45_81:
	s_or_b32 exec_lo, exec_lo, s1
	s_mov_b32 s1, exec_lo
	s_waitcnt lgkmcnt(0)
	s_barrier
	buffer_gl0_inv
	v_cmpx_eq_u32_e32 16, v0
	s_cbranch_execz .LBB45_84
; %bb.82:
	ds_write_b64 v1, v[66:67]
	ds_write2_b64 v140, v[50:51], v[52:53] offset0:17 offset1:18
	ds_write2_b64 v140, v[48:49], v[84:85] offset0:19 offset1:20
	;; [unrolled: 1-line block ×3, first 2 shown]
	ds_read_b64 v[128:129], v1
	s_waitcnt lgkmcnt(0)
	v_cmp_neq_f64_e32 vcc_lo, 0, v[128:129]
	s_and_b32 exec_lo, exec_lo, vcc_lo
	s_cbranch_execz .LBB45_84
; %bb.83:
	v_div_scale_f64 v[130:131], null, v[128:129], v[128:129], 1.0
	v_rcp_f64_e32 v[132:133], v[130:131]
	v_fma_f64 v[134:135], -v[130:131], v[132:133], 1.0
	v_fma_f64 v[132:133], v[132:133], v[134:135], v[132:133]
	v_fma_f64 v[134:135], -v[130:131], v[132:133], 1.0
	v_fma_f64 v[132:133], v[132:133], v[134:135], v[132:133]
	v_div_scale_f64 v[134:135], vcc_lo, 1.0, v[128:129], 1.0
	v_mul_f64 v[136:137], v[134:135], v[132:133]
	v_fma_f64 v[130:131], -v[130:131], v[136:137], v[134:135]
	v_div_fmas_f64 v[130:131], v[130:131], v[132:133], v[136:137]
	v_div_fixup_f64 v[128:129], v[130:131], v[128:129], 1.0
	ds_write_b64 v1, v[128:129]
.LBB45_84:
	s_or_b32 exec_lo, exec_lo, s1
	s_waitcnt lgkmcnt(0)
	s_barrier
	buffer_gl0_inv
	ds_read_b64 v[128:129], v1
	s_mov_b32 s1, exec_lo
	v_cmpx_lt_u32_e32 16, v0
	s_cbranch_execz .LBB45_86
; %bb.85:
	s_waitcnt lgkmcnt(0)
	v_mul_f64 v[66:67], v[128:129], v[66:67]
	ds_read2_b64 v[130:133], v140 offset0:17 offset1:18
	ds_read2_b64 v[134:137], v140 offset0:19 offset1:20
	;; [unrolled: 1-line block ×3, first 2 shown]
	s_waitcnt lgkmcnt(2)
	v_fma_f64 v[50:51], -v[66:67], v[130:131], v[50:51]
	v_fma_f64 v[52:53], -v[66:67], v[132:133], v[52:53]
	s_waitcnt lgkmcnt(1)
	v_fma_f64 v[48:49], -v[66:67], v[134:135], v[48:49]
	v_fma_f64 v[84:85], -v[66:67], v[136:137], v[84:85]
	;; [unrolled: 3-line block ×3, first 2 shown]
.LBB45_86:
	s_or_b32 exec_lo, exec_lo, s1
	s_mov_b32 s1, exec_lo
	s_waitcnt lgkmcnt(0)
	s_barrier
	buffer_gl0_inv
	v_cmpx_eq_u32_e32 17, v0
	s_cbranch_execz .LBB45_89
; %bb.87:
	v_mov_b32_e32 v130, v52
	v_mov_b32_e32 v131, v53
	;; [unrolled: 1-line block ×8, first 2 shown]
	ds_write_b64 v1, v[50:51]
	ds_write2_b64 v140, v[130:131], v[132:133] offset0:18 offset1:19
	ds_write2_b64 v140, v[134:135], v[136:137] offset0:20 offset1:21
	ds_write_b64 v140, v[86:87] offset:176
	ds_read_b64 v[130:131], v1
	s_waitcnt lgkmcnt(0)
	v_cmp_neq_f64_e32 vcc_lo, 0, v[130:131]
	s_and_b32 exec_lo, exec_lo, vcc_lo
	s_cbranch_execz .LBB45_89
; %bb.88:
	v_div_scale_f64 v[132:133], null, v[130:131], v[130:131], 1.0
	v_rcp_f64_e32 v[134:135], v[132:133]
	v_fma_f64 v[136:137], -v[132:133], v[134:135], 1.0
	v_fma_f64 v[134:135], v[134:135], v[136:137], v[134:135]
	v_fma_f64 v[136:137], -v[132:133], v[134:135], 1.0
	v_fma_f64 v[134:135], v[134:135], v[136:137], v[134:135]
	v_div_scale_f64 v[136:137], vcc_lo, 1.0, v[130:131], 1.0
	v_mul_f64 v[138:139], v[136:137], v[134:135]
	v_fma_f64 v[132:133], -v[132:133], v[138:139], v[136:137]
	v_div_fmas_f64 v[132:133], v[132:133], v[134:135], v[138:139]
	v_div_fixup_f64 v[130:131], v[132:133], v[130:131], 1.0
	ds_write_b64 v1, v[130:131]
.LBB45_89:
	s_or_b32 exec_lo, exec_lo, s1
	s_waitcnt lgkmcnt(0)
	s_barrier
	buffer_gl0_inv
	ds_read_b64 v[130:131], v1
	s_mov_b32 s1, exec_lo
	v_cmpx_lt_u32_e32 17, v0
	s_cbranch_execz .LBB45_91
; %bb.90:
	s_waitcnt lgkmcnt(0)
	v_mul_f64 v[50:51], v[130:131], v[50:51]
	ds_read2_b64 v[132:135], v140 offset0:18 offset1:19
	ds_read2_b64 v[136:139], v140 offset0:20 offset1:21
	ds_read_b64 v[141:142], v140 offset:176
	s_waitcnt lgkmcnt(2)
	v_fma_f64 v[52:53], -v[50:51], v[132:133], v[52:53]
	v_fma_f64 v[48:49], -v[50:51], v[134:135], v[48:49]
	s_waitcnt lgkmcnt(1)
	v_fma_f64 v[84:85], -v[50:51], v[136:137], v[84:85]
	v_fma_f64 v[82:83], -v[50:51], v[138:139], v[82:83]
	s_waitcnt lgkmcnt(0)
	v_fma_f64 v[86:87], -v[50:51], v[141:142], v[86:87]
.LBB45_91:
	s_or_b32 exec_lo, exec_lo, s1
	s_mov_b32 s1, exec_lo
	s_waitcnt lgkmcnt(0)
	s_barrier
	buffer_gl0_inv
	v_cmpx_eq_u32_e32 18, v0
	s_cbranch_execz .LBB45_94
; %bb.92:
	ds_write_b64 v1, v[52:53]
	ds_write2_b64 v140, v[48:49], v[84:85] offset0:19 offset1:20
	ds_write2_b64 v140, v[82:83], v[86:87] offset0:21 offset1:22
	ds_read_b64 v[132:133], v1
	s_waitcnt lgkmcnt(0)
	v_cmp_neq_f64_e32 vcc_lo, 0, v[132:133]
	s_and_b32 exec_lo, exec_lo, vcc_lo
	s_cbranch_execz .LBB45_94
; %bb.93:
	v_div_scale_f64 v[134:135], null, v[132:133], v[132:133], 1.0
	v_rcp_f64_e32 v[136:137], v[134:135]
	v_fma_f64 v[138:139], -v[134:135], v[136:137], 1.0
	v_fma_f64 v[136:137], v[136:137], v[138:139], v[136:137]
	v_fma_f64 v[138:139], -v[134:135], v[136:137], 1.0
	v_fma_f64 v[136:137], v[136:137], v[138:139], v[136:137]
	v_div_scale_f64 v[138:139], vcc_lo, 1.0, v[132:133], 1.0
	v_mul_f64 v[141:142], v[138:139], v[136:137]
	v_fma_f64 v[134:135], -v[134:135], v[141:142], v[138:139]
	v_div_fmas_f64 v[134:135], v[134:135], v[136:137], v[141:142]
	v_div_fixup_f64 v[132:133], v[134:135], v[132:133], 1.0
	ds_write_b64 v1, v[132:133]
.LBB45_94:
	s_or_b32 exec_lo, exec_lo, s1
	s_waitcnt lgkmcnt(0)
	s_barrier
	buffer_gl0_inv
	ds_read_b64 v[132:133], v1
	s_mov_b32 s1, exec_lo
	v_cmpx_lt_u32_e32 18, v0
	s_cbranch_execz .LBB45_96
; %bb.95:
	s_waitcnt lgkmcnt(0)
	v_mul_f64 v[52:53], v[132:133], v[52:53]
	ds_read2_b64 v[134:137], v140 offset0:19 offset1:20
	ds_read2_b64 v[141:144], v140 offset0:21 offset1:22
	s_waitcnt lgkmcnt(1)
	v_fma_f64 v[48:49], -v[52:53], v[134:135], v[48:49]
	v_fma_f64 v[84:85], -v[52:53], v[136:137], v[84:85]
	s_waitcnt lgkmcnt(0)
	v_fma_f64 v[82:83], -v[52:53], v[141:142], v[82:83]
	v_fma_f64 v[86:87], -v[52:53], v[143:144], v[86:87]
.LBB45_96:
	s_or_b32 exec_lo, exec_lo, s1
	s_mov_b32 s1, exec_lo
	s_waitcnt lgkmcnt(0)
	s_barrier
	buffer_gl0_inv
	v_cmpx_eq_u32_e32 19, v0
	s_cbranch_execz .LBB45_99
; %bb.97:
	v_mov_b32_e32 v134, v84
	v_mov_b32_e32 v135, v85
	;; [unrolled: 1-line block ×4, first 2 shown]
	ds_write_b64 v1, v[48:49]
	ds_write2_b64 v140, v[134:135], v[136:137] offset0:20 offset1:21
	ds_write_b64 v140, v[86:87] offset:176
	ds_read_b64 v[134:135], v1
	s_waitcnt lgkmcnt(0)
	v_cmp_neq_f64_e32 vcc_lo, 0, v[134:135]
	s_and_b32 exec_lo, exec_lo, vcc_lo
	s_cbranch_execz .LBB45_99
; %bb.98:
	v_div_scale_f64 v[136:137], null, v[134:135], v[134:135], 1.0
	v_rcp_f64_e32 v[138:139], v[136:137]
	v_fma_f64 v[141:142], -v[136:137], v[138:139], 1.0
	v_fma_f64 v[138:139], v[138:139], v[141:142], v[138:139]
	v_fma_f64 v[141:142], -v[136:137], v[138:139], 1.0
	v_fma_f64 v[138:139], v[138:139], v[141:142], v[138:139]
	v_div_scale_f64 v[141:142], vcc_lo, 1.0, v[134:135], 1.0
	v_mul_f64 v[143:144], v[141:142], v[138:139]
	v_fma_f64 v[136:137], -v[136:137], v[143:144], v[141:142]
	v_div_fmas_f64 v[136:137], v[136:137], v[138:139], v[143:144]
	v_div_fixup_f64 v[134:135], v[136:137], v[134:135], 1.0
	ds_write_b64 v1, v[134:135]
.LBB45_99:
	s_or_b32 exec_lo, exec_lo, s1
	s_waitcnt lgkmcnt(0)
	s_barrier
	buffer_gl0_inv
	ds_read_b64 v[134:135], v1
	s_mov_b32 s1, exec_lo
	v_cmpx_lt_u32_e32 19, v0
	s_cbranch_execz .LBB45_101
; %bb.100:
	s_waitcnt lgkmcnt(0)
	v_mul_f64 v[48:49], v[134:135], v[48:49]
	ds_read2_b64 v[136:139], v140 offset0:20 offset1:21
	ds_read_b64 v[141:142], v140 offset:176
	s_waitcnt lgkmcnt(1)
	v_fma_f64 v[84:85], -v[48:49], v[136:137], v[84:85]
	v_fma_f64 v[82:83], -v[48:49], v[138:139], v[82:83]
	s_waitcnt lgkmcnt(0)
	v_fma_f64 v[86:87], -v[48:49], v[141:142], v[86:87]
.LBB45_101:
	s_or_b32 exec_lo, exec_lo, s1
	s_mov_b32 s1, exec_lo
	s_waitcnt lgkmcnt(0)
	s_barrier
	buffer_gl0_inv
	v_cmpx_eq_u32_e32 20, v0
	s_cbranch_execz .LBB45_104
; %bb.102:
	ds_write_b64 v1, v[84:85]
	ds_write2_b64 v140, v[82:83], v[86:87] offset0:21 offset1:22
	ds_read_b64 v[136:137], v1
	s_waitcnt lgkmcnt(0)
	v_cmp_neq_f64_e32 vcc_lo, 0, v[136:137]
	s_and_b32 exec_lo, exec_lo, vcc_lo
	s_cbranch_execz .LBB45_104
; %bb.103:
	v_div_scale_f64 v[138:139], null, v[136:137], v[136:137], 1.0
	v_rcp_f64_e32 v[141:142], v[138:139]
	v_fma_f64 v[143:144], -v[138:139], v[141:142], 1.0
	v_fma_f64 v[141:142], v[141:142], v[143:144], v[141:142]
	v_fma_f64 v[143:144], -v[138:139], v[141:142], 1.0
	v_fma_f64 v[141:142], v[141:142], v[143:144], v[141:142]
	v_div_scale_f64 v[143:144], vcc_lo, 1.0, v[136:137], 1.0
	v_mul_f64 v[145:146], v[143:144], v[141:142]
	v_fma_f64 v[138:139], -v[138:139], v[145:146], v[143:144]
	v_div_fmas_f64 v[138:139], v[138:139], v[141:142], v[145:146]
	v_div_fixup_f64 v[136:137], v[138:139], v[136:137], 1.0
	ds_write_b64 v1, v[136:137]
.LBB45_104:
	s_or_b32 exec_lo, exec_lo, s1
	s_waitcnt lgkmcnt(0)
	s_barrier
	buffer_gl0_inv
	ds_read_b64 v[136:137], v1
	s_mov_b32 s1, exec_lo
	v_cmpx_lt_u32_e32 20, v0
	s_cbranch_execz .LBB45_106
; %bb.105:
	s_waitcnt lgkmcnt(0)
	v_mul_f64 v[84:85], v[136:137], v[84:85]
	ds_read2_b64 v[141:144], v140 offset0:21 offset1:22
	s_waitcnt lgkmcnt(0)
	v_fma_f64 v[82:83], -v[84:85], v[141:142], v[82:83]
	v_fma_f64 v[86:87], -v[84:85], v[143:144], v[86:87]
.LBB45_106:
	s_or_b32 exec_lo, exec_lo, s1
	s_mov_b32 s1, exec_lo
	s_waitcnt lgkmcnt(0)
	s_barrier
	buffer_gl0_inv
	v_cmpx_eq_u32_e32 21, v0
	s_cbranch_execz .LBB45_109
; %bb.107:
	ds_write_b64 v1, v[82:83]
	ds_write_b64 v140, v[86:87] offset:176
	ds_read_b64 v[138:139], v1
	s_waitcnt lgkmcnt(0)
	v_cmp_neq_f64_e32 vcc_lo, 0, v[138:139]
	s_and_b32 exec_lo, exec_lo, vcc_lo
	s_cbranch_execz .LBB45_109
; %bb.108:
	v_div_scale_f64 v[141:142], null, v[138:139], v[138:139], 1.0
	v_rcp_f64_e32 v[143:144], v[141:142]
	v_fma_f64 v[145:146], -v[141:142], v[143:144], 1.0
	v_fma_f64 v[143:144], v[143:144], v[145:146], v[143:144]
	v_fma_f64 v[145:146], -v[141:142], v[143:144], 1.0
	v_fma_f64 v[143:144], v[143:144], v[145:146], v[143:144]
	v_div_scale_f64 v[145:146], vcc_lo, 1.0, v[138:139], 1.0
	v_mul_f64 v[147:148], v[145:146], v[143:144]
	v_fma_f64 v[141:142], -v[141:142], v[147:148], v[145:146]
	v_div_fmas_f64 v[141:142], v[141:142], v[143:144], v[147:148]
	v_div_fixup_f64 v[138:139], v[141:142], v[138:139], 1.0
	ds_write_b64 v1, v[138:139]
.LBB45_109:
	s_or_b32 exec_lo, exec_lo, s1
	s_waitcnt lgkmcnt(0)
	s_barrier
	buffer_gl0_inv
	ds_read_b64 v[138:139], v1
	s_mov_b32 s1, exec_lo
	v_cmpx_lt_u32_e32 21, v0
	s_cbranch_execz .LBB45_111
; %bb.110:
	s_waitcnt lgkmcnt(0)
	v_mul_f64 v[82:83], v[138:139], v[82:83]
	ds_read_b64 v[140:141], v140 offset:176
	s_waitcnt lgkmcnt(0)
	v_fma_f64 v[86:87], -v[82:83], v[140:141], v[86:87]
.LBB45_111:
	s_or_b32 exec_lo, exec_lo, s1
	s_mov_b32 s1, exec_lo
	s_waitcnt lgkmcnt(0)
	s_barrier
	buffer_gl0_inv
	v_cmpx_eq_u32_e32 22, v0
	s_cbranch_execz .LBB45_114
; %bb.112:
	v_cmp_neq_f64_e32 vcc_lo, 0, v[86:87]
	ds_write_b64 v1, v[86:87]
	s_and_b32 exec_lo, exec_lo, vcc_lo
	s_cbranch_execz .LBB45_114
; %bb.113:
	v_div_scale_f64 v[140:141], null, v[86:87], v[86:87], 1.0
	v_rcp_f64_e32 v[142:143], v[140:141]
	v_fma_f64 v[144:145], -v[140:141], v[142:143], 1.0
	v_fma_f64 v[142:143], v[142:143], v[144:145], v[142:143]
	v_fma_f64 v[144:145], -v[140:141], v[142:143], 1.0
	v_fma_f64 v[142:143], v[142:143], v[144:145], v[142:143]
	v_div_scale_f64 v[144:145], vcc_lo, 1.0, v[86:87], 1.0
	v_mul_f64 v[146:147], v[144:145], v[142:143]
	v_fma_f64 v[140:141], -v[140:141], v[146:147], v[144:145]
	v_div_fmas_f64 v[140:141], v[140:141], v[142:143], v[146:147]
	v_div_fixup_f64 v[140:141], v[140:141], v[86:87], 1.0
	ds_write_b64 v1, v[140:141]
.LBB45_114:
	s_or_b32 exec_lo, exec_lo, s1
	s_waitcnt lgkmcnt(0)
	s_barrier
	buffer_gl0_inv
	ds_read_b64 v[140:141], v1
	s_waitcnt lgkmcnt(0)
	s_barrier
	buffer_gl0_inv
	s_and_saveexec_b32 s3, s0
	s_cbranch_execz .LBB45_117
; %bb.115:
	s_load_dwordx2 s[0:1], s[4:5], 0x28
	v_lshlrev_b64 v[1:2], 2, v[2:3]
	v_cmp_eq_f64_e64 s2, 0, v[102:103]
	s_waitcnt lgkmcnt(0)
	v_add_co_u32 v1, vcc_lo, s0, v1
	v_add_co_ci_u32_e64 v2, null, s1, v2, vcc_lo
	v_cmp_eq_f64_e32 vcc_lo, 0, v[96:97]
	v_cmp_neq_f64_e64 s0, 0, v[98:99]
	v_cmp_eq_f64_e64 s1, 0, v[100:101]
	global_load_dword v142, v[1:2], off
	v_cndmask_b32_e64 v3, 0, 1, vcc_lo
	s_or_b32 vcc_lo, s0, vcc_lo
	v_cmp_eq_f64_e64 s0, 0, v[104:105]
	v_cndmask_b32_e32 v3, 2, v3, vcc_lo
	v_cmp_eq_u32_e32 vcc_lo, 0, v3
	s_and_b32 s1, s1, vcc_lo
	v_cndmask_b32_e64 v3, v3, 3, s1
	v_cmp_eq_f64_e64 s1, 0, v[106:107]
	v_cmp_eq_u32_e32 vcc_lo, 0, v3
	s_and_b32 s2, s2, vcc_lo
	v_cndmask_b32_e64 v3, v3, 4, s2
	v_cmp_eq_f64_e64 s2, 0, v[108:109]
	;; [unrolled: 4-line block ×18, first 2 shown]
	v_cmp_eq_u32_e32 vcc_lo, 0, v3
	s_and_b32 s1, s1, vcc_lo
	v_cndmask_b32_e64 v3, v3, 21, s1
	v_cmp_eq_u32_e32 vcc_lo, 0, v3
	s_and_b32 s1, s2, vcc_lo
	v_cndmask_b32_e64 v3, v3, 22, s1
	;; [unrolled: 3-line block ×3, first 2 shown]
	v_cmp_ne_u32_e64 s0, 0, v3
	s_waitcnt vmcnt(0)
	v_cmp_eq_u32_e32 vcc_lo, 0, v142
	s_and_b32 s0, vcc_lo, s0
	s_and_b32 exec_lo, exec_lo, s0
	s_cbranch_execz .LBB45_117
; %bb.116:
	v_add_nc_u32_e32 v3, s9, v3
	global_store_dword v[1:2], v3, off
.LBB45_117:
	s_or_b32 exec_lo, exec_lo, s3
	v_mul_f64 v[1:2], v[140:141], v[86:87]
	v_cmp_lt_u32_e32 vcc_lo, 22, v0
	flat_store_dwordx2 v[4:5], v[88:89]
	flat_store_dwordx2 v[80:81], v[92:93]
	;; [unrolled: 1-line block ×17, first 2 shown]
	v_cndmask_b32_e32 v2, v87, v2, vcc_lo
	v_cndmask_b32_e32 v1, v86, v1, vcc_lo
	flat_store_dwordx2 v[34:35], v[50:51]
	flat_store_dwordx2 v[38:39], v[52:53]
	flat_store_dwordx2 v[40:41], v[48:49]
	flat_store_dwordx2 v[42:43], v[84:85]
	flat_store_dwordx2 v[44:45], v[82:83]
	flat_store_dwordx2 v[46:47], v[1:2]
.LBB45_118:
	s_endpgm
	.section	.rodata,"a",@progbits
	.p2align	6, 0x0
	.amdhsa_kernel _ZN9rocsolver6v33100L23getf2_npvt_small_kernelILi23EdiiPKPdEEvT1_T3_lS5_lPT2_S5_S5_
		.amdhsa_group_segment_fixed_size 0
		.amdhsa_private_segment_fixed_size 0
		.amdhsa_kernarg_size 312
		.amdhsa_user_sgpr_count 6
		.amdhsa_user_sgpr_private_segment_buffer 1
		.amdhsa_user_sgpr_dispatch_ptr 0
		.amdhsa_user_sgpr_queue_ptr 0
		.amdhsa_user_sgpr_kernarg_segment_ptr 1
		.amdhsa_user_sgpr_dispatch_id 0
		.amdhsa_user_sgpr_flat_scratch_init 0
		.amdhsa_user_sgpr_private_segment_size 0
		.amdhsa_wavefront_size32 1
		.amdhsa_uses_dynamic_stack 0
		.amdhsa_system_sgpr_private_segment_wavefront_offset 0
		.amdhsa_system_sgpr_workgroup_id_x 1
		.amdhsa_system_sgpr_workgroup_id_y 1
		.amdhsa_system_sgpr_workgroup_id_z 0
		.amdhsa_system_sgpr_workgroup_info 0
		.amdhsa_system_vgpr_workitem_id 1
		.amdhsa_next_free_vgpr 149
		.amdhsa_next_free_sgpr 11
		.amdhsa_reserve_vcc 1
		.amdhsa_reserve_flat_scratch 1
		.amdhsa_float_round_mode_32 0
		.amdhsa_float_round_mode_16_64 0
		.amdhsa_float_denorm_mode_32 3
		.amdhsa_float_denorm_mode_16_64 3
		.amdhsa_dx10_clamp 1
		.amdhsa_ieee_mode 1
		.amdhsa_fp16_overflow 0
		.amdhsa_workgroup_processor_mode 1
		.amdhsa_memory_ordered 1
		.amdhsa_forward_progress 1
		.amdhsa_shared_vgpr_count 0
		.amdhsa_exception_fp_ieee_invalid_op 0
		.amdhsa_exception_fp_denorm_src 0
		.amdhsa_exception_fp_ieee_div_zero 0
		.amdhsa_exception_fp_ieee_overflow 0
		.amdhsa_exception_fp_ieee_underflow 0
		.amdhsa_exception_fp_ieee_inexact 0
		.amdhsa_exception_int_div_zero 0
	.end_amdhsa_kernel
	.section	.text._ZN9rocsolver6v33100L23getf2_npvt_small_kernelILi23EdiiPKPdEEvT1_T3_lS5_lPT2_S5_S5_,"axG",@progbits,_ZN9rocsolver6v33100L23getf2_npvt_small_kernelILi23EdiiPKPdEEvT1_T3_lS5_lPT2_S5_S5_,comdat
.Lfunc_end45:
	.size	_ZN9rocsolver6v33100L23getf2_npvt_small_kernelILi23EdiiPKPdEEvT1_T3_lS5_lPT2_S5_S5_, .Lfunc_end45-_ZN9rocsolver6v33100L23getf2_npvt_small_kernelILi23EdiiPKPdEEvT1_T3_lS5_lPT2_S5_S5_
                                        ; -- End function
	.set _ZN9rocsolver6v33100L23getf2_npvt_small_kernelILi23EdiiPKPdEEvT1_T3_lS5_lPT2_S5_S5_.num_vgpr, 149
	.set _ZN9rocsolver6v33100L23getf2_npvt_small_kernelILi23EdiiPKPdEEvT1_T3_lS5_lPT2_S5_S5_.num_agpr, 0
	.set _ZN9rocsolver6v33100L23getf2_npvt_small_kernelILi23EdiiPKPdEEvT1_T3_lS5_lPT2_S5_S5_.numbered_sgpr, 11
	.set _ZN9rocsolver6v33100L23getf2_npvt_small_kernelILi23EdiiPKPdEEvT1_T3_lS5_lPT2_S5_S5_.num_named_barrier, 0
	.set _ZN9rocsolver6v33100L23getf2_npvt_small_kernelILi23EdiiPKPdEEvT1_T3_lS5_lPT2_S5_S5_.private_seg_size, 0
	.set _ZN9rocsolver6v33100L23getf2_npvt_small_kernelILi23EdiiPKPdEEvT1_T3_lS5_lPT2_S5_S5_.uses_vcc, 1
	.set _ZN9rocsolver6v33100L23getf2_npvt_small_kernelILi23EdiiPKPdEEvT1_T3_lS5_lPT2_S5_S5_.uses_flat_scratch, 1
	.set _ZN9rocsolver6v33100L23getf2_npvt_small_kernelILi23EdiiPKPdEEvT1_T3_lS5_lPT2_S5_S5_.has_dyn_sized_stack, 0
	.set _ZN9rocsolver6v33100L23getf2_npvt_small_kernelILi23EdiiPKPdEEvT1_T3_lS5_lPT2_S5_S5_.has_recursion, 0
	.set _ZN9rocsolver6v33100L23getf2_npvt_small_kernelILi23EdiiPKPdEEvT1_T3_lS5_lPT2_S5_S5_.has_indirect_call, 0
	.section	.AMDGPU.csdata,"",@progbits
; Kernel info:
; codeLenInByte = 12224
; TotalNumSgprs: 13
; NumVgprs: 149
; ScratchSize: 0
; MemoryBound: 0
; FloatMode: 240
; IeeeMode: 1
; LDSByteSize: 0 bytes/workgroup (compile time only)
; SGPRBlocks: 0
; VGPRBlocks: 18
; NumSGPRsForWavesPerEU: 13
; NumVGPRsForWavesPerEU: 149
; Occupancy: 6
; WaveLimiterHint : 1
; COMPUTE_PGM_RSRC2:SCRATCH_EN: 0
; COMPUTE_PGM_RSRC2:USER_SGPR: 6
; COMPUTE_PGM_RSRC2:TRAP_HANDLER: 0
; COMPUTE_PGM_RSRC2:TGID_X_EN: 1
; COMPUTE_PGM_RSRC2:TGID_Y_EN: 1
; COMPUTE_PGM_RSRC2:TGID_Z_EN: 0
; COMPUTE_PGM_RSRC2:TIDIG_COMP_CNT: 1
	.section	.text._ZN9rocsolver6v33100L18getf2_small_kernelILi24EdiiPKPdEEvT1_T3_lS5_lPS5_llPT2_S5_S5_S7_l,"axG",@progbits,_ZN9rocsolver6v33100L18getf2_small_kernelILi24EdiiPKPdEEvT1_T3_lS5_lPS5_llPT2_S5_S5_S7_l,comdat
	.globl	_ZN9rocsolver6v33100L18getf2_small_kernelILi24EdiiPKPdEEvT1_T3_lS5_lPS5_llPT2_S5_S5_S7_l ; -- Begin function _ZN9rocsolver6v33100L18getf2_small_kernelILi24EdiiPKPdEEvT1_T3_lS5_lPS5_llPT2_S5_S5_S7_l
	.p2align	8
	.type	_ZN9rocsolver6v33100L18getf2_small_kernelILi24EdiiPKPdEEvT1_T3_lS5_lPS5_llPT2_S5_S5_S7_l,@function
_ZN9rocsolver6v33100L18getf2_small_kernelILi24EdiiPKPdEEvT1_T3_lS5_lPS5_llPT2_S5_S5_S7_l: ; @_ZN9rocsolver6v33100L18getf2_small_kernelILi24EdiiPKPdEEvT1_T3_lS5_lPS5_llPT2_S5_S5_S7_l
; %bb.0:
	s_clause 0x1
	s_load_dword s0, s[4:5], 0x6c
	s_load_dwordx2 s[12:13], s[4:5], 0x48
	s_waitcnt lgkmcnt(0)
	s_lshr_b32 s0, s0, 16
	v_mad_u64_u32 v[2:3], null, s7, s0, v[1:2]
	s_mov_b32 s0, exec_lo
	v_cmpx_gt_i32_e64 s12, v2
	s_cbranch_execz .LBB46_405
; %bb.1:
	s_clause 0x1
	s_load_dwordx4 s[0:3], s[4:5], 0x8
	s_load_dwordx4 s[8:11], s[4:5], 0x50
	v_ashrrev_i32_e32 v3, 31, v2
	v_mov_b32_e32 v48, 0
	v_mov_b32_e32 v49, 0
	v_lshlrev_b64 v[4:5], 3, v[2:3]
	s_waitcnt lgkmcnt(0)
	v_add_co_u32 v4, vcc_lo, s0, v4
	v_add_co_ci_u32_e64 v5, null, s1, v5, vcc_lo
	s_cmp_eq_u64 s[8:9], 0
	s_cselect_b32 s6, -1, 0
	global_load_dwordx2 v[4:5], v[4:5], off
	s_and_b32 vcc_lo, exec_lo, s6
	s_cbranch_vccnz .LBB46_3
; %bb.2:
	v_mul_lo_u32 v8, s11, v2
	v_mul_lo_u32 v9, s10, v3
	v_mad_u64_u32 v[6:7], null, s10, v2, 0
	v_add3_u32 v7, v7, v9, v8
	v_lshlrev_b64 v[6:7], 2, v[6:7]
	v_add_co_u32 v48, vcc_lo, s8, v6
	v_add_co_ci_u32_e64 v49, null, s9, v7, vcc_lo
.LBB46_3:
	s_load_dword s8, s[4:5], 0x18
	s_lshl_b64 s[0:1], s[2:3], 3
	s_load_dword s2, s[4:5], 0x0
	s_waitcnt vmcnt(0)
	v_add_co_u32 v58, vcc_lo, v4, s0
	v_lshlrev_b32_e32 v62, 3, v0
	v_add_co_ci_u32_e64 v59, null, s1, v5, vcc_lo
	v_add_co_u32 v8, vcc_lo, v58, v62
	v_add_co_ci_u32_e64 v9, null, 0, v59, vcc_lo
	s_waitcnt lgkmcnt(0)
	v_add3_u32 v6, s8, s8, v0
	s_ashr_i32 s9, s8, 31
	s_max_i32 s0, s2, 24
	s_lshl_b64 s[10:11], s[8:9], 3
	v_mul_lo_u32 v1, s0, v1
	v_add_nc_u32_e32 v4, s8, v6
	v_ashrrev_i32_e32 v7, 31, v6
	v_add_co_u32 v12, vcc_lo, v8, s10
	v_add_co_ci_u32_e64 v13, null, s11, v9, vcc_lo
	v_add_nc_u32_e32 v10, s8, v4
	v_ashrrev_i32_e32 v5, 31, v4
	v_lshlrev_b64 v[6:7], 3, v[6:7]
	s_cmp_lt_i32 s2, 2
	v_add_nc_u32_e32 v14, s8, v10
	v_lshlrev_b64 v[4:5], 3, v[4:5]
	v_ashrrev_i32_e32 v11, 31, v10
	v_add_co_u32 v6, vcc_lo, v58, v6
	v_add_nc_u32_e32 v16, s8, v14
	v_ashrrev_i32_e32 v15, 31, v14
	v_add_co_ci_u32_e64 v7, null, v59, v7, vcc_lo
	v_add_co_u32 v4, vcc_lo, v58, v4
	v_add_nc_u32_e32 v18, s8, v16
	v_lshlrev_b64 v[10:11], 3, v[10:11]
	v_add_co_ci_u32_e64 v5, null, v59, v5, vcc_lo
	v_ashrrev_i32_e32 v17, 31, v16
	v_lshlrev_b64 v[14:15], 3, v[14:15]
	s_clause 0x3
	flat_load_dwordx2 v[40:41], v[8:9]
	flat_load_dwordx2 v[38:39], v[12:13]
	;; [unrolled: 1-line block ×4, first 2 shown]
	v_ashrrev_i32_e32 v19, 31, v18
	v_add_nc_u32_e32 v8, s8, v18
	v_add_co_u32 v4, vcc_lo, v58, v10
	v_lshlrev_b64 v[6:7], 3, v[16:17]
	v_add_co_ci_u32_e64 v5, null, v59, v11, vcc_lo
	v_add_co_u32 v10, vcc_lo, v58, v14
	v_lshlrev_b64 v[12:13], 3, v[18:19]
	v_add_nc_u32_e32 v14, s8, v8
	v_add_co_ci_u32_e64 v11, null, v59, v15, vcc_lo
	v_add_co_u32 v6, vcc_lo, v58, v6
	v_add_nc_u32_e32 v16, s8, v14
	v_add_co_ci_u32_e64 v7, null, v59, v7, vcc_lo
	v_add_co_u32 v12, vcc_lo, v58, v12
	v_add_co_ci_u32_e64 v13, null, v59, v13, vcc_lo
	s_clause 0x3
	flat_load_dwordx2 v[32:33], v[4:5]
	flat_load_dwordx2 v[28:29], v[10:11]
	;; [unrolled: 1-line block ×4, first 2 shown]
	v_add_nc_u32_e32 v10, s8, v16
	v_ashrrev_i32_e32 v9, 31, v8
	v_ashrrev_i32_e32 v15, 31, v14
	v_ashrrev_i32_e32 v17, 31, v16
	v_ashrrev_i32_e32 v11, 31, v10
	v_lshlrev_b64 v[8:9], 3, v[8:9]
	v_lshlrev_b64 v[6:7], 3, v[14:15]
	;; [unrolled: 1-line block ×4, first 2 shown]
	v_add_nc_u32_e32 v10, s8, v10
	v_add_co_u32 v8, vcc_lo, v58, v8
	v_add_co_ci_u32_e64 v9, null, v59, v9, vcc_lo
	v_add_nc_u32_e32 v16, s8, v10
	v_add_co_u32 v6, vcc_lo, v58, v6
	v_add_co_ci_u32_e64 v7, null, v59, v7, vcc_lo
	v_add_co_u32 v12, vcc_lo, v58, v12
	v_add_nc_u32_e32 v34, s8, v16
	v_add_co_ci_u32_e64 v13, null, v59, v13, vcc_lo
	v_add_co_u32 v14, vcc_lo, v58, v14
	v_add_co_ci_u32_e64 v15, null, v59, v15, vcc_lo
	s_clause 0x3
	flat_load_dwordx2 v[42:43], v[8:9]
	flat_load_dwordx2 v[26:27], v[6:7]
	;; [unrolled: 1-line block ×4, first 2 shown]
	v_add_nc_u32_e32 v8, s8, v34
	v_ashrrev_i32_e32 v11, 31, v10
	v_ashrrev_i32_e32 v17, 31, v16
	;; [unrolled: 1-line block ×4, first 2 shown]
	v_lshlrev_b64 v[10:11], 3, v[10:11]
	v_lshlrev_b64 v[6:7], 3, v[16:17]
	;; [unrolled: 1-line block ×4, first 2 shown]
	v_add_nc_u32_e32 v8, s8, v8
	v_add_co_u32 v10, vcc_lo, v58, v10
	v_add_co_ci_u32_e64 v11, null, v59, v11, vcc_lo
	v_add_nc_u32_e32 v16, s8, v8
	v_add_co_u32 v6, vcc_lo, v58, v6
	v_add_co_ci_u32_e64 v7, null, v59, v7, vcc_lo
	v_add_co_u32 v12, vcc_lo, v58, v12
	v_ashrrev_i32_e32 v9, 31, v8
	v_add_nc_u32_e32 v46, s8, v16
	v_add_co_ci_u32_e64 v13, null, v59, v13, vcc_lo
	v_add_co_u32 v14, vcc_lo, v58, v14
	v_add_co_ci_u32_e64 v15, null, v59, v15, vcc_lo
	v_lshlrev_b64 v[44:45], 3, v[8:9]
	s_clause 0x3
	flat_load_dwordx2 v[36:37], v[10:11]
	flat_load_dwordx2 v[34:35], v[6:7]
	;; [unrolled: 1-line block ×4, first 2 shown]
	v_add_nc_u32_e32 v12, s8, v46
	v_ashrrev_i32_e32 v17, 31, v16
	v_ashrrev_i32_e32 v47, 31, v46
	v_add_co_u32 v14, vcc_lo, v58, v44
	v_add_nc_u32_e32 v44, s8, v12
	v_lshlrev_b64 v[10:11], 3, v[16:17]
	v_lshlrev_b64 v[16:17], 3, v[46:47]
	v_ashrrev_i32_e32 v13, 31, v12
	v_add_co_ci_u32_e64 v15, null, v59, v45, vcc_lo
	v_add_nc_u32_e32 v46, s8, v44
	v_ashrrev_i32_e32 v45, 31, v44
	v_lshlrev_b64 v[12:13], 3, v[12:13]
	v_add_co_u32 v10, vcc_lo, v58, v10
	v_add_nc_u32_e32 v50, s8, v46
	v_ashrrev_i32_e32 v47, 31, v46
	v_lshlrev_b64 v[44:45], 3, v[44:45]
	v_add_co_ci_u32_e64 v11, null, v59, v11, vcc_lo
	v_add_nc_u32_e32 v52, s8, v50
	v_add_co_u32 v16, vcc_lo, v58, v16
	v_lshlrev_b64 v[46:47], 3, v[46:47]
	v_ashrrev_i32_e32 v51, 31, v50
	v_add_co_ci_u32_e64 v17, null, v59, v17, vcc_lo
	v_add_co_u32 v12, vcc_lo, v58, v12
	v_ashrrev_i32_e32 v53, 31, v52
	v_add_co_ci_u32_e64 v13, null, v59, v13, vcc_lo
	v_add_co_u32 v54, vcc_lo, v58, v44
	v_add_co_ci_u32_e64 v55, null, v59, v45, vcc_lo
	v_lshlrev_b64 v[44:45], 3, v[50:51]
	v_add_co_u32 v56, vcc_lo, v58, v46
	v_add_co_ci_u32_e64 v57, null, v59, v47, vcc_lo
	v_lshlrev_b64 v[46:47], 3, v[52:53]
	v_add_co_u32 v52, vcc_lo, v58, v44
	v_add_co_ci_u32_e64 v53, null, v59, v45, vcc_lo
	v_add_co_u32 v60, vcc_lo, v58, v46
	v_add_co_ci_u32_e64 v61, null, v59, v47, vcc_lo
	s_clause 0x7
	flat_load_dwordx2 v[50:51], v[14:15]
	flat_load_dwordx2 v[46:47], v[10:11]
	;; [unrolled: 1-line block ×8, first 2 shown]
	v_lshl_add_u32 v60, v1, 3, 0
	v_mov_b32_e32 v56, 0
	v_lshlrev_b32_e32 v61, 3, v1
	v_add_nc_u32_e32 v54, v60, v62
	s_waitcnt vmcnt(23) lgkmcnt(23)
	ds_write_b64 v54, v[40:41]
	s_waitcnt vmcnt(0) lgkmcnt(0)
	s_barrier
	buffer_gl0_inv
	ds_read_b64 v[54:55], v60
	s_cbranch_scc1 .LBB46_6
; %bb.4:
	v_add3_u32 v1, v61, 0, 8
	v_mov_b32_e32 v56, 0
	s_mov_b32 s0, 1
.LBB46_5:                               ; =>This Inner Loop Header: Depth=1
	ds_read_b64 v[62:63], v1
	v_add_nc_u32_e32 v1, 8, v1
	s_waitcnt lgkmcnt(0)
	v_cmp_lt_f64_e64 vcc_lo, |v[54:55]|, |v[62:63]|
	v_cndmask_b32_e32 v55, v55, v63, vcc_lo
	v_cndmask_b32_e32 v54, v54, v62, vcc_lo
	v_cndmask_b32_e64 v56, v56, s0, vcc_lo
	s_add_i32 s0, s0, 1
	s_cmp_eq_u32 s2, s0
	s_cbranch_scc0 .LBB46_5
.LBB46_6:
	s_mov_b32 s0, exec_lo
                                        ; implicit-def: $vgpr63
	v_cmpx_ne_u32_e64 v0, v56
	s_xor_b32 s0, exec_lo, s0
	s_cbranch_execz .LBB46_12
; %bb.7:
	s_mov_b32 s1, exec_lo
	v_cmpx_eq_u32_e32 0, v0
	s_cbranch_execz .LBB46_11
; %bb.8:
	v_cmp_ne_u32_e32 vcc_lo, 0, v56
	s_xor_b32 s3, s6, -1
	s_and_b32 s7, s3, vcc_lo
	s_and_saveexec_b32 s3, s7
	s_cbranch_execz .LBB46_10
; %bb.9:
	v_ashrrev_i32_e32 v57, 31, v56
	v_lshlrev_b64 v[0:1], 2, v[56:57]
	v_add_co_u32 v0, vcc_lo, v48, v0
	v_add_co_ci_u32_e64 v1, null, v49, v1, vcc_lo
	s_clause 0x1
	global_load_dword v57, v[0:1], off
	global_load_dword v62, v[48:49], off
	s_waitcnt vmcnt(1)
	global_store_dword v[48:49], v57, off
	s_waitcnt vmcnt(0)
	global_store_dword v[0:1], v62, off
.LBB46_10:
	s_or_b32 exec_lo, exec_lo, s3
	v_mov_b32_e32 v0, v56
.LBB46_11:
	s_or_b32 exec_lo, exec_lo, s1
	v_mov_b32_e32 v63, v0
                                        ; implicit-def: $vgpr0
.LBB46_12:
	s_or_saveexec_b32 s0, s0
	v_mov_b32_e32 v57, v63
	s_xor_b32 exec_lo, exec_lo, s0
	s_cbranch_execz .LBB46_14
; %bb.13:
	v_mov_b32_e32 v63, 0
	v_mov_b32_e32 v57, v0
	ds_write2_b64 v60, v[38:39], v[24:25] offset0:1 offset1:2
	ds_write2_b64 v60, v[20:21], v[32:33] offset0:3 offset1:4
	;; [unrolled: 1-line block ×11, first 2 shown]
	ds_write_b64 v60, v[52:53] offset:184
.LBB46_14:
	s_or_b32 exec_lo, exec_lo, s0
	s_waitcnt lgkmcnt(0)
	v_cmp_eq_f64_e64 s0, 0, v[54:55]
	s_mov_b32 s1, exec_lo
	s_waitcnt_vscnt null, 0x0
	s_barrier
	buffer_gl0_inv
	v_cmpx_lt_i32_e32 0, v63
	s_cbranch_execz .LBB46_16
; %bb.15:
	v_div_scale_f64 v[0:1], null, v[54:55], v[54:55], 1.0
	v_div_scale_f64 v[68:69], vcc_lo, 1.0, v[54:55], 1.0
	v_rcp_f64_e32 v[64:65], v[0:1]
	v_fma_f64 v[66:67], -v[0:1], v[64:65], 1.0
	v_fma_f64 v[64:65], v[64:65], v[66:67], v[64:65]
	v_fma_f64 v[66:67], -v[0:1], v[64:65], 1.0
	v_fma_f64 v[64:65], v[64:65], v[66:67], v[64:65]
	v_mul_f64 v[66:67], v[68:69], v[64:65]
	v_fma_f64 v[0:1], -v[0:1], v[66:67], v[68:69]
	v_div_fmas_f64 v[0:1], v[0:1], v[64:65], v[66:67]
	v_div_fixup_f64 v[0:1], v[0:1], v[54:55], 1.0
	v_cndmask_b32_e64 v1, v1, v55, s0
	v_cndmask_b32_e64 v0, v0, v54, s0
	v_mul_f64 v[40:41], v[0:1], v[40:41]
	ds_read2_b64 v[64:67], v60 offset0:1 offset1:2
	ds_read2_b64 v[68:71], v60 offset0:3 offset1:4
	;; [unrolled: 1-line block ×11, first 2 shown]
	ds_read_b64 v[0:1], v60 offset:184
	s_waitcnt lgkmcnt(11)
	v_fma_f64 v[38:39], -v[40:41], v[64:65], v[38:39]
	v_fma_f64 v[24:25], -v[40:41], v[66:67], v[24:25]
	s_waitcnt lgkmcnt(10)
	v_fma_f64 v[20:21], -v[40:41], v[68:69], v[20:21]
	v_fma_f64 v[32:33], -v[40:41], v[70:71], v[32:33]
	;; [unrolled: 3-line block ×11, first 2 shown]
	s_waitcnt lgkmcnt(0)
	v_fma_f64 v[52:53], -v[40:41], v[0:1], v[52:53]
.LBB46_16:
	s_or_b32 exec_lo, exec_lo, s1
	v_lshl_add_u32 v0, v63, 3, v60
	s_barrier
	buffer_gl0_inv
	v_mov_b32_e32 v54, 1
	ds_write_b64 v0, v[38:39]
	s_waitcnt lgkmcnt(0)
	s_barrier
	buffer_gl0_inv
	ds_read_b64 v[0:1], v60 offset:8
	s_cmp_lt_i32 s2, 3
	s_cbranch_scc1 .LBB46_19
; %bb.17:
	v_add3_u32 v55, v61, 0, 16
	v_mov_b32_e32 v54, 1
	s_mov_b32 s1, 2
.LBB46_18:                              ; =>This Inner Loop Header: Depth=1
	ds_read_b64 v[64:65], v55
	v_add_nc_u32_e32 v55, 8, v55
	s_waitcnt lgkmcnt(0)
	v_cmp_lt_f64_e64 vcc_lo, |v[0:1]|, |v[64:65]|
	v_cndmask_b32_e32 v1, v1, v65, vcc_lo
	v_cndmask_b32_e32 v0, v0, v64, vcc_lo
	v_cndmask_b32_e64 v54, v54, s1, vcc_lo
	s_add_i32 s1, s1, 1
	s_cmp_lg_u32 s2, s1
	s_cbranch_scc1 .LBB46_18
.LBB46_19:
	s_mov_b32 s1, exec_lo
	v_cmpx_ne_u32_e64 v63, v54
	s_xor_b32 s1, exec_lo, s1
	s_cbranch_execz .LBB46_25
; %bb.20:
	s_mov_b32 s3, exec_lo
	v_cmpx_eq_u32_e32 1, v63
	s_cbranch_execz .LBB46_24
; %bb.21:
	v_cmp_ne_u32_e32 vcc_lo, 1, v54
	s_xor_b32 s7, s6, -1
	s_and_b32 s9, s7, vcc_lo
	s_and_saveexec_b32 s7, s9
	s_cbranch_execz .LBB46_23
; %bb.22:
	v_ashrrev_i32_e32 v55, 31, v54
	v_lshlrev_b64 v[55:56], 2, v[54:55]
	v_add_co_u32 v55, vcc_lo, v48, v55
	v_add_co_ci_u32_e64 v56, null, v49, v56, vcc_lo
	s_clause 0x1
	global_load_dword v57, v[55:56], off
	global_load_dword v62, v[48:49], off offset:4
	s_waitcnt vmcnt(1)
	global_store_dword v[48:49], v57, off offset:4
	s_waitcnt vmcnt(0)
	global_store_dword v[55:56], v62, off
.LBB46_23:
	s_or_b32 exec_lo, exec_lo, s7
	v_mov_b32_e32 v57, v54
	v_mov_b32_e32 v63, v54
.LBB46_24:
	s_or_b32 exec_lo, exec_lo, s3
.LBB46_25:
	s_andn2_saveexec_b32 s1, s1
	s_cbranch_execz .LBB46_27
; %bb.26:
	v_mov_b32_e32 v54, v24
	v_mov_b32_e32 v55, v25
	;; [unrolled: 1-line block ×8, first 2 shown]
	ds_write2_b64 v60, v[54:55], v[62:63] offset0:2 offset1:3
	ds_write2_b64 v60, v[64:65], v[66:67] offset0:4 offset1:5
	v_mov_b32_e32 v54, v30
	v_mov_b32_e32 v55, v31
	;; [unrolled: 1-line block ×20, first 2 shown]
	ds_write2_b64 v60, v[54:55], v[62:63] offset0:6 offset1:7
	ds_write2_b64 v60, v[64:65], v[66:67] offset0:8 offset1:9
	;; [unrolled: 1-line block ×5, first 2 shown]
	v_mov_b32_e32 v54, v50
	v_mov_b32_e32 v55, v51
	;; [unrolled: 1-line block ×15, first 2 shown]
	ds_write2_b64 v60, v[54:55], v[64:65] offset0:16 offset1:17
	ds_write2_b64 v60, v[66:67], v[68:69] offset0:18 offset1:19
	;; [unrolled: 1-line block ×4, first 2 shown]
.LBB46_27:
	s_or_b32 exec_lo, exec_lo, s1
	s_waitcnt lgkmcnt(0)
	v_cmp_neq_f64_e64 s1, 0, v[0:1]
	s_mov_b32 s3, exec_lo
	s_waitcnt_vscnt null, 0x0
	s_barrier
	buffer_gl0_inv
	v_cmpx_lt_i32_e32 1, v63
	s_cbranch_execz .LBB46_29
; %bb.28:
	v_div_scale_f64 v[54:55], null, v[0:1], v[0:1], 1.0
	v_div_scale_f64 v[68:69], vcc_lo, 1.0, v[0:1], 1.0
	v_rcp_f64_e32 v[64:65], v[54:55]
	v_fma_f64 v[66:67], -v[54:55], v[64:65], 1.0
	v_fma_f64 v[64:65], v[64:65], v[66:67], v[64:65]
	v_fma_f64 v[66:67], -v[54:55], v[64:65], 1.0
	v_fma_f64 v[64:65], v[64:65], v[66:67], v[64:65]
	v_mul_f64 v[66:67], v[68:69], v[64:65]
	v_fma_f64 v[54:55], -v[54:55], v[66:67], v[68:69]
	v_div_fmas_f64 v[54:55], v[54:55], v[64:65], v[66:67]
	ds_read2_b64 v[64:67], v60 offset0:2 offset1:3
	ds_read2_b64 v[68:71], v60 offset0:4 offset1:5
	;; [unrolled: 1-line block ×11, first 2 shown]
	v_div_fixup_f64 v[54:55], v[54:55], v[0:1], 1.0
	v_cndmask_b32_e64 v1, v1, v55, s1
	v_cndmask_b32_e64 v0, v0, v54, s1
	v_mul_f64 v[38:39], v[0:1], v[38:39]
	s_waitcnt lgkmcnt(10)
	v_fma_f64 v[24:25], -v[38:39], v[64:65], v[24:25]
	v_fma_f64 v[20:21], -v[38:39], v[66:67], v[20:21]
	s_waitcnt lgkmcnt(9)
	v_fma_f64 v[32:33], -v[38:39], v[68:69], v[32:33]
	v_fma_f64 v[28:29], -v[38:39], v[70:71], v[28:29]
	;; [unrolled: 3-line block ×11, first 2 shown]
.LBB46_29:
	s_or_b32 exec_lo, exec_lo, s3
	v_lshl_add_u32 v0, v63, 3, v60
	s_barrier
	buffer_gl0_inv
	v_mov_b32_e32 v54, 2
	ds_write_b64 v0, v[24:25]
	s_waitcnt lgkmcnt(0)
	s_barrier
	buffer_gl0_inv
	ds_read_b64 v[0:1], v60 offset:16
	s_cmp_lt_i32 s2, 4
	s_mov_b32 s3, 3
	s_cbranch_scc1 .LBB46_32
; %bb.30:
	v_add3_u32 v55, v61, 0, 24
	v_mov_b32_e32 v54, 2
.LBB46_31:                              ; =>This Inner Loop Header: Depth=1
	ds_read_b64 v[64:65], v55
	v_add_nc_u32_e32 v55, 8, v55
	s_waitcnt lgkmcnt(0)
	v_cmp_lt_f64_e64 vcc_lo, |v[0:1]|, |v[64:65]|
	v_cndmask_b32_e32 v1, v1, v65, vcc_lo
	v_cndmask_b32_e32 v0, v0, v64, vcc_lo
	v_cndmask_b32_e64 v54, v54, s3, vcc_lo
	s_add_i32 s3, s3, 1
	s_cmp_lg_u32 s2, s3
	s_cbranch_scc1 .LBB46_31
.LBB46_32:
	v_cndmask_b32_e64 v55, 2, 1, s0
	v_cndmask_b32_e64 v56, 0, 1, s0
	s_mov_b32 s0, exec_lo
	v_cndmask_b32_e64 v62, v55, v56, s1
	s_waitcnt lgkmcnt(0)
	v_cmpx_eq_f64_e32 0, v[0:1]
	s_xor_b32 s0, exec_lo, s0
; %bb.33:
	v_cmp_ne_u32_e32 vcc_lo, 0, v62
	v_cndmask_b32_e32 v62, 3, v62, vcc_lo
; %bb.34:
	s_andn2_saveexec_b32 s0, s0
	s_cbranch_execz .LBB46_36
; %bb.35:
	v_div_scale_f64 v[55:56], null, v[0:1], v[0:1], 1.0
	v_rcp_f64_e32 v[64:65], v[55:56]
	v_fma_f64 v[66:67], -v[55:56], v[64:65], 1.0
	v_fma_f64 v[64:65], v[64:65], v[66:67], v[64:65]
	v_fma_f64 v[66:67], -v[55:56], v[64:65], 1.0
	v_fma_f64 v[64:65], v[64:65], v[66:67], v[64:65]
	v_div_scale_f64 v[66:67], vcc_lo, 1.0, v[0:1], 1.0
	v_mul_f64 v[68:69], v[66:67], v[64:65]
	v_fma_f64 v[55:56], -v[55:56], v[68:69], v[66:67]
	v_div_fmas_f64 v[55:56], v[55:56], v[64:65], v[68:69]
	v_div_fixup_f64 v[0:1], v[55:56], v[0:1], 1.0
.LBB46_36:
	s_or_b32 exec_lo, exec_lo, s0
	s_mov_b32 s0, exec_lo
	v_cmpx_ne_u32_e64 v63, v54
	s_xor_b32 s0, exec_lo, s0
	s_cbranch_execz .LBB46_42
; %bb.37:
	s_mov_b32 s1, exec_lo
	v_cmpx_eq_u32_e32 2, v63
	s_cbranch_execz .LBB46_41
; %bb.38:
	v_cmp_ne_u32_e32 vcc_lo, 2, v54
	s_xor_b32 s3, s6, -1
	s_and_b32 s7, s3, vcc_lo
	s_and_saveexec_b32 s3, s7
	s_cbranch_execz .LBB46_40
; %bb.39:
	v_ashrrev_i32_e32 v55, 31, v54
	v_lshlrev_b64 v[55:56], 2, v[54:55]
	v_add_co_u32 v55, vcc_lo, v48, v55
	v_add_co_ci_u32_e64 v56, null, v49, v56, vcc_lo
	s_clause 0x1
	global_load_dword v57, v[55:56], off
	global_load_dword v63, v[48:49], off offset:8
	s_waitcnt vmcnt(1)
	global_store_dword v[48:49], v57, off offset:8
	s_waitcnt vmcnt(0)
	global_store_dword v[55:56], v63, off
.LBB46_40:
	s_or_b32 exec_lo, exec_lo, s3
	v_mov_b32_e32 v57, v54
	v_mov_b32_e32 v63, v54
.LBB46_41:
	s_or_b32 exec_lo, exec_lo, s1
.LBB46_42:
	s_andn2_saveexec_b32 s0, s0
	s_cbranch_execz .LBB46_44
; %bb.43:
	v_mov_b32_e32 v63, 2
	ds_write2_b64 v60, v[20:21], v[32:33] offset0:3 offset1:4
	ds_write2_b64 v60, v[28:29], v[30:31] offset0:5 offset1:6
	;; [unrolled: 1-line block ×10, first 2 shown]
	ds_write_b64 v60, v[52:53] offset:184
.LBB46_44:
	s_or_b32 exec_lo, exec_lo, s0
	s_mov_b32 s0, exec_lo
	s_waitcnt lgkmcnt(0)
	s_waitcnt_vscnt null, 0x0
	s_barrier
	buffer_gl0_inv
	v_cmpx_lt_i32_e32 2, v63
	s_cbranch_execz .LBB46_46
; %bb.45:
	v_mul_f64 v[24:25], v[0:1], v[24:25]
	ds_read2_b64 v[64:67], v60 offset0:3 offset1:4
	ds_read2_b64 v[68:71], v60 offset0:5 offset1:6
	;; [unrolled: 1-line block ×10, first 2 shown]
	ds_read_b64 v[0:1], v60 offset:184
	s_waitcnt lgkmcnt(10)
	v_fma_f64 v[20:21], -v[24:25], v[64:65], v[20:21]
	v_fma_f64 v[32:33], -v[24:25], v[66:67], v[32:33]
	s_waitcnt lgkmcnt(9)
	v_fma_f64 v[28:29], -v[24:25], v[68:69], v[28:29]
	v_fma_f64 v[30:31], -v[24:25], v[70:71], v[30:31]
	;; [unrolled: 3-line block ×10, first 2 shown]
	s_waitcnt lgkmcnt(0)
	v_fma_f64 v[52:53], -v[24:25], v[0:1], v[52:53]
.LBB46_46:
	s_or_b32 exec_lo, exec_lo, s0
	v_lshl_add_u32 v0, v63, 3, v60
	s_barrier
	buffer_gl0_inv
	v_mov_b32_e32 v54, 3
	ds_write_b64 v0, v[20:21]
	s_waitcnt lgkmcnt(0)
	s_barrier
	buffer_gl0_inv
	ds_read_b64 v[0:1], v60 offset:24
	s_cmp_lt_i32 s2, 5
	s_cbranch_scc1 .LBB46_49
; %bb.47:
	v_mov_b32_e32 v54, 3
	v_add3_u32 v55, v61, 0, 32
	s_mov_b32 s0, 4
.LBB46_48:                              ; =>This Inner Loop Header: Depth=1
	ds_read_b64 v[64:65], v55
	v_add_nc_u32_e32 v55, 8, v55
	s_waitcnt lgkmcnt(0)
	v_cmp_lt_f64_e64 vcc_lo, |v[0:1]|, |v[64:65]|
	v_cndmask_b32_e32 v1, v1, v65, vcc_lo
	v_cndmask_b32_e32 v0, v0, v64, vcc_lo
	v_cndmask_b32_e64 v54, v54, s0, vcc_lo
	s_add_i32 s0, s0, 1
	s_cmp_lg_u32 s2, s0
	s_cbranch_scc1 .LBB46_48
.LBB46_49:
	s_mov_b32 s0, exec_lo
	s_waitcnt lgkmcnt(0)
	v_cmpx_eq_f64_e32 0, v[0:1]
	s_xor_b32 s0, exec_lo, s0
; %bb.50:
	v_cmp_ne_u32_e32 vcc_lo, 0, v62
	v_cndmask_b32_e32 v62, 4, v62, vcc_lo
; %bb.51:
	s_andn2_saveexec_b32 s0, s0
	s_cbranch_execz .LBB46_53
; %bb.52:
	v_div_scale_f64 v[55:56], null, v[0:1], v[0:1], 1.0
	v_rcp_f64_e32 v[64:65], v[55:56]
	v_fma_f64 v[66:67], -v[55:56], v[64:65], 1.0
	v_fma_f64 v[64:65], v[64:65], v[66:67], v[64:65]
	v_fma_f64 v[66:67], -v[55:56], v[64:65], 1.0
	v_fma_f64 v[64:65], v[64:65], v[66:67], v[64:65]
	v_div_scale_f64 v[66:67], vcc_lo, 1.0, v[0:1], 1.0
	v_mul_f64 v[68:69], v[66:67], v[64:65]
	v_fma_f64 v[55:56], -v[55:56], v[68:69], v[66:67]
	v_div_fmas_f64 v[55:56], v[55:56], v[64:65], v[68:69]
	v_div_fixup_f64 v[0:1], v[55:56], v[0:1], 1.0
.LBB46_53:
	s_or_b32 exec_lo, exec_lo, s0
	s_mov_b32 s0, exec_lo
	v_cmpx_ne_u32_e64 v63, v54
	s_xor_b32 s0, exec_lo, s0
	s_cbranch_execz .LBB46_59
; %bb.54:
	s_mov_b32 s1, exec_lo
	v_cmpx_eq_u32_e32 3, v63
	s_cbranch_execz .LBB46_58
; %bb.55:
	v_cmp_ne_u32_e32 vcc_lo, 3, v54
	s_xor_b32 s3, s6, -1
	s_and_b32 s7, s3, vcc_lo
	s_and_saveexec_b32 s3, s7
	s_cbranch_execz .LBB46_57
; %bb.56:
	v_ashrrev_i32_e32 v55, 31, v54
	v_lshlrev_b64 v[55:56], 2, v[54:55]
	v_add_co_u32 v55, vcc_lo, v48, v55
	v_add_co_ci_u32_e64 v56, null, v49, v56, vcc_lo
	s_clause 0x1
	global_load_dword v57, v[55:56], off
	global_load_dword v63, v[48:49], off offset:12
	s_waitcnt vmcnt(1)
	global_store_dword v[48:49], v57, off offset:12
	s_waitcnt vmcnt(0)
	global_store_dword v[55:56], v63, off
.LBB46_57:
	s_or_b32 exec_lo, exec_lo, s3
	v_mov_b32_e32 v57, v54
	v_mov_b32_e32 v63, v54
.LBB46_58:
	s_or_b32 exec_lo, exec_lo, s1
.LBB46_59:
	s_andn2_saveexec_b32 s0, s0
	s_cbranch_execz .LBB46_61
; %bb.60:
	v_mov_b32_e32 v54, v32
	v_mov_b32_e32 v55, v33
	v_mov_b32_e32 v63, v28
	v_mov_b32_e32 v64, v29
	v_mov_b32_e32 v65, v30
	v_mov_b32_e32 v66, v31
	v_mov_b32_e32 v67, v26
	v_mov_b32_e32 v68, v27
	ds_write2_b64 v60, v[54:55], v[63:64] offset0:4 offset1:5
	v_mov_b32_e32 v54, v4
	v_mov_b32_e32 v55, v5
	;; [unrolled: 1-line block ×16, first 2 shown]
	ds_write2_b64 v60, v[65:66], v[54:55] offset0:6 offset1:7
	ds_write2_b64 v60, v[63:64], v[67:68] offset0:8 offset1:9
	;; [unrolled: 1-line block ×5, first 2 shown]
	v_mov_b32_e32 v54, v50
	v_mov_b32_e32 v55, v51
	;; [unrolled: 1-line block ×15, first 2 shown]
	ds_write2_b64 v60, v[54:55], v[64:65] offset0:16 offset1:17
	ds_write2_b64 v60, v[66:67], v[68:69] offset0:18 offset1:19
	;; [unrolled: 1-line block ×4, first 2 shown]
.LBB46_61:
	s_or_b32 exec_lo, exec_lo, s0
	s_mov_b32 s0, exec_lo
	s_waitcnt lgkmcnt(0)
	s_waitcnt_vscnt null, 0x0
	s_barrier
	buffer_gl0_inv
	v_cmpx_lt_i32_e32 3, v63
	s_cbranch_execz .LBB46_63
; %bb.62:
	v_mul_f64 v[20:21], v[0:1], v[20:21]
	ds_read2_b64 v[64:67], v60 offset0:4 offset1:5
	ds_read2_b64 v[68:71], v60 offset0:6 offset1:7
	;; [unrolled: 1-line block ×10, first 2 shown]
	s_waitcnt lgkmcnt(9)
	v_fma_f64 v[32:33], -v[20:21], v[64:65], v[32:33]
	v_fma_f64 v[28:29], -v[20:21], v[66:67], v[28:29]
	s_waitcnt lgkmcnt(8)
	v_fma_f64 v[30:31], -v[20:21], v[68:69], v[30:31]
	v_fma_f64 v[4:5], -v[20:21], v[70:71], v[4:5]
	;; [unrolled: 3-line block ×10, first 2 shown]
.LBB46_63:
	s_or_b32 exec_lo, exec_lo, s0
	v_lshl_add_u32 v0, v63, 3, v60
	s_barrier
	buffer_gl0_inv
	v_mov_b32_e32 v54, 4
	ds_write_b64 v0, v[32:33]
	s_waitcnt lgkmcnt(0)
	s_barrier
	buffer_gl0_inv
	ds_read_b64 v[0:1], v60 offset:32
	s_cmp_lt_i32 s2, 6
	s_cbranch_scc1 .LBB46_66
; %bb.64:
	v_add3_u32 v55, v61, 0, 40
	v_mov_b32_e32 v54, 4
	s_mov_b32 s0, 5
.LBB46_65:                              ; =>This Inner Loop Header: Depth=1
	ds_read_b64 v[64:65], v55
	v_add_nc_u32_e32 v55, 8, v55
	s_waitcnt lgkmcnt(0)
	v_cmp_lt_f64_e64 vcc_lo, |v[0:1]|, |v[64:65]|
	v_cndmask_b32_e32 v1, v1, v65, vcc_lo
	v_cndmask_b32_e32 v0, v0, v64, vcc_lo
	v_cndmask_b32_e64 v54, v54, s0, vcc_lo
	s_add_i32 s0, s0, 1
	s_cmp_lg_u32 s2, s0
	s_cbranch_scc1 .LBB46_65
.LBB46_66:
	s_mov_b32 s0, exec_lo
	s_waitcnt lgkmcnt(0)
	v_cmpx_eq_f64_e32 0, v[0:1]
	s_xor_b32 s0, exec_lo, s0
; %bb.67:
	v_cmp_ne_u32_e32 vcc_lo, 0, v62
	v_cndmask_b32_e32 v62, 5, v62, vcc_lo
; %bb.68:
	s_andn2_saveexec_b32 s0, s0
	s_cbranch_execz .LBB46_70
; %bb.69:
	v_div_scale_f64 v[55:56], null, v[0:1], v[0:1], 1.0
	v_rcp_f64_e32 v[64:65], v[55:56]
	v_fma_f64 v[66:67], -v[55:56], v[64:65], 1.0
	v_fma_f64 v[64:65], v[64:65], v[66:67], v[64:65]
	v_fma_f64 v[66:67], -v[55:56], v[64:65], 1.0
	v_fma_f64 v[64:65], v[64:65], v[66:67], v[64:65]
	v_div_scale_f64 v[66:67], vcc_lo, 1.0, v[0:1], 1.0
	v_mul_f64 v[68:69], v[66:67], v[64:65]
	v_fma_f64 v[55:56], -v[55:56], v[68:69], v[66:67]
	v_div_fmas_f64 v[55:56], v[55:56], v[64:65], v[68:69]
	v_div_fixup_f64 v[0:1], v[55:56], v[0:1], 1.0
.LBB46_70:
	s_or_b32 exec_lo, exec_lo, s0
	s_mov_b32 s0, exec_lo
	v_cmpx_ne_u32_e64 v63, v54
	s_xor_b32 s0, exec_lo, s0
	s_cbranch_execz .LBB46_76
; %bb.71:
	s_mov_b32 s1, exec_lo
	v_cmpx_eq_u32_e32 4, v63
	s_cbranch_execz .LBB46_75
; %bb.72:
	v_cmp_ne_u32_e32 vcc_lo, 4, v54
	s_xor_b32 s3, s6, -1
	s_and_b32 s7, s3, vcc_lo
	s_and_saveexec_b32 s3, s7
	s_cbranch_execz .LBB46_74
; %bb.73:
	v_ashrrev_i32_e32 v55, 31, v54
	v_lshlrev_b64 v[55:56], 2, v[54:55]
	v_add_co_u32 v55, vcc_lo, v48, v55
	v_add_co_ci_u32_e64 v56, null, v49, v56, vcc_lo
	s_clause 0x1
	global_load_dword v57, v[55:56], off
	global_load_dword v63, v[48:49], off offset:16
	s_waitcnt vmcnt(1)
	global_store_dword v[48:49], v57, off offset:16
	s_waitcnt vmcnt(0)
	global_store_dword v[55:56], v63, off
.LBB46_74:
	s_or_b32 exec_lo, exec_lo, s3
	v_mov_b32_e32 v57, v54
	v_mov_b32_e32 v63, v54
.LBB46_75:
	s_or_b32 exec_lo, exec_lo, s1
.LBB46_76:
	s_andn2_saveexec_b32 s0, s0
	s_cbranch_execz .LBB46_78
; %bb.77:
	v_mov_b32_e32 v63, 4
	ds_write2_b64 v60, v[28:29], v[30:31] offset0:5 offset1:6
	ds_write2_b64 v60, v[4:5], v[42:43] offset0:7 offset1:8
	;; [unrolled: 1-line block ×9, first 2 shown]
	ds_write_b64 v60, v[52:53] offset:184
.LBB46_78:
	s_or_b32 exec_lo, exec_lo, s0
	s_mov_b32 s0, exec_lo
	s_waitcnt lgkmcnt(0)
	s_waitcnt_vscnt null, 0x0
	s_barrier
	buffer_gl0_inv
	v_cmpx_lt_i32_e32 4, v63
	s_cbranch_execz .LBB46_80
; %bb.79:
	v_mul_f64 v[32:33], v[0:1], v[32:33]
	ds_read2_b64 v[64:67], v60 offset0:5 offset1:6
	ds_read2_b64 v[68:71], v60 offset0:7 offset1:8
	ds_read2_b64 v[72:75], v60 offset0:9 offset1:10
	ds_read2_b64 v[76:79], v60 offset0:11 offset1:12
	ds_read2_b64 v[80:83], v60 offset0:13 offset1:14
	ds_read2_b64 v[84:87], v60 offset0:15 offset1:16
	ds_read2_b64 v[88:91], v60 offset0:17 offset1:18
	ds_read2_b64 v[92:95], v60 offset0:19 offset1:20
	ds_read2_b64 v[96:99], v60 offset0:21 offset1:22
	ds_read_b64 v[0:1], v60 offset:184
	s_waitcnt lgkmcnt(9)
	v_fma_f64 v[28:29], -v[32:33], v[64:65], v[28:29]
	v_fma_f64 v[30:31], -v[32:33], v[66:67], v[30:31]
	s_waitcnt lgkmcnt(8)
	v_fma_f64 v[4:5], -v[32:33], v[68:69], v[4:5]
	v_fma_f64 v[42:43], -v[32:33], v[70:71], v[42:43]
	;; [unrolled: 3-line block ×9, first 2 shown]
	s_waitcnt lgkmcnt(0)
	v_fma_f64 v[52:53], -v[32:33], v[0:1], v[52:53]
.LBB46_80:
	s_or_b32 exec_lo, exec_lo, s0
	v_lshl_add_u32 v0, v63, 3, v60
	s_barrier
	buffer_gl0_inv
	v_mov_b32_e32 v54, 5
	ds_write_b64 v0, v[28:29]
	s_waitcnt lgkmcnt(0)
	s_barrier
	buffer_gl0_inv
	ds_read_b64 v[0:1], v60 offset:40
	s_cmp_lt_i32 s2, 7
	s_cbranch_scc1 .LBB46_83
; %bb.81:
	v_add3_u32 v55, v61, 0, 48
	v_mov_b32_e32 v54, 5
	s_mov_b32 s0, 6
.LBB46_82:                              ; =>This Inner Loop Header: Depth=1
	ds_read_b64 v[64:65], v55
	v_add_nc_u32_e32 v55, 8, v55
	s_waitcnt lgkmcnt(0)
	v_cmp_lt_f64_e64 vcc_lo, |v[0:1]|, |v[64:65]|
	v_cndmask_b32_e32 v1, v1, v65, vcc_lo
	v_cndmask_b32_e32 v0, v0, v64, vcc_lo
	v_cndmask_b32_e64 v54, v54, s0, vcc_lo
	s_add_i32 s0, s0, 1
	s_cmp_lg_u32 s2, s0
	s_cbranch_scc1 .LBB46_82
.LBB46_83:
	s_mov_b32 s0, exec_lo
	s_waitcnt lgkmcnt(0)
	v_cmpx_eq_f64_e32 0, v[0:1]
	s_xor_b32 s0, exec_lo, s0
; %bb.84:
	v_cmp_ne_u32_e32 vcc_lo, 0, v62
	v_cndmask_b32_e32 v62, 6, v62, vcc_lo
; %bb.85:
	s_andn2_saveexec_b32 s0, s0
	s_cbranch_execz .LBB46_87
; %bb.86:
	v_div_scale_f64 v[55:56], null, v[0:1], v[0:1], 1.0
	v_rcp_f64_e32 v[64:65], v[55:56]
	v_fma_f64 v[66:67], -v[55:56], v[64:65], 1.0
	v_fma_f64 v[64:65], v[64:65], v[66:67], v[64:65]
	v_fma_f64 v[66:67], -v[55:56], v[64:65], 1.0
	v_fma_f64 v[64:65], v[64:65], v[66:67], v[64:65]
	v_div_scale_f64 v[66:67], vcc_lo, 1.0, v[0:1], 1.0
	v_mul_f64 v[68:69], v[66:67], v[64:65]
	v_fma_f64 v[55:56], -v[55:56], v[68:69], v[66:67]
	v_div_fmas_f64 v[55:56], v[55:56], v[64:65], v[68:69]
	v_div_fixup_f64 v[0:1], v[55:56], v[0:1], 1.0
.LBB46_87:
	s_or_b32 exec_lo, exec_lo, s0
	s_mov_b32 s0, exec_lo
	v_cmpx_ne_u32_e64 v63, v54
	s_xor_b32 s0, exec_lo, s0
	s_cbranch_execz .LBB46_93
; %bb.88:
	s_mov_b32 s1, exec_lo
	v_cmpx_eq_u32_e32 5, v63
	s_cbranch_execz .LBB46_92
; %bb.89:
	v_cmp_ne_u32_e32 vcc_lo, 5, v54
	s_xor_b32 s3, s6, -1
	s_and_b32 s7, s3, vcc_lo
	s_and_saveexec_b32 s3, s7
	s_cbranch_execz .LBB46_91
; %bb.90:
	v_ashrrev_i32_e32 v55, 31, v54
	v_lshlrev_b64 v[55:56], 2, v[54:55]
	v_add_co_u32 v55, vcc_lo, v48, v55
	v_add_co_ci_u32_e64 v56, null, v49, v56, vcc_lo
	s_clause 0x1
	global_load_dword v57, v[55:56], off
	global_load_dword v63, v[48:49], off offset:20
	s_waitcnt vmcnt(1)
	global_store_dword v[48:49], v57, off offset:20
	s_waitcnt vmcnt(0)
	global_store_dword v[55:56], v63, off
.LBB46_91:
	s_or_b32 exec_lo, exec_lo, s3
	v_mov_b32_e32 v57, v54
	v_mov_b32_e32 v63, v54
.LBB46_92:
	s_or_b32 exec_lo, exec_lo, s1
.LBB46_93:
	s_andn2_saveexec_b32 s0, s0
	s_cbranch_execz .LBB46_95
; %bb.94:
	v_mov_b32_e32 v54, v30
	v_mov_b32_e32 v55, v31
	v_mov_b32_e32 v63, v4
	v_mov_b32_e32 v64, v5
	v_mov_b32_e32 v65, v42
	v_mov_b32_e32 v66, v43
	v_mov_b32_e32 v67, v26
	v_mov_b32_e32 v68, v27
	v_mov_b32_e32 v69, v22
	v_mov_b32_e32 v70, v23
	v_mov_b32_e32 v71, v18
	v_mov_b32_e32 v72, v19
	v_mov_b32_e32 v73, v36
	v_mov_b32_e32 v74, v37
	v_mov_b32_e32 v75, v34
	v_mov_b32_e32 v76, v35
	v_mov_b32_e32 v77, v8
	v_mov_b32_e32 v78, v9
	v_mov_b32_e32 v79, v6
	v_mov_b32_e32 v80, v7
	ds_write2_b64 v60, v[54:55], v[63:64] offset0:6 offset1:7
	ds_write2_b64 v60, v[65:66], v[67:68] offset0:8 offset1:9
	;; [unrolled: 1-line block ×5, first 2 shown]
	v_mov_b32_e32 v54, v50
	v_mov_b32_e32 v55, v51
	v_mov_b32_e32 v64, v46
	v_mov_b32_e32 v65, v47
	v_mov_b32_e32 v63, 5
	v_mov_b32_e32 v66, v44
	v_mov_b32_e32 v67, v45
	v_mov_b32_e32 v68, v12
	v_mov_b32_e32 v69, v13
	v_mov_b32_e32 v70, v16
	v_mov_b32_e32 v71, v17
	v_mov_b32_e32 v72, v10
	v_mov_b32_e32 v73, v11
	v_mov_b32_e32 v74, v14
	v_mov_b32_e32 v75, v15
	ds_write2_b64 v60, v[54:55], v[64:65] offset0:16 offset1:17
	ds_write2_b64 v60, v[66:67], v[68:69] offset0:18 offset1:19
	;; [unrolled: 1-line block ×4, first 2 shown]
.LBB46_95:
	s_or_b32 exec_lo, exec_lo, s0
	s_mov_b32 s0, exec_lo
	s_waitcnt lgkmcnt(0)
	s_waitcnt_vscnt null, 0x0
	s_barrier
	buffer_gl0_inv
	v_cmpx_lt_i32_e32 5, v63
	s_cbranch_execz .LBB46_97
; %bb.96:
	v_mul_f64 v[28:29], v[0:1], v[28:29]
	ds_read2_b64 v[64:67], v60 offset0:6 offset1:7
	ds_read2_b64 v[68:71], v60 offset0:8 offset1:9
	;; [unrolled: 1-line block ×9, first 2 shown]
	s_waitcnt lgkmcnt(8)
	v_fma_f64 v[30:31], -v[28:29], v[64:65], v[30:31]
	v_fma_f64 v[4:5], -v[28:29], v[66:67], v[4:5]
	s_waitcnt lgkmcnt(7)
	v_fma_f64 v[42:43], -v[28:29], v[68:69], v[42:43]
	v_fma_f64 v[26:27], -v[28:29], v[70:71], v[26:27]
	;; [unrolled: 3-line block ×9, first 2 shown]
.LBB46_97:
	s_or_b32 exec_lo, exec_lo, s0
	v_lshl_add_u32 v0, v63, 3, v60
	s_barrier
	buffer_gl0_inv
	v_mov_b32_e32 v54, 6
	ds_write_b64 v0, v[30:31]
	s_waitcnt lgkmcnt(0)
	s_barrier
	buffer_gl0_inv
	ds_read_b64 v[0:1], v60 offset:48
	s_cmp_lt_i32 s2, 8
	s_cbranch_scc1 .LBB46_100
; %bb.98:
	v_add3_u32 v55, v61, 0, 56
	v_mov_b32_e32 v54, 6
	s_mov_b32 s0, 7
.LBB46_99:                              ; =>This Inner Loop Header: Depth=1
	ds_read_b64 v[64:65], v55
	v_add_nc_u32_e32 v55, 8, v55
	s_waitcnt lgkmcnt(0)
	v_cmp_lt_f64_e64 vcc_lo, |v[0:1]|, |v[64:65]|
	v_cndmask_b32_e32 v1, v1, v65, vcc_lo
	v_cndmask_b32_e32 v0, v0, v64, vcc_lo
	v_cndmask_b32_e64 v54, v54, s0, vcc_lo
	s_add_i32 s0, s0, 1
	s_cmp_lg_u32 s2, s0
	s_cbranch_scc1 .LBB46_99
.LBB46_100:
	s_mov_b32 s0, exec_lo
	s_waitcnt lgkmcnt(0)
	v_cmpx_eq_f64_e32 0, v[0:1]
	s_xor_b32 s0, exec_lo, s0
; %bb.101:
	v_cmp_ne_u32_e32 vcc_lo, 0, v62
	v_cndmask_b32_e32 v62, 7, v62, vcc_lo
; %bb.102:
	s_andn2_saveexec_b32 s0, s0
	s_cbranch_execz .LBB46_104
; %bb.103:
	v_div_scale_f64 v[55:56], null, v[0:1], v[0:1], 1.0
	v_rcp_f64_e32 v[64:65], v[55:56]
	v_fma_f64 v[66:67], -v[55:56], v[64:65], 1.0
	v_fma_f64 v[64:65], v[64:65], v[66:67], v[64:65]
	v_fma_f64 v[66:67], -v[55:56], v[64:65], 1.0
	v_fma_f64 v[64:65], v[64:65], v[66:67], v[64:65]
	v_div_scale_f64 v[66:67], vcc_lo, 1.0, v[0:1], 1.0
	v_mul_f64 v[68:69], v[66:67], v[64:65]
	v_fma_f64 v[55:56], -v[55:56], v[68:69], v[66:67]
	v_div_fmas_f64 v[55:56], v[55:56], v[64:65], v[68:69]
	v_div_fixup_f64 v[0:1], v[55:56], v[0:1], 1.0
.LBB46_104:
	s_or_b32 exec_lo, exec_lo, s0
	s_mov_b32 s0, exec_lo
	v_cmpx_ne_u32_e64 v63, v54
	s_xor_b32 s0, exec_lo, s0
	s_cbranch_execz .LBB46_110
; %bb.105:
	s_mov_b32 s1, exec_lo
	v_cmpx_eq_u32_e32 6, v63
	s_cbranch_execz .LBB46_109
; %bb.106:
	v_cmp_ne_u32_e32 vcc_lo, 6, v54
	s_xor_b32 s3, s6, -1
	s_and_b32 s7, s3, vcc_lo
	s_and_saveexec_b32 s3, s7
	s_cbranch_execz .LBB46_108
; %bb.107:
	v_ashrrev_i32_e32 v55, 31, v54
	v_lshlrev_b64 v[55:56], 2, v[54:55]
	v_add_co_u32 v55, vcc_lo, v48, v55
	v_add_co_ci_u32_e64 v56, null, v49, v56, vcc_lo
	s_clause 0x1
	global_load_dword v57, v[55:56], off
	global_load_dword v63, v[48:49], off offset:24
	s_waitcnt vmcnt(1)
	global_store_dword v[48:49], v57, off offset:24
	s_waitcnt vmcnt(0)
	global_store_dword v[55:56], v63, off
.LBB46_108:
	s_or_b32 exec_lo, exec_lo, s3
	v_mov_b32_e32 v57, v54
	v_mov_b32_e32 v63, v54
.LBB46_109:
	s_or_b32 exec_lo, exec_lo, s1
.LBB46_110:
	s_andn2_saveexec_b32 s0, s0
	s_cbranch_execz .LBB46_112
; %bb.111:
	v_mov_b32_e32 v63, 6
	ds_write2_b64 v60, v[4:5], v[42:43] offset0:7 offset1:8
	ds_write2_b64 v60, v[26:27], v[22:23] offset0:9 offset1:10
	;; [unrolled: 1-line block ×8, first 2 shown]
	ds_write_b64 v60, v[52:53] offset:184
.LBB46_112:
	s_or_b32 exec_lo, exec_lo, s0
	s_mov_b32 s0, exec_lo
	s_waitcnt lgkmcnt(0)
	s_waitcnt_vscnt null, 0x0
	s_barrier
	buffer_gl0_inv
	v_cmpx_lt_i32_e32 6, v63
	s_cbranch_execz .LBB46_114
; %bb.113:
	v_mul_f64 v[30:31], v[0:1], v[30:31]
	ds_read2_b64 v[64:67], v60 offset0:7 offset1:8
	ds_read2_b64 v[68:71], v60 offset0:9 offset1:10
	;; [unrolled: 1-line block ×8, first 2 shown]
	ds_read_b64 v[0:1], v60 offset:184
	s_waitcnt lgkmcnt(8)
	v_fma_f64 v[4:5], -v[30:31], v[64:65], v[4:5]
	v_fma_f64 v[42:43], -v[30:31], v[66:67], v[42:43]
	s_waitcnt lgkmcnt(7)
	v_fma_f64 v[26:27], -v[30:31], v[68:69], v[26:27]
	v_fma_f64 v[22:23], -v[30:31], v[70:71], v[22:23]
	;; [unrolled: 3-line block ×8, first 2 shown]
	s_waitcnt lgkmcnt(0)
	v_fma_f64 v[52:53], -v[30:31], v[0:1], v[52:53]
.LBB46_114:
	s_or_b32 exec_lo, exec_lo, s0
	v_lshl_add_u32 v0, v63, 3, v60
	s_barrier
	buffer_gl0_inv
	v_mov_b32_e32 v54, 7
	ds_write_b64 v0, v[4:5]
	s_waitcnt lgkmcnt(0)
	s_barrier
	buffer_gl0_inv
	ds_read_b64 v[0:1], v60 offset:56
	s_cmp_lt_i32 s2, 9
	s_cbranch_scc1 .LBB46_117
; %bb.115:
	v_add3_u32 v55, v61, 0, 64
	v_mov_b32_e32 v54, 7
	s_mov_b32 s0, 8
.LBB46_116:                             ; =>This Inner Loop Header: Depth=1
	ds_read_b64 v[64:65], v55
	v_add_nc_u32_e32 v55, 8, v55
	s_waitcnt lgkmcnt(0)
	v_cmp_lt_f64_e64 vcc_lo, |v[0:1]|, |v[64:65]|
	v_cndmask_b32_e32 v1, v1, v65, vcc_lo
	v_cndmask_b32_e32 v0, v0, v64, vcc_lo
	v_cndmask_b32_e64 v54, v54, s0, vcc_lo
	s_add_i32 s0, s0, 1
	s_cmp_lg_u32 s2, s0
	s_cbranch_scc1 .LBB46_116
.LBB46_117:
	s_mov_b32 s0, exec_lo
	s_waitcnt lgkmcnt(0)
	v_cmpx_eq_f64_e32 0, v[0:1]
	s_xor_b32 s0, exec_lo, s0
; %bb.118:
	v_cmp_ne_u32_e32 vcc_lo, 0, v62
	v_cndmask_b32_e32 v62, 8, v62, vcc_lo
; %bb.119:
	s_andn2_saveexec_b32 s0, s0
	s_cbranch_execz .LBB46_121
; %bb.120:
	v_div_scale_f64 v[55:56], null, v[0:1], v[0:1], 1.0
	v_rcp_f64_e32 v[64:65], v[55:56]
	v_fma_f64 v[66:67], -v[55:56], v[64:65], 1.0
	v_fma_f64 v[64:65], v[64:65], v[66:67], v[64:65]
	v_fma_f64 v[66:67], -v[55:56], v[64:65], 1.0
	v_fma_f64 v[64:65], v[64:65], v[66:67], v[64:65]
	v_div_scale_f64 v[66:67], vcc_lo, 1.0, v[0:1], 1.0
	v_mul_f64 v[68:69], v[66:67], v[64:65]
	v_fma_f64 v[55:56], -v[55:56], v[68:69], v[66:67]
	v_div_fmas_f64 v[55:56], v[55:56], v[64:65], v[68:69]
	v_div_fixup_f64 v[0:1], v[55:56], v[0:1], 1.0
.LBB46_121:
	s_or_b32 exec_lo, exec_lo, s0
	s_mov_b32 s0, exec_lo
	v_cmpx_ne_u32_e64 v63, v54
	s_xor_b32 s0, exec_lo, s0
	s_cbranch_execz .LBB46_127
; %bb.122:
	s_mov_b32 s1, exec_lo
	v_cmpx_eq_u32_e32 7, v63
	s_cbranch_execz .LBB46_126
; %bb.123:
	v_cmp_ne_u32_e32 vcc_lo, 7, v54
	s_xor_b32 s3, s6, -1
	s_and_b32 s7, s3, vcc_lo
	s_and_saveexec_b32 s3, s7
	s_cbranch_execz .LBB46_125
; %bb.124:
	v_ashrrev_i32_e32 v55, 31, v54
	v_lshlrev_b64 v[55:56], 2, v[54:55]
	v_add_co_u32 v55, vcc_lo, v48, v55
	v_add_co_ci_u32_e64 v56, null, v49, v56, vcc_lo
	s_clause 0x1
	global_load_dword v57, v[55:56], off
	global_load_dword v63, v[48:49], off offset:28
	s_waitcnt vmcnt(1)
	global_store_dword v[48:49], v57, off offset:28
	s_waitcnt vmcnt(0)
	global_store_dword v[55:56], v63, off
.LBB46_125:
	s_or_b32 exec_lo, exec_lo, s3
	v_mov_b32_e32 v57, v54
	v_mov_b32_e32 v63, v54
.LBB46_126:
	s_or_b32 exec_lo, exec_lo, s1
.LBB46_127:
	s_andn2_saveexec_b32 s0, s0
	s_cbranch_execz .LBB46_129
; %bb.128:
	v_mov_b32_e32 v54, v42
	v_mov_b32_e32 v55, v43
	;; [unrolled: 1-line block ×16, first 2 shown]
	ds_write2_b64 v60, v[54:55], v[63:64] offset0:8 offset1:9
	ds_write2_b64 v60, v[65:66], v[67:68] offset0:10 offset1:11
	;; [unrolled: 1-line block ×4, first 2 shown]
	v_mov_b32_e32 v54, v50
	v_mov_b32_e32 v55, v51
	;; [unrolled: 1-line block ×15, first 2 shown]
	ds_write2_b64 v60, v[54:55], v[64:65] offset0:16 offset1:17
	ds_write2_b64 v60, v[66:67], v[68:69] offset0:18 offset1:19
	;; [unrolled: 1-line block ×4, first 2 shown]
.LBB46_129:
	s_or_b32 exec_lo, exec_lo, s0
	s_mov_b32 s0, exec_lo
	s_waitcnt lgkmcnt(0)
	s_waitcnt_vscnt null, 0x0
	s_barrier
	buffer_gl0_inv
	v_cmpx_lt_i32_e32 7, v63
	s_cbranch_execz .LBB46_131
; %bb.130:
	v_mul_f64 v[4:5], v[0:1], v[4:5]
	ds_read2_b64 v[64:67], v60 offset0:8 offset1:9
	ds_read2_b64 v[68:71], v60 offset0:10 offset1:11
	;; [unrolled: 1-line block ×8, first 2 shown]
	s_waitcnt lgkmcnt(7)
	v_fma_f64 v[42:43], -v[4:5], v[64:65], v[42:43]
	v_fma_f64 v[26:27], -v[4:5], v[66:67], v[26:27]
	s_waitcnt lgkmcnt(6)
	v_fma_f64 v[22:23], -v[4:5], v[68:69], v[22:23]
	v_fma_f64 v[18:19], -v[4:5], v[70:71], v[18:19]
	;; [unrolled: 3-line block ×8, first 2 shown]
.LBB46_131:
	s_or_b32 exec_lo, exec_lo, s0
	v_lshl_add_u32 v0, v63, 3, v60
	s_barrier
	buffer_gl0_inv
	v_mov_b32_e32 v54, 8
	ds_write_b64 v0, v[42:43]
	s_waitcnt lgkmcnt(0)
	s_barrier
	buffer_gl0_inv
	ds_read_b64 v[0:1], v60 offset:64
	s_cmp_lt_i32 s2, 10
	s_cbranch_scc1 .LBB46_134
; %bb.132:
	v_add3_u32 v55, v61, 0, 0x48
	v_mov_b32_e32 v54, 8
	s_mov_b32 s0, 9
.LBB46_133:                             ; =>This Inner Loop Header: Depth=1
	ds_read_b64 v[64:65], v55
	v_add_nc_u32_e32 v55, 8, v55
	s_waitcnt lgkmcnt(0)
	v_cmp_lt_f64_e64 vcc_lo, |v[0:1]|, |v[64:65]|
	v_cndmask_b32_e32 v1, v1, v65, vcc_lo
	v_cndmask_b32_e32 v0, v0, v64, vcc_lo
	v_cndmask_b32_e64 v54, v54, s0, vcc_lo
	s_add_i32 s0, s0, 1
	s_cmp_lg_u32 s2, s0
	s_cbranch_scc1 .LBB46_133
.LBB46_134:
	s_mov_b32 s0, exec_lo
	s_waitcnt lgkmcnt(0)
	v_cmpx_eq_f64_e32 0, v[0:1]
	s_xor_b32 s0, exec_lo, s0
; %bb.135:
	v_cmp_ne_u32_e32 vcc_lo, 0, v62
	v_cndmask_b32_e32 v62, 9, v62, vcc_lo
; %bb.136:
	s_andn2_saveexec_b32 s0, s0
	s_cbranch_execz .LBB46_138
; %bb.137:
	v_div_scale_f64 v[55:56], null, v[0:1], v[0:1], 1.0
	v_rcp_f64_e32 v[64:65], v[55:56]
	v_fma_f64 v[66:67], -v[55:56], v[64:65], 1.0
	v_fma_f64 v[64:65], v[64:65], v[66:67], v[64:65]
	v_fma_f64 v[66:67], -v[55:56], v[64:65], 1.0
	v_fma_f64 v[64:65], v[64:65], v[66:67], v[64:65]
	v_div_scale_f64 v[66:67], vcc_lo, 1.0, v[0:1], 1.0
	v_mul_f64 v[68:69], v[66:67], v[64:65]
	v_fma_f64 v[55:56], -v[55:56], v[68:69], v[66:67]
	v_div_fmas_f64 v[55:56], v[55:56], v[64:65], v[68:69]
	v_div_fixup_f64 v[0:1], v[55:56], v[0:1], 1.0
.LBB46_138:
	s_or_b32 exec_lo, exec_lo, s0
	s_mov_b32 s0, exec_lo
	v_cmpx_ne_u32_e64 v63, v54
	s_xor_b32 s0, exec_lo, s0
	s_cbranch_execz .LBB46_144
; %bb.139:
	s_mov_b32 s1, exec_lo
	v_cmpx_eq_u32_e32 8, v63
	s_cbranch_execz .LBB46_143
; %bb.140:
	v_cmp_ne_u32_e32 vcc_lo, 8, v54
	s_xor_b32 s3, s6, -1
	s_and_b32 s7, s3, vcc_lo
	s_and_saveexec_b32 s3, s7
	s_cbranch_execz .LBB46_142
; %bb.141:
	v_ashrrev_i32_e32 v55, 31, v54
	v_lshlrev_b64 v[55:56], 2, v[54:55]
	v_add_co_u32 v55, vcc_lo, v48, v55
	v_add_co_ci_u32_e64 v56, null, v49, v56, vcc_lo
	s_clause 0x1
	global_load_dword v57, v[55:56], off
	global_load_dword v63, v[48:49], off offset:32
	s_waitcnt vmcnt(1)
	global_store_dword v[48:49], v57, off offset:32
	s_waitcnt vmcnt(0)
	global_store_dword v[55:56], v63, off
.LBB46_142:
	s_or_b32 exec_lo, exec_lo, s3
	v_mov_b32_e32 v57, v54
	v_mov_b32_e32 v63, v54
.LBB46_143:
	s_or_b32 exec_lo, exec_lo, s1
.LBB46_144:
	s_andn2_saveexec_b32 s0, s0
	s_cbranch_execz .LBB46_146
; %bb.145:
	v_mov_b32_e32 v63, 8
	ds_write2_b64 v60, v[26:27], v[22:23] offset0:9 offset1:10
	ds_write2_b64 v60, v[18:19], v[36:37] offset0:11 offset1:12
	;; [unrolled: 1-line block ×7, first 2 shown]
	ds_write_b64 v60, v[52:53] offset:184
.LBB46_146:
	s_or_b32 exec_lo, exec_lo, s0
	s_mov_b32 s0, exec_lo
	s_waitcnt lgkmcnt(0)
	s_waitcnt_vscnt null, 0x0
	s_barrier
	buffer_gl0_inv
	v_cmpx_lt_i32_e32 8, v63
	s_cbranch_execz .LBB46_148
; %bb.147:
	v_mul_f64 v[42:43], v[0:1], v[42:43]
	ds_read2_b64 v[64:67], v60 offset0:9 offset1:10
	ds_read2_b64 v[68:71], v60 offset0:11 offset1:12
	;; [unrolled: 1-line block ×7, first 2 shown]
	ds_read_b64 v[0:1], v60 offset:184
	s_waitcnt lgkmcnt(7)
	v_fma_f64 v[26:27], -v[42:43], v[64:65], v[26:27]
	v_fma_f64 v[22:23], -v[42:43], v[66:67], v[22:23]
	s_waitcnt lgkmcnt(6)
	v_fma_f64 v[18:19], -v[42:43], v[68:69], v[18:19]
	v_fma_f64 v[36:37], -v[42:43], v[70:71], v[36:37]
	s_waitcnt lgkmcnt(5)
	v_fma_f64 v[34:35], -v[42:43], v[72:73], v[34:35]
	v_fma_f64 v[8:9], -v[42:43], v[74:75], v[8:9]
	s_waitcnt lgkmcnt(4)
	v_fma_f64 v[6:7], -v[42:43], v[76:77], v[6:7]
	v_fma_f64 v[50:51], -v[42:43], v[78:79], v[50:51]
	s_waitcnt lgkmcnt(3)
	v_fma_f64 v[46:47], -v[42:43], v[80:81], v[46:47]
	v_fma_f64 v[44:45], -v[42:43], v[82:83], v[44:45]
	s_waitcnt lgkmcnt(2)
	v_fma_f64 v[12:13], -v[42:43], v[84:85], v[12:13]
	v_fma_f64 v[16:17], -v[42:43], v[86:87], v[16:17]
	s_waitcnt lgkmcnt(1)
	v_fma_f64 v[10:11], -v[42:43], v[88:89], v[10:11]
	v_fma_f64 v[14:15], -v[42:43], v[90:91], v[14:15]
	s_waitcnt lgkmcnt(0)
	v_fma_f64 v[52:53], -v[42:43], v[0:1], v[52:53]
.LBB46_148:
	s_or_b32 exec_lo, exec_lo, s0
	v_lshl_add_u32 v0, v63, 3, v60
	s_barrier
	buffer_gl0_inv
	v_mov_b32_e32 v54, 9
	ds_write_b64 v0, v[26:27]
	s_waitcnt lgkmcnt(0)
	s_barrier
	buffer_gl0_inv
	ds_read_b64 v[0:1], v60 offset:72
	s_cmp_lt_i32 s2, 11
	s_cbranch_scc1 .LBB46_151
; %bb.149:
	v_add3_u32 v55, v61, 0, 0x50
	v_mov_b32_e32 v54, 9
	s_mov_b32 s0, 10
.LBB46_150:                             ; =>This Inner Loop Header: Depth=1
	ds_read_b64 v[64:65], v55
	v_add_nc_u32_e32 v55, 8, v55
	s_waitcnt lgkmcnt(0)
	v_cmp_lt_f64_e64 vcc_lo, |v[0:1]|, |v[64:65]|
	v_cndmask_b32_e32 v1, v1, v65, vcc_lo
	v_cndmask_b32_e32 v0, v0, v64, vcc_lo
	v_cndmask_b32_e64 v54, v54, s0, vcc_lo
	s_add_i32 s0, s0, 1
	s_cmp_lg_u32 s2, s0
	s_cbranch_scc1 .LBB46_150
.LBB46_151:
	s_mov_b32 s0, exec_lo
	s_waitcnt lgkmcnt(0)
	v_cmpx_eq_f64_e32 0, v[0:1]
	s_xor_b32 s0, exec_lo, s0
; %bb.152:
	v_cmp_ne_u32_e32 vcc_lo, 0, v62
	v_cndmask_b32_e32 v62, 10, v62, vcc_lo
; %bb.153:
	s_andn2_saveexec_b32 s0, s0
	s_cbranch_execz .LBB46_155
; %bb.154:
	v_div_scale_f64 v[55:56], null, v[0:1], v[0:1], 1.0
	v_rcp_f64_e32 v[64:65], v[55:56]
	v_fma_f64 v[66:67], -v[55:56], v[64:65], 1.0
	v_fma_f64 v[64:65], v[64:65], v[66:67], v[64:65]
	v_fma_f64 v[66:67], -v[55:56], v[64:65], 1.0
	v_fma_f64 v[64:65], v[64:65], v[66:67], v[64:65]
	v_div_scale_f64 v[66:67], vcc_lo, 1.0, v[0:1], 1.0
	v_mul_f64 v[68:69], v[66:67], v[64:65]
	v_fma_f64 v[55:56], -v[55:56], v[68:69], v[66:67]
	v_div_fmas_f64 v[55:56], v[55:56], v[64:65], v[68:69]
	v_div_fixup_f64 v[0:1], v[55:56], v[0:1], 1.0
.LBB46_155:
	s_or_b32 exec_lo, exec_lo, s0
	s_mov_b32 s0, exec_lo
	v_cmpx_ne_u32_e64 v63, v54
	s_xor_b32 s0, exec_lo, s0
	s_cbranch_execz .LBB46_161
; %bb.156:
	s_mov_b32 s1, exec_lo
	v_cmpx_eq_u32_e32 9, v63
	s_cbranch_execz .LBB46_160
; %bb.157:
	v_cmp_ne_u32_e32 vcc_lo, 9, v54
	s_xor_b32 s3, s6, -1
	s_and_b32 s7, s3, vcc_lo
	s_and_saveexec_b32 s3, s7
	s_cbranch_execz .LBB46_159
; %bb.158:
	v_ashrrev_i32_e32 v55, 31, v54
	v_lshlrev_b64 v[55:56], 2, v[54:55]
	v_add_co_u32 v55, vcc_lo, v48, v55
	v_add_co_ci_u32_e64 v56, null, v49, v56, vcc_lo
	s_clause 0x1
	global_load_dword v57, v[55:56], off
	global_load_dword v63, v[48:49], off offset:36
	s_waitcnt vmcnt(1)
	global_store_dword v[48:49], v57, off offset:36
	s_waitcnt vmcnt(0)
	global_store_dword v[55:56], v63, off
.LBB46_159:
	s_or_b32 exec_lo, exec_lo, s3
	v_mov_b32_e32 v57, v54
	v_mov_b32_e32 v63, v54
.LBB46_160:
	s_or_b32 exec_lo, exec_lo, s1
.LBB46_161:
	s_andn2_saveexec_b32 s0, s0
	s_cbranch_execz .LBB46_163
; %bb.162:
	v_mov_b32_e32 v54, v22
	v_mov_b32_e32 v55, v23
	;; [unrolled: 1-line block ×12, first 2 shown]
	ds_write2_b64 v60, v[54:55], v[63:64] offset0:10 offset1:11
	ds_write2_b64 v60, v[65:66], v[67:68] offset0:12 offset1:13
	;; [unrolled: 1-line block ×3, first 2 shown]
	v_mov_b32_e32 v54, v50
	v_mov_b32_e32 v55, v51
	;; [unrolled: 1-line block ×15, first 2 shown]
	ds_write2_b64 v60, v[54:55], v[64:65] offset0:16 offset1:17
	ds_write2_b64 v60, v[66:67], v[68:69] offset0:18 offset1:19
	ds_write2_b64 v60, v[70:71], v[72:73] offset0:20 offset1:21
	ds_write2_b64 v60, v[74:75], v[52:53] offset0:22 offset1:23
.LBB46_163:
	s_or_b32 exec_lo, exec_lo, s0
	s_mov_b32 s0, exec_lo
	s_waitcnt lgkmcnt(0)
	s_waitcnt_vscnt null, 0x0
	s_barrier
	buffer_gl0_inv
	v_cmpx_lt_i32_e32 9, v63
	s_cbranch_execz .LBB46_165
; %bb.164:
	v_mul_f64 v[26:27], v[0:1], v[26:27]
	ds_read2_b64 v[64:67], v60 offset0:10 offset1:11
	ds_read2_b64 v[68:71], v60 offset0:12 offset1:13
	;; [unrolled: 1-line block ×7, first 2 shown]
	s_waitcnt lgkmcnt(6)
	v_fma_f64 v[22:23], -v[26:27], v[64:65], v[22:23]
	v_fma_f64 v[18:19], -v[26:27], v[66:67], v[18:19]
	s_waitcnt lgkmcnt(5)
	v_fma_f64 v[36:37], -v[26:27], v[68:69], v[36:37]
	v_fma_f64 v[34:35], -v[26:27], v[70:71], v[34:35]
	;; [unrolled: 3-line block ×7, first 2 shown]
.LBB46_165:
	s_or_b32 exec_lo, exec_lo, s0
	v_lshl_add_u32 v0, v63, 3, v60
	s_barrier
	buffer_gl0_inv
	v_mov_b32_e32 v54, 10
	ds_write_b64 v0, v[22:23]
	s_waitcnt lgkmcnt(0)
	s_barrier
	buffer_gl0_inv
	ds_read_b64 v[0:1], v60 offset:80
	s_cmp_lt_i32 s2, 12
	s_cbranch_scc1 .LBB46_168
; %bb.166:
	v_add3_u32 v55, v61, 0, 0x58
	v_mov_b32_e32 v54, 10
	s_mov_b32 s0, 11
.LBB46_167:                             ; =>This Inner Loop Header: Depth=1
	ds_read_b64 v[64:65], v55
	v_add_nc_u32_e32 v55, 8, v55
	s_waitcnt lgkmcnt(0)
	v_cmp_lt_f64_e64 vcc_lo, |v[0:1]|, |v[64:65]|
	v_cndmask_b32_e32 v1, v1, v65, vcc_lo
	v_cndmask_b32_e32 v0, v0, v64, vcc_lo
	v_cndmask_b32_e64 v54, v54, s0, vcc_lo
	s_add_i32 s0, s0, 1
	s_cmp_lg_u32 s2, s0
	s_cbranch_scc1 .LBB46_167
.LBB46_168:
	s_mov_b32 s0, exec_lo
	s_waitcnt lgkmcnt(0)
	v_cmpx_eq_f64_e32 0, v[0:1]
	s_xor_b32 s0, exec_lo, s0
; %bb.169:
	v_cmp_ne_u32_e32 vcc_lo, 0, v62
	v_cndmask_b32_e32 v62, 11, v62, vcc_lo
; %bb.170:
	s_andn2_saveexec_b32 s0, s0
	s_cbranch_execz .LBB46_172
; %bb.171:
	v_div_scale_f64 v[55:56], null, v[0:1], v[0:1], 1.0
	v_rcp_f64_e32 v[64:65], v[55:56]
	v_fma_f64 v[66:67], -v[55:56], v[64:65], 1.0
	v_fma_f64 v[64:65], v[64:65], v[66:67], v[64:65]
	v_fma_f64 v[66:67], -v[55:56], v[64:65], 1.0
	v_fma_f64 v[64:65], v[64:65], v[66:67], v[64:65]
	v_div_scale_f64 v[66:67], vcc_lo, 1.0, v[0:1], 1.0
	v_mul_f64 v[68:69], v[66:67], v[64:65]
	v_fma_f64 v[55:56], -v[55:56], v[68:69], v[66:67]
	v_div_fmas_f64 v[55:56], v[55:56], v[64:65], v[68:69]
	v_div_fixup_f64 v[0:1], v[55:56], v[0:1], 1.0
.LBB46_172:
	s_or_b32 exec_lo, exec_lo, s0
	s_mov_b32 s0, exec_lo
	v_cmpx_ne_u32_e64 v63, v54
	s_xor_b32 s0, exec_lo, s0
	s_cbranch_execz .LBB46_178
; %bb.173:
	s_mov_b32 s1, exec_lo
	v_cmpx_eq_u32_e32 10, v63
	s_cbranch_execz .LBB46_177
; %bb.174:
	v_cmp_ne_u32_e32 vcc_lo, 10, v54
	s_xor_b32 s3, s6, -1
	s_and_b32 s7, s3, vcc_lo
	s_and_saveexec_b32 s3, s7
	s_cbranch_execz .LBB46_176
; %bb.175:
	v_ashrrev_i32_e32 v55, 31, v54
	v_lshlrev_b64 v[55:56], 2, v[54:55]
	v_add_co_u32 v55, vcc_lo, v48, v55
	v_add_co_ci_u32_e64 v56, null, v49, v56, vcc_lo
	s_clause 0x1
	global_load_dword v57, v[55:56], off
	global_load_dword v63, v[48:49], off offset:40
	s_waitcnt vmcnt(1)
	global_store_dword v[48:49], v57, off offset:40
	s_waitcnt vmcnt(0)
	global_store_dword v[55:56], v63, off
.LBB46_176:
	s_or_b32 exec_lo, exec_lo, s3
	v_mov_b32_e32 v57, v54
	v_mov_b32_e32 v63, v54
.LBB46_177:
	s_or_b32 exec_lo, exec_lo, s1
.LBB46_178:
	s_andn2_saveexec_b32 s0, s0
	s_cbranch_execz .LBB46_180
; %bb.179:
	v_mov_b32_e32 v63, 10
	ds_write2_b64 v60, v[18:19], v[36:37] offset0:11 offset1:12
	ds_write2_b64 v60, v[34:35], v[8:9] offset0:13 offset1:14
	;; [unrolled: 1-line block ×6, first 2 shown]
	ds_write_b64 v60, v[52:53] offset:184
.LBB46_180:
	s_or_b32 exec_lo, exec_lo, s0
	s_mov_b32 s0, exec_lo
	s_waitcnt lgkmcnt(0)
	s_waitcnt_vscnt null, 0x0
	s_barrier
	buffer_gl0_inv
	v_cmpx_lt_i32_e32 10, v63
	s_cbranch_execz .LBB46_182
; %bb.181:
	v_mul_f64 v[22:23], v[0:1], v[22:23]
	ds_read2_b64 v[64:67], v60 offset0:11 offset1:12
	ds_read2_b64 v[68:71], v60 offset0:13 offset1:14
	ds_read2_b64 v[72:75], v60 offset0:15 offset1:16
	ds_read2_b64 v[76:79], v60 offset0:17 offset1:18
	ds_read2_b64 v[80:83], v60 offset0:19 offset1:20
	ds_read2_b64 v[84:87], v60 offset0:21 offset1:22
	ds_read_b64 v[0:1], v60 offset:184
	s_waitcnt lgkmcnt(6)
	v_fma_f64 v[18:19], -v[22:23], v[64:65], v[18:19]
	v_fma_f64 v[36:37], -v[22:23], v[66:67], v[36:37]
	s_waitcnt lgkmcnt(5)
	v_fma_f64 v[34:35], -v[22:23], v[68:69], v[34:35]
	v_fma_f64 v[8:9], -v[22:23], v[70:71], v[8:9]
	;; [unrolled: 3-line block ×6, first 2 shown]
	s_waitcnt lgkmcnt(0)
	v_fma_f64 v[52:53], -v[22:23], v[0:1], v[52:53]
.LBB46_182:
	s_or_b32 exec_lo, exec_lo, s0
	v_lshl_add_u32 v0, v63, 3, v60
	s_barrier
	buffer_gl0_inv
	v_mov_b32_e32 v54, 11
	ds_write_b64 v0, v[18:19]
	s_waitcnt lgkmcnt(0)
	s_barrier
	buffer_gl0_inv
	ds_read_b64 v[0:1], v60 offset:88
	s_cmp_lt_i32 s2, 13
	s_cbranch_scc1 .LBB46_185
; %bb.183:
	v_add3_u32 v55, v61, 0, 0x60
	v_mov_b32_e32 v54, 11
	s_mov_b32 s0, 12
.LBB46_184:                             ; =>This Inner Loop Header: Depth=1
	ds_read_b64 v[64:65], v55
	v_add_nc_u32_e32 v55, 8, v55
	s_waitcnt lgkmcnt(0)
	v_cmp_lt_f64_e64 vcc_lo, |v[0:1]|, |v[64:65]|
	v_cndmask_b32_e32 v1, v1, v65, vcc_lo
	v_cndmask_b32_e32 v0, v0, v64, vcc_lo
	v_cndmask_b32_e64 v54, v54, s0, vcc_lo
	s_add_i32 s0, s0, 1
	s_cmp_lg_u32 s2, s0
	s_cbranch_scc1 .LBB46_184
.LBB46_185:
	s_mov_b32 s0, exec_lo
	s_waitcnt lgkmcnt(0)
	v_cmpx_eq_f64_e32 0, v[0:1]
	s_xor_b32 s0, exec_lo, s0
; %bb.186:
	v_cmp_ne_u32_e32 vcc_lo, 0, v62
	v_cndmask_b32_e32 v62, 12, v62, vcc_lo
; %bb.187:
	s_andn2_saveexec_b32 s0, s0
	s_cbranch_execz .LBB46_189
; %bb.188:
	v_div_scale_f64 v[55:56], null, v[0:1], v[0:1], 1.0
	v_rcp_f64_e32 v[64:65], v[55:56]
	v_fma_f64 v[66:67], -v[55:56], v[64:65], 1.0
	v_fma_f64 v[64:65], v[64:65], v[66:67], v[64:65]
	v_fma_f64 v[66:67], -v[55:56], v[64:65], 1.0
	v_fma_f64 v[64:65], v[64:65], v[66:67], v[64:65]
	v_div_scale_f64 v[66:67], vcc_lo, 1.0, v[0:1], 1.0
	v_mul_f64 v[68:69], v[66:67], v[64:65]
	v_fma_f64 v[55:56], -v[55:56], v[68:69], v[66:67]
	v_div_fmas_f64 v[55:56], v[55:56], v[64:65], v[68:69]
	v_div_fixup_f64 v[0:1], v[55:56], v[0:1], 1.0
.LBB46_189:
	s_or_b32 exec_lo, exec_lo, s0
	s_mov_b32 s0, exec_lo
	v_cmpx_ne_u32_e64 v63, v54
	s_xor_b32 s0, exec_lo, s0
	s_cbranch_execz .LBB46_195
; %bb.190:
	s_mov_b32 s1, exec_lo
	v_cmpx_eq_u32_e32 11, v63
	s_cbranch_execz .LBB46_194
; %bb.191:
	v_cmp_ne_u32_e32 vcc_lo, 11, v54
	s_xor_b32 s3, s6, -1
	s_and_b32 s7, s3, vcc_lo
	s_and_saveexec_b32 s3, s7
	s_cbranch_execz .LBB46_193
; %bb.192:
	v_ashrrev_i32_e32 v55, 31, v54
	v_lshlrev_b64 v[55:56], 2, v[54:55]
	v_add_co_u32 v55, vcc_lo, v48, v55
	v_add_co_ci_u32_e64 v56, null, v49, v56, vcc_lo
	s_clause 0x1
	global_load_dword v57, v[55:56], off
	global_load_dword v63, v[48:49], off offset:44
	s_waitcnt vmcnt(1)
	global_store_dword v[48:49], v57, off offset:44
	s_waitcnt vmcnt(0)
	global_store_dword v[55:56], v63, off
.LBB46_193:
	s_or_b32 exec_lo, exec_lo, s3
	v_mov_b32_e32 v57, v54
	v_mov_b32_e32 v63, v54
.LBB46_194:
	s_or_b32 exec_lo, exec_lo, s1
.LBB46_195:
	s_andn2_saveexec_b32 s0, s0
	s_cbranch_execz .LBB46_197
; %bb.196:
	v_mov_b32_e32 v54, v36
	v_mov_b32_e32 v55, v37
	;; [unrolled: 1-line block ×8, first 2 shown]
	ds_write2_b64 v60, v[54:55], v[63:64] offset0:12 offset1:13
	ds_write2_b64 v60, v[65:66], v[67:68] offset0:14 offset1:15
	v_mov_b32_e32 v54, v50
	v_mov_b32_e32 v55, v51
	;; [unrolled: 1-line block ×15, first 2 shown]
	ds_write2_b64 v60, v[54:55], v[64:65] offset0:16 offset1:17
	ds_write2_b64 v60, v[66:67], v[68:69] offset0:18 offset1:19
	;; [unrolled: 1-line block ×4, first 2 shown]
.LBB46_197:
	s_or_b32 exec_lo, exec_lo, s0
	s_mov_b32 s0, exec_lo
	s_waitcnt lgkmcnt(0)
	s_waitcnt_vscnt null, 0x0
	s_barrier
	buffer_gl0_inv
	v_cmpx_lt_i32_e32 11, v63
	s_cbranch_execz .LBB46_199
; %bb.198:
	v_mul_f64 v[18:19], v[0:1], v[18:19]
	ds_read2_b64 v[64:67], v60 offset0:12 offset1:13
	ds_read2_b64 v[68:71], v60 offset0:14 offset1:15
	;; [unrolled: 1-line block ×6, first 2 shown]
	s_waitcnt lgkmcnt(5)
	v_fma_f64 v[36:37], -v[18:19], v[64:65], v[36:37]
	v_fma_f64 v[34:35], -v[18:19], v[66:67], v[34:35]
	s_waitcnt lgkmcnt(4)
	v_fma_f64 v[8:9], -v[18:19], v[68:69], v[8:9]
	v_fma_f64 v[6:7], -v[18:19], v[70:71], v[6:7]
	;; [unrolled: 3-line block ×6, first 2 shown]
.LBB46_199:
	s_or_b32 exec_lo, exec_lo, s0
	v_lshl_add_u32 v0, v63, 3, v60
	s_barrier
	buffer_gl0_inv
	v_mov_b32_e32 v54, 12
	ds_write_b64 v0, v[36:37]
	s_waitcnt lgkmcnt(0)
	s_barrier
	buffer_gl0_inv
	ds_read_b64 v[0:1], v60 offset:96
	s_cmp_lt_i32 s2, 14
	s_cbranch_scc1 .LBB46_202
; %bb.200:
	v_add3_u32 v55, v61, 0, 0x68
	v_mov_b32_e32 v54, 12
	s_mov_b32 s0, 13
.LBB46_201:                             ; =>This Inner Loop Header: Depth=1
	ds_read_b64 v[64:65], v55
	v_add_nc_u32_e32 v55, 8, v55
	s_waitcnt lgkmcnt(0)
	v_cmp_lt_f64_e64 vcc_lo, |v[0:1]|, |v[64:65]|
	v_cndmask_b32_e32 v1, v1, v65, vcc_lo
	v_cndmask_b32_e32 v0, v0, v64, vcc_lo
	v_cndmask_b32_e64 v54, v54, s0, vcc_lo
	s_add_i32 s0, s0, 1
	s_cmp_lg_u32 s2, s0
	s_cbranch_scc1 .LBB46_201
.LBB46_202:
	s_mov_b32 s0, exec_lo
	s_waitcnt lgkmcnt(0)
	v_cmpx_eq_f64_e32 0, v[0:1]
	s_xor_b32 s0, exec_lo, s0
; %bb.203:
	v_cmp_ne_u32_e32 vcc_lo, 0, v62
	v_cndmask_b32_e32 v62, 13, v62, vcc_lo
; %bb.204:
	s_andn2_saveexec_b32 s0, s0
	s_cbranch_execz .LBB46_206
; %bb.205:
	v_div_scale_f64 v[55:56], null, v[0:1], v[0:1], 1.0
	v_rcp_f64_e32 v[64:65], v[55:56]
	v_fma_f64 v[66:67], -v[55:56], v[64:65], 1.0
	v_fma_f64 v[64:65], v[64:65], v[66:67], v[64:65]
	v_fma_f64 v[66:67], -v[55:56], v[64:65], 1.0
	v_fma_f64 v[64:65], v[64:65], v[66:67], v[64:65]
	v_div_scale_f64 v[66:67], vcc_lo, 1.0, v[0:1], 1.0
	v_mul_f64 v[68:69], v[66:67], v[64:65]
	v_fma_f64 v[55:56], -v[55:56], v[68:69], v[66:67]
	v_div_fmas_f64 v[55:56], v[55:56], v[64:65], v[68:69]
	v_div_fixup_f64 v[0:1], v[55:56], v[0:1], 1.0
.LBB46_206:
	s_or_b32 exec_lo, exec_lo, s0
	s_mov_b32 s0, exec_lo
	v_cmpx_ne_u32_e64 v63, v54
	s_xor_b32 s0, exec_lo, s0
	s_cbranch_execz .LBB46_212
; %bb.207:
	s_mov_b32 s1, exec_lo
	v_cmpx_eq_u32_e32 12, v63
	s_cbranch_execz .LBB46_211
; %bb.208:
	v_cmp_ne_u32_e32 vcc_lo, 12, v54
	s_xor_b32 s3, s6, -1
	s_and_b32 s7, s3, vcc_lo
	s_and_saveexec_b32 s3, s7
	s_cbranch_execz .LBB46_210
; %bb.209:
	v_ashrrev_i32_e32 v55, 31, v54
	v_lshlrev_b64 v[55:56], 2, v[54:55]
	v_add_co_u32 v55, vcc_lo, v48, v55
	v_add_co_ci_u32_e64 v56, null, v49, v56, vcc_lo
	s_clause 0x1
	global_load_dword v57, v[55:56], off
	global_load_dword v63, v[48:49], off offset:48
	s_waitcnt vmcnt(1)
	global_store_dword v[48:49], v57, off offset:48
	s_waitcnt vmcnt(0)
	global_store_dword v[55:56], v63, off
.LBB46_210:
	s_or_b32 exec_lo, exec_lo, s3
	v_mov_b32_e32 v57, v54
	v_mov_b32_e32 v63, v54
.LBB46_211:
	s_or_b32 exec_lo, exec_lo, s1
.LBB46_212:
	s_andn2_saveexec_b32 s0, s0
	s_cbranch_execz .LBB46_214
; %bb.213:
	v_mov_b32_e32 v63, 12
	ds_write2_b64 v60, v[34:35], v[8:9] offset0:13 offset1:14
	ds_write2_b64 v60, v[6:7], v[50:51] offset0:15 offset1:16
	ds_write2_b64 v60, v[46:47], v[44:45] offset0:17 offset1:18
	ds_write2_b64 v60, v[12:13], v[16:17] offset0:19 offset1:20
	ds_write2_b64 v60, v[10:11], v[14:15] offset0:21 offset1:22
	ds_write_b64 v60, v[52:53] offset:184
.LBB46_214:
	s_or_b32 exec_lo, exec_lo, s0
	s_mov_b32 s0, exec_lo
	s_waitcnt lgkmcnt(0)
	s_waitcnt_vscnt null, 0x0
	s_barrier
	buffer_gl0_inv
	v_cmpx_lt_i32_e32 12, v63
	s_cbranch_execz .LBB46_216
; %bb.215:
	v_mul_f64 v[36:37], v[0:1], v[36:37]
	ds_read2_b64 v[64:67], v60 offset0:13 offset1:14
	ds_read2_b64 v[68:71], v60 offset0:15 offset1:16
	ds_read2_b64 v[72:75], v60 offset0:17 offset1:18
	ds_read2_b64 v[76:79], v60 offset0:19 offset1:20
	ds_read2_b64 v[80:83], v60 offset0:21 offset1:22
	ds_read_b64 v[0:1], v60 offset:184
	s_waitcnt lgkmcnt(5)
	v_fma_f64 v[34:35], -v[36:37], v[64:65], v[34:35]
	v_fma_f64 v[8:9], -v[36:37], v[66:67], v[8:9]
	s_waitcnt lgkmcnt(4)
	v_fma_f64 v[6:7], -v[36:37], v[68:69], v[6:7]
	v_fma_f64 v[50:51], -v[36:37], v[70:71], v[50:51]
	;; [unrolled: 3-line block ×5, first 2 shown]
	s_waitcnt lgkmcnt(0)
	v_fma_f64 v[52:53], -v[36:37], v[0:1], v[52:53]
.LBB46_216:
	s_or_b32 exec_lo, exec_lo, s0
	v_lshl_add_u32 v0, v63, 3, v60
	s_barrier
	buffer_gl0_inv
	v_mov_b32_e32 v54, 13
	ds_write_b64 v0, v[34:35]
	s_waitcnt lgkmcnt(0)
	s_barrier
	buffer_gl0_inv
	ds_read_b64 v[0:1], v60 offset:104
	s_cmp_lt_i32 s2, 15
	s_cbranch_scc1 .LBB46_219
; %bb.217:
	v_add3_u32 v55, v61, 0, 0x70
	v_mov_b32_e32 v54, 13
	s_mov_b32 s0, 14
.LBB46_218:                             ; =>This Inner Loop Header: Depth=1
	ds_read_b64 v[64:65], v55
	v_add_nc_u32_e32 v55, 8, v55
	s_waitcnt lgkmcnt(0)
	v_cmp_lt_f64_e64 vcc_lo, |v[0:1]|, |v[64:65]|
	v_cndmask_b32_e32 v1, v1, v65, vcc_lo
	v_cndmask_b32_e32 v0, v0, v64, vcc_lo
	v_cndmask_b32_e64 v54, v54, s0, vcc_lo
	s_add_i32 s0, s0, 1
	s_cmp_lg_u32 s2, s0
	s_cbranch_scc1 .LBB46_218
.LBB46_219:
	s_mov_b32 s0, exec_lo
	s_waitcnt lgkmcnt(0)
	v_cmpx_eq_f64_e32 0, v[0:1]
	s_xor_b32 s0, exec_lo, s0
; %bb.220:
	v_cmp_ne_u32_e32 vcc_lo, 0, v62
	v_cndmask_b32_e32 v62, 14, v62, vcc_lo
; %bb.221:
	s_andn2_saveexec_b32 s0, s0
	s_cbranch_execz .LBB46_223
; %bb.222:
	v_div_scale_f64 v[55:56], null, v[0:1], v[0:1], 1.0
	v_rcp_f64_e32 v[64:65], v[55:56]
	v_fma_f64 v[66:67], -v[55:56], v[64:65], 1.0
	v_fma_f64 v[64:65], v[64:65], v[66:67], v[64:65]
	v_fma_f64 v[66:67], -v[55:56], v[64:65], 1.0
	v_fma_f64 v[64:65], v[64:65], v[66:67], v[64:65]
	v_div_scale_f64 v[66:67], vcc_lo, 1.0, v[0:1], 1.0
	v_mul_f64 v[68:69], v[66:67], v[64:65]
	v_fma_f64 v[55:56], -v[55:56], v[68:69], v[66:67]
	v_div_fmas_f64 v[55:56], v[55:56], v[64:65], v[68:69]
	v_div_fixup_f64 v[0:1], v[55:56], v[0:1], 1.0
.LBB46_223:
	s_or_b32 exec_lo, exec_lo, s0
	s_mov_b32 s0, exec_lo
	v_cmpx_ne_u32_e64 v63, v54
	s_xor_b32 s0, exec_lo, s0
	s_cbranch_execz .LBB46_229
; %bb.224:
	s_mov_b32 s1, exec_lo
	v_cmpx_eq_u32_e32 13, v63
	s_cbranch_execz .LBB46_228
; %bb.225:
	v_cmp_ne_u32_e32 vcc_lo, 13, v54
	s_xor_b32 s3, s6, -1
	s_and_b32 s7, s3, vcc_lo
	s_and_saveexec_b32 s3, s7
	s_cbranch_execz .LBB46_227
; %bb.226:
	v_ashrrev_i32_e32 v55, 31, v54
	v_lshlrev_b64 v[55:56], 2, v[54:55]
	v_add_co_u32 v55, vcc_lo, v48, v55
	v_add_co_ci_u32_e64 v56, null, v49, v56, vcc_lo
	s_clause 0x1
	global_load_dword v57, v[55:56], off
	global_load_dword v63, v[48:49], off offset:52
	s_waitcnt vmcnt(1)
	global_store_dword v[48:49], v57, off offset:52
	s_waitcnt vmcnt(0)
	global_store_dword v[55:56], v63, off
.LBB46_227:
	s_or_b32 exec_lo, exec_lo, s3
	v_mov_b32_e32 v57, v54
	v_mov_b32_e32 v63, v54
.LBB46_228:
	s_or_b32 exec_lo, exec_lo, s1
.LBB46_229:
	s_andn2_saveexec_b32 s0, s0
	s_cbranch_execz .LBB46_231
; %bb.230:
	v_mov_b32_e32 v54, v8
	v_mov_b32_e32 v55, v9
	v_mov_b32_e32 v63, v6
	v_mov_b32_e32 v64, v7
	v_mov_b32_e32 v65, v50
	v_mov_b32_e32 v66, v51
	v_mov_b32_e32 v67, v44
	v_mov_b32_e32 v68, v45
	ds_write2_b64 v60, v[54:55], v[63:64] offset0:14 offset1:15
	v_mov_b32_e32 v54, v46
	v_mov_b32_e32 v55, v47
	;; [unrolled: 1-line block ×11, first 2 shown]
	ds_write2_b64 v60, v[65:66], v[54:55] offset0:16 offset1:17
	ds_write2_b64 v60, v[67:68], v[69:70] offset0:18 offset1:19
	;; [unrolled: 1-line block ×4, first 2 shown]
.LBB46_231:
	s_or_b32 exec_lo, exec_lo, s0
	s_mov_b32 s0, exec_lo
	s_waitcnt lgkmcnt(0)
	s_waitcnt_vscnt null, 0x0
	s_barrier
	buffer_gl0_inv
	v_cmpx_lt_i32_e32 13, v63
	s_cbranch_execz .LBB46_233
; %bb.232:
	v_mul_f64 v[34:35], v[0:1], v[34:35]
	ds_read2_b64 v[64:67], v60 offset0:14 offset1:15
	ds_read2_b64 v[68:71], v60 offset0:16 offset1:17
	;; [unrolled: 1-line block ×5, first 2 shown]
	s_waitcnt lgkmcnt(4)
	v_fma_f64 v[8:9], -v[34:35], v[64:65], v[8:9]
	v_fma_f64 v[6:7], -v[34:35], v[66:67], v[6:7]
	s_waitcnt lgkmcnt(3)
	v_fma_f64 v[50:51], -v[34:35], v[68:69], v[50:51]
	v_fma_f64 v[46:47], -v[34:35], v[70:71], v[46:47]
	;; [unrolled: 3-line block ×5, first 2 shown]
.LBB46_233:
	s_or_b32 exec_lo, exec_lo, s0
	v_lshl_add_u32 v0, v63, 3, v60
	s_barrier
	buffer_gl0_inv
	v_mov_b32_e32 v54, 14
	ds_write_b64 v0, v[8:9]
	s_waitcnt lgkmcnt(0)
	s_barrier
	buffer_gl0_inv
	ds_read_b64 v[0:1], v60 offset:112
	s_cmp_lt_i32 s2, 16
	s_cbranch_scc1 .LBB46_236
; %bb.234:
	v_add3_u32 v55, v61, 0, 0x78
	v_mov_b32_e32 v54, 14
	s_mov_b32 s0, 15
.LBB46_235:                             ; =>This Inner Loop Header: Depth=1
	ds_read_b64 v[64:65], v55
	v_add_nc_u32_e32 v55, 8, v55
	s_waitcnt lgkmcnt(0)
	v_cmp_lt_f64_e64 vcc_lo, |v[0:1]|, |v[64:65]|
	v_cndmask_b32_e32 v1, v1, v65, vcc_lo
	v_cndmask_b32_e32 v0, v0, v64, vcc_lo
	v_cndmask_b32_e64 v54, v54, s0, vcc_lo
	s_add_i32 s0, s0, 1
	s_cmp_lg_u32 s2, s0
	s_cbranch_scc1 .LBB46_235
.LBB46_236:
	s_mov_b32 s0, exec_lo
	s_waitcnt lgkmcnt(0)
	v_cmpx_eq_f64_e32 0, v[0:1]
	s_xor_b32 s0, exec_lo, s0
; %bb.237:
	v_cmp_ne_u32_e32 vcc_lo, 0, v62
	v_cndmask_b32_e32 v62, 15, v62, vcc_lo
; %bb.238:
	s_andn2_saveexec_b32 s0, s0
	s_cbranch_execz .LBB46_240
; %bb.239:
	v_div_scale_f64 v[55:56], null, v[0:1], v[0:1], 1.0
	v_rcp_f64_e32 v[64:65], v[55:56]
	v_fma_f64 v[66:67], -v[55:56], v[64:65], 1.0
	v_fma_f64 v[64:65], v[64:65], v[66:67], v[64:65]
	v_fma_f64 v[66:67], -v[55:56], v[64:65], 1.0
	v_fma_f64 v[64:65], v[64:65], v[66:67], v[64:65]
	v_div_scale_f64 v[66:67], vcc_lo, 1.0, v[0:1], 1.0
	v_mul_f64 v[68:69], v[66:67], v[64:65]
	v_fma_f64 v[55:56], -v[55:56], v[68:69], v[66:67]
	v_div_fmas_f64 v[55:56], v[55:56], v[64:65], v[68:69]
	v_div_fixup_f64 v[0:1], v[55:56], v[0:1], 1.0
.LBB46_240:
	s_or_b32 exec_lo, exec_lo, s0
	s_mov_b32 s0, exec_lo
	v_cmpx_ne_u32_e64 v63, v54
	s_xor_b32 s0, exec_lo, s0
	s_cbranch_execz .LBB46_246
; %bb.241:
	s_mov_b32 s1, exec_lo
	v_cmpx_eq_u32_e32 14, v63
	s_cbranch_execz .LBB46_245
; %bb.242:
	v_cmp_ne_u32_e32 vcc_lo, 14, v54
	s_xor_b32 s3, s6, -1
	s_and_b32 s7, s3, vcc_lo
	s_and_saveexec_b32 s3, s7
	s_cbranch_execz .LBB46_244
; %bb.243:
	v_ashrrev_i32_e32 v55, 31, v54
	v_lshlrev_b64 v[55:56], 2, v[54:55]
	v_add_co_u32 v55, vcc_lo, v48, v55
	v_add_co_ci_u32_e64 v56, null, v49, v56, vcc_lo
	s_clause 0x1
	global_load_dword v57, v[55:56], off
	global_load_dword v63, v[48:49], off offset:56
	s_waitcnt vmcnt(1)
	global_store_dword v[48:49], v57, off offset:56
	s_waitcnt vmcnt(0)
	global_store_dword v[55:56], v63, off
.LBB46_244:
	s_or_b32 exec_lo, exec_lo, s3
	v_mov_b32_e32 v57, v54
	v_mov_b32_e32 v63, v54
.LBB46_245:
	s_or_b32 exec_lo, exec_lo, s1
.LBB46_246:
	s_andn2_saveexec_b32 s0, s0
	s_cbranch_execz .LBB46_248
; %bb.247:
	v_mov_b32_e32 v63, 14
	ds_write2_b64 v60, v[6:7], v[50:51] offset0:15 offset1:16
	ds_write2_b64 v60, v[46:47], v[44:45] offset0:17 offset1:18
	;; [unrolled: 1-line block ×4, first 2 shown]
	ds_write_b64 v60, v[52:53] offset:184
.LBB46_248:
	s_or_b32 exec_lo, exec_lo, s0
	s_mov_b32 s0, exec_lo
	s_waitcnt lgkmcnt(0)
	s_waitcnt_vscnt null, 0x0
	s_barrier
	buffer_gl0_inv
	v_cmpx_lt_i32_e32 14, v63
	s_cbranch_execz .LBB46_250
; %bb.249:
	v_mul_f64 v[8:9], v[0:1], v[8:9]
	ds_read2_b64 v[64:67], v60 offset0:15 offset1:16
	ds_read2_b64 v[68:71], v60 offset0:17 offset1:18
	;; [unrolled: 1-line block ×4, first 2 shown]
	ds_read_b64 v[0:1], v60 offset:184
	s_waitcnt lgkmcnt(4)
	v_fma_f64 v[6:7], -v[8:9], v[64:65], v[6:7]
	v_fma_f64 v[50:51], -v[8:9], v[66:67], v[50:51]
	s_waitcnt lgkmcnt(3)
	v_fma_f64 v[46:47], -v[8:9], v[68:69], v[46:47]
	v_fma_f64 v[44:45], -v[8:9], v[70:71], v[44:45]
	;; [unrolled: 3-line block ×4, first 2 shown]
	s_waitcnt lgkmcnt(0)
	v_fma_f64 v[52:53], -v[8:9], v[0:1], v[52:53]
.LBB46_250:
	s_or_b32 exec_lo, exec_lo, s0
	v_lshl_add_u32 v0, v63, 3, v60
	s_barrier
	buffer_gl0_inv
	v_mov_b32_e32 v54, 15
	ds_write_b64 v0, v[6:7]
	s_waitcnt lgkmcnt(0)
	s_barrier
	buffer_gl0_inv
	ds_read_b64 v[0:1], v60 offset:120
	s_cmp_lt_i32 s2, 17
	s_cbranch_scc1 .LBB46_253
; %bb.251:
	v_add3_u32 v55, v61, 0, 0x80
	v_mov_b32_e32 v54, 15
	s_mov_b32 s0, 16
.LBB46_252:                             ; =>This Inner Loop Header: Depth=1
	ds_read_b64 v[64:65], v55
	v_add_nc_u32_e32 v55, 8, v55
	s_waitcnt lgkmcnt(0)
	v_cmp_lt_f64_e64 vcc_lo, |v[0:1]|, |v[64:65]|
	v_cndmask_b32_e32 v1, v1, v65, vcc_lo
	v_cndmask_b32_e32 v0, v0, v64, vcc_lo
	v_cndmask_b32_e64 v54, v54, s0, vcc_lo
	s_add_i32 s0, s0, 1
	s_cmp_lg_u32 s2, s0
	s_cbranch_scc1 .LBB46_252
.LBB46_253:
	s_mov_b32 s0, exec_lo
	s_waitcnt lgkmcnt(0)
	v_cmpx_eq_f64_e32 0, v[0:1]
	s_xor_b32 s0, exec_lo, s0
; %bb.254:
	v_cmp_ne_u32_e32 vcc_lo, 0, v62
	v_cndmask_b32_e32 v62, 16, v62, vcc_lo
; %bb.255:
	s_andn2_saveexec_b32 s0, s0
	s_cbranch_execz .LBB46_257
; %bb.256:
	v_div_scale_f64 v[55:56], null, v[0:1], v[0:1], 1.0
	v_rcp_f64_e32 v[64:65], v[55:56]
	v_fma_f64 v[66:67], -v[55:56], v[64:65], 1.0
	v_fma_f64 v[64:65], v[64:65], v[66:67], v[64:65]
	v_fma_f64 v[66:67], -v[55:56], v[64:65], 1.0
	v_fma_f64 v[64:65], v[64:65], v[66:67], v[64:65]
	v_div_scale_f64 v[66:67], vcc_lo, 1.0, v[0:1], 1.0
	v_mul_f64 v[68:69], v[66:67], v[64:65]
	v_fma_f64 v[55:56], -v[55:56], v[68:69], v[66:67]
	v_div_fmas_f64 v[55:56], v[55:56], v[64:65], v[68:69]
	v_div_fixup_f64 v[0:1], v[55:56], v[0:1], 1.0
.LBB46_257:
	s_or_b32 exec_lo, exec_lo, s0
	s_mov_b32 s0, exec_lo
	v_cmpx_ne_u32_e64 v63, v54
	s_xor_b32 s0, exec_lo, s0
	s_cbranch_execz .LBB46_263
; %bb.258:
	s_mov_b32 s1, exec_lo
	v_cmpx_eq_u32_e32 15, v63
	s_cbranch_execz .LBB46_262
; %bb.259:
	v_cmp_ne_u32_e32 vcc_lo, 15, v54
	s_xor_b32 s3, s6, -1
	s_and_b32 s7, s3, vcc_lo
	s_and_saveexec_b32 s3, s7
	s_cbranch_execz .LBB46_261
; %bb.260:
	v_ashrrev_i32_e32 v55, 31, v54
	v_lshlrev_b64 v[55:56], 2, v[54:55]
	v_add_co_u32 v55, vcc_lo, v48, v55
	v_add_co_ci_u32_e64 v56, null, v49, v56, vcc_lo
	s_clause 0x1
	global_load_dword v57, v[55:56], off
	global_load_dword v63, v[48:49], off offset:60
	s_waitcnt vmcnt(1)
	global_store_dword v[48:49], v57, off offset:60
	s_waitcnt vmcnt(0)
	global_store_dword v[55:56], v63, off
.LBB46_261:
	s_or_b32 exec_lo, exec_lo, s3
	v_mov_b32_e32 v57, v54
	v_mov_b32_e32 v63, v54
.LBB46_262:
	s_or_b32 exec_lo, exec_lo, s1
.LBB46_263:
	s_andn2_saveexec_b32 s0, s0
	s_cbranch_execz .LBB46_265
; %bb.264:
	v_mov_b32_e32 v54, v50
	v_mov_b32_e32 v55, v51
	;; [unrolled: 1-line block ×15, first 2 shown]
	ds_write2_b64 v60, v[54:55], v[64:65] offset0:16 offset1:17
	ds_write2_b64 v60, v[66:67], v[68:69] offset0:18 offset1:19
	;; [unrolled: 1-line block ×4, first 2 shown]
.LBB46_265:
	s_or_b32 exec_lo, exec_lo, s0
	s_mov_b32 s0, exec_lo
	s_waitcnt lgkmcnt(0)
	s_waitcnt_vscnt null, 0x0
	s_barrier
	buffer_gl0_inv
	v_cmpx_lt_i32_e32 15, v63
	s_cbranch_execz .LBB46_267
; %bb.266:
	v_mul_f64 v[6:7], v[0:1], v[6:7]
	ds_read2_b64 v[64:67], v60 offset0:16 offset1:17
	ds_read2_b64 v[68:71], v60 offset0:18 offset1:19
	;; [unrolled: 1-line block ×4, first 2 shown]
	s_waitcnt lgkmcnt(3)
	v_fma_f64 v[50:51], -v[6:7], v[64:65], v[50:51]
	v_fma_f64 v[46:47], -v[6:7], v[66:67], v[46:47]
	s_waitcnt lgkmcnt(2)
	v_fma_f64 v[44:45], -v[6:7], v[68:69], v[44:45]
	v_fma_f64 v[12:13], -v[6:7], v[70:71], v[12:13]
	;; [unrolled: 3-line block ×4, first 2 shown]
.LBB46_267:
	s_or_b32 exec_lo, exec_lo, s0
	v_lshl_add_u32 v0, v63, 3, v60
	s_barrier
	buffer_gl0_inv
	v_mov_b32_e32 v54, 16
	ds_write_b64 v0, v[50:51]
	s_waitcnt lgkmcnt(0)
	s_barrier
	buffer_gl0_inv
	ds_read_b64 v[0:1], v60 offset:128
	s_cmp_lt_i32 s2, 18
	s_cbranch_scc1 .LBB46_270
; %bb.268:
	v_add3_u32 v55, v61, 0, 0x88
	v_mov_b32_e32 v54, 16
	s_mov_b32 s0, 17
.LBB46_269:                             ; =>This Inner Loop Header: Depth=1
	ds_read_b64 v[64:65], v55
	v_add_nc_u32_e32 v55, 8, v55
	s_waitcnt lgkmcnt(0)
	v_cmp_lt_f64_e64 vcc_lo, |v[0:1]|, |v[64:65]|
	v_cndmask_b32_e32 v1, v1, v65, vcc_lo
	v_cndmask_b32_e32 v0, v0, v64, vcc_lo
	v_cndmask_b32_e64 v54, v54, s0, vcc_lo
	s_add_i32 s0, s0, 1
	s_cmp_lg_u32 s2, s0
	s_cbranch_scc1 .LBB46_269
.LBB46_270:
	s_mov_b32 s0, exec_lo
	s_waitcnt lgkmcnt(0)
	v_cmpx_eq_f64_e32 0, v[0:1]
	s_xor_b32 s0, exec_lo, s0
; %bb.271:
	v_cmp_ne_u32_e32 vcc_lo, 0, v62
	v_cndmask_b32_e32 v62, 17, v62, vcc_lo
; %bb.272:
	s_andn2_saveexec_b32 s0, s0
	s_cbranch_execz .LBB46_274
; %bb.273:
	v_div_scale_f64 v[55:56], null, v[0:1], v[0:1], 1.0
	v_rcp_f64_e32 v[64:65], v[55:56]
	v_fma_f64 v[66:67], -v[55:56], v[64:65], 1.0
	v_fma_f64 v[64:65], v[64:65], v[66:67], v[64:65]
	v_fma_f64 v[66:67], -v[55:56], v[64:65], 1.0
	v_fma_f64 v[64:65], v[64:65], v[66:67], v[64:65]
	v_div_scale_f64 v[66:67], vcc_lo, 1.0, v[0:1], 1.0
	v_mul_f64 v[68:69], v[66:67], v[64:65]
	v_fma_f64 v[55:56], -v[55:56], v[68:69], v[66:67]
	v_div_fmas_f64 v[55:56], v[55:56], v[64:65], v[68:69]
	v_div_fixup_f64 v[0:1], v[55:56], v[0:1], 1.0
.LBB46_274:
	s_or_b32 exec_lo, exec_lo, s0
	s_mov_b32 s0, exec_lo
	v_cmpx_ne_u32_e64 v63, v54
	s_xor_b32 s0, exec_lo, s0
	s_cbranch_execz .LBB46_280
; %bb.275:
	s_mov_b32 s1, exec_lo
	v_cmpx_eq_u32_e32 16, v63
	s_cbranch_execz .LBB46_279
; %bb.276:
	v_cmp_ne_u32_e32 vcc_lo, 16, v54
	s_xor_b32 s3, s6, -1
	s_and_b32 s7, s3, vcc_lo
	s_and_saveexec_b32 s3, s7
	s_cbranch_execz .LBB46_278
; %bb.277:
	v_ashrrev_i32_e32 v55, 31, v54
	v_lshlrev_b64 v[55:56], 2, v[54:55]
	v_add_co_u32 v55, vcc_lo, v48, v55
	v_add_co_ci_u32_e64 v56, null, v49, v56, vcc_lo
	s_clause 0x1
	global_load_dword v57, v[55:56], off
	global_load_dword v63, v[48:49], off offset:64
	s_waitcnt vmcnt(1)
	global_store_dword v[48:49], v57, off offset:64
	s_waitcnt vmcnt(0)
	global_store_dword v[55:56], v63, off
.LBB46_278:
	s_or_b32 exec_lo, exec_lo, s3
	v_mov_b32_e32 v57, v54
	v_mov_b32_e32 v63, v54
.LBB46_279:
	s_or_b32 exec_lo, exec_lo, s1
.LBB46_280:
	s_andn2_saveexec_b32 s0, s0
	s_cbranch_execz .LBB46_282
; %bb.281:
	v_mov_b32_e32 v63, 16
	ds_write2_b64 v60, v[46:47], v[44:45] offset0:17 offset1:18
	ds_write2_b64 v60, v[12:13], v[16:17] offset0:19 offset1:20
	;; [unrolled: 1-line block ×3, first 2 shown]
	ds_write_b64 v60, v[52:53] offset:184
.LBB46_282:
	s_or_b32 exec_lo, exec_lo, s0
	s_mov_b32 s0, exec_lo
	s_waitcnt lgkmcnt(0)
	s_waitcnt_vscnt null, 0x0
	s_barrier
	buffer_gl0_inv
	v_cmpx_lt_i32_e32 16, v63
	s_cbranch_execz .LBB46_284
; %bb.283:
	v_mul_f64 v[50:51], v[0:1], v[50:51]
	ds_read2_b64 v[64:67], v60 offset0:17 offset1:18
	ds_read2_b64 v[68:71], v60 offset0:19 offset1:20
	;; [unrolled: 1-line block ×3, first 2 shown]
	ds_read_b64 v[0:1], v60 offset:184
	s_waitcnt lgkmcnt(3)
	v_fma_f64 v[46:47], -v[50:51], v[64:65], v[46:47]
	v_fma_f64 v[44:45], -v[50:51], v[66:67], v[44:45]
	s_waitcnt lgkmcnt(2)
	v_fma_f64 v[12:13], -v[50:51], v[68:69], v[12:13]
	v_fma_f64 v[16:17], -v[50:51], v[70:71], v[16:17]
	;; [unrolled: 3-line block ×3, first 2 shown]
	s_waitcnt lgkmcnt(0)
	v_fma_f64 v[52:53], -v[50:51], v[0:1], v[52:53]
.LBB46_284:
	s_or_b32 exec_lo, exec_lo, s0
	v_lshl_add_u32 v0, v63, 3, v60
	s_barrier
	buffer_gl0_inv
	v_mov_b32_e32 v54, 17
	ds_write_b64 v0, v[46:47]
	s_waitcnt lgkmcnt(0)
	s_barrier
	buffer_gl0_inv
	ds_read_b64 v[0:1], v60 offset:136
	s_cmp_lt_i32 s2, 19
	s_cbranch_scc1 .LBB46_287
; %bb.285:
	v_add3_u32 v55, v61, 0, 0x90
	v_mov_b32_e32 v54, 17
	s_mov_b32 s0, 18
.LBB46_286:                             ; =>This Inner Loop Header: Depth=1
	ds_read_b64 v[64:65], v55
	v_add_nc_u32_e32 v55, 8, v55
	s_waitcnt lgkmcnt(0)
	v_cmp_lt_f64_e64 vcc_lo, |v[0:1]|, |v[64:65]|
	v_cndmask_b32_e32 v1, v1, v65, vcc_lo
	v_cndmask_b32_e32 v0, v0, v64, vcc_lo
	v_cndmask_b32_e64 v54, v54, s0, vcc_lo
	s_add_i32 s0, s0, 1
	s_cmp_lg_u32 s2, s0
	s_cbranch_scc1 .LBB46_286
.LBB46_287:
	s_mov_b32 s0, exec_lo
	s_waitcnt lgkmcnt(0)
	v_cmpx_eq_f64_e32 0, v[0:1]
	s_xor_b32 s0, exec_lo, s0
; %bb.288:
	v_cmp_ne_u32_e32 vcc_lo, 0, v62
	v_cndmask_b32_e32 v62, 18, v62, vcc_lo
; %bb.289:
	s_andn2_saveexec_b32 s0, s0
	s_cbranch_execz .LBB46_291
; %bb.290:
	v_div_scale_f64 v[55:56], null, v[0:1], v[0:1], 1.0
	v_rcp_f64_e32 v[64:65], v[55:56]
	v_fma_f64 v[66:67], -v[55:56], v[64:65], 1.0
	v_fma_f64 v[64:65], v[64:65], v[66:67], v[64:65]
	v_fma_f64 v[66:67], -v[55:56], v[64:65], 1.0
	v_fma_f64 v[64:65], v[64:65], v[66:67], v[64:65]
	v_div_scale_f64 v[66:67], vcc_lo, 1.0, v[0:1], 1.0
	v_mul_f64 v[68:69], v[66:67], v[64:65]
	v_fma_f64 v[55:56], -v[55:56], v[68:69], v[66:67]
	v_div_fmas_f64 v[55:56], v[55:56], v[64:65], v[68:69]
	v_div_fixup_f64 v[0:1], v[55:56], v[0:1], 1.0
.LBB46_291:
	s_or_b32 exec_lo, exec_lo, s0
	s_mov_b32 s0, exec_lo
	v_cmpx_ne_u32_e64 v63, v54
	s_xor_b32 s0, exec_lo, s0
	s_cbranch_execz .LBB46_297
; %bb.292:
	s_mov_b32 s1, exec_lo
	v_cmpx_eq_u32_e32 17, v63
	s_cbranch_execz .LBB46_296
; %bb.293:
	v_cmp_ne_u32_e32 vcc_lo, 17, v54
	s_xor_b32 s3, s6, -1
	s_and_b32 s7, s3, vcc_lo
	s_and_saveexec_b32 s3, s7
	s_cbranch_execz .LBB46_295
; %bb.294:
	v_ashrrev_i32_e32 v55, 31, v54
	v_lshlrev_b64 v[55:56], 2, v[54:55]
	v_add_co_u32 v55, vcc_lo, v48, v55
	v_add_co_ci_u32_e64 v56, null, v49, v56, vcc_lo
	s_clause 0x1
	global_load_dword v57, v[55:56], off
	global_load_dword v63, v[48:49], off offset:68
	s_waitcnt vmcnt(1)
	global_store_dword v[48:49], v57, off offset:68
	s_waitcnt vmcnt(0)
	global_store_dword v[55:56], v63, off
.LBB46_295:
	s_or_b32 exec_lo, exec_lo, s3
	v_mov_b32_e32 v57, v54
	v_mov_b32_e32 v63, v54
.LBB46_296:
	s_or_b32 exec_lo, exec_lo, s1
.LBB46_297:
	s_andn2_saveexec_b32 s0, s0
	s_cbranch_execz .LBB46_299
; %bb.298:
	v_mov_b32_e32 v54, v44
	v_mov_b32_e32 v55, v45
	;; [unrolled: 1-line block ×11, first 2 shown]
	ds_write2_b64 v60, v[54:55], v[64:65] offset0:18 offset1:19
	ds_write2_b64 v60, v[66:67], v[68:69] offset0:20 offset1:21
	;; [unrolled: 1-line block ×3, first 2 shown]
.LBB46_299:
	s_or_b32 exec_lo, exec_lo, s0
	s_mov_b32 s0, exec_lo
	s_waitcnt lgkmcnt(0)
	s_waitcnt_vscnt null, 0x0
	s_barrier
	buffer_gl0_inv
	v_cmpx_lt_i32_e32 17, v63
	s_cbranch_execz .LBB46_301
; %bb.300:
	v_mul_f64 v[46:47], v[0:1], v[46:47]
	ds_read2_b64 v[64:67], v60 offset0:18 offset1:19
	ds_read2_b64 v[68:71], v60 offset0:20 offset1:21
	;; [unrolled: 1-line block ×3, first 2 shown]
	s_waitcnt lgkmcnt(2)
	v_fma_f64 v[44:45], -v[46:47], v[64:65], v[44:45]
	v_fma_f64 v[12:13], -v[46:47], v[66:67], v[12:13]
	s_waitcnt lgkmcnt(1)
	v_fma_f64 v[16:17], -v[46:47], v[68:69], v[16:17]
	v_fma_f64 v[10:11], -v[46:47], v[70:71], v[10:11]
	;; [unrolled: 3-line block ×3, first 2 shown]
.LBB46_301:
	s_or_b32 exec_lo, exec_lo, s0
	v_lshl_add_u32 v0, v63, 3, v60
	s_barrier
	buffer_gl0_inv
	v_mov_b32_e32 v54, 18
	ds_write_b64 v0, v[44:45]
	s_waitcnt lgkmcnt(0)
	s_barrier
	buffer_gl0_inv
	ds_read_b64 v[0:1], v60 offset:144
	s_cmp_lt_i32 s2, 20
	s_cbranch_scc1 .LBB46_304
; %bb.302:
	v_add3_u32 v55, v61, 0, 0x98
	v_mov_b32_e32 v54, 18
	s_mov_b32 s0, 19
.LBB46_303:                             ; =>This Inner Loop Header: Depth=1
	ds_read_b64 v[64:65], v55
	v_add_nc_u32_e32 v55, 8, v55
	s_waitcnt lgkmcnt(0)
	v_cmp_lt_f64_e64 vcc_lo, |v[0:1]|, |v[64:65]|
	v_cndmask_b32_e32 v1, v1, v65, vcc_lo
	v_cndmask_b32_e32 v0, v0, v64, vcc_lo
	v_cndmask_b32_e64 v54, v54, s0, vcc_lo
	s_add_i32 s0, s0, 1
	s_cmp_lg_u32 s2, s0
	s_cbranch_scc1 .LBB46_303
.LBB46_304:
	s_mov_b32 s0, exec_lo
	s_waitcnt lgkmcnt(0)
	v_cmpx_eq_f64_e32 0, v[0:1]
	s_xor_b32 s0, exec_lo, s0
; %bb.305:
	v_cmp_ne_u32_e32 vcc_lo, 0, v62
	v_cndmask_b32_e32 v62, 19, v62, vcc_lo
; %bb.306:
	s_andn2_saveexec_b32 s0, s0
	s_cbranch_execz .LBB46_308
; %bb.307:
	v_div_scale_f64 v[55:56], null, v[0:1], v[0:1], 1.0
	v_rcp_f64_e32 v[64:65], v[55:56]
	v_fma_f64 v[66:67], -v[55:56], v[64:65], 1.0
	v_fma_f64 v[64:65], v[64:65], v[66:67], v[64:65]
	v_fma_f64 v[66:67], -v[55:56], v[64:65], 1.0
	v_fma_f64 v[64:65], v[64:65], v[66:67], v[64:65]
	v_div_scale_f64 v[66:67], vcc_lo, 1.0, v[0:1], 1.0
	v_mul_f64 v[68:69], v[66:67], v[64:65]
	v_fma_f64 v[55:56], -v[55:56], v[68:69], v[66:67]
	v_div_fmas_f64 v[55:56], v[55:56], v[64:65], v[68:69]
	v_div_fixup_f64 v[0:1], v[55:56], v[0:1], 1.0
.LBB46_308:
	s_or_b32 exec_lo, exec_lo, s0
	s_mov_b32 s0, exec_lo
	v_cmpx_ne_u32_e64 v63, v54
	s_xor_b32 s0, exec_lo, s0
	s_cbranch_execz .LBB46_314
; %bb.309:
	s_mov_b32 s1, exec_lo
	v_cmpx_eq_u32_e32 18, v63
	s_cbranch_execz .LBB46_313
; %bb.310:
	v_cmp_ne_u32_e32 vcc_lo, 18, v54
	s_xor_b32 s3, s6, -1
	s_and_b32 s7, s3, vcc_lo
	s_and_saveexec_b32 s3, s7
	s_cbranch_execz .LBB46_312
; %bb.311:
	v_ashrrev_i32_e32 v55, 31, v54
	v_lshlrev_b64 v[55:56], 2, v[54:55]
	v_add_co_u32 v55, vcc_lo, v48, v55
	v_add_co_ci_u32_e64 v56, null, v49, v56, vcc_lo
	s_clause 0x1
	global_load_dword v57, v[55:56], off
	global_load_dword v63, v[48:49], off offset:72
	s_waitcnt vmcnt(1)
	global_store_dword v[48:49], v57, off offset:72
	s_waitcnt vmcnt(0)
	global_store_dword v[55:56], v63, off
.LBB46_312:
	s_or_b32 exec_lo, exec_lo, s3
	v_mov_b32_e32 v57, v54
	v_mov_b32_e32 v63, v54
.LBB46_313:
	s_or_b32 exec_lo, exec_lo, s1
.LBB46_314:
	s_andn2_saveexec_b32 s0, s0
	s_cbranch_execz .LBB46_316
; %bb.315:
	v_mov_b32_e32 v63, 18
	ds_write2_b64 v60, v[12:13], v[16:17] offset0:19 offset1:20
	ds_write2_b64 v60, v[10:11], v[14:15] offset0:21 offset1:22
	ds_write_b64 v60, v[52:53] offset:184
.LBB46_316:
	s_or_b32 exec_lo, exec_lo, s0
	s_mov_b32 s0, exec_lo
	s_waitcnt lgkmcnt(0)
	s_waitcnt_vscnt null, 0x0
	s_barrier
	buffer_gl0_inv
	v_cmpx_lt_i32_e32 18, v63
	s_cbranch_execz .LBB46_318
; %bb.317:
	v_mul_f64 v[44:45], v[0:1], v[44:45]
	ds_read2_b64 v[64:67], v60 offset0:19 offset1:20
	ds_read2_b64 v[68:71], v60 offset0:21 offset1:22
	ds_read_b64 v[0:1], v60 offset:184
	s_waitcnt lgkmcnt(2)
	v_fma_f64 v[12:13], -v[44:45], v[64:65], v[12:13]
	v_fma_f64 v[16:17], -v[44:45], v[66:67], v[16:17]
	s_waitcnt lgkmcnt(1)
	v_fma_f64 v[10:11], -v[44:45], v[68:69], v[10:11]
	v_fma_f64 v[14:15], -v[44:45], v[70:71], v[14:15]
	s_waitcnt lgkmcnt(0)
	v_fma_f64 v[52:53], -v[44:45], v[0:1], v[52:53]
.LBB46_318:
	s_or_b32 exec_lo, exec_lo, s0
	v_lshl_add_u32 v0, v63, 3, v60
	s_barrier
	buffer_gl0_inv
	v_mov_b32_e32 v54, 19
	ds_write_b64 v0, v[12:13]
	s_waitcnt lgkmcnt(0)
	s_barrier
	buffer_gl0_inv
	ds_read_b64 v[0:1], v60 offset:152
	s_cmp_lt_i32 s2, 21
	s_cbranch_scc1 .LBB46_321
; %bb.319:
	v_add3_u32 v55, v61, 0, 0xa0
	v_mov_b32_e32 v54, 19
	s_mov_b32 s0, 20
.LBB46_320:                             ; =>This Inner Loop Header: Depth=1
	ds_read_b64 v[64:65], v55
	v_add_nc_u32_e32 v55, 8, v55
	s_waitcnt lgkmcnt(0)
	v_cmp_lt_f64_e64 vcc_lo, |v[0:1]|, |v[64:65]|
	v_cndmask_b32_e32 v1, v1, v65, vcc_lo
	v_cndmask_b32_e32 v0, v0, v64, vcc_lo
	v_cndmask_b32_e64 v54, v54, s0, vcc_lo
	s_add_i32 s0, s0, 1
	s_cmp_lg_u32 s2, s0
	s_cbranch_scc1 .LBB46_320
.LBB46_321:
	s_mov_b32 s0, exec_lo
	s_waitcnt lgkmcnt(0)
	v_cmpx_eq_f64_e32 0, v[0:1]
	s_xor_b32 s0, exec_lo, s0
; %bb.322:
	v_cmp_ne_u32_e32 vcc_lo, 0, v62
	v_cndmask_b32_e32 v62, 20, v62, vcc_lo
; %bb.323:
	s_andn2_saveexec_b32 s0, s0
	s_cbranch_execz .LBB46_325
; %bb.324:
	v_div_scale_f64 v[55:56], null, v[0:1], v[0:1], 1.0
	v_rcp_f64_e32 v[64:65], v[55:56]
	v_fma_f64 v[66:67], -v[55:56], v[64:65], 1.0
	v_fma_f64 v[64:65], v[64:65], v[66:67], v[64:65]
	v_fma_f64 v[66:67], -v[55:56], v[64:65], 1.0
	v_fma_f64 v[64:65], v[64:65], v[66:67], v[64:65]
	v_div_scale_f64 v[66:67], vcc_lo, 1.0, v[0:1], 1.0
	v_mul_f64 v[68:69], v[66:67], v[64:65]
	v_fma_f64 v[55:56], -v[55:56], v[68:69], v[66:67]
	v_div_fmas_f64 v[55:56], v[55:56], v[64:65], v[68:69]
	v_div_fixup_f64 v[0:1], v[55:56], v[0:1], 1.0
.LBB46_325:
	s_or_b32 exec_lo, exec_lo, s0
	s_mov_b32 s0, exec_lo
	v_cmpx_ne_u32_e64 v63, v54
	s_xor_b32 s0, exec_lo, s0
	s_cbranch_execz .LBB46_331
; %bb.326:
	s_mov_b32 s1, exec_lo
	v_cmpx_eq_u32_e32 19, v63
	s_cbranch_execz .LBB46_330
; %bb.327:
	v_cmp_ne_u32_e32 vcc_lo, 19, v54
	s_xor_b32 s3, s6, -1
	s_and_b32 s7, s3, vcc_lo
	s_and_saveexec_b32 s3, s7
	s_cbranch_execz .LBB46_329
; %bb.328:
	v_ashrrev_i32_e32 v55, 31, v54
	v_lshlrev_b64 v[55:56], 2, v[54:55]
	v_add_co_u32 v55, vcc_lo, v48, v55
	v_add_co_ci_u32_e64 v56, null, v49, v56, vcc_lo
	s_clause 0x1
	global_load_dword v57, v[55:56], off
	global_load_dword v63, v[48:49], off offset:76
	s_waitcnt vmcnt(1)
	global_store_dword v[48:49], v57, off offset:76
	s_waitcnt vmcnt(0)
	global_store_dword v[55:56], v63, off
.LBB46_329:
	s_or_b32 exec_lo, exec_lo, s3
	v_mov_b32_e32 v57, v54
	v_mov_b32_e32 v63, v54
.LBB46_330:
	s_or_b32 exec_lo, exec_lo, s1
.LBB46_331:
	s_andn2_saveexec_b32 s0, s0
	s_cbranch_execz .LBB46_333
; %bb.332:
	v_mov_b32_e32 v54, v16
	v_mov_b32_e32 v55, v17
	;; [unrolled: 1-line block ×7, first 2 shown]
	ds_write2_b64 v60, v[54:55], v[64:65] offset0:20 offset1:21
	ds_write2_b64 v60, v[66:67], v[52:53] offset0:22 offset1:23
.LBB46_333:
	s_or_b32 exec_lo, exec_lo, s0
	s_mov_b32 s0, exec_lo
	s_waitcnt lgkmcnt(0)
	s_waitcnt_vscnt null, 0x0
	s_barrier
	buffer_gl0_inv
	v_cmpx_lt_i32_e32 19, v63
	s_cbranch_execz .LBB46_335
; %bb.334:
	v_mul_f64 v[12:13], v[0:1], v[12:13]
	ds_read2_b64 v[64:67], v60 offset0:20 offset1:21
	ds_read2_b64 v[68:71], v60 offset0:22 offset1:23
	s_waitcnt lgkmcnt(1)
	v_fma_f64 v[16:17], -v[12:13], v[64:65], v[16:17]
	v_fma_f64 v[10:11], -v[12:13], v[66:67], v[10:11]
	s_waitcnt lgkmcnt(0)
	v_fma_f64 v[14:15], -v[12:13], v[68:69], v[14:15]
	v_fma_f64 v[52:53], -v[12:13], v[70:71], v[52:53]
.LBB46_335:
	s_or_b32 exec_lo, exec_lo, s0
	v_lshl_add_u32 v0, v63, 3, v60
	s_barrier
	buffer_gl0_inv
	v_mov_b32_e32 v54, 20
	ds_write_b64 v0, v[16:17]
	s_waitcnt lgkmcnt(0)
	s_barrier
	buffer_gl0_inv
	ds_read_b64 v[0:1], v60 offset:160
	s_cmp_lt_i32 s2, 22
	s_cbranch_scc1 .LBB46_338
; %bb.336:
	v_add3_u32 v55, v61, 0, 0xa8
	v_mov_b32_e32 v54, 20
	s_mov_b32 s0, 21
.LBB46_337:                             ; =>This Inner Loop Header: Depth=1
	ds_read_b64 v[64:65], v55
	v_add_nc_u32_e32 v55, 8, v55
	s_waitcnt lgkmcnt(0)
	v_cmp_lt_f64_e64 vcc_lo, |v[0:1]|, |v[64:65]|
	v_cndmask_b32_e32 v1, v1, v65, vcc_lo
	v_cndmask_b32_e32 v0, v0, v64, vcc_lo
	v_cndmask_b32_e64 v54, v54, s0, vcc_lo
	s_add_i32 s0, s0, 1
	s_cmp_lg_u32 s2, s0
	s_cbranch_scc1 .LBB46_337
.LBB46_338:
	s_mov_b32 s0, exec_lo
	s_waitcnt lgkmcnt(0)
	v_cmpx_eq_f64_e32 0, v[0:1]
	s_xor_b32 s0, exec_lo, s0
; %bb.339:
	v_cmp_ne_u32_e32 vcc_lo, 0, v62
	v_cndmask_b32_e32 v62, 21, v62, vcc_lo
; %bb.340:
	s_andn2_saveexec_b32 s0, s0
	s_cbranch_execz .LBB46_342
; %bb.341:
	v_div_scale_f64 v[55:56], null, v[0:1], v[0:1], 1.0
	v_rcp_f64_e32 v[64:65], v[55:56]
	v_fma_f64 v[66:67], -v[55:56], v[64:65], 1.0
	v_fma_f64 v[64:65], v[64:65], v[66:67], v[64:65]
	v_fma_f64 v[66:67], -v[55:56], v[64:65], 1.0
	v_fma_f64 v[64:65], v[64:65], v[66:67], v[64:65]
	v_div_scale_f64 v[66:67], vcc_lo, 1.0, v[0:1], 1.0
	v_mul_f64 v[68:69], v[66:67], v[64:65]
	v_fma_f64 v[55:56], -v[55:56], v[68:69], v[66:67]
	v_div_fmas_f64 v[55:56], v[55:56], v[64:65], v[68:69]
	v_div_fixup_f64 v[0:1], v[55:56], v[0:1], 1.0
.LBB46_342:
	s_or_b32 exec_lo, exec_lo, s0
	s_mov_b32 s0, exec_lo
	v_cmpx_ne_u32_e64 v63, v54
	s_xor_b32 s0, exec_lo, s0
	s_cbranch_execz .LBB46_348
; %bb.343:
	s_mov_b32 s1, exec_lo
	v_cmpx_eq_u32_e32 20, v63
	s_cbranch_execz .LBB46_347
; %bb.344:
	v_cmp_ne_u32_e32 vcc_lo, 20, v54
	s_xor_b32 s3, s6, -1
	s_and_b32 s7, s3, vcc_lo
	s_and_saveexec_b32 s3, s7
	s_cbranch_execz .LBB46_346
; %bb.345:
	v_ashrrev_i32_e32 v55, 31, v54
	v_lshlrev_b64 v[55:56], 2, v[54:55]
	v_add_co_u32 v55, vcc_lo, v48, v55
	v_add_co_ci_u32_e64 v56, null, v49, v56, vcc_lo
	s_clause 0x1
	global_load_dword v57, v[55:56], off
	global_load_dword v63, v[48:49], off offset:80
	s_waitcnt vmcnt(1)
	global_store_dword v[48:49], v57, off offset:80
	s_waitcnt vmcnt(0)
	global_store_dword v[55:56], v63, off
.LBB46_346:
	s_or_b32 exec_lo, exec_lo, s3
	v_mov_b32_e32 v57, v54
	v_mov_b32_e32 v63, v54
.LBB46_347:
	s_or_b32 exec_lo, exec_lo, s1
.LBB46_348:
	s_andn2_saveexec_b32 s0, s0
	s_cbranch_execz .LBB46_350
; %bb.349:
	v_mov_b32_e32 v63, 20
	ds_write2_b64 v60, v[10:11], v[14:15] offset0:21 offset1:22
	ds_write_b64 v60, v[52:53] offset:184
.LBB46_350:
	s_or_b32 exec_lo, exec_lo, s0
	s_mov_b32 s0, exec_lo
	s_waitcnt lgkmcnt(0)
	s_waitcnt_vscnt null, 0x0
	s_barrier
	buffer_gl0_inv
	v_cmpx_lt_i32_e32 20, v63
	s_cbranch_execz .LBB46_352
; %bb.351:
	v_mul_f64 v[16:17], v[0:1], v[16:17]
	ds_read2_b64 v[64:67], v60 offset0:21 offset1:22
	ds_read_b64 v[0:1], v60 offset:184
	s_waitcnt lgkmcnt(1)
	v_fma_f64 v[10:11], -v[16:17], v[64:65], v[10:11]
	v_fma_f64 v[14:15], -v[16:17], v[66:67], v[14:15]
	s_waitcnt lgkmcnt(0)
	v_fma_f64 v[52:53], -v[16:17], v[0:1], v[52:53]
.LBB46_352:
	s_or_b32 exec_lo, exec_lo, s0
	v_lshl_add_u32 v0, v63, 3, v60
	s_barrier
	buffer_gl0_inv
	v_mov_b32_e32 v54, 21
	ds_write_b64 v0, v[10:11]
	s_waitcnt lgkmcnt(0)
	s_barrier
	buffer_gl0_inv
	ds_read_b64 v[0:1], v60 offset:168
	s_cmp_lt_i32 s2, 23
	s_cbranch_scc1 .LBB46_355
; %bb.353:
	v_add3_u32 v55, v61, 0, 0xb0
	v_mov_b32_e32 v54, 21
	s_mov_b32 s0, 22
.LBB46_354:                             ; =>This Inner Loop Header: Depth=1
	ds_read_b64 v[64:65], v55
	v_add_nc_u32_e32 v55, 8, v55
	s_waitcnt lgkmcnt(0)
	v_cmp_lt_f64_e64 vcc_lo, |v[0:1]|, |v[64:65]|
	v_cndmask_b32_e32 v1, v1, v65, vcc_lo
	v_cndmask_b32_e32 v0, v0, v64, vcc_lo
	v_cndmask_b32_e64 v54, v54, s0, vcc_lo
	s_add_i32 s0, s0, 1
	s_cmp_lg_u32 s2, s0
	s_cbranch_scc1 .LBB46_354
.LBB46_355:
	s_mov_b32 s0, exec_lo
	s_waitcnt lgkmcnt(0)
	v_cmpx_eq_f64_e32 0, v[0:1]
	s_xor_b32 s0, exec_lo, s0
; %bb.356:
	v_cmp_ne_u32_e32 vcc_lo, 0, v62
	v_cndmask_b32_e32 v62, 22, v62, vcc_lo
; %bb.357:
	s_andn2_saveexec_b32 s0, s0
	s_cbranch_execz .LBB46_359
; %bb.358:
	v_div_scale_f64 v[55:56], null, v[0:1], v[0:1], 1.0
	v_rcp_f64_e32 v[64:65], v[55:56]
	v_fma_f64 v[66:67], -v[55:56], v[64:65], 1.0
	v_fma_f64 v[64:65], v[64:65], v[66:67], v[64:65]
	v_fma_f64 v[66:67], -v[55:56], v[64:65], 1.0
	v_fma_f64 v[64:65], v[64:65], v[66:67], v[64:65]
	v_div_scale_f64 v[66:67], vcc_lo, 1.0, v[0:1], 1.0
	v_mul_f64 v[68:69], v[66:67], v[64:65]
	v_fma_f64 v[55:56], -v[55:56], v[68:69], v[66:67]
	v_div_fmas_f64 v[55:56], v[55:56], v[64:65], v[68:69]
	v_div_fixup_f64 v[0:1], v[55:56], v[0:1], 1.0
.LBB46_359:
	s_or_b32 exec_lo, exec_lo, s0
	s_mov_b32 s0, exec_lo
	v_cmpx_ne_u32_e64 v63, v54
	s_xor_b32 s0, exec_lo, s0
	s_cbranch_execz .LBB46_365
; %bb.360:
	s_mov_b32 s1, exec_lo
	v_cmpx_eq_u32_e32 21, v63
	s_cbranch_execz .LBB46_364
; %bb.361:
	v_cmp_ne_u32_e32 vcc_lo, 21, v54
	s_xor_b32 s3, s6, -1
	s_and_b32 s7, s3, vcc_lo
	s_and_saveexec_b32 s3, s7
	s_cbranch_execz .LBB46_363
; %bb.362:
	v_ashrrev_i32_e32 v55, 31, v54
	v_lshlrev_b64 v[55:56], 2, v[54:55]
	v_add_co_u32 v55, vcc_lo, v48, v55
	v_add_co_ci_u32_e64 v56, null, v49, v56, vcc_lo
	s_clause 0x1
	global_load_dword v57, v[55:56], off
	global_load_dword v63, v[48:49], off offset:84
	s_waitcnt vmcnt(1)
	global_store_dword v[48:49], v57, off offset:84
	s_waitcnt vmcnt(0)
	global_store_dword v[55:56], v63, off
.LBB46_363:
	s_or_b32 exec_lo, exec_lo, s3
	v_mov_b32_e32 v57, v54
	v_mov_b32_e32 v63, v54
.LBB46_364:
	s_or_b32 exec_lo, exec_lo, s1
.LBB46_365:
	s_andn2_saveexec_b32 s0, s0
	s_cbranch_execz .LBB46_367
; %bb.366:
	v_mov_b32_e32 v54, v14
	v_mov_b32_e32 v55, v15
	;; [unrolled: 1-line block ×3, first 2 shown]
	ds_write2_b64 v60, v[54:55], v[52:53] offset0:22 offset1:23
.LBB46_367:
	s_or_b32 exec_lo, exec_lo, s0
	s_mov_b32 s0, exec_lo
	s_waitcnt lgkmcnt(0)
	s_waitcnt_vscnt null, 0x0
	s_barrier
	buffer_gl0_inv
	v_cmpx_lt_i32_e32 21, v63
	s_cbranch_execz .LBB46_369
; %bb.368:
	v_mul_f64 v[10:11], v[0:1], v[10:11]
	ds_read2_b64 v[64:67], v60 offset0:22 offset1:23
	s_waitcnt lgkmcnt(0)
	v_fma_f64 v[14:15], -v[10:11], v[64:65], v[14:15]
	v_fma_f64 v[52:53], -v[10:11], v[66:67], v[52:53]
.LBB46_369:
	s_or_b32 exec_lo, exec_lo, s0
	v_lshl_add_u32 v0, v63, 3, v60
	s_barrier
	buffer_gl0_inv
	v_mov_b32_e32 v54, 22
	ds_write_b64 v0, v[14:15]
	s_waitcnt lgkmcnt(0)
	s_barrier
	buffer_gl0_inv
	ds_read_b64 v[0:1], v60 offset:176
	s_cmp_lt_i32 s2, 24
	s_cbranch_scc1 .LBB46_372
; %bb.370:
	v_add3_u32 v55, v61, 0, 0xb8
	v_mov_b32_e32 v54, 22
	s_mov_b32 s0, 23
.LBB46_371:                             ; =>This Inner Loop Header: Depth=1
	ds_read_b64 v[64:65], v55
	v_add_nc_u32_e32 v55, 8, v55
	s_waitcnt lgkmcnt(0)
	v_cmp_lt_f64_e64 vcc_lo, |v[0:1]|, |v[64:65]|
	v_cndmask_b32_e32 v1, v1, v65, vcc_lo
	v_cndmask_b32_e32 v0, v0, v64, vcc_lo
	v_cndmask_b32_e64 v54, v54, s0, vcc_lo
	s_add_i32 s0, s0, 1
	s_cmp_lg_u32 s2, s0
	s_cbranch_scc1 .LBB46_371
.LBB46_372:
	s_mov_b32 s0, exec_lo
	s_waitcnt lgkmcnt(0)
	v_cmpx_eq_f64_e32 0, v[0:1]
	s_xor_b32 s0, exec_lo, s0
; %bb.373:
	v_cmp_ne_u32_e32 vcc_lo, 0, v62
	v_cndmask_b32_e32 v62, 23, v62, vcc_lo
; %bb.374:
	s_andn2_saveexec_b32 s0, s0
	s_cbranch_execz .LBB46_376
; %bb.375:
	v_div_scale_f64 v[55:56], null, v[0:1], v[0:1], 1.0
	v_rcp_f64_e32 v[64:65], v[55:56]
	v_fma_f64 v[66:67], -v[55:56], v[64:65], 1.0
	v_fma_f64 v[64:65], v[64:65], v[66:67], v[64:65]
	v_fma_f64 v[66:67], -v[55:56], v[64:65], 1.0
	v_fma_f64 v[64:65], v[64:65], v[66:67], v[64:65]
	v_div_scale_f64 v[66:67], vcc_lo, 1.0, v[0:1], 1.0
	v_mul_f64 v[68:69], v[66:67], v[64:65]
	v_fma_f64 v[55:56], -v[55:56], v[68:69], v[66:67]
	v_div_fmas_f64 v[55:56], v[55:56], v[64:65], v[68:69]
	v_div_fixup_f64 v[0:1], v[55:56], v[0:1], 1.0
.LBB46_376:
	s_or_b32 exec_lo, exec_lo, s0
	s_mov_b32 s0, exec_lo
	v_cmpx_ne_u32_e64 v63, v54
	s_xor_b32 s0, exec_lo, s0
	s_cbranch_execz .LBB46_382
; %bb.377:
	s_mov_b32 s1, exec_lo
	v_cmpx_eq_u32_e32 22, v63
	s_cbranch_execz .LBB46_381
; %bb.378:
	v_cmp_ne_u32_e32 vcc_lo, 22, v54
	s_xor_b32 s3, s6, -1
	s_and_b32 s7, s3, vcc_lo
	s_and_saveexec_b32 s3, s7
	s_cbranch_execz .LBB46_380
; %bb.379:
	v_ashrrev_i32_e32 v55, 31, v54
	v_lshlrev_b64 v[55:56], 2, v[54:55]
	v_add_co_u32 v55, vcc_lo, v48, v55
	v_add_co_ci_u32_e64 v56, null, v49, v56, vcc_lo
	s_clause 0x1
	global_load_dword v57, v[55:56], off
	global_load_dword v63, v[48:49], off offset:88
	s_waitcnt vmcnt(1)
	global_store_dword v[48:49], v57, off offset:88
	s_waitcnt vmcnt(0)
	global_store_dword v[55:56], v63, off
.LBB46_380:
	s_or_b32 exec_lo, exec_lo, s3
	v_mov_b32_e32 v57, v54
	v_mov_b32_e32 v63, v54
.LBB46_381:
	s_or_b32 exec_lo, exec_lo, s1
.LBB46_382:
	s_andn2_saveexec_b32 s0, s0
; %bb.383:
	v_mov_b32_e32 v63, 22
	ds_write_b64 v60, v[52:53] offset:184
; %bb.384:
	s_or_b32 exec_lo, exec_lo, s0
	s_mov_b32 s0, exec_lo
	s_waitcnt lgkmcnt(0)
	s_waitcnt_vscnt null, 0x0
	s_barrier
	buffer_gl0_inv
	v_cmpx_lt_i32_e32 22, v63
	s_cbranch_execz .LBB46_386
; %bb.385:
	v_mul_f64 v[14:15], v[0:1], v[14:15]
	ds_read_b64 v[0:1], v60 offset:184
	s_waitcnt lgkmcnt(0)
	v_fma_f64 v[52:53], -v[14:15], v[0:1], v[52:53]
.LBB46_386:
	s_or_b32 exec_lo, exec_lo, s0
	v_lshl_add_u32 v0, v63, 3, v60
	s_barrier
	buffer_gl0_inv
	v_mov_b32_e32 v54, 23
	ds_write_b64 v0, v[52:53]
	s_waitcnt lgkmcnt(0)
	s_barrier
	buffer_gl0_inv
	ds_read_b64 v[0:1], v60 offset:184
	s_cmp_lt_i32 s2, 25
	s_cbranch_scc1 .LBB46_389
; %bb.387:
	v_add3_u32 v55, v61, 0, 0xc0
	v_mov_b32_e32 v54, 23
	s_mov_b32 s0, 24
.LBB46_388:                             ; =>This Inner Loop Header: Depth=1
	ds_read_b64 v[60:61], v55
	v_add_nc_u32_e32 v55, 8, v55
	s_waitcnt lgkmcnt(0)
	v_cmp_lt_f64_e64 vcc_lo, |v[0:1]|, |v[60:61]|
	v_cndmask_b32_e32 v1, v1, v61, vcc_lo
	v_cndmask_b32_e32 v0, v0, v60, vcc_lo
	v_cndmask_b32_e64 v54, v54, s0, vcc_lo
	s_add_i32 s0, s0, 1
	s_cmp_lg_u32 s2, s0
	s_cbranch_scc1 .LBB46_388
.LBB46_389:
	s_mov_b32 s0, exec_lo
	s_waitcnt lgkmcnt(0)
	v_cmpx_eq_f64_e32 0, v[0:1]
	s_xor_b32 s0, exec_lo, s0
; %bb.390:
	v_cmp_ne_u32_e32 vcc_lo, 0, v62
	v_cndmask_b32_e32 v62, 24, v62, vcc_lo
; %bb.391:
	s_andn2_saveexec_b32 s0, s0
	s_cbranch_execz .LBB46_393
; %bb.392:
	v_div_scale_f64 v[55:56], null, v[0:1], v[0:1], 1.0
	v_rcp_f64_e32 v[60:61], v[55:56]
	v_fma_f64 v[64:65], -v[55:56], v[60:61], 1.0
	v_fma_f64 v[60:61], v[60:61], v[64:65], v[60:61]
	v_fma_f64 v[64:65], -v[55:56], v[60:61], 1.0
	v_fma_f64 v[60:61], v[60:61], v[64:65], v[60:61]
	v_div_scale_f64 v[64:65], vcc_lo, 1.0, v[0:1], 1.0
	v_mul_f64 v[66:67], v[64:65], v[60:61]
	v_fma_f64 v[55:56], -v[55:56], v[66:67], v[64:65]
	v_div_fmas_f64 v[55:56], v[55:56], v[60:61], v[66:67]
	v_div_fixup_f64 v[0:1], v[55:56], v[0:1], 1.0
.LBB46_393:
	s_or_b32 exec_lo, exec_lo, s0
	v_mov_b32_e32 v55, 23
	s_mov_b32 s0, exec_lo
	v_cmpx_ne_u32_e64 v63, v54
	s_cbranch_execz .LBB46_399
; %bb.394:
	s_mov_b32 s1, exec_lo
	v_cmpx_eq_u32_e32 23, v63
	s_cbranch_execz .LBB46_398
; %bb.395:
	v_cmp_ne_u32_e32 vcc_lo, 23, v54
	s_xor_b32 s2, s6, -1
	s_and_b32 s3, s2, vcc_lo
	s_and_saveexec_b32 s2, s3
	s_cbranch_execz .LBB46_397
; %bb.396:
	v_ashrrev_i32_e32 v55, 31, v54
	v_lshlrev_b64 v[55:56], 2, v[54:55]
	v_add_co_u32 v55, vcc_lo, v48, v55
	v_add_co_ci_u32_e64 v56, null, v49, v56, vcc_lo
	s_clause 0x1
	global_load_dword v57, v[55:56], off
	global_load_dword v60, v[48:49], off offset:92
	s_waitcnt vmcnt(1)
	global_store_dword v[48:49], v57, off offset:92
	s_waitcnt vmcnt(0)
	global_store_dword v[55:56], v60, off
.LBB46_397:
	s_or_b32 exec_lo, exec_lo, s2
	v_mov_b32_e32 v57, v54
	v_mov_b32_e32 v63, v54
.LBB46_398:
	s_or_b32 exec_lo, exec_lo, s1
	v_mov_b32_e32 v55, v63
.LBB46_399:
	s_or_b32 exec_lo, exec_lo, s0
	s_load_dwordx8 s[0:7], s[4:5], 0x28
	v_ashrrev_i32_e32 v56, 31, v55
	s_mov_b32 s9, exec_lo
	s_waitcnt lgkmcnt(0)
	s_waitcnt_vscnt null, 0x0
	s_barrier
	buffer_gl0_inv
	s_barrier
	buffer_gl0_inv
	v_cmpx_gt_i32_e32 24, v55
	s_cbranch_execz .LBB46_401
; %bb.400:
	v_mul_lo_u32 v54, s5, v2
	v_mul_lo_u32 v60, s4, v3
	v_mad_u64_u32 v[48:49], null, s4, v2, 0
	s_lshl_b64 s[2:3], s[2:3], 2
	v_add3_u32 v49, v49, v60, v54
	v_lshlrev_b64 v[48:49], 2, v[48:49]
	v_add_co_u32 v54, vcc_lo, s0, v48
	v_add_co_ci_u32_e64 v60, null, s1, v49, vcc_lo
	v_lshlrev_b64 v[48:49], 2, v[55:56]
	v_add_co_u32 v54, vcc_lo, v54, s2
	v_add_co_ci_u32_e64 v60, null, s3, v60, vcc_lo
	v_add_co_u32 v48, vcc_lo, v54, v48
	v_add_co_ci_u32_e64 v49, null, v60, v49, vcc_lo
	v_add3_u32 v54, v57, s13, 1
	global_store_dword v[48:49], v54, off
.LBB46_401:
	s_or_b32 exec_lo, exec_lo, s9
	s_mov_b32 s1, exec_lo
	v_cmpx_eq_u32_e32 0, v55
	s_cbranch_execz .LBB46_404
; %bb.402:
	v_lshlrev_b64 v[2:3], 2, v[2:3]
	v_cmp_ne_u32_e64 s0, 0, v62
	v_add_co_u32 v2, vcc_lo, s6, v2
	v_add_co_ci_u32_e64 v3, null, s7, v3, vcc_lo
	global_load_dword v48, v[2:3], off
	s_waitcnt vmcnt(0)
	v_cmp_eq_u32_e32 vcc_lo, 0, v48
	s_and_b32 s0, vcc_lo, s0
	s_and_b32 exec_lo, exec_lo, s0
	s_cbranch_execz .LBB46_404
; %bb.403:
	v_add_nc_u32_e32 v48, s13, v62
	global_store_dword v[2:3], v48, off
.LBB46_404:
	s_or_b32 exec_lo, exec_lo, s1
	v_lshlrev_b64 v[48:49], 3, v[55:56]
	v_mul_f64 v[0:1], v[0:1], v[52:53]
	v_add3_u32 v2, s8, s8, v55
	v_cmp_lt_i32_e32 vcc_lo, 23, v55
	v_add_co_u32 v48, s0, v58, v48
	v_add_nc_u32_e32 v54, s8, v2
	v_add_co_ci_u32_e64 v49, null, v59, v49, s0
	v_add_co_u32 v56, s0, v48, s10
	v_ashrrev_i32_e32 v3, 31, v2
	v_add_co_ci_u32_e64 v57, null, s11, v49, s0
	v_add_nc_u32_e32 v60, s8, v54
	v_ashrrev_i32_e32 v55, 31, v54
	v_lshlrev_b64 v[2:3], 3, v[2:3]
	flat_store_dwordx2 v[48:49], v[40:41]
	flat_store_dwordx2 v[56:57], v[38:39]
	v_add_nc_u32_e32 v38, s8, v60
	v_lshlrev_b64 v[40:41], 3, v[54:55]
	v_cndmask_b32_e32 v1, v53, v1, vcc_lo
	v_cndmask_b32_e32 v0, v52, v0, vcc_lo
	v_add_co_u32 v2, vcc_lo, v58, v2
	v_add_nc_u32_e32 v48, s8, v38
	v_ashrrev_i32_e32 v61, 31, v60
	v_add_co_ci_u32_e64 v3, null, v59, v3, vcc_lo
	v_add_co_u32 v40, vcc_lo, v58, v40
	v_ashrrev_i32_e32 v39, 31, v38
	v_add_co_ci_u32_e64 v41, null, v59, v41, vcc_lo
	v_ashrrev_i32_e32 v49, 31, v48
	v_lshlrev_b64 v[52:53], 3, v[60:61]
	flat_store_dwordx2 v[2:3], v[24:25]
	flat_store_dwordx2 v[40:41], v[20:21]
	v_lshlrev_b64 v[2:3], 3, v[38:39]
	v_add_nc_u32_e32 v38, s8, v48
	v_lshlrev_b64 v[24:25], 3, v[48:49]
	v_add_co_u32 v20, vcc_lo, v58, v52
	v_add_co_ci_u32_e64 v21, null, v59, v53, vcc_lo
	v_add_co_u32 v2, vcc_lo, v58, v2
	v_add_co_ci_u32_e64 v3, null, v59, v3, vcc_lo
	v_add_co_u32 v24, vcc_lo, v58, v24
	v_add_nc_u32_e32 v40, s8, v38
	v_add_co_ci_u32_e64 v25, null, v59, v25, vcc_lo
	v_ashrrev_i32_e32 v39, 31, v38
	flat_store_dwordx2 v[20:21], v[32:33]
	flat_store_dwordx2 v[2:3], v[28:29]
	;; [unrolled: 1-line block ×3, first 2 shown]
	v_add_nc_u32_e32 v24, s8, v40
	v_ashrrev_i32_e32 v41, 31, v40
	v_lshlrev_b64 v[20:21], 3, v[38:39]
	v_add_nc_u32_e32 v28, s8, v24
	v_lshlrev_b64 v[2:3], 3, v[40:41]
	v_ashrrev_i32_e32 v25, 31, v24
	v_add_co_u32 v20, vcc_lo, v58, v20
	v_add_nc_u32_e32 v30, s8, v28
	v_add_co_ci_u32_e64 v21, null, v59, v21, vcc_lo
	v_add_co_u32 v2, vcc_lo, v58, v2
	v_ashrrev_i32_e32 v29, 31, v28
	v_add_co_ci_u32_e64 v3, null, v59, v3, vcc_lo
	v_ashrrev_i32_e32 v31, 31, v30
	v_lshlrev_b64 v[24:25], 3, v[24:25]
	flat_store_dwordx2 v[20:21], v[4:5]
	flat_store_dwordx2 v[2:3], v[42:43]
	v_lshlrev_b64 v[2:3], 3, v[28:29]
	v_lshlrev_b64 v[20:21], 3, v[30:31]
	v_add_co_u32 v4, vcc_lo, v58, v24
	v_add_nc_u32_e32 v24, s8, v30
	v_add_co_ci_u32_e64 v5, null, v59, v25, vcc_lo
	v_add_co_u32 v2, vcc_lo, v58, v2
	v_add_co_ci_u32_e64 v3, null, v59, v3, vcc_lo
	v_add_co_u32 v20, vcc_lo, v58, v20
	v_add_nc_u32_e32 v28, s8, v24
	v_add_co_ci_u32_e64 v21, null, v59, v21, vcc_lo
	v_ashrrev_i32_e32 v25, 31, v24
	flat_store_dwordx2 v[4:5], v[26:27]
	flat_store_dwordx2 v[2:3], v[22:23]
	;; [unrolled: 1-line block ×3, first 2 shown]
	v_add_nc_u32_e32 v18, s8, v28
	v_ashrrev_i32_e32 v29, 31, v28
	v_lshlrev_b64 v[4:5], 3, v[24:25]
	v_add_nc_u32_e32 v20, s8, v18
	v_lshlrev_b64 v[2:3], 3, v[28:29]
	v_ashrrev_i32_e32 v19, 31, v18
	v_add_co_u32 v4, vcc_lo, v58, v4
	v_add_nc_u32_e32 v22, s8, v20
	v_add_co_ci_u32_e64 v5, null, v59, v5, vcc_lo
	v_add_co_u32 v2, vcc_lo, v58, v2
	v_lshlrev_b64 v[18:19], 3, v[18:19]
	v_ashrrev_i32_e32 v21, 31, v20
	v_add_co_ci_u32_e64 v3, null, v59, v3, vcc_lo
	v_ashrrev_i32_e32 v23, 31, v22
	flat_store_dwordx2 v[4:5], v[36:37]
	flat_store_dwordx2 v[2:3], v[34:35]
	v_lshlrev_b64 v[2:3], 3, v[20:21]
	v_add_co_u32 v4, vcc_lo, v58, v18
	v_add_co_ci_u32_e64 v5, null, v59, v19, vcc_lo
	v_lshlrev_b64 v[18:19], 3, v[22:23]
	v_add_nc_u32_e32 v20, s8, v22
	v_add_co_u32 v2, vcc_lo, v58, v2
	v_add_co_ci_u32_e64 v3, null, v59, v3, vcc_lo
	v_add_co_u32 v18, vcc_lo, v58, v18
	v_add_nc_u32_e32 v22, s8, v20
	v_add_co_ci_u32_e64 v19, null, v59, v19, vcc_lo
	v_ashrrev_i32_e32 v21, 31, v20
	flat_store_dwordx2 v[4:5], v[8:9]
	flat_store_dwordx2 v[2:3], v[6:7]
	;; [unrolled: 1-line block ×3, first 2 shown]
	v_add_nc_u32_e32 v6, s8, v22
	v_ashrrev_i32_e32 v23, 31, v22
	v_lshlrev_b64 v[4:5], 3, v[20:21]
	v_add_nc_u32_e32 v8, s8, v6
	v_lshlrev_b64 v[2:3], 3, v[22:23]
	v_ashrrev_i32_e32 v7, 31, v6
	v_add_co_u32 v4, vcc_lo, v58, v4
	v_add_co_ci_u32_e64 v5, null, v59, v5, vcc_lo
	v_add_nc_u32_e32 v18, s8, v8
	v_add_co_u32 v2, vcc_lo, v58, v2
	v_add_co_ci_u32_e64 v3, null, v59, v3, vcc_lo
	v_ashrrev_i32_e32 v9, 31, v8
	flat_store_dwordx2 v[4:5], v[46:47]
	v_lshlrev_b64 v[4:5], 3, v[6:7]
	v_ashrrev_i32_e32 v19, 31, v18
	v_add_nc_u32_e32 v6, s8, v18
	flat_store_dwordx2 v[2:3], v[44:45]
	v_lshlrev_b64 v[2:3], 3, v[8:9]
	v_lshlrev_b64 v[8:9], 3, v[18:19]
	v_add_nc_u32_e32 v18, s8, v6
	v_ashrrev_i32_e32 v7, 31, v6
	v_add_co_u32 v4, vcc_lo, v58, v4
	v_add_co_ci_u32_e64 v5, null, v59, v5, vcc_lo
	v_ashrrev_i32_e32 v19, 31, v18
	v_lshlrev_b64 v[6:7], 3, v[6:7]
	v_add_co_u32 v2, vcc_lo, v58, v2
	v_add_co_ci_u32_e64 v3, null, v59, v3, vcc_lo
	v_lshlrev_b64 v[18:19], 3, v[18:19]
	v_add_co_u32 v8, vcc_lo, v58, v8
	v_add_co_ci_u32_e64 v9, null, v59, v9, vcc_lo
	v_add_co_u32 v6, vcc_lo, v58, v6
	v_add_co_ci_u32_e64 v7, null, v59, v7, vcc_lo
	;; [unrolled: 2-line block ×3, first 2 shown]
	flat_store_dwordx2 v[4:5], v[12:13]
	flat_store_dwordx2 v[2:3], v[16:17]
	;; [unrolled: 1-line block ×5, first 2 shown]
.LBB46_405:
	s_endpgm
	.section	.rodata,"a",@progbits
	.p2align	6, 0x0
	.amdhsa_kernel _ZN9rocsolver6v33100L18getf2_small_kernelILi24EdiiPKPdEEvT1_T3_lS5_lPS5_llPT2_S5_S5_S7_l
		.amdhsa_group_segment_fixed_size 0
		.amdhsa_private_segment_fixed_size 0
		.amdhsa_kernarg_size 352
		.amdhsa_user_sgpr_count 6
		.amdhsa_user_sgpr_private_segment_buffer 1
		.amdhsa_user_sgpr_dispatch_ptr 0
		.amdhsa_user_sgpr_queue_ptr 0
		.amdhsa_user_sgpr_kernarg_segment_ptr 1
		.amdhsa_user_sgpr_dispatch_id 0
		.amdhsa_user_sgpr_flat_scratch_init 0
		.amdhsa_user_sgpr_private_segment_size 0
		.amdhsa_wavefront_size32 1
		.amdhsa_uses_dynamic_stack 0
		.amdhsa_system_sgpr_private_segment_wavefront_offset 0
		.amdhsa_system_sgpr_workgroup_id_x 1
		.amdhsa_system_sgpr_workgroup_id_y 1
		.amdhsa_system_sgpr_workgroup_id_z 0
		.amdhsa_system_sgpr_workgroup_info 0
		.amdhsa_system_vgpr_workitem_id 1
		.amdhsa_next_free_vgpr 108
		.amdhsa_next_free_sgpr 14
		.amdhsa_reserve_vcc 1
		.amdhsa_reserve_flat_scratch 1
		.amdhsa_float_round_mode_32 0
		.amdhsa_float_round_mode_16_64 0
		.amdhsa_float_denorm_mode_32 3
		.amdhsa_float_denorm_mode_16_64 3
		.amdhsa_dx10_clamp 1
		.amdhsa_ieee_mode 1
		.amdhsa_fp16_overflow 0
		.amdhsa_workgroup_processor_mode 1
		.amdhsa_memory_ordered 1
		.amdhsa_forward_progress 1
		.amdhsa_shared_vgpr_count 0
		.amdhsa_exception_fp_ieee_invalid_op 0
		.amdhsa_exception_fp_denorm_src 0
		.amdhsa_exception_fp_ieee_div_zero 0
		.amdhsa_exception_fp_ieee_overflow 0
		.amdhsa_exception_fp_ieee_underflow 0
		.amdhsa_exception_fp_ieee_inexact 0
		.amdhsa_exception_int_div_zero 0
	.end_amdhsa_kernel
	.section	.text._ZN9rocsolver6v33100L18getf2_small_kernelILi24EdiiPKPdEEvT1_T3_lS5_lPS5_llPT2_S5_S5_S7_l,"axG",@progbits,_ZN9rocsolver6v33100L18getf2_small_kernelILi24EdiiPKPdEEvT1_T3_lS5_lPS5_llPT2_S5_S5_S7_l,comdat
.Lfunc_end46:
	.size	_ZN9rocsolver6v33100L18getf2_small_kernelILi24EdiiPKPdEEvT1_T3_lS5_lPS5_llPT2_S5_S5_S7_l, .Lfunc_end46-_ZN9rocsolver6v33100L18getf2_small_kernelILi24EdiiPKPdEEvT1_T3_lS5_lPS5_llPT2_S5_S5_S7_l
                                        ; -- End function
	.set _ZN9rocsolver6v33100L18getf2_small_kernelILi24EdiiPKPdEEvT1_T3_lS5_lPS5_llPT2_S5_S5_S7_l.num_vgpr, 108
	.set _ZN9rocsolver6v33100L18getf2_small_kernelILi24EdiiPKPdEEvT1_T3_lS5_lPS5_llPT2_S5_S5_S7_l.num_agpr, 0
	.set _ZN9rocsolver6v33100L18getf2_small_kernelILi24EdiiPKPdEEvT1_T3_lS5_lPS5_llPT2_S5_S5_S7_l.numbered_sgpr, 14
	.set _ZN9rocsolver6v33100L18getf2_small_kernelILi24EdiiPKPdEEvT1_T3_lS5_lPS5_llPT2_S5_S5_S7_l.num_named_barrier, 0
	.set _ZN9rocsolver6v33100L18getf2_small_kernelILi24EdiiPKPdEEvT1_T3_lS5_lPS5_llPT2_S5_S5_S7_l.private_seg_size, 0
	.set _ZN9rocsolver6v33100L18getf2_small_kernelILi24EdiiPKPdEEvT1_T3_lS5_lPS5_llPT2_S5_S5_S7_l.uses_vcc, 1
	.set _ZN9rocsolver6v33100L18getf2_small_kernelILi24EdiiPKPdEEvT1_T3_lS5_lPS5_llPT2_S5_S5_S7_l.uses_flat_scratch, 1
	.set _ZN9rocsolver6v33100L18getf2_small_kernelILi24EdiiPKPdEEvT1_T3_lS5_lPS5_llPT2_S5_S5_S7_l.has_dyn_sized_stack, 0
	.set _ZN9rocsolver6v33100L18getf2_small_kernelILi24EdiiPKPdEEvT1_T3_lS5_lPS5_llPT2_S5_S5_S7_l.has_recursion, 0
	.set _ZN9rocsolver6v33100L18getf2_small_kernelILi24EdiiPKPdEEvT1_T3_lS5_lPS5_llPT2_S5_S5_S7_l.has_indirect_call, 0
	.section	.AMDGPU.csdata,"",@progbits
; Kernel info:
; codeLenInByte = 19364
; TotalNumSgprs: 16
; NumVgprs: 108
; ScratchSize: 0
; MemoryBound: 0
; FloatMode: 240
; IeeeMode: 1
; LDSByteSize: 0 bytes/workgroup (compile time only)
; SGPRBlocks: 0
; VGPRBlocks: 13
; NumSGPRsForWavesPerEU: 16
; NumVGPRsForWavesPerEU: 108
; Occupancy: 9
; WaveLimiterHint : 1
; COMPUTE_PGM_RSRC2:SCRATCH_EN: 0
; COMPUTE_PGM_RSRC2:USER_SGPR: 6
; COMPUTE_PGM_RSRC2:TRAP_HANDLER: 0
; COMPUTE_PGM_RSRC2:TGID_X_EN: 1
; COMPUTE_PGM_RSRC2:TGID_Y_EN: 1
; COMPUTE_PGM_RSRC2:TGID_Z_EN: 0
; COMPUTE_PGM_RSRC2:TIDIG_COMP_CNT: 1
	.section	.text._ZN9rocsolver6v33100L23getf2_npvt_small_kernelILi24EdiiPKPdEEvT1_T3_lS5_lPT2_S5_S5_,"axG",@progbits,_ZN9rocsolver6v33100L23getf2_npvt_small_kernelILi24EdiiPKPdEEvT1_T3_lS5_lPT2_S5_S5_,comdat
	.globl	_ZN9rocsolver6v33100L23getf2_npvt_small_kernelILi24EdiiPKPdEEvT1_T3_lS5_lPT2_S5_S5_ ; -- Begin function _ZN9rocsolver6v33100L23getf2_npvt_small_kernelILi24EdiiPKPdEEvT1_T3_lS5_lPT2_S5_S5_
	.p2align	8
	.type	_ZN9rocsolver6v33100L23getf2_npvt_small_kernelILi24EdiiPKPdEEvT1_T3_lS5_lPT2_S5_S5_,@function
_ZN9rocsolver6v33100L23getf2_npvt_small_kernelILi24EdiiPKPdEEvT1_T3_lS5_lPT2_S5_S5_: ; @_ZN9rocsolver6v33100L23getf2_npvt_small_kernelILi24EdiiPKPdEEvT1_T3_lS5_lPT2_S5_S5_
; %bb.0:
	s_clause 0x1
	s_load_dword s0, s[4:5], 0x44
	s_load_dwordx2 s[8:9], s[4:5], 0x30
	s_waitcnt lgkmcnt(0)
	s_lshr_b32 s10, s0, 16
	s_mov_b32 s0, exec_lo
	v_mad_u64_u32 v[2:3], null, s7, s10, v[1:2]
	v_cmpx_gt_i32_e64 s8, v2
	s_cbranch_execz .LBB47_123
; %bb.1:
	s_clause 0x1
	s_load_dwordx4 s[0:3], s[4:5], 0x8
	s_load_dword s6, s[4:5], 0x18
	v_ashrrev_i32_e32 v3, 31, v2
	v_lshlrev_b32_e32 v52, 3, v0
	v_lshlrev_b32_e32 v100, 3, v1
	s_mulk_i32 s10, 0xc0
	v_mad_u32_u24 v146, 0xc0, v1, 0
	v_lshlrev_b64 v[4:5], 3, v[2:3]
	v_add3_u32 v1, 0, s10, v100
	s_waitcnt lgkmcnt(0)
	v_add_co_u32 v4, vcc_lo, s0, v4
	v_add_co_ci_u32_e64 v5, null, s1, v5, vcc_lo
	v_add3_u32 v6, s6, s6, v0
	s_lshl_b64 s[2:3], s[2:3], 3
	s_ashr_i32 s7, s6, 31
	global_load_dwordx2 v[4:5], v[4:5], off
	s_lshl_b64 s[0:1], s[6:7], 3
	v_add_nc_u32_e32 v8, s6, v6
	v_ashrrev_i32_e32 v7, 31, v6
	v_add_nc_u32_e32 v10, s6, v8
	v_ashrrev_i32_e32 v9, 31, v8
	v_lshlrev_b64 v[6:7], 3, v[6:7]
	v_add_nc_u32_e32 v12, s6, v10
	v_ashrrev_i32_e32 v11, 31, v10
	v_lshlrev_b64 v[8:9], 3, v[8:9]
	;; [unrolled: 3-line block ×16, first 2 shown]
	v_add_nc_u32_e32 v42, s6, v40
	v_lshlrev_b64 v[48:49], 3, v[38:39]
	v_ashrrev_i32_e32 v41, 31, v40
	v_add_nc_u32_e32 v44, s6, v42
	v_ashrrev_i32_e32 v43, 31, v42
	v_lshlrev_b64 v[40:41], 3, v[40:41]
	v_add_nc_u32_e32 v46, s6, v44
	v_ashrrev_i32_e32 v45, 31, v44
	v_lshlrev_b64 v[42:43], 3, v[42:43]
	v_add_nc_u32_e32 v38, s6, v46
	v_ashrrev_i32_e32 v47, 31, v46
	v_lshlrev_b64 v[44:45], 3, v[44:45]
	v_ashrrev_i32_e32 v39, 31, v38
	v_lshlrev_b64 v[46:47], 3, v[46:47]
	v_lshlrev_b64 v[50:51], 3, v[38:39]
	s_waitcnt vmcnt(0)
	v_add_co_u32 v53, vcc_lo, v4, s2
	v_add_co_ci_u32_e64 v54, null, s3, v5, vcc_lo
	v_add_co_u32 v4, vcc_lo, v53, v52
	v_add_co_ci_u32_e64 v5, null, 0, v54, vcc_lo
	;; [unrolled: 2-line block ×25, first 2 shown]
	s_clause 0x17
	flat_load_dwordx2 v[80:81], v[10:11]
	flat_load_dwordx2 v[66:67], v[12:13]
	;; [unrolled: 1-line block ×24, first 2 shown]
	v_cmp_ne_u32_e64 s1, 0, v0
	v_cmp_eq_u32_e64 s0, 0, v0
	s_and_saveexec_b32 s2, s0
	s_cbranch_execz .LBB47_4
; %bb.2:
	s_waitcnt vmcnt(7) lgkmcnt(7)
	ds_write_b64 v1, v[92:93]
	s_waitcnt vmcnt(5) lgkmcnt(6)
	ds_write2_b64 v146, v[96:97], v[98:99] offset0:1 offset1:2
	s_waitcnt vmcnt(4) lgkmcnt(6)
	ds_write2_b64 v146, v[94:95], v[80:81] offset0:3 offset1:4
	ds_write2_b64 v146, v[66:67], v[78:79] offset0:5 offset1:6
	;; [unrolled: 1-line block ×8, first 2 shown]
	s_waitcnt vmcnt(3) lgkmcnt(13)
	ds_write2_b64 v146, v[50:51], v[88:89] offset0:19 offset1:20
	s_waitcnt vmcnt(1) lgkmcnt(12)
	ds_write2_b64 v146, v[84:85], v[86:87] offset0:21 offset1:22
	s_waitcnt vmcnt(0) lgkmcnt(12)
	ds_write_b64 v146, v[90:91] offset:184
	ds_read_b64 v[100:101], v1
	s_waitcnt lgkmcnt(0)
	v_cmp_neq_f64_e32 vcc_lo, 0, v[100:101]
	s_and_b32 exec_lo, exec_lo, vcc_lo
	s_cbranch_execz .LBB47_4
; %bb.3:
	v_div_scale_f64 v[102:103], null, v[100:101], v[100:101], 1.0
	v_rcp_f64_e32 v[104:105], v[102:103]
	v_fma_f64 v[106:107], -v[102:103], v[104:105], 1.0
	v_fma_f64 v[104:105], v[104:105], v[106:107], v[104:105]
	v_fma_f64 v[106:107], -v[102:103], v[104:105], 1.0
	v_fma_f64 v[104:105], v[104:105], v[106:107], v[104:105]
	v_div_scale_f64 v[106:107], vcc_lo, 1.0, v[100:101], 1.0
	v_mul_f64 v[108:109], v[106:107], v[104:105]
	v_fma_f64 v[102:103], -v[102:103], v[108:109], v[106:107]
	v_div_fmas_f64 v[102:103], v[102:103], v[104:105], v[108:109]
	v_div_fixup_f64 v[100:101], v[102:103], v[100:101], 1.0
	ds_write_b64 v1, v[100:101]
.LBB47_4:
	s_or_b32 exec_lo, exec_lo, s2
	s_waitcnt vmcnt(0) lgkmcnt(0)
	s_barrier
	buffer_gl0_inv
	ds_read_b64 v[100:101], v1
	s_and_saveexec_b32 s2, s1
	s_cbranch_execz .LBB47_6
; %bb.5:
	s_waitcnt lgkmcnt(0)
	v_mul_f64 v[92:93], v[100:101], v[92:93]
	ds_read2_b64 v[102:105], v146 offset0:1 offset1:2
	ds_read2_b64 v[106:109], v146 offset0:3 offset1:4
	;; [unrolled: 1-line block ×11, first 2 shown]
	ds_read_b64 v[147:148], v146 offset:184
	s_waitcnt lgkmcnt(11)
	v_fma_f64 v[96:97], -v[92:93], v[102:103], v[96:97]
	v_fma_f64 v[98:99], -v[92:93], v[104:105], v[98:99]
	s_waitcnt lgkmcnt(10)
	v_fma_f64 v[94:95], -v[92:93], v[106:107], v[94:95]
	v_fma_f64 v[80:81], -v[92:93], v[108:109], v[80:81]
	;; [unrolled: 3-line block ×11, first 2 shown]
	s_waitcnt lgkmcnt(0)
	v_fma_f64 v[90:91], -v[92:93], v[147:148], v[90:91]
.LBB47_6:
	s_or_b32 exec_lo, exec_lo, s2
	s_mov_b32 s1, exec_lo
	s_waitcnt lgkmcnt(0)
	s_barrier
	buffer_gl0_inv
	v_cmpx_eq_u32_e32 1, v0
	s_cbranch_execz .LBB47_9
; %bb.7:
	v_mov_b32_e32 v102, v98
	v_mov_b32_e32 v103, v99
	;; [unrolled: 1-line block ×4, first 2 shown]
	ds_write_b64 v1, v[96:97]
	ds_write2_b64 v146, v[102:103], v[104:105] offset0:2 offset1:3
	v_mov_b32_e32 v102, v80
	v_mov_b32_e32 v103, v81
	;; [unrolled: 1-line block ×20, first 2 shown]
	ds_write2_b64 v146, v[102:103], v[104:105] offset0:4 offset1:5
	ds_write2_b64 v146, v[106:107], v[108:109] offset0:6 offset1:7
	;; [unrolled: 1-line block ×5, first 2 shown]
	v_mov_b32_e32 v102, v70
	v_mov_b32_e32 v103, v71
	;; [unrolled: 1-line block ×18, first 2 shown]
	ds_write2_b64 v146, v[102:103], v[104:105] offset0:14 offset1:15
	ds_write2_b64 v146, v[106:107], v[108:109] offset0:16 offset1:17
	;; [unrolled: 1-line block ×5, first 2 shown]
	ds_read_b64 v[102:103], v1
	s_waitcnt lgkmcnt(0)
	v_cmp_neq_f64_e32 vcc_lo, 0, v[102:103]
	s_and_b32 exec_lo, exec_lo, vcc_lo
	s_cbranch_execz .LBB47_9
; %bb.8:
	v_div_scale_f64 v[104:105], null, v[102:103], v[102:103], 1.0
	v_rcp_f64_e32 v[106:107], v[104:105]
	v_fma_f64 v[108:109], -v[104:105], v[106:107], 1.0
	v_fma_f64 v[106:107], v[106:107], v[108:109], v[106:107]
	v_fma_f64 v[108:109], -v[104:105], v[106:107], 1.0
	v_fma_f64 v[106:107], v[106:107], v[108:109], v[106:107]
	v_div_scale_f64 v[108:109], vcc_lo, 1.0, v[102:103], 1.0
	v_mul_f64 v[110:111], v[108:109], v[106:107]
	v_fma_f64 v[104:105], -v[104:105], v[110:111], v[108:109]
	v_div_fmas_f64 v[104:105], v[104:105], v[106:107], v[110:111]
	v_div_fixup_f64 v[102:103], v[104:105], v[102:103], 1.0
	ds_write_b64 v1, v[102:103]
.LBB47_9:
	s_or_b32 exec_lo, exec_lo, s1
	s_waitcnt lgkmcnt(0)
	s_barrier
	buffer_gl0_inv
	ds_read_b64 v[102:103], v1
	s_mov_b32 s1, exec_lo
	v_cmpx_lt_u32_e32 1, v0
	s_cbranch_execz .LBB47_11
; %bb.10:
	s_waitcnt lgkmcnt(0)
	v_mul_f64 v[96:97], v[102:103], v[96:97]
	ds_read2_b64 v[104:107], v146 offset0:2 offset1:3
	ds_read2_b64 v[108:111], v146 offset0:4 offset1:5
	;; [unrolled: 1-line block ×11, first 2 shown]
	s_waitcnt lgkmcnt(10)
	v_fma_f64 v[98:99], -v[96:97], v[104:105], v[98:99]
	v_fma_f64 v[94:95], -v[96:97], v[106:107], v[94:95]
	s_waitcnt lgkmcnt(9)
	v_fma_f64 v[80:81], -v[96:97], v[108:109], v[80:81]
	v_fma_f64 v[66:67], -v[96:97], v[110:111], v[66:67]
	;; [unrolled: 3-line block ×11, first 2 shown]
.LBB47_11:
	s_or_b32 exec_lo, exec_lo, s1
	s_mov_b32 s1, exec_lo
	s_waitcnt lgkmcnt(0)
	s_barrier
	buffer_gl0_inv
	v_cmpx_eq_u32_e32 2, v0
	s_cbranch_execz .LBB47_14
; %bb.12:
	ds_write_b64 v1, v[98:99]
	ds_write2_b64 v146, v[94:95], v[80:81] offset0:3 offset1:4
	ds_write2_b64 v146, v[66:67], v[78:79] offset0:5 offset1:6
	;; [unrolled: 1-line block ×10, first 2 shown]
	ds_write_b64 v146, v[90:91] offset:184
	ds_read_b64 v[104:105], v1
	s_waitcnt lgkmcnt(0)
	v_cmp_neq_f64_e32 vcc_lo, 0, v[104:105]
	s_and_b32 exec_lo, exec_lo, vcc_lo
	s_cbranch_execz .LBB47_14
; %bb.13:
	v_div_scale_f64 v[106:107], null, v[104:105], v[104:105], 1.0
	v_rcp_f64_e32 v[108:109], v[106:107]
	v_fma_f64 v[110:111], -v[106:107], v[108:109], 1.0
	v_fma_f64 v[108:109], v[108:109], v[110:111], v[108:109]
	v_fma_f64 v[110:111], -v[106:107], v[108:109], 1.0
	v_fma_f64 v[108:109], v[108:109], v[110:111], v[108:109]
	v_div_scale_f64 v[110:111], vcc_lo, 1.0, v[104:105], 1.0
	v_mul_f64 v[112:113], v[110:111], v[108:109]
	v_fma_f64 v[106:107], -v[106:107], v[112:113], v[110:111]
	v_div_fmas_f64 v[106:107], v[106:107], v[108:109], v[112:113]
	v_div_fixup_f64 v[104:105], v[106:107], v[104:105], 1.0
	ds_write_b64 v1, v[104:105]
.LBB47_14:
	s_or_b32 exec_lo, exec_lo, s1
	s_waitcnt lgkmcnt(0)
	s_barrier
	buffer_gl0_inv
	ds_read_b64 v[104:105], v1
	s_mov_b32 s1, exec_lo
	v_cmpx_lt_u32_e32 2, v0
	s_cbranch_execz .LBB47_16
; %bb.15:
	s_waitcnt lgkmcnt(0)
	v_mul_f64 v[98:99], v[104:105], v[98:99]
	ds_read2_b64 v[106:109], v146 offset0:3 offset1:4
	ds_read2_b64 v[110:113], v146 offset0:5 offset1:6
	;; [unrolled: 1-line block ×10, first 2 shown]
	ds_read_b64 v[147:148], v146 offset:184
	s_waitcnt lgkmcnt(10)
	v_fma_f64 v[94:95], -v[98:99], v[106:107], v[94:95]
	v_fma_f64 v[80:81], -v[98:99], v[108:109], v[80:81]
	s_waitcnt lgkmcnt(9)
	v_fma_f64 v[66:67], -v[98:99], v[110:111], v[66:67]
	v_fma_f64 v[78:79], -v[98:99], v[112:113], v[78:79]
	;; [unrolled: 3-line block ×10, first 2 shown]
	s_waitcnt lgkmcnt(0)
	v_fma_f64 v[90:91], -v[98:99], v[147:148], v[90:91]
.LBB47_16:
	s_or_b32 exec_lo, exec_lo, s1
	s_mov_b32 s1, exec_lo
	s_waitcnt lgkmcnt(0)
	s_barrier
	buffer_gl0_inv
	v_cmpx_eq_u32_e32 3, v0
	s_cbranch_execz .LBB47_19
; %bb.17:
	v_mov_b32_e32 v106, v80
	v_mov_b32_e32 v107, v81
	;; [unrolled: 1-line block ×20, first 2 shown]
	ds_write_b64 v1, v[94:95]
	ds_write2_b64 v146, v[106:107], v[108:109] offset0:4 offset1:5
	ds_write2_b64 v146, v[110:111], v[112:113] offset0:6 offset1:7
	;; [unrolled: 1-line block ×5, first 2 shown]
	v_mov_b32_e32 v106, v70
	v_mov_b32_e32 v107, v71
	;; [unrolled: 1-line block ×18, first 2 shown]
	ds_write2_b64 v146, v[106:107], v[108:109] offset0:14 offset1:15
	ds_write2_b64 v146, v[110:111], v[112:113] offset0:16 offset1:17
	ds_write2_b64 v146, v[114:115], v[116:117] offset0:18 offset1:19
	ds_write2_b64 v146, v[118:119], v[120:121] offset0:20 offset1:21
	ds_write2_b64 v146, v[122:123], v[90:91] offset0:22 offset1:23
	ds_read_b64 v[106:107], v1
	s_waitcnt lgkmcnt(0)
	v_cmp_neq_f64_e32 vcc_lo, 0, v[106:107]
	s_and_b32 exec_lo, exec_lo, vcc_lo
	s_cbranch_execz .LBB47_19
; %bb.18:
	v_div_scale_f64 v[108:109], null, v[106:107], v[106:107], 1.0
	v_rcp_f64_e32 v[110:111], v[108:109]
	v_fma_f64 v[112:113], -v[108:109], v[110:111], 1.0
	v_fma_f64 v[110:111], v[110:111], v[112:113], v[110:111]
	v_fma_f64 v[112:113], -v[108:109], v[110:111], 1.0
	v_fma_f64 v[110:111], v[110:111], v[112:113], v[110:111]
	v_div_scale_f64 v[112:113], vcc_lo, 1.0, v[106:107], 1.0
	v_mul_f64 v[114:115], v[112:113], v[110:111]
	v_fma_f64 v[108:109], -v[108:109], v[114:115], v[112:113]
	v_div_fmas_f64 v[108:109], v[108:109], v[110:111], v[114:115]
	v_div_fixup_f64 v[106:107], v[108:109], v[106:107], 1.0
	ds_write_b64 v1, v[106:107]
.LBB47_19:
	s_or_b32 exec_lo, exec_lo, s1
	s_waitcnt lgkmcnt(0)
	s_barrier
	buffer_gl0_inv
	ds_read_b64 v[106:107], v1
	s_mov_b32 s1, exec_lo
	v_cmpx_lt_u32_e32 3, v0
	s_cbranch_execz .LBB47_21
; %bb.20:
	s_waitcnt lgkmcnt(0)
	v_mul_f64 v[94:95], v[106:107], v[94:95]
	ds_read2_b64 v[108:111], v146 offset0:4 offset1:5
	ds_read2_b64 v[112:115], v146 offset0:6 offset1:7
	;; [unrolled: 1-line block ×10, first 2 shown]
	s_waitcnt lgkmcnt(9)
	v_fma_f64 v[80:81], -v[94:95], v[108:109], v[80:81]
	v_fma_f64 v[66:67], -v[94:95], v[110:111], v[66:67]
	s_waitcnt lgkmcnt(8)
	v_fma_f64 v[78:79], -v[94:95], v[112:113], v[78:79]
	v_fma_f64 v[64:65], -v[94:95], v[114:115], v[64:65]
	;; [unrolled: 3-line block ×10, first 2 shown]
.LBB47_21:
	s_or_b32 exec_lo, exec_lo, s1
	s_mov_b32 s1, exec_lo
	s_waitcnt lgkmcnt(0)
	s_barrier
	buffer_gl0_inv
	v_cmpx_eq_u32_e32 4, v0
	s_cbranch_execz .LBB47_24
; %bb.22:
	ds_write_b64 v1, v[80:81]
	ds_write2_b64 v146, v[66:67], v[78:79] offset0:5 offset1:6
	ds_write2_b64 v146, v[64:65], v[76:77] offset0:7 offset1:8
	;; [unrolled: 1-line block ×9, first 2 shown]
	ds_write_b64 v146, v[90:91] offset:184
	ds_read_b64 v[108:109], v1
	s_waitcnt lgkmcnt(0)
	v_cmp_neq_f64_e32 vcc_lo, 0, v[108:109]
	s_and_b32 exec_lo, exec_lo, vcc_lo
	s_cbranch_execz .LBB47_24
; %bb.23:
	v_div_scale_f64 v[110:111], null, v[108:109], v[108:109], 1.0
	v_rcp_f64_e32 v[112:113], v[110:111]
	v_fma_f64 v[114:115], -v[110:111], v[112:113], 1.0
	v_fma_f64 v[112:113], v[112:113], v[114:115], v[112:113]
	v_fma_f64 v[114:115], -v[110:111], v[112:113], 1.0
	v_fma_f64 v[112:113], v[112:113], v[114:115], v[112:113]
	v_div_scale_f64 v[114:115], vcc_lo, 1.0, v[108:109], 1.0
	v_mul_f64 v[116:117], v[114:115], v[112:113]
	v_fma_f64 v[110:111], -v[110:111], v[116:117], v[114:115]
	v_div_fmas_f64 v[110:111], v[110:111], v[112:113], v[116:117]
	v_div_fixup_f64 v[108:109], v[110:111], v[108:109], 1.0
	ds_write_b64 v1, v[108:109]
.LBB47_24:
	s_or_b32 exec_lo, exec_lo, s1
	s_waitcnt lgkmcnt(0)
	s_barrier
	buffer_gl0_inv
	ds_read_b64 v[108:109], v1
	s_mov_b32 s1, exec_lo
	v_cmpx_lt_u32_e32 4, v0
	s_cbranch_execz .LBB47_26
; %bb.25:
	s_waitcnt lgkmcnt(0)
	v_mul_f64 v[80:81], v[108:109], v[80:81]
	ds_read2_b64 v[110:113], v146 offset0:5 offset1:6
	ds_read2_b64 v[114:117], v146 offset0:7 offset1:8
	;; [unrolled: 1-line block ×9, first 2 shown]
	ds_read_b64 v[147:148], v146 offset:184
	s_waitcnt lgkmcnt(9)
	v_fma_f64 v[66:67], -v[80:81], v[110:111], v[66:67]
	v_fma_f64 v[78:79], -v[80:81], v[112:113], v[78:79]
	s_waitcnt lgkmcnt(8)
	v_fma_f64 v[64:65], -v[80:81], v[114:115], v[64:65]
	v_fma_f64 v[76:77], -v[80:81], v[116:117], v[76:77]
	;; [unrolled: 3-line block ×9, first 2 shown]
	s_waitcnt lgkmcnt(0)
	v_fma_f64 v[90:91], -v[80:81], v[147:148], v[90:91]
.LBB47_26:
	s_or_b32 exec_lo, exec_lo, s1
	s_mov_b32 s1, exec_lo
	s_waitcnt lgkmcnt(0)
	s_barrier
	buffer_gl0_inv
	v_cmpx_eq_u32_e32 5, v0
	s_cbranch_execz .LBB47_29
; %bb.27:
	v_mov_b32_e32 v110, v78
	v_mov_b32_e32 v111, v79
	v_mov_b32_e32 v112, v64
	v_mov_b32_e32 v113, v65
	v_mov_b32_e32 v114, v76
	v_mov_b32_e32 v115, v77
	v_mov_b32_e32 v116, v62
	v_mov_b32_e32 v117, v63
	v_mov_b32_e32 v118, v74
	v_mov_b32_e32 v119, v75
	v_mov_b32_e32 v120, v60
	v_mov_b32_e32 v121, v61
	v_mov_b32_e32 v122, v72
	v_mov_b32_e32 v123, v73
	v_mov_b32_e32 v124, v58
	v_mov_b32_e32 v125, v59
	ds_write_b64 v1, v[66:67]
	ds_write2_b64 v146, v[110:111], v[112:113] offset0:6 offset1:7
	ds_write2_b64 v146, v[114:115], v[116:117] offset0:8 offset1:9
	;; [unrolled: 1-line block ×4, first 2 shown]
	v_mov_b32_e32 v110, v70
	v_mov_b32_e32 v111, v71
	v_mov_b32_e32 v112, v56
	v_mov_b32_e32 v113, v57
	v_mov_b32_e32 v114, v68
	v_mov_b32_e32 v115, v69
	v_mov_b32_e32 v116, v54
	v_mov_b32_e32 v117, v55
	v_mov_b32_e32 v118, v52
	v_mov_b32_e32 v119, v53
	v_mov_b32_e32 v120, v50
	v_mov_b32_e32 v121, v51
	v_mov_b32_e32 v122, v88
	v_mov_b32_e32 v123, v89
	v_mov_b32_e32 v124, v84
	v_mov_b32_e32 v125, v85
	v_mov_b32_e32 v126, v86
	v_mov_b32_e32 v127, v87
	ds_write2_b64 v146, v[110:111], v[112:113] offset0:14 offset1:15
	ds_write2_b64 v146, v[114:115], v[116:117] offset0:16 offset1:17
	;; [unrolled: 1-line block ×5, first 2 shown]
	ds_read_b64 v[110:111], v1
	s_waitcnt lgkmcnt(0)
	v_cmp_neq_f64_e32 vcc_lo, 0, v[110:111]
	s_and_b32 exec_lo, exec_lo, vcc_lo
	s_cbranch_execz .LBB47_29
; %bb.28:
	v_div_scale_f64 v[112:113], null, v[110:111], v[110:111], 1.0
	v_rcp_f64_e32 v[114:115], v[112:113]
	v_fma_f64 v[116:117], -v[112:113], v[114:115], 1.0
	v_fma_f64 v[114:115], v[114:115], v[116:117], v[114:115]
	v_fma_f64 v[116:117], -v[112:113], v[114:115], 1.0
	v_fma_f64 v[114:115], v[114:115], v[116:117], v[114:115]
	v_div_scale_f64 v[116:117], vcc_lo, 1.0, v[110:111], 1.0
	v_mul_f64 v[118:119], v[116:117], v[114:115]
	v_fma_f64 v[112:113], -v[112:113], v[118:119], v[116:117]
	v_div_fmas_f64 v[112:113], v[112:113], v[114:115], v[118:119]
	v_div_fixup_f64 v[110:111], v[112:113], v[110:111], 1.0
	ds_write_b64 v1, v[110:111]
.LBB47_29:
	s_or_b32 exec_lo, exec_lo, s1
	s_waitcnt lgkmcnt(0)
	s_barrier
	buffer_gl0_inv
	ds_read_b64 v[110:111], v1
	s_mov_b32 s1, exec_lo
	v_cmpx_lt_u32_e32 5, v0
	s_cbranch_execz .LBB47_31
; %bb.30:
	s_waitcnt lgkmcnt(0)
	v_mul_f64 v[66:67], v[110:111], v[66:67]
	ds_read2_b64 v[112:115], v146 offset0:6 offset1:7
	ds_read2_b64 v[116:119], v146 offset0:8 offset1:9
	;; [unrolled: 1-line block ×9, first 2 shown]
	s_waitcnt lgkmcnt(8)
	v_fma_f64 v[78:79], -v[66:67], v[112:113], v[78:79]
	v_fma_f64 v[64:65], -v[66:67], v[114:115], v[64:65]
	s_waitcnt lgkmcnt(7)
	v_fma_f64 v[76:77], -v[66:67], v[116:117], v[76:77]
	v_fma_f64 v[62:63], -v[66:67], v[118:119], v[62:63]
	;; [unrolled: 3-line block ×9, first 2 shown]
.LBB47_31:
	s_or_b32 exec_lo, exec_lo, s1
	s_mov_b32 s1, exec_lo
	s_waitcnt lgkmcnt(0)
	s_barrier
	buffer_gl0_inv
	v_cmpx_eq_u32_e32 6, v0
	s_cbranch_execz .LBB47_34
; %bb.32:
	ds_write_b64 v1, v[78:79]
	ds_write2_b64 v146, v[64:65], v[76:77] offset0:7 offset1:8
	ds_write2_b64 v146, v[62:63], v[74:75] offset0:9 offset1:10
	;; [unrolled: 1-line block ×8, first 2 shown]
	ds_write_b64 v146, v[90:91] offset:184
	ds_read_b64 v[112:113], v1
	s_waitcnt lgkmcnt(0)
	v_cmp_neq_f64_e32 vcc_lo, 0, v[112:113]
	s_and_b32 exec_lo, exec_lo, vcc_lo
	s_cbranch_execz .LBB47_34
; %bb.33:
	v_div_scale_f64 v[114:115], null, v[112:113], v[112:113], 1.0
	v_rcp_f64_e32 v[116:117], v[114:115]
	v_fma_f64 v[118:119], -v[114:115], v[116:117], 1.0
	v_fma_f64 v[116:117], v[116:117], v[118:119], v[116:117]
	v_fma_f64 v[118:119], -v[114:115], v[116:117], 1.0
	v_fma_f64 v[116:117], v[116:117], v[118:119], v[116:117]
	v_div_scale_f64 v[118:119], vcc_lo, 1.0, v[112:113], 1.0
	v_mul_f64 v[120:121], v[118:119], v[116:117]
	v_fma_f64 v[114:115], -v[114:115], v[120:121], v[118:119]
	v_div_fmas_f64 v[114:115], v[114:115], v[116:117], v[120:121]
	v_div_fixup_f64 v[112:113], v[114:115], v[112:113], 1.0
	ds_write_b64 v1, v[112:113]
.LBB47_34:
	s_or_b32 exec_lo, exec_lo, s1
	s_waitcnt lgkmcnt(0)
	s_barrier
	buffer_gl0_inv
	ds_read_b64 v[112:113], v1
	s_mov_b32 s1, exec_lo
	v_cmpx_lt_u32_e32 6, v0
	s_cbranch_execz .LBB47_36
; %bb.35:
	s_waitcnt lgkmcnt(0)
	v_mul_f64 v[78:79], v[112:113], v[78:79]
	ds_read2_b64 v[114:117], v146 offset0:7 offset1:8
	ds_read2_b64 v[118:121], v146 offset0:9 offset1:10
	;; [unrolled: 1-line block ×8, first 2 shown]
	ds_read_b64 v[147:148], v146 offset:184
	s_waitcnt lgkmcnt(8)
	v_fma_f64 v[64:65], -v[78:79], v[114:115], v[64:65]
	v_fma_f64 v[76:77], -v[78:79], v[116:117], v[76:77]
	s_waitcnt lgkmcnt(7)
	v_fma_f64 v[62:63], -v[78:79], v[118:119], v[62:63]
	v_fma_f64 v[74:75], -v[78:79], v[120:121], v[74:75]
	;; [unrolled: 3-line block ×8, first 2 shown]
	s_waitcnt lgkmcnt(0)
	v_fma_f64 v[90:91], -v[78:79], v[147:148], v[90:91]
.LBB47_36:
	s_or_b32 exec_lo, exec_lo, s1
	s_mov_b32 s1, exec_lo
	s_waitcnt lgkmcnt(0)
	s_barrier
	buffer_gl0_inv
	v_cmpx_eq_u32_e32 7, v0
	s_cbranch_execz .LBB47_39
; %bb.37:
	v_mov_b32_e32 v114, v76
	v_mov_b32_e32 v115, v77
	;; [unrolled: 1-line block ×12, first 2 shown]
	ds_write_b64 v1, v[64:65]
	ds_write2_b64 v146, v[114:115], v[116:117] offset0:8 offset1:9
	ds_write2_b64 v146, v[118:119], v[120:121] offset0:10 offset1:11
	;; [unrolled: 1-line block ×3, first 2 shown]
	v_mov_b32_e32 v114, v70
	v_mov_b32_e32 v115, v71
	;; [unrolled: 1-line block ×18, first 2 shown]
	ds_write2_b64 v146, v[114:115], v[116:117] offset0:14 offset1:15
	ds_write2_b64 v146, v[118:119], v[120:121] offset0:16 offset1:17
	;; [unrolled: 1-line block ×5, first 2 shown]
	ds_read_b64 v[114:115], v1
	s_waitcnt lgkmcnt(0)
	v_cmp_neq_f64_e32 vcc_lo, 0, v[114:115]
	s_and_b32 exec_lo, exec_lo, vcc_lo
	s_cbranch_execz .LBB47_39
; %bb.38:
	v_div_scale_f64 v[116:117], null, v[114:115], v[114:115], 1.0
	v_rcp_f64_e32 v[118:119], v[116:117]
	v_fma_f64 v[120:121], -v[116:117], v[118:119], 1.0
	v_fma_f64 v[118:119], v[118:119], v[120:121], v[118:119]
	v_fma_f64 v[120:121], -v[116:117], v[118:119], 1.0
	v_fma_f64 v[118:119], v[118:119], v[120:121], v[118:119]
	v_div_scale_f64 v[120:121], vcc_lo, 1.0, v[114:115], 1.0
	v_mul_f64 v[122:123], v[120:121], v[118:119]
	v_fma_f64 v[116:117], -v[116:117], v[122:123], v[120:121]
	v_div_fmas_f64 v[116:117], v[116:117], v[118:119], v[122:123]
	v_div_fixup_f64 v[114:115], v[116:117], v[114:115], 1.0
	ds_write_b64 v1, v[114:115]
.LBB47_39:
	s_or_b32 exec_lo, exec_lo, s1
	s_waitcnt lgkmcnt(0)
	s_barrier
	buffer_gl0_inv
	ds_read_b64 v[114:115], v1
	s_mov_b32 s1, exec_lo
	v_cmpx_lt_u32_e32 7, v0
	s_cbranch_execz .LBB47_41
; %bb.40:
	s_waitcnt lgkmcnt(0)
	v_mul_f64 v[64:65], v[114:115], v[64:65]
	ds_read2_b64 v[116:119], v146 offset0:8 offset1:9
	ds_read2_b64 v[120:123], v146 offset0:10 offset1:11
	;; [unrolled: 1-line block ×8, first 2 shown]
	s_waitcnt lgkmcnt(7)
	v_fma_f64 v[76:77], -v[64:65], v[116:117], v[76:77]
	v_fma_f64 v[62:63], -v[64:65], v[118:119], v[62:63]
	s_waitcnt lgkmcnt(6)
	v_fma_f64 v[74:75], -v[64:65], v[120:121], v[74:75]
	v_fma_f64 v[60:61], -v[64:65], v[122:123], v[60:61]
	;; [unrolled: 3-line block ×8, first 2 shown]
.LBB47_41:
	s_or_b32 exec_lo, exec_lo, s1
	s_mov_b32 s1, exec_lo
	s_waitcnt lgkmcnt(0)
	s_barrier
	buffer_gl0_inv
	v_cmpx_eq_u32_e32 8, v0
	s_cbranch_execz .LBB47_44
; %bb.42:
	ds_write_b64 v1, v[76:77]
	ds_write2_b64 v146, v[62:63], v[74:75] offset0:9 offset1:10
	ds_write2_b64 v146, v[60:61], v[72:73] offset0:11 offset1:12
	;; [unrolled: 1-line block ×7, first 2 shown]
	ds_write_b64 v146, v[90:91] offset:184
	ds_read_b64 v[116:117], v1
	s_waitcnt lgkmcnt(0)
	v_cmp_neq_f64_e32 vcc_lo, 0, v[116:117]
	s_and_b32 exec_lo, exec_lo, vcc_lo
	s_cbranch_execz .LBB47_44
; %bb.43:
	v_div_scale_f64 v[118:119], null, v[116:117], v[116:117], 1.0
	v_rcp_f64_e32 v[120:121], v[118:119]
	v_fma_f64 v[122:123], -v[118:119], v[120:121], 1.0
	v_fma_f64 v[120:121], v[120:121], v[122:123], v[120:121]
	v_fma_f64 v[122:123], -v[118:119], v[120:121], 1.0
	v_fma_f64 v[120:121], v[120:121], v[122:123], v[120:121]
	v_div_scale_f64 v[122:123], vcc_lo, 1.0, v[116:117], 1.0
	v_mul_f64 v[124:125], v[122:123], v[120:121]
	v_fma_f64 v[118:119], -v[118:119], v[124:125], v[122:123]
	v_div_fmas_f64 v[118:119], v[118:119], v[120:121], v[124:125]
	v_div_fixup_f64 v[116:117], v[118:119], v[116:117], 1.0
	ds_write_b64 v1, v[116:117]
.LBB47_44:
	s_or_b32 exec_lo, exec_lo, s1
	s_waitcnt lgkmcnt(0)
	s_barrier
	buffer_gl0_inv
	ds_read_b64 v[116:117], v1
	s_mov_b32 s1, exec_lo
	v_cmpx_lt_u32_e32 8, v0
	s_cbranch_execz .LBB47_46
; %bb.45:
	s_waitcnt lgkmcnt(0)
	v_mul_f64 v[76:77], v[116:117], v[76:77]
	ds_read2_b64 v[118:121], v146 offset0:9 offset1:10
	ds_read2_b64 v[122:125], v146 offset0:11 offset1:12
	;; [unrolled: 1-line block ×7, first 2 shown]
	ds_read_b64 v[147:148], v146 offset:184
	s_waitcnt lgkmcnt(7)
	v_fma_f64 v[62:63], -v[76:77], v[118:119], v[62:63]
	v_fma_f64 v[74:75], -v[76:77], v[120:121], v[74:75]
	s_waitcnt lgkmcnt(6)
	v_fma_f64 v[60:61], -v[76:77], v[122:123], v[60:61]
	v_fma_f64 v[72:73], -v[76:77], v[124:125], v[72:73]
	;; [unrolled: 3-line block ×7, first 2 shown]
	s_waitcnt lgkmcnt(0)
	v_fma_f64 v[90:91], -v[76:77], v[147:148], v[90:91]
.LBB47_46:
	s_or_b32 exec_lo, exec_lo, s1
	s_mov_b32 s1, exec_lo
	s_waitcnt lgkmcnt(0)
	s_barrier
	buffer_gl0_inv
	v_cmpx_eq_u32_e32 9, v0
	s_cbranch_execz .LBB47_49
; %bb.47:
	v_mov_b32_e32 v118, v74
	v_mov_b32_e32 v119, v75
	;; [unrolled: 1-line block ×8, first 2 shown]
	ds_write_b64 v1, v[62:63]
	ds_write2_b64 v146, v[118:119], v[120:121] offset0:10 offset1:11
	ds_write2_b64 v146, v[122:123], v[124:125] offset0:12 offset1:13
	v_mov_b32_e32 v118, v70
	v_mov_b32_e32 v119, v71
	;; [unrolled: 1-line block ×18, first 2 shown]
	ds_write2_b64 v146, v[118:119], v[120:121] offset0:14 offset1:15
	ds_write2_b64 v146, v[122:123], v[124:125] offset0:16 offset1:17
	ds_write2_b64 v146, v[126:127], v[128:129] offset0:18 offset1:19
	ds_write2_b64 v146, v[130:131], v[132:133] offset0:20 offset1:21
	ds_write2_b64 v146, v[134:135], v[90:91] offset0:22 offset1:23
	ds_read_b64 v[118:119], v1
	s_waitcnt lgkmcnt(0)
	v_cmp_neq_f64_e32 vcc_lo, 0, v[118:119]
	s_and_b32 exec_lo, exec_lo, vcc_lo
	s_cbranch_execz .LBB47_49
; %bb.48:
	v_div_scale_f64 v[120:121], null, v[118:119], v[118:119], 1.0
	v_rcp_f64_e32 v[122:123], v[120:121]
	v_fma_f64 v[124:125], -v[120:121], v[122:123], 1.0
	v_fma_f64 v[122:123], v[122:123], v[124:125], v[122:123]
	v_fma_f64 v[124:125], -v[120:121], v[122:123], 1.0
	v_fma_f64 v[122:123], v[122:123], v[124:125], v[122:123]
	v_div_scale_f64 v[124:125], vcc_lo, 1.0, v[118:119], 1.0
	v_mul_f64 v[126:127], v[124:125], v[122:123]
	v_fma_f64 v[120:121], -v[120:121], v[126:127], v[124:125]
	v_div_fmas_f64 v[120:121], v[120:121], v[122:123], v[126:127]
	v_div_fixup_f64 v[118:119], v[120:121], v[118:119], 1.0
	ds_write_b64 v1, v[118:119]
.LBB47_49:
	s_or_b32 exec_lo, exec_lo, s1
	s_waitcnt lgkmcnt(0)
	s_barrier
	buffer_gl0_inv
	ds_read_b64 v[118:119], v1
	s_mov_b32 s1, exec_lo
	v_cmpx_lt_u32_e32 9, v0
	s_cbranch_execz .LBB47_51
; %bb.50:
	s_waitcnt lgkmcnt(0)
	v_mul_f64 v[62:63], v[118:119], v[62:63]
	ds_read2_b64 v[120:123], v146 offset0:10 offset1:11
	ds_read2_b64 v[124:127], v146 offset0:12 offset1:13
	ds_read2_b64 v[128:131], v146 offset0:14 offset1:15
	ds_read2_b64 v[132:135], v146 offset0:16 offset1:17
	ds_read2_b64 v[136:139], v146 offset0:18 offset1:19
	ds_read2_b64 v[140:143], v146 offset0:20 offset1:21
	ds_read2_b64 v[147:150], v146 offset0:22 offset1:23
	s_waitcnt lgkmcnt(6)
	v_fma_f64 v[74:75], -v[62:63], v[120:121], v[74:75]
	v_fma_f64 v[60:61], -v[62:63], v[122:123], v[60:61]
	s_waitcnt lgkmcnt(5)
	v_fma_f64 v[72:73], -v[62:63], v[124:125], v[72:73]
	v_fma_f64 v[58:59], -v[62:63], v[126:127], v[58:59]
	s_waitcnt lgkmcnt(4)
	v_fma_f64 v[70:71], -v[62:63], v[128:129], v[70:71]
	v_fma_f64 v[56:57], -v[62:63], v[130:131], v[56:57]
	s_waitcnt lgkmcnt(3)
	v_fma_f64 v[68:69], -v[62:63], v[132:133], v[68:69]
	v_fma_f64 v[54:55], -v[62:63], v[134:135], v[54:55]
	s_waitcnt lgkmcnt(2)
	v_fma_f64 v[52:53], -v[62:63], v[136:137], v[52:53]
	v_fma_f64 v[50:51], -v[62:63], v[138:139], v[50:51]
	s_waitcnt lgkmcnt(1)
	v_fma_f64 v[88:89], -v[62:63], v[140:141], v[88:89]
	v_fma_f64 v[84:85], -v[62:63], v[142:143], v[84:85]
	s_waitcnt lgkmcnt(0)
	v_fma_f64 v[86:87], -v[62:63], v[147:148], v[86:87]
	v_fma_f64 v[90:91], -v[62:63], v[149:150], v[90:91]
.LBB47_51:
	s_or_b32 exec_lo, exec_lo, s1
	s_mov_b32 s1, exec_lo
	s_waitcnt lgkmcnt(0)
	s_barrier
	buffer_gl0_inv
	v_cmpx_eq_u32_e32 10, v0
	s_cbranch_execz .LBB47_54
; %bb.52:
	ds_write_b64 v1, v[74:75]
	ds_write2_b64 v146, v[60:61], v[72:73] offset0:11 offset1:12
	ds_write2_b64 v146, v[58:59], v[70:71] offset0:13 offset1:14
	;; [unrolled: 1-line block ×6, first 2 shown]
	ds_write_b64 v146, v[90:91] offset:184
	ds_read_b64 v[120:121], v1
	s_waitcnt lgkmcnt(0)
	v_cmp_neq_f64_e32 vcc_lo, 0, v[120:121]
	s_and_b32 exec_lo, exec_lo, vcc_lo
	s_cbranch_execz .LBB47_54
; %bb.53:
	v_div_scale_f64 v[122:123], null, v[120:121], v[120:121], 1.0
	v_rcp_f64_e32 v[124:125], v[122:123]
	v_fma_f64 v[126:127], -v[122:123], v[124:125], 1.0
	v_fma_f64 v[124:125], v[124:125], v[126:127], v[124:125]
	v_fma_f64 v[126:127], -v[122:123], v[124:125], 1.0
	v_fma_f64 v[124:125], v[124:125], v[126:127], v[124:125]
	v_div_scale_f64 v[126:127], vcc_lo, 1.0, v[120:121], 1.0
	v_mul_f64 v[128:129], v[126:127], v[124:125]
	v_fma_f64 v[122:123], -v[122:123], v[128:129], v[126:127]
	v_div_fmas_f64 v[122:123], v[122:123], v[124:125], v[128:129]
	v_div_fixup_f64 v[120:121], v[122:123], v[120:121], 1.0
	ds_write_b64 v1, v[120:121]
.LBB47_54:
	s_or_b32 exec_lo, exec_lo, s1
	s_waitcnt lgkmcnt(0)
	s_barrier
	buffer_gl0_inv
	ds_read_b64 v[120:121], v1
	s_mov_b32 s1, exec_lo
	v_cmpx_lt_u32_e32 10, v0
	s_cbranch_execz .LBB47_56
; %bb.55:
	s_waitcnt lgkmcnt(0)
	v_mul_f64 v[74:75], v[120:121], v[74:75]
	ds_read2_b64 v[122:125], v146 offset0:11 offset1:12
	ds_read2_b64 v[126:129], v146 offset0:13 offset1:14
	;; [unrolled: 1-line block ×6, first 2 shown]
	ds_read_b64 v[147:148], v146 offset:184
	s_waitcnt lgkmcnt(6)
	v_fma_f64 v[60:61], -v[74:75], v[122:123], v[60:61]
	v_fma_f64 v[72:73], -v[74:75], v[124:125], v[72:73]
	s_waitcnt lgkmcnt(5)
	v_fma_f64 v[58:59], -v[74:75], v[126:127], v[58:59]
	v_fma_f64 v[70:71], -v[74:75], v[128:129], v[70:71]
	;; [unrolled: 3-line block ×6, first 2 shown]
	s_waitcnt lgkmcnt(0)
	v_fma_f64 v[90:91], -v[74:75], v[147:148], v[90:91]
.LBB47_56:
	s_or_b32 exec_lo, exec_lo, s1
	s_mov_b32 s1, exec_lo
	s_waitcnt lgkmcnt(0)
	s_barrier
	buffer_gl0_inv
	v_cmpx_eq_u32_e32 11, v0
	s_cbranch_execz .LBB47_59
; %bb.57:
	v_mov_b32_e32 v122, v72
	v_mov_b32_e32 v123, v73
	;; [unrolled: 1-line block ×4, first 2 shown]
	ds_write_b64 v1, v[60:61]
	ds_write2_b64 v146, v[122:123], v[124:125] offset0:12 offset1:13
	v_mov_b32_e32 v122, v70
	v_mov_b32_e32 v123, v71
	;; [unrolled: 1-line block ×18, first 2 shown]
	ds_write2_b64 v146, v[122:123], v[124:125] offset0:14 offset1:15
	ds_write2_b64 v146, v[126:127], v[128:129] offset0:16 offset1:17
	;; [unrolled: 1-line block ×5, first 2 shown]
	ds_read_b64 v[122:123], v1
	s_waitcnt lgkmcnt(0)
	v_cmp_neq_f64_e32 vcc_lo, 0, v[122:123]
	s_and_b32 exec_lo, exec_lo, vcc_lo
	s_cbranch_execz .LBB47_59
; %bb.58:
	v_div_scale_f64 v[124:125], null, v[122:123], v[122:123], 1.0
	v_rcp_f64_e32 v[126:127], v[124:125]
	v_fma_f64 v[128:129], -v[124:125], v[126:127], 1.0
	v_fma_f64 v[126:127], v[126:127], v[128:129], v[126:127]
	v_fma_f64 v[128:129], -v[124:125], v[126:127], 1.0
	v_fma_f64 v[126:127], v[126:127], v[128:129], v[126:127]
	v_div_scale_f64 v[128:129], vcc_lo, 1.0, v[122:123], 1.0
	v_mul_f64 v[130:131], v[128:129], v[126:127]
	v_fma_f64 v[124:125], -v[124:125], v[130:131], v[128:129]
	v_div_fmas_f64 v[124:125], v[124:125], v[126:127], v[130:131]
	v_div_fixup_f64 v[122:123], v[124:125], v[122:123], 1.0
	ds_write_b64 v1, v[122:123]
.LBB47_59:
	s_or_b32 exec_lo, exec_lo, s1
	s_waitcnt lgkmcnt(0)
	s_barrier
	buffer_gl0_inv
	ds_read_b64 v[122:123], v1
	s_mov_b32 s1, exec_lo
	v_cmpx_lt_u32_e32 11, v0
	s_cbranch_execz .LBB47_61
; %bb.60:
	s_waitcnt lgkmcnt(0)
	v_mul_f64 v[60:61], v[122:123], v[60:61]
	ds_read2_b64 v[124:127], v146 offset0:12 offset1:13
	ds_read2_b64 v[128:131], v146 offset0:14 offset1:15
	;; [unrolled: 1-line block ×6, first 2 shown]
	s_waitcnt lgkmcnt(5)
	v_fma_f64 v[72:73], -v[60:61], v[124:125], v[72:73]
	v_fma_f64 v[58:59], -v[60:61], v[126:127], v[58:59]
	s_waitcnt lgkmcnt(4)
	v_fma_f64 v[70:71], -v[60:61], v[128:129], v[70:71]
	v_fma_f64 v[56:57], -v[60:61], v[130:131], v[56:57]
	;; [unrolled: 3-line block ×6, first 2 shown]
.LBB47_61:
	s_or_b32 exec_lo, exec_lo, s1
	s_mov_b32 s1, exec_lo
	s_waitcnt lgkmcnt(0)
	s_barrier
	buffer_gl0_inv
	v_cmpx_eq_u32_e32 12, v0
	s_cbranch_execz .LBB47_64
; %bb.62:
	ds_write_b64 v1, v[72:73]
	ds_write2_b64 v146, v[58:59], v[70:71] offset0:13 offset1:14
	ds_write2_b64 v146, v[56:57], v[68:69] offset0:15 offset1:16
	;; [unrolled: 1-line block ×5, first 2 shown]
	ds_write_b64 v146, v[90:91] offset:184
	ds_read_b64 v[124:125], v1
	s_waitcnt lgkmcnt(0)
	v_cmp_neq_f64_e32 vcc_lo, 0, v[124:125]
	s_and_b32 exec_lo, exec_lo, vcc_lo
	s_cbranch_execz .LBB47_64
; %bb.63:
	v_div_scale_f64 v[126:127], null, v[124:125], v[124:125], 1.0
	v_rcp_f64_e32 v[128:129], v[126:127]
	v_fma_f64 v[130:131], -v[126:127], v[128:129], 1.0
	v_fma_f64 v[128:129], v[128:129], v[130:131], v[128:129]
	v_fma_f64 v[130:131], -v[126:127], v[128:129], 1.0
	v_fma_f64 v[128:129], v[128:129], v[130:131], v[128:129]
	v_div_scale_f64 v[130:131], vcc_lo, 1.0, v[124:125], 1.0
	v_mul_f64 v[132:133], v[130:131], v[128:129]
	v_fma_f64 v[126:127], -v[126:127], v[132:133], v[130:131]
	v_div_fmas_f64 v[126:127], v[126:127], v[128:129], v[132:133]
	v_div_fixup_f64 v[124:125], v[126:127], v[124:125], 1.0
	ds_write_b64 v1, v[124:125]
.LBB47_64:
	s_or_b32 exec_lo, exec_lo, s1
	s_waitcnt lgkmcnt(0)
	s_barrier
	buffer_gl0_inv
	ds_read_b64 v[124:125], v1
	s_mov_b32 s1, exec_lo
	v_cmpx_lt_u32_e32 12, v0
	s_cbranch_execz .LBB47_66
; %bb.65:
	s_waitcnt lgkmcnt(0)
	v_mul_f64 v[72:73], v[124:125], v[72:73]
	ds_read2_b64 v[126:129], v146 offset0:13 offset1:14
	ds_read2_b64 v[130:133], v146 offset0:15 offset1:16
	;; [unrolled: 1-line block ×5, first 2 shown]
	ds_read_b64 v[147:148], v146 offset:184
	s_waitcnt lgkmcnt(5)
	v_fma_f64 v[58:59], -v[72:73], v[126:127], v[58:59]
	v_fma_f64 v[70:71], -v[72:73], v[128:129], v[70:71]
	s_waitcnt lgkmcnt(4)
	v_fma_f64 v[56:57], -v[72:73], v[130:131], v[56:57]
	v_fma_f64 v[68:69], -v[72:73], v[132:133], v[68:69]
	;; [unrolled: 3-line block ×5, first 2 shown]
	s_waitcnt lgkmcnt(0)
	v_fma_f64 v[90:91], -v[72:73], v[147:148], v[90:91]
.LBB47_66:
	s_or_b32 exec_lo, exec_lo, s1
	s_mov_b32 s1, exec_lo
	s_waitcnt lgkmcnt(0)
	s_barrier
	buffer_gl0_inv
	v_cmpx_eq_u32_e32 13, v0
	s_cbranch_execz .LBB47_69
; %bb.67:
	v_mov_b32_e32 v126, v70
	v_mov_b32_e32 v127, v71
	;; [unrolled: 1-line block ×18, first 2 shown]
	ds_write_b64 v1, v[58:59]
	ds_write2_b64 v146, v[126:127], v[128:129] offset0:14 offset1:15
	ds_write2_b64 v146, v[130:131], v[132:133] offset0:16 offset1:17
	;; [unrolled: 1-line block ×5, first 2 shown]
	ds_read_b64 v[126:127], v1
	s_waitcnt lgkmcnt(0)
	v_cmp_neq_f64_e32 vcc_lo, 0, v[126:127]
	s_and_b32 exec_lo, exec_lo, vcc_lo
	s_cbranch_execz .LBB47_69
; %bb.68:
	v_div_scale_f64 v[128:129], null, v[126:127], v[126:127], 1.0
	v_rcp_f64_e32 v[130:131], v[128:129]
	v_fma_f64 v[132:133], -v[128:129], v[130:131], 1.0
	v_fma_f64 v[130:131], v[130:131], v[132:133], v[130:131]
	v_fma_f64 v[132:133], -v[128:129], v[130:131], 1.0
	v_fma_f64 v[130:131], v[130:131], v[132:133], v[130:131]
	v_div_scale_f64 v[132:133], vcc_lo, 1.0, v[126:127], 1.0
	v_mul_f64 v[134:135], v[132:133], v[130:131]
	v_fma_f64 v[128:129], -v[128:129], v[134:135], v[132:133]
	v_div_fmas_f64 v[128:129], v[128:129], v[130:131], v[134:135]
	v_div_fixup_f64 v[126:127], v[128:129], v[126:127], 1.0
	ds_write_b64 v1, v[126:127]
.LBB47_69:
	s_or_b32 exec_lo, exec_lo, s1
	s_waitcnt lgkmcnt(0)
	s_barrier
	buffer_gl0_inv
	ds_read_b64 v[126:127], v1
	s_mov_b32 s1, exec_lo
	v_cmpx_lt_u32_e32 13, v0
	s_cbranch_execz .LBB47_71
; %bb.70:
	s_waitcnt lgkmcnt(0)
	v_mul_f64 v[58:59], v[126:127], v[58:59]
	ds_read2_b64 v[128:131], v146 offset0:14 offset1:15
	ds_read2_b64 v[132:135], v146 offset0:16 offset1:17
	;; [unrolled: 1-line block ×5, first 2 shown]
	s_waitcnt lgkmcnt(4)
	v_fma_f64 v[70:71], -v[58:59], v[128:129], v[70:71]
	v_fma_f64 v[56:57], -v[58:59], v[130:131], v[56:57]
	s_waitcnt lgkmcnt(3)
	v_fma_f64 v[68:69], -v[58:59], v[132:133], v[68:69]
	v_fma_f64 v[54:55], -v[58:59], v[134:135], v[54:55]
	;; [unrolled: 3-line block ×5, first 2 shown]
.LBB47_71:
	s_or_b32 exec_lo, exec_lo, s1
	s_mov_b32 s1, exec_lo
	s_waitcnt lgkmcnt(0)
	s_barrier
	buffer_gl0_inv
	v_cmpx_eq_u32_e32 14, v0
	s_cbranch_execz .LBB47_74
; %bb.72:
	ds_write_b64 v1, v[70:71]
	ds_write2_b64 v146, v[56:57], v[68:69] offset0:15 offset1:16
	ds_write2_b64 v146, v[54:55], v[52:53] offset0:17 offset1:18
	;; [unrolled: 1-line block ×4, first 2 shown]
	ds_write_b64 v146, v[90:91] offset:184
	ds_read_b64 v[128:129], v1
	s_waitcnt lgkmcnt(0)
	v_cmp_neq_f64_e32 vcc_lo, 0, v[128:129]
	s_and_b32 exec_lo, exec_lo, vcc_lo
	s_cbranch_execz .LBB47_74
; %bb.73:
	v_div_scale_f64 v[130:131], null, v[128:129], v[128:129], 1.0
	v_rcp_f64_e32 v[132:133], v[130:131]
	v_fma_f64 v[134:135], -v[130:131], v[132:133], 1.0
	v_fma_f64 v[132:133], v[132:133], v[134:135], v[132:133]
	v_fma_f64 v[134:135], -v[130:131], v[132:133], 1.0
	v_fma_f64 v[132:133], v[132:133], v[134:135], v[132:133]
	v_div_scale_f64 v[134:135], vcc_lo, 1.0, v[128:129], 1.0
	v_mul_f64 v[136:137], v[134:135], v[132:133]
	v_fma_f64 v[130:131], -v[130:131], v[136:137], v[134:135]
	v_div_fmas_f64 v[130:131], v[130:131], v[132:133], v[136:137]
	v_div_fixup_f64 v[128:129], v[130:131], v[128:129], 1.0
	ds_write_b64 v1, v[128:129]
.LBB47_74:
	s_or_b32 exec_lo, exec_lo, s1
	s_waitcnt lgkmcnt(0)
	s_barrier
	buffer_gl0_inv
	ds_read_b64 v[128:129], v1
	s_mov_b32 s1, exec_lo
	v_cmpx_lt_u32_e32 14, v0
	s_cbranch_execz .LBB47_76
; %bb.75:
	s_waitcnt lgkmcnt(0)
	v_mul_f64 v[70:71], v[128:129], v[70:71]
	ds_read2_b64 v[130:133], v146 offset0:15 offset1:16
	ds_read2_b64 v[134:137], v146 offset0:17 offset1:18
	;; [unrolled: 1-line block ×4, first 2 shown]
	ds_read_b64 v[147:148], v146 offset:184
	s_waitcnt lgkmcnt(4)
	v_fma_f64 v[56:57], -v[70:71], v[130:131], v[56:57]
	v_fma_f64 v[68:69], -v[70:71], v[132:133], v[68:69]
	s_waitcnt lgkmcnt(3)
	v_fma_f64 v[54:55], -v[70:71], v[134:135], v[54:55]
	v_fma_f64 v[52:53], -v[70:71], v[136:137], v[52:53]
	;; [unrolled: 3-line block ×4, first 2 shown]
	s_waitcnt lgkmcnt(0)
	v_fma_f64 v[90:91], -v[70:71], v[147:148], v[90:91]
.LBB47_76:
	s_or_b32 exec_lo, exec_lo, s1
	s_mov_b32 s1, exec_lo
	s_waitcnt lgkmcnt(0)
	s_barrier
	buffer_gl0_inv
	v_cmpx_eq_u32_e32 15, v0
	s_cbranch_execz .LBB47_79
; %bb.77:
	v_mov_b32_e32 v130, v68
	v_mov_b32_e32 v131, v69
	;; [unrolled: 1-line block ×14, first 2 shown]
	ds_write_b64 v1, v[56:57]
	ds_write2_b64 v146, v[130:131], v[132:133] offset0:16 offset1:17
	ds_write2_b64 v146, v[134:135], v[136:137] offset0:18 offset1:19
	;; [unrolled: 1-line block ×4, first 2 shown]
	ds_read_b64 v[130:131], v1
	s_waitcnt lgkmcnt(0)
	v_cmp_neq_f64_e32 vcc_lo, 0, v[130:131]
	s_and_b32 exec_lo, exec_lo, vcc_lo
	s_cbranch_execz .LBB47_79
; %bb.78:
	v_div_scale_f64 v[132:133], null, v[130:131], v[130:131], 1.0
	v_rcp_f64_e32 v[134:135], v[132:133]
	v_fma_f64 v[136:137], -v[132:133], v[134:135], 1.0
	v_fma_f64 v[134:135], v[134:135], v[136:137], v[134:135]
	v_fma_f64 v[136:137], -v[132:133], v[134:135], 1.0
	v_fma_f64 v[134:135], v[134:135], v[136:137], v[134:135]
	v_div_scale_f64 v[136:137], vcc_lo, 1.0, v[130:131], 1.0
	v_mul_f64 v[138:139], v[136:137], v[134:135]
	v_fma_f64 v[132:133], -v[132:133], v[138:139], v[136:137]
	v_div_fmas_f64 v[132:133], v[132:133], v[134:135], v[138:139]
	v_div_fixup_f64 v[130:131], v[132:133], v[130:131], 1.0
	ds_write_b64 v1, v[130:131]
.LBB47_79:
	s_or_b32 exec_lo, exec_lo, s1
	s_waitcnt lgkmcnt(0)
	s_barrier
	buffer_gl0_inv
	ds_read_b64 v[130:131], v1
	s_mov_b32 s1, exec_lo
	v_cmpx_lt_u32_e32 15, v0
	s_cbranch_execz .LBB47_81
; %bb.80:
	s_waitcnt lgkmcnt(0)
	v_mul_f64 v[56:57], v[130:131], v[56:57]
	ds_read2_b64 v[132:135], v146 offset0:16 offset1:17
	ds_read2_b64 v[136:139], v146 offset0:18 offset1:19
	;; [unrolled: 1-line block ×4, first 2 shown]
	s_waitcnt lgkmcnt(3)
	v_fma_f64 v[68:69], -v[56:57], v[132:133], v[68:69]
	v_fma_f64 v[54:55], -v[56:57], v[134:135], v[54:55]
	s_waitcnt lgkmcnt(2)
	v_fma_f64 v[52:53], -v[56:57], v[136:137], v[52:53]
	v_fma_f64 v[50:51], -v[56:57], v[138:139], v[50:51]
	;; [unrolled: 3-line block ×4, first 2 shown]
.LBB47_81:
	s_or_b32 exec_lo, exec_lo, s1
	s_mov_b32 s1, exec_lo
	s_waitcnt lgkmcnt(0)
	s_barrier
	buffer_gl0_inv
	v_cmpx_eq_u32_e32 16, v0
	s_cbranch_execz .LBB47_84
; %bb.82:
	ds_write_b64 v1, v[68:69]
	ds_write2_b64 v146, v[54:55], v[52:53] offset0:17 offset1:18
	ds_write2_b64 v146, v[50:51], v[88:89] offset0:19 offset1:20
	;; [unrolled: 1-line block ×3, first 2 shown]
	ds_write_b64 v146, v[90:91] offset:184
	ds_read_b64 v[132:133], v1
	s_waitcnt lgkmcnt(0)
	v_cmp_neq_f64_e32 vcc_lo, 0, v[132:133]
	s_and_b32 exec_lo, exec_lo, vcc_lo
	s_cbranch_execz .LBB47_84
; %bb.83:
	v_div_scale_f64 v[134:135], null, v[132:133], v[132:133], 1.0
	v_rcp_f64_e32 v[136:137], v[134:135]
	v_fma_f64 v[138:139], -v[134:135], v[136:137], 1.0
	v_fma_f64 v[136:137], v[136:137], v[138:139], v[136:137]
	v_fma_f64 v[138:139], -v[134:135], v[136:137], 1.0
	v_fma_f64 v[136:137], v[136:137], v[138:139], v[136:137]
	v_div_scale_f64 v[138:139], vcc_lo, 1.0, v[132:133], 1.0
	v_mul_f64 v[140:141], v[138:139], v[136:137]
	v_fma_f64 v[134:135], -v[134:135], v[140:141], v[138:139]
	v_div_fmas_f64 v[134:135], v[134:135], v[136:137], v[140:141]
	v_div_fixup_f64 v[132:133], v[134:135], v[132:133], 1.0
	ds_write_b64 v1, v[132:133]
.LBB47_84:
	s_or_b32 exec_lo, exec_lo, s1
	s_waitcnt lgkmcnt(0)
	s_barrier
	buffer_gl0_inv
	ds_read_b64 v[132:133], v1
	s_mov_b32 s1, exec_lo
	v_cmpx_lt_u32_e32 16, v0
	s_cbranch_execz .LBB47_86
; %bb.85:
	s_waitcnt lgkmcnt(0)
	v_mul_f64 v[68:69], v[132:133], v[68:69]
	ds_read2_b64 v[134:137], v146 offset0:17 offset1:18
	ds_read2_b64 v[138:141], v146 offset0:19 offset1:20
	;; [unrolled: 1-line block ×3, first 2 shown]
	ds_read_b64 v[147:148], v146 offset:184
	s_waitcnt lgkmcnt(3)
	v_fma_f64 v[54:55], -v[68:69], v[134:135], v[54:55]
	v_fma_f64 v[52:53], -v[68:69], v[136:137], v[52:53]
	s_waitcnt lgkmcnt(2)
	v_fma_f64 v[50:51], -v[68:69], v[138:139], v[50:51]
	v_fma_f64 v[88:89], -v[68:69], v[140:141], v[88:89]
	;; [unrolled: 3-line block ×3, first 2 shown]
	s_waitcnt lgkmcnt(0)
	v_fma_f64 v[90:91], -v[68:69], v[147:148], v[90:91]
.LBB47_86:
	s_or_b32 exec_lo, exec_lo, s1
	s_mov_b32 s1, exec_lo
	s_waitcnt lgkmcnt(0)
	s_barrier
	buffer_gl0_inv
	v_cmpx_eq_u32_e32 17, v0
	s_cbranch_execz .LBB47_89
; %bb.87:
	v_mov_b32_e32 v134, v52
	v_mov_b32_e32 v135, v53
	;; [unrolled: 1-line block ×10, first 2 shown]
	ds_write_b64 v1, v[54:55]
	ds_write2_b64 v146, v[134:135], v[136:137] offset0:18 offset1:19
	ds_write2_b64 v146, v[138:139], v[140:141] offset0:20 offset1:21
	;; [unrolled: 1-line block ×3, first 2 shown]
	ds_read_b64 v[134:135], v1
	s_waitcnt lgkmcnt(0)
	v_cmp_neq_f64_e32 vcc_lo, 0, v[134:135]
	s_and_b32 exec_lo, exec_lo, vcc_lo
	s_cbranch_execz .LBB47_89
; %bb.88:
	v_div_scale_f64 v[136:137], null, v[134:135], v[134:135], 1.0
	v_rcp_f64_e32 v[138:139], v[136:137]
	v_fma_f64 v[140:141], -v[136:137], v[138:139], 1.0
	v_fma_f64 v[138:139], v[138:139], v[140:141], v[138:139]
	v_fma_f64 v[140:141], -v[136:137], v[138:139], 1.0
	v_fma_f64 v[138:139], v[138:139], v[140:141], v[138:139]
	v_div_scale_f64 v[140:141], vcc_lo, 1.0, v[134:135], 1.0
	v_mul_f64 v[142:143], v[140:141], v[138:139]
	v_fma_f64 v[136:137], -v[136:137], v[142:143], v[140:141]
	v_div_fmas_f64 v[136:137], v[136:137], v[138:139], v[142:143]
	v_div_fixup_f64 v[134:135], v[136:137], v[134:135], 1.0
	ds_write_b64 v1, v[134:135]
.LBB47_89:
	s_or_b32 exec_lo, exec_lo, s1
	s_waitcnt lgkmcnt(0)
	s_barrier
	buffer_gl0_inv
	ds_read_b64 v[134:135], v1
	s_mov_b32 s1, exec_lo
	v_cmpx_lt_u32_e32 17, v0
	s_cbranch_execz .LBB47_91
; %bb.90:
	s_waitcnt lgkmcnt(0)
	v_mul_f64 v[54:55], v[134:135], v[54:55]
	ds_read2_b64 v[136:139], v146 offset0:18 offset1:19
	ds_read2_b64 v[140:143], v146 offset0:20 offset1:21
	;; [unrolled: 1-line block ×3, first 2 shown]
	s_waitcnt lgkmcnt(2)
	v_fma_f64 v[52:53], -v[54:55], v[136:137], v[52:53]
	v_fma_f64 v[50:51], -v[54:55], v[138:139], v[50:51]
	s_waitcnt lgkmcnt(1)
	v_fma_f64 v[88:89], -v[54:55], v[140:141], v[88:89]
	v_fma_f64 v[84:85], -v[54:55], v[142:143], v[84:85]
	;; [unrolled: 3-line block ×3, first 2 shown]
.LBB47_91:
	s_or_b32 exec_lo, exec_lo, s1
	s_mov_b32 s1, exec_lo
	s_waitcnt lgkmcnt(0)
	s_barrier
	buffer_gl0_inv
	v_cmpx_eq_u32_e32 18, v0
	s_cbranch_execz .LBB47_94
; %bb.92:
	ds_write_b64 v1, v[52:53]
	ds_write2_b64 v146, v[50:51], v[88:89] offset0:19 offset1:20
	ds_write2_b64 v146, v[84:85], v[86:87] offset0:21 offset1:22
	ds_write_b64 v146, v[90:91] offset:184
	ds_read_b64 v[136:137], v1
	s_waitcnt lgkmcnt(0)
	v_cmp_neq_f64_e32 vcc_lo, 0, v[136:137]
	s_and_b32 exec_lo, exec_lo, vcc_lo
	s_cbranch_execz .LBB47_94
; %bb.93:
	v_div_scale_f64 v[138:139], null, v[136:137], v[136:137], 1.0
	v_rcp_f64_e32 v[140:141], v[138:139]
	v_fma_f64 v[142:143], -v[138:139], v[140:141], 1.0
	v_fma_f64 v[140:141], v[140:141], v[142:143], v[140:141]
	v_fma_f64 v[142:143], -v[138:139], v[140:141], 1.0
	v_fma_f64 v[140:141], v[140:141], v[142:143], v[140:141]
	v_div_scale_f64 v[142:143], vcc_lo, 1.0, v[136:137], 1.0
	v_mul_f64 v[144:145], v[142:143], v[140:141]
	v_fma_f64 v[138:139], -v[138:139], v[144:145], v[142:143]
	v_div_fmas_f64 v[138:139], v[138:139], v[140:141], v[144:145]
	v_div_fixup_f64 v[136:137], v[138:139], v[136:137], 1.0
	ds_write_b64 v1, v[136:137]
.LBB47_94:
	s_or_b32 exec_lo, exec_lo, s1
	s_waitcnt lgkmcnt(0)
	s_barrier
	buffer_gl0_inv
	ds_read_b64 v[136:137], v1
	s_mov_b32 s1, exec_lo
	v_cmpx_lt_u32_e32 18, v0
	s_cbranch_execz .LBB47_96
; %bb.95:
	s_waitcnt lgkmcnt(0)
	v_mul_f64 v[52:53], v[136:137], v[52:53]
	ds_read2_b64 v[138:141], v146 offset0:19 offset1:20
	ds_read2_b64 v[142:145], v146 offset0:21 offset1:22
	ds_read_b64 v[147:148], v146 offset:184
	s_waitcnt lgkmcnt(2)
	v_fma_f64 v[50:51], -v[52:53], v[138:139], v[50:51]
	v_fma_f64 v[88:89], -v[52:53], v[140:141], v[88:89]
	s_waitcnt lgkmcnt(1)
	v_fma_f64 v[84:85], -v[52:53], v[142:143], v[84:85]
	v_fma_f64 v[86:87], -v[52:53], v[144:145], v[86:87]
	s_waitcnt lgkmcnt(0)
	v_fma_f64 v[90:91], -v[52:53], v[147:148], v[90:91]
.LBB47_96:
	s_or_b32 exec_lo, exec_lo, s1
	s_mov_b32 s1, exec_lo
	s_waitcnt lgkmcnt(0)
	s_barrier
	buffer_gl0_inv
	v_cmpx_eq_u32_e32 19, v0
	s_cbranch_execz .LBB47_99
; %bb.97:
	v_mov_b32_e32 v138, v88
	v_mov_b32_e32 v139, v89
	;; [unrolled: 1-line block ×6, first 2 shown]
	ds_write_b64 v1, v[50:51]
	ds_write2_b64 v146, v[138:139], v[140:141] offset0:20 offset1:21
	ds_write2_b64 v146, v[142:143], v[90:91] offset0:22 offset1:23
	ds_read_b64 v[138:139], v1
	s_waitcnt lgkmcnt(0)
	v_cmp_neq_f64_e32 vcc_lo, 0, v[138:139]
	s_and_b32 exec_lo, exec_lo, vcc_lo
	s_cbranch_execz .LBB47_99
; %bb.98:
	v_div_scale_f64 v[140:141], null, v[138:139], v[138:139], 1.0
	v_rcp_f64_e32 v[142:143], v[140:141]
	v_fma_f64 v[144:145], -v[140:141], v[142:143], 1.0
	v_fma_f64 v[142:143], v[142:143], v[144:145], v[142:143]
	v_fma_f64 v[144:145], -v[140:141], v[142:143], 1.0
	v_fma_f64 v[142:143], v[142:143], v[144:145], v[142:143]
	v_div_scale_f64 v[144:145], vcc_lo, 1.0, v[138:139], 1.0
	v_mul_f64 v[147:148], v[144:145], v[142:143]
	v_fma_f64 v[140:141], -v[140:141], v[147:148], v[144:145]
	v_div_fmas_f64 v[140:141], v[140:141], v[142:143], v[147:148]
	v_div_fixup_f64 v[138:139], v[140:141], v[138:139], 1.0
	ds_write_b64 v1, v[138:139]
.LBB47_99:
	s_or_b32 exec_lo, exec_lo, s1
	s_waitcnt lgkmcnt(0)
	s_barrier
	buffer_gl0_inv
	ds_read_b64 v[138:139], v1
	s_mov_b32 s1, exec_lo
	v_cmpx_lt_u32_e32 19, v0
	s_cbranch_execz .LBB47_101
; %bb.100:
	s_waitcnt lgkmcnt(0)
	v_mul_f64 v[50:51], v[138:139], v[50:51]
	ds_read2_b64 v[140:143], v146 offset0:20 offset1:21
	ds_read2_b64 v[147:150], v146 offset0:22 offset1:23
	s_waitcnt lgkmcnt(1)
	v_fma_f64 v[88:89], -v[50:51], v[140:141], v[88:89]
	v_fma_f64 v[84:85], -v[50:51], v[142:143], v[84:85]
	s_waitcnt lgkmcnt(0)
	v_fma_f64 v[86:87], -v[50:51], v[147:148], v[86:87]
	v_fma_f64 v[90:91], -v[50:51], v[149:150], v[90:91]
.LBB47_101:
	s_or_b32 exec_lo, exec_lo, s1
	s_mov_b32 s1, exec_lo
	s_waitcnt lgkmcnt(0)
	s_barrier
	buffer_gl0_inv
	v_cmpx_eq_u32_e32 20, v0
	s_cbranch_execz .LBB47_104
; %bb.102:
	ds_write_b64 v1, v[88:89]
	ds_write2_b64 v146, v[84:85], v[86:87] offset0:21 offset1:22
	ds_write_b64 v146, v[90:91] offset:184
	ds_read_b64 v[140:141], v1
	s_waitcnt lgkmcnt(0)
	v_cmp_neq_f64_e32 vcc_lo, 0, v[140:141]
	s_and_b32 exec_lo, exec_lo, vcc_lo
	s_cbranch_execz .LBB47_104
; %bb.103:
	v_div_scale_f64 v[142:143], null, v[140:141], v[140:141], 1.0
	v_rcp_f64_e32 v[144:145], v[142:143]
	v_fma_f64 v[147:148], -v[142:143], v[144:145], 1.0
	v_fma_f64 v[144:145], v[144:145], v[147:148], v[144:145]
	v_fma_f64 v[147:148], -v[142:143], v[144:145], 1.0
	v_fma_f64 v[144:145], v[144:145], v[147:148], v[144:145]
	v_div_scale_f64 v[147:148], vcc_lo, 1.0, v[140:141], 1.0
	v_mul_f64 v[149:150], v[147:148], v[144:145]
	v_fma_f64 v[142:143], -v[142:143], v[149:150], v[147:148]
	v_div_fmas_f64 v[142:143], v[142:143], v[144:145], v[149:150]
	v_div_fixup_f64 v[140:141], v[142:143], v[140:141], 1.0
	ds_write_b64 v1, v[140:141]
.LBB47_104:
	s_or_b32 exec_lo, exec_lo, s1
	s_waitcnt lgkmcnt(0)
	s_barrier
	buffer_gl0_inv
	ds_read_b64 v[140:141], v1
	s_mov_b32 s1, exec_lo
	v_cmpx_lt_u32_e32 20, v0
	s_cbranch_execz .LBB47_106
; %bb.105:
	s_waitcnt lgkmcnt(0)
	v_mul_f64 v[88:89], v[140:141], v[88:89]
	ds_read2_b64 v[142:145], v146 offset0:21 offset1:22
	ds_read_b64 v[147:148], v146 offset:184
	s_waitcnt lgkmcnt(1)
	v_fma_f64 v[84:85], -v[88:89], v[142:143], v[84:85]
	v_fma_f64 v[86:87], -v[88:89], v[144:145], v[86:87]
	s_waitcnt lgkmcnt(0)
	v_fma_f64 v[90:91], -v[88:89], v[147:148], v[90:91]
.LBB47_106:
	s_or_b32 exec_lo, exec_lo, s1
	s_mov_b32 s1, exec_lo
	s_waitcnt lgkmcnt(0)
	s_barrier
	buffer_gl0_inv
	v_cmpx_eq_u32_e32 21, v0
	s_cbranch_execz .LBB47_109
; %bb.107:
	v_mov_b32_e32 v142, v86
	v_mov_b32_e32 v143, v87
	ds_write_b64 v1, v[84:85]
	ds_write2_b64 v146, v[142:143], v[90:91] offset0:22 offset1:23
	ds_read_b64 v[142:143], v1
	s_waitcnt lgkmcnt(0)
	v_cmp_neq_f64_e32 vcc_lo, 0, v[142:143]
	s_and_b32 exec_lo, exec_lo, vcc_lo
	s_cbranch_execz .LBB47_109
; %bb.108:
	v_div_scale_f64 v[144:145], null, v[142:143], v[142:143], 1.0
	v_rcp_f64_e32 v[147:148], v[144:145]
	v_fma_f64 v[149:150], -v[144:145], v[147:148], 1.0
	v_fma_f64 v[147:148], v[147:148], v[149:150], v[147:148]
	v_fma_f64 v[149:150], -v[144:145], v[147:148], 1.0
	v_fma_f64 v[147:148], v[147:148], v[149:150], v[147:148]
	v_div_scale_f64 v[149:150], vcc_lo, 1.0, v[142:143], 1.0
	v_mul_f64 v[151:152], v[149:150], v[147:148]
	v_fma_f64 v[144:145], -v[144:145], v[151:152], v[149:150]
	v_div_fmas_f64 v[144:145], v[144:145], v[147:148], v[151:152]
	v_div_fixup_f64 v[142:143], v[144:145], v[142:143], 1.0
	ds_write_b64 v1, v[142:143]
.LBB47_109:
	s_or_b32 exec_lo, exec_lo, s1
	s_waitcnt lgkmcnt(0)
	s_barrier
	buffer_gl0_inv
	ds_read_b64 v[142:143], v1
	s_mov_b32 s1, exec_lo
	v_cmpx_lt_u32_e32 21, v0
	s_cbranch_execz .LBB47_111
; %bb.110:
	s_waitcnt lgkmcnt(0)
	v_mul_f64 v[84:85], v[142:143], v[84:85]
	ds_read2_b64 v[147:150], v146 offset0:22 offset1:23
	s_waitcnt lgkmcnt(0)
	v_fma_f64 v[86:87], -v[84:85], v[147:148], v[86:87]
	v_fma_f64 v[90:91], -v[84:85], v[149:150], v[90:91]
.LBB47_111:
	s_or_b32 exec_lo, exec_lo, s1
	s_mov_b32 s1, exec_lo
	s_waitcnt lgkmcnt(0)
	s_barrier
	buffer_gl0_inv
	v_cmpx_eq_u32_e32 22, v0
	s_cbranch_execz .LBB47_114
; %bb.112:
	ds_write_b64 v1, v[86:87]
	ds_write_b64 v146, v[90:91] offset:184
	ds_read_b64 v[144:145], v1
	s_waitcnt lgkmcnt(0)
	v_cmp_neq_f64_e32 vcc_lo, 0, v[144:145]
	s_and_b32 exec_lo, exec_lo, vcc_lo
	s_cbranch_execz .LBB47_114
; %bb.113:
	v_div_scale_f64 v[147:148], null, v[144:145], v[144:145], 1.0
	v_rcp_f64_e32 v[149:150], v[147:148]
	v_fma_f64 v[151:152], -v[147:148], v[149:150], 1.0
	v_fma_f64 v[149:150], v[149:150], v[151:152], v[149:150]
	v_fma_f64 v[151:152], -v[147:148], v[149:150], 1.0
	v_fma_f64 v[149:150], v[149:150], v[151:152], v[149:150]
	v_div_scale_f64 v[151:152], vcc_lo, 1.0, v[144:145], 1.0
	v_mul_f64 v[153:154], v[151:152], v[149:150]
	v_fma_f64 v[147:148], -v[147:148], v[153:154], v[151:152]
	v_div_fmas_f64 v[147:148], v[147:148], v[149:150], v[153:154]
	v_div_fixup_f64 v[144:145], v[147:148], v[144:145], 1.0
	ds_write_b64 v1, v[144:145]
.LBB47_114:
	s_or_b32 exec_lo, exec_lo, s1
	s_waitcnt lgkmcnt(0)
	s_barrier
	buffer_gl0_inv
	ds_read_b64 v[144:145], v1
	s_mov_b32 s1, exec_lo
	v_cmpx_lt_u32_e32 22, v0
	s_cbranch_execz .LBB47_116
; %bb.115:
	s_waitcnt lgkmcnt(0)
	v_mul_f64 v[86:87], v[144:145], v[86:87]
	ds_read_b64 v[146:147], v146 offset:184
	s_waitcnt lgkmcnt(0)
	v_fma_f64 v[90:91], -v[86:87], v[146:147], v[90:91]
.LBB47_116:
	s_or_b32 exec_lo, exec_lo, s1
	s_mov_b32 s1, exec_lo
	s_waitcnt lgkmcnt(0)
	s_barrier
	buffer_gl0_inv
	v_cmpx_eq_u32_e32 23, v0
	s_cbranch_execz .LBB47_119
; %bb.117:
	v_cmp_neq_f64_e32 vcc_lo, 0, v[90:91]
	ds_write_b64 v1, v[90:91]
	s_and_b32 exec_lo, exec_lo, vcc_lo
	s_cbranch_execz .LBB47_119
; %bb.118:
	v_div_scale_f64 v[146:147], null, v[90:91], v[90:91], 1.0
	v_rcp_f64_e32 v[148:149], v[146:147]
	v_fma_f64 v[150:151], -v[146:147], v[148:149], 1.0
	v_fma_f64 v[148:149], v[148:149], v[150:151], v[148:149]
	v_fma_f64 v[150:151], -v[146:147], v[148:149], 1.0
	v_fma_f64 v[148:149], v[148:149], v[150:151], v[148:149]
	v_div_scale_f64 v[150:151], vcc_lo, 1.0, v[90:91], 1.0
	v_mul_f64 v[152:153], v[150:151], v[148:149]
	v_fma_f64 v[146:147], -v[146:147], v[152:153], v[150:151]
	v_div_fmas_f64 v[146:147], v[146:147], v[148:149], v[152:153]
	v_div_fixup_f64 v[146:147], v[146:147], v[90:91], 1.0
	ds_write_b64 v1, v[146:147]
.LBB47_119:
	s_or_b32 exec_lo, exec_lo, s1
	s_waitcnt lgkmcnt(0)
	s_barrier
	buffer_gl0_inv
	ds_read_b64 v[146:147], v1
	s_waitcnt lgkmcnt(0)
	s_barrier
	buffer_gl0_inv
	s_and_saveexec_b32 s3, s0
	s_cbranch_execz .LBB47_122
; %bb.120:
	s_load_dwordx2 s[0:1], s[4:5], 0x28
	v_lshlrev_b64 v[1:2], 2, v[2:3]
	v_cmp_eq_f64_e64 s2, 0, v[106:107]
	s_waitcnt lgkmcnt(0)
	v_add_co_u32 v1, vcc_lo, s0, v1
	v_add_co_ci_u32_e64 v2, null, s1, v2, vcc_lo
	v_cmp_eq_f64_e32 vcc_lo, 0, v[100:101]
	v_cmp_neq_f64_e64 s0, 0, v[102:103]
	v_cmp_eq_f64_e64 s1, 0, v[104:105]
	global_load_dword v148, v[1:2], off
	v_cndmask_b32_e64 v3, 0, 1, vcc_lo
	s_or_b32 vcc_lo, s0, vcc_lo
	v_cmp_eq_f64_e64 s0, 0, v[108:109]
	v_cndmask_b32_e32 v3, 2, v3, vcc_lo
	v_cmp_eq_u32_e32 vcc_lo, 0, v3
	s_and_b32 s1, s1, vcc_lo
	v_cndmask_b32_e64 v3, v3, 3, s1
	v_cmp_eq_f64_e64 s1, 0, v[110:111]
	v_cmp_eq_u32_e32 vcc_lo, 0, v3
	s_and_b32 s2, s2, vcc_lo
	v_cndmask_b32_e64 v3, v3, 4, s2
	v_cmp_eq_f64_e64 s2, 0, v[112:113]
	;; [unrolled: 4-line block ×19, first 2 shown]
	v_cmp_eq_u32_e32 vcc_lo, 0, v3
	s_and_b32 s2, s2, vcc_lo
	v_cndmask_b32_e64 v3, v3, 22, s2
	v_cmp_eq_u32_e32 vcc_lo, 0, v3
	s_and_b32 s0, s0, vcc_lo
	v_cndmask_b32_e64 v3, v3, 23, s0
	;; [unrolled: 3-line block ×3, first 2 shown]
	v_cmp_ne_u32_e64 s0, 0, v3
	s_waitcnt vmcnt(0)
	v_cmp_eq_u32_e32 vcc_lo, 0, v148
	s_and_b32 s0, vcc_lo, s0
	s_and_b32 exec_lo, exec_lo, s0
	s_cbranch_execz .LBB47_122
; %bb.121:
	v_add_nc_u32_e32 v3, s9, v3
	global_store_dword v[1:2], v3, off
.LBB47_122:
	s_or_b32 exec_lo, exec_lo, s3
	v_mul_f64 v[1:2], v[146:147], v[90:91]
	v_cmp_lt_u32_e32 vcc_lo, 23, v0
	flat_store_dwordx2 v[4:5], v[92:93]
	flat_store_dwordx2 v[82:83], v[96:97]
	;; [unrolled: 1-line block ×18, first 2 shown]
	v_cndmask_b32_e32 v2, v91, v2, vcc_lo
	v_cndmask_b32_e32 v1, v90, v1, vcc_lo
	flat_store_dwordx2 v[36:37], v[52:53]
	flat_store_dwordx2 v[40:41], v[50:51]
	;; [unrolled: 1-line block ×6, first 2 shown]
.LBB47_123:
	s_endpgm
	.section	.rodata,"a",@progbits
	.p2align	6, 0x0
	.amdhsa_kernel _ZN9rocsolver6v33100L23getf2_npvt_small_kernelILi24EdiiPKPdEEvT1_T3_lS5_lPT2_S5_S5_
		.amdhsa_group_segment_fixed_size 0
		.amdhsa_private_segment_fixed_size 0
		.amdhsa_kernarg_size 312
		.amdhsa_user_sgpr_count 6
		.amdhsa_user_sgpr_private_segment_buffer 1
		.amdhsa_user_sgpr_dispatch_ptr 0
		.amdhsa_user_sgpr_queue_ptr 0
		.amdhsa_user_sgpr_kernarg_segment_ptr 1
		.amdhsa_user_sgpr_dispatch_id 0
		.amdhsa_user_sgpr_flat_scratch_init 0
		.amdhsa_user_sgpr_private_segment_size 0
		.amdhsa_wavefront_size32 1
		.amdhsa_uses_dynamic_stack 0
		.amdhsa_system_sgpr_private_segment_wavefront_offset 0
		.amdhsa_system_sgpr_workgroup_id_x 1
		.amdhsa_system_sgpr_workgroup_id_y 1
		.amdhsa_system_sgpr_workgroup_id_z 0
		.amdhsa_system_sgpr_workgroup_info 0
		.amdhsa_system_vgpr_workitem_id 1
		.amdhsa_next_free_vgpr 155
		.amdhsa_next_free_sgpr 11
		.amdhsa_reserve_vcc 1
		.amdhsa_reserve_flat_scratch 1
		.amdhsa_float_round_mode_32 0
		.amdhsa_float_round_mode_16_64 0
		.amdhsa_float_denorm_mode_32 3
		.amdhsa_float_denorm_mode_16_64 3
		.amdhsa_dx10_clamp 1
		.amdhsa_ieee_mode 1
		.amdhsa_fp16_overflow 0
		.amdhsa_workgroup_processor_mode 1
		.amdhsa_memory_ordered 1
		.amdhsa_forward_progress 1
		.amdhsa_shared_vgpr_count 0
		.amdhsa_exception_fp_ieee_invalid_op 0
		.amdhsa_exception_fp_denorm_src 0
		.amdhsa_exception_fp_ieee_div_zero 0
		.amdhsa_exception_fp_ieee_overflow 0
		.amdhsa_exception_fp_ieee_underflow 0
		.amdhsa_exception_fp_ieee_inexact 0
		.amdhsa_exception_int_div_zero 0
	.end_amdhsa_kernel
	.section	.text._ZN9rocsolver6v33100L23getf2_npvt_small_kernelILi24EdiiPKPdEEvT1_T3_lS5_lPT2_S5_S5_,"axG",@progbits,_ZN9rocsolver6v33100L23getf2_npvt_small_kernelILi24EdiiPKPdEEvT1_T3_lS5_lPT2_S5_S5_,comdat
.Lfunc_end47:
	.size	_ZN9rocsolver6v33100L23getf2_npvt_small_kernelILi24EdiiPKPdEEvT1_T3_lS5_lPT2_S5_S5_, .Lfunc_end47-_ZN9rocsolver6v33100L23getf2_npvt_small_kernelILi24EdiiPKPdEEvT1_T3_lS5_lPT2_S5_S5_
                                        ; -- End function
	.set _ZN9rocsolver6v33100L23getf2_npvt_small_kernelILi24EdiiPKPdEEvT1_T3_lS5_lPT2_S5_S5_.num_vgpr, 155
	.set _ZN9rocsolver6v33100L23getf2_npvt_small_kernelILi24EdiiPKPdEEvT1_T3_lS5_lPT2_S5_S5_.num_agpr, 0
	.set _ZN9rocsolver6v33100L23getf2_npvt_small_kernelILi24EdiiPKPdEEvT1_T3_lS5_lPT2_S5_S5_.numbered_sgpr, 11
	.set _ZN9rocsolver6v33100L23getf2_npvt_small_kernelILi24EdiiPKPdEEvT1_T3_lS5_lPT2_S5_S5_.num_named_barrier, 0
	.set _ZN9rocsolver6v33100L23getf2_npvt_small_kernelILi24EdiiPKPdEEvT1_T3_lS5_lPT2_S5_S5_.private_seg_size, 0
	.set _ZN9rocsolver6v33100L23getf2_npvt_small_kernelILi24EdiiPKPdEEvT1_T3_lS5_lPT2_S5_S5_.uses_vcc, 1
	.set _ZN9rocsolver6v33100L23getf2_npvt_small_kernelILi24EdiiPKPdEEvT1_T3_lS5_lPT2_S5_S5_.uses_flat_scratch, 1
	.set _ZN9rocsolver6v33100L23getf2_npvt_small_kernelILi24EdiiPKPdEEvT1_T3_lS5_lPT2_S5_S5_.has_dyn_sized_stack, 0
	.set _ZN9rocsolver6v33100L23getf2_npvt_small_kernelILi24EdiiPKPdEEvT1_T3_lS5_lPT2_S5_S5_.has_recursion, 0
	.set _ZN9rocsolver6v33100L23getf2_npvt_small_kernelILi24EdiiPKPdEEvT1_T3_lS5_lPT2_S5_S5_.has_indirect_call, 0
	.section	.AMDGPU.csdata,"",@progbits
; Kernel info:
; codeLenInByte = 13020
; TotalNumSgprs: 13
; NumVgprs: 155
; ScratchSize: 0
; MemoryBound: 0
; FloatMode: 240
; IeeeMode: 1
; LDSByteSize: 0 bytes/workgroup (compile time only)
; SGPRBlocks: 0
; VGPRBlocks: 19
; NumSGPRsForWavesPerEU: 13
; NumVGPRsForWavesPerEU: 155
; Occupancy: 6
; WaveLimiterHint : 1
; COMPUTE_PGM_RSRC2:SCRATCH_EN: 0
; COMPUTE_PGM_RSRC2:USER_SGPR: 6
; COMPUTE_PGM_RSRC2:TRAP_HANDLER: 0
; COMPUTE_PGM_RSRC2:TGID_X_EN: 1
; COMPUTE_PGM_RSRC2:TGID_Y_EN: 1
; COMPUTE_PGM_RSRC2:TGID_Z_EN: 0
; COMPUTE_PGM_RSRC2:TIDIG_COMP_CNT: 1
	.section	.text._ZN9rocsolver6v33100L18getf2_small_kernelILi25EdiiPKPdEEvT1_T3_lS5_lPS5_llPT2_S5_S5_S7_l,"axG",@progbits,_ZN9rocsolver6v33100L18getf2_small_kernelILi25EdiiPKPdEEvT1_T3_lS5_lPS5_llPT2_S5_S5_S7_l,comdat
	.globl	_ZN9rocsolver6v33100L18getf2_small_kernelILi25EdiiPKPdEEvT1_T3_lS5_lPS5_llPT2_S5_S5_S7_l ; -- Begin function _ZN9rocsolver6v33100L18getf2_small_kernelILi25EdiiPKPdEEvT1_T3_lS5_lPS5_llPT2_S5_S5_S7_l
	.p2align	8
	.type	_ZN9rocsolver6v33100L18getf2_small_kernelILi25EdiiPKPdEEvT1_T3_lS5_lPS5_llPT2_S5_S5_S7_l,@function
_ZN9rocsolver6v33100L18getf2_small_kernelILi25EdiiPKPdEEvT1_T3_lS5_lPS5_llPT2_S5_S5_S7_l: ; @_ZN9rocsolver6v33100L18getf2_small_kernelILi25EdiiPKPdEEvT1_T3_lS5_lPS5_llPT2_S5_S5_S7_l
; %bb.0:
	s_clause 0x1
	s_load_dword s0, s[4:5], 0x6c
	s_load_dwordx2 s[12:13], s[4:5], 0x48
	s_waitcnt lgkmcnt(0)
	s_lshr_b32 s0, s0, 16
	v_mad_u64_u32 v[2:3], null, s7, s0, v[1:2]
	s_mov_b32 s0, exec_lo
	v_cmpx_gt_i32_e64 s12, v2
	s_cbranch_execz .LBB48_422
; %bb.1:
	s_clause 0x1
	s_load_dwordx4 s[0:3], s[4:5], 0x8
	s_load_dwordx4 s[8:11], s[4:5], 0x50
	v_ashrrev_i32_e32 v3, 31, v2
	v_mov_b32_e32 v52, 0
	v_mov_b32_e32 v53, 0
	v_lshlrev_b64 v[4:5], 3, v[2:3]
	s_waitcnt lgkmcnt(0)
	v_add_co_u32 v4, vcc_lo, s0, v4
	v_add_co_ci_u32_e64 v5, null, s1, v5, vcc_lo
	s_cmp_eq_u64 s[8:9], 0
	s_cselect_b32 s6, -1, 0
	global_load_dwordx2 v[4:5], v[4:5], off
	s_and_b32 vcc_lo, exec_lo, s6
	s_cbranch_vccnz .LBB48_3
; %bb.2:
	v_mul_lo_u32 v8, s11, v2
	v_mul_lo_u32 v9, s10, v3
	v_mad_u64_u32 v[6:7], null, s10, v2, 0
	v_add3_u32 v7, v7, v9, v8
	v_lshlrev_b64 v[6:7], 2, v[6:7]
	v_add_co_u32 v52, vcc_lo, s8, v6
	v_add_co_ci_u32_e64 v53, null, s9, v7, vcc_lo
.LBB48_3:
	s_load_dword s8, s[4:5], 0x18
	s_lshl_b64 s[0:1], s[2:3], 3
	s_load_dword s2, s[4:5], 0x0
	s_waitcnt vmcnt(0)
	v_add_co_u32 v60, vcc_lo, v4, s0
	v_lshlrev_b32_e32 v63, 3, v0
	v_add_co_ci_u32_e64 v61, null, s1, v5, vcc_lo
	v_add_co_u32 v8, vcc_lo, v60, v63
	v_add_co_ci_u32_e64 v9, null, 0, v61, vcc_lo
	s_waitcnt lgkmcnt(0)
	v_add3_u32 v6, s8, s8, v0
	s_ashr_i32 s9, s8, 31
	s_max_i32 s0, s2, 25
	s_lshl_b64 s[10:11], s[8:9], 3
	v_mul_lo_u32 v1, s0, v1
	v_add_nc_u32_e32 v4, s8, v6
	v_ashrrev_i32_e32 v7, 31, v6
	v_add_co_u32 v12, vcc_lo, v8, s10
	v_add_co_ci_u32_e64 v13, null, s11, v9, vcc_lo
	v_add_nc_u32_e32 v10, s8, v4
	v_ashrrev_i32_e32 v5, 31, v4
	v_lshlrev_b64 v[6:7], 3, v[6:7]
	v_lshl_add_u32 v62, v1, 3, 0
	s_cmp_lt_i32 s2, 2
	v_add_nc_u32_e32 v14, s8, v10
	v_ashrrev_i32_e32 v11, 31, v10
	v_lshlrev_b64 v[4:5], 3, v[4:5]
	v_add_co_u32 v6, vcc_lo, v60, v6
	v_add_nc_u32_e32 v16, s8, v14
	v_ashrrev_i32_e32 v15, 31, v14
	v_lshlrev_b64 v[10:11], 3, v[10:11]
	v_add_co_ci_u32_e64 v7, null, v61, v7, vcc_lo
	v_add_nc_u32_e32 v18, s8, v16
	v_add_co_u32 v4, vcc_lo, v60, v4
	v_lshlrev_b64 v[14:15], 3, v[14:15]
	v_add_co_ci_u32_e64 v5, null, v61, v5, vcc_lo
	v_ashrrev_i32_e32 v17, 31, v16
	s_clause 0x3
	flat_load_dwordx2 v[42:43], v[8:9]
	flat_load_dwordx2 v[38:39], v[12:13]
	flat_load_dwordx2 v[40:41], v[6:7]
	flat_load_dwordx2 v[8:9], v[4:5]
	v_add_co_u32 v4, vcc_lo, v60, v10
	v_ashrrev_i32_e32 v19, 31, v18
	v_add_nc_u32_e32 v10, s8, v18
	v_add_co_ci_u32_e64 v5, null, v61, v11, vcc_lo
	v_lshlrev_b64 v[6:7], 3, v[16:17]
	v_add_co_u32 v12, vcc_lo, v60, v14
	v_add_co_ci_u32_e64 v13, null, v61, v15, vcc_lo
	v_lshlrev_b64 v[14:15], 3, v[18:19]
	v_add_nc_u32_e32 v16, s8, v10
	v_add_co_u32 v6, vcc_lo, v60, v6
	v_add_co_ci_u32_e64 v7, null, v61, v7, vcc_lo
	v_add_nc_u32_e32 v18, s8, v16
	v_add_co_u32 v14, vcc_lo, v60, v14
	v_add_co_ci_u32_e64 v15, null, v61, v15, vcc_lo
	s_clause 0x3
	flat_load_dwordx2 v[48:49], v[4:5]
	flat_load_dwordx2 v[28:29], v[12:13]
	;; [unrolled: 1-line block ×4, first 2 shown]
	v_add_nc_u32_e32 v6, s8, v18
	v_ashrrev_i32_e32 v11, 31, v10
	v_ashrrev_i32_e32 v17, 31, v16
	;; [unrolled: 1-line block ×4, first 2 shown]
	v_lshlrev_b64 v[10:11], 3, v[10:11]
	v_lshlrev_b64 v[4:5], 3, v[16:17]
	;; [unrolled: 1-line block ×4, first 2 shown]
	v_add_nc_u32_e32 v6, s8, v6
	v_add_co_u32 v10, vcc_lo, v60, v10
	v_add_co_ci_u32_e64 v11, null, v61, v11, vcc_lo
	v_add_nc_u32_e32 v16, s8, v6
	v_add_co_u32 v4, vcc_lo, v60, v4
	v_add_co_ci_u32_e64 v5, null, v61, v5, vcc_lo
	v_add_co_u32 v12, vcc_lo, v60, v12
	v_ashrrev_i32_e32 v7, 31, v6
	v_add_nc_u32_e32 v20, s8, v16
	v_add_co_ci_u32_e64 v13, null, v61, v13, vcc_lo
	v_add_co_u32 v14, vcc_lo, v60, v14
	v_add_co_ci_u32_e64 v15, null, v61, v15, vcc_lo
	v_lshlrev_b64 v[18:19], 3, v[6:7]
	s_clause 0x3
	flat_load_dwordx2 v[36:37], v[10:11]
	flat_load_dwordx2 v[34:35], v[4:5]
	;; [unrolled: 1-line block ×4, first 2 shown]
	v_add_nc_u32_e32 v12, s8, v20
	v_ashrrev_i32_e32 v17, 31, v16
	v_ashrrev_i32_e32 v21, 31, v20
	v_add_co_u32 v14, vcc_lo, v60, v18
	v_ashrrev_i32_e32 v13, 31, v12
	v_add_co_ci_u32_e64 v15, null, v61, v19, vcc_lo
	v_lshlrev_b64 v[4:5], 3, v[16:17]
	v_lshlrev_b64 v[16:17], 3, v[20:21]
	;; [unrolled: 1-line block ×3, first 2 shown]
	v_add_nc_u32_e32 v12, s8, v12
	v_add_co_u32 v4, vcc_lo, v60, v4
	v_add_nc_u32_e32 v20, s8, v12
	v_add_co_ci_u32_e64 v5, null, v61, v5, vcc_lo
	v_add_co_u32 v16, vcc_lo, v60, v16
	v_add_nc_u32_e32 v22, s8, v20
	v_add_co_ci_u32_e64 v17, null, v61, v17, vcc_lo
	v_add_co_u32 v18, vcc_lo, v60, v18
	v_add_co_ci_u32_e64 v19, null, v61, v19, vcc_lo
	s_clause 0x3
	flat_load_dwordx2 v[50:51], v[14:15]
	flat_load_dwordx2 v[30:31], v[4:5]
	;; [unrolled: 1-line block ×4, first 2 shown]
	v_add_nc_u32_e32 v16, s8, v22
	v_ashrrev_i32_e32 v13, 31, v12
	v_ashrrev_i32_e32 v21, 31, v20
	;; [unrolled: 1-line block ×4, first 2 shown]
	v_lshlrev_b64 v[12:13], 3, v[12:13]
	v_lshlrev_b64 v[14:15], 3, v[20:21]
	;; [unrolled: 1-line block ×4, first 2 shown]
	v_add_nc_u32_e32 v16, s8, v16
	v_add_co_u32 v12, vcc_lo, v60, v12
	v_add_co_ci_u32_e64 v13, null, v61, v13, vcc_lo
	v_add_nc_u32_e32 v54, s8, v16
	v_add_co_u32 v14, vcc_lo, v60, v14
	v_add_co_ci_u32_e64 v15, null, v61, v15, vcc_lo
	v_add_co_u32 v18, vcc_lo, v60, v18
	v_ashrrev_i32_e32 v17, 31, v16
	v_add_nc_u32_e32 v58, s8, v54
	v_add_co_ci_u32_e64 v19, null, v61, v19, vcc_lo
	v_add_co_u32 v20, vcc_lo, v60, v20
	v_add_co_ci_u32_e64 v21, null, v61, v21, vcc_lo
	v_lshlrev_b64 v[56:57], 3, v[16:17]
	v_ashrrev_i32_e32 v55, 31, v54
	s_clause 0x3
	flat_load_dwordx2 v[46:47], v[12:13]
	flat_load_dwordx2 v[44:45], v[14:15]
	;; [unrolled: 1-line block ×4, first 2 shown]
	v_add_nc_u32_e32 v14, s8, v58
	v_ashrrev_i32_e32 v59, 31, v58
	v_lshlrev_b64 v[12:13], 3, v[54:55]
	v_add_co_u32 v18, vcc_lo, v60, v56
	v_add_nc_u32_e32 v54, s8, v14
	v_lshlrev_b64 v[20:21], 3, v[58:59]
	v_ashrrev_i32_e32 v15, 31, v14
	v_add_co_ci_u32_e64 v19, null, v61, v57, vcc_lo
	v_ashrrev_i32_e32 v55, 31, v54
	v_add_co_u32 v12, vcc_lo, v60, v12
	v_add_co_ci_u32_e64 v13, null, v61, v13, vcc_lo
	v_lshlrev_b64 v[14:15], 3, v[14:15]
	v_add_co_u32 v56, vcc_lo, v60, v20
	v_add_co_ci_u32_e64 v57, null, v61, v21, vcc_lo
	v_lshlrev_b64 v[20:21], 3, v[54:55]
	v_add_co_u32 v54, vcc_lo, v60, v14
	v_add_co_ci_u32_e64 v55, null, v61, v15, vcc_lo
	v_add_co_u32 v58, vcc_lo, v60, v20
	v_add_co_ci_u32_e64 v59, null, v61, v21, vcc_lo
	s_clause 0x4
	flat_load_dwordx2 v[20:21], v[18:19]
	flat_load_dwordx2 v[14:15], v[12:13]
	;; [unrolled: 1-line block ×5, first 2 shown]
	v_add_nc_u32_e32 v56, v62, v63
	v_mov_b32_e32 v58, 0
	v_lshlrev_b32_e32 v63, 3, v1
	s_waitcnt vmcnt(24) lgkmcnt(24)
	ds_write_b64 v56, v[42:43]
	s_waitcnt vmcnt(0) lgkmcnt(0)
	s_barrier
	buffer_gl0_inv
	ds_read_b64 v[56:57], v62
	s_cbranch_scc1 .LBB48_6
; %bb.4:
	v_add3_u32 v1, v63, 0, 8
	v_mov_b32_e32 v58, 0
	s_mov_b32 s0, 1
.LBB48_5:                               ; =>This Inner Loop Header: Depth=1
	ds_read_b64 v[64:65], v1
	v_add_nc_u32_e32 v1, 8, v1
	s_waitcnt lgkmcnt(0)
	v_cmp_lt_f64_e64 vcc_lo, |v[56:57]|, |v[64:65]|
	v_cndmask_b32_e32 v57, v57, v65, vcc_lo
	v_cndmask_b32_e32 v56, v56, v64, vcc_lo
	v_cndmask_b32_e64 v58, v58, s0, vcc_lo
	s_add_i32 s0, s0, 1
	s_cmp_eq_u32 s2, s0
	s_cbranch_scc0 .LBB48_5
.LBB48_6:
	s_mov_b32 s0, exec_lo
                                        ; implicit-def: $vgpr65
	v_cmpx_ne_u32_e64 v0, v58
	s_xor_b32 s0, exec_lo, s0
	s_cbranch_execz .LBB48_12
; %bb.7:
	s_mov_b32 s1, exec_lo
	v_cmpx_eq_u32_e32 0, v0
	s_cbranch_execz .LBB48_11
; %bb.8:
	v_cmp_ne_u32_e32 vcc_lo, 0, v58
	s_xor_b32 s3, s6, -1
	s_and_b32 s7, s3, vcc_lo
	s_and_saveexec_b32 s3, s7
	s_cbranch_execz .LBB48_10
; %bb.9:
	v_ashrrev_i32_e32 v59, 31, v58
	v_lshlrev_b64 v[0:1], 2, v[58:59]
	v_add_co_u32 v0, vcc_lo, v52, v0
	v_add_co_ci_u32_e64 v1, null, v53, v1, vcc_lo
	s_clause 0x1
	global_load_dword v59, v[0:1], off
	global_load_dword v64, v[52:53], off
	s_waitcnt vmcnt(1)
	global_store_dword v[52:53], v59, off
	s_waitcnt vmcnt(0)
	global_store_dword v[0:1], v64, off
.LBB48_10:
	s_or_b32 exec_lo, exec_lo, s3
	v_mov_b32_e32 v0, v58
.LBB48_11:
	s_or_b32 exec_lo, exec_lo, s1
	v_mov_b32_e32 v65, v0
                                        ; implicit-def: $vgpr0
.LBB48_12:
	s_or_saveexec_b32 s0, s0
	v_mov_b32_e32 v59, v65
	s_xor_b32 exec_lo, exec_lo, s0
	s_cbranch_execz .LBB48_14
; %bb.13:
	v_mov_b32_e32 v65, 0
	v_mov_b32_e32 v59, v0
	ds_write2_b64 v62, v[38:39], v[40:41] offset0:1 offset1:2
	ds_write2_b64 v62, v[8:9], v[48:49] offset0:3 offset1:4
	;; [unrolled: 1-line block ×12, first 2 shown]
.LBB48_14:
	s_or_b32 exec_lo, exec_lo, s0
	s_waitcnt lgkmcnt(0)
	v_cmp_eq_f64_e64 s0, 0, v[56:57]
	s_mov_b32 s1, exec_lo
	s_waitcnt_vscnt null, 0x0
	s_barrier
	buffer_gl0_inv
	v_cmpx_lt_i32_e32 0, v65
	s_cbranch_execz .LBB48_16
; %bb.15:
	v_div_scale_f64 v[0:1], null, v[56:57], v[56:57], 1.0
	v_div_scale_f64 v[70:71], vcc_lo, 1.0, v[56:57], 1.0
	v_rcp_f64_e32 v[66:67], v[0:1]
	v_fma_f64 v[68:69], -v[0:1], v[66:67], 1.0
	v_fma_f64 v[66:67], v[66:67], v[68:69], v[66:67]
	v_fma_f64 v[68:69], -v[0:1], v[66:67], 1.0
	v_fma_f64 v[66:67], v[66:67], v[68:69], v[66:67]
	v_mul_f64 v[68:69], v[70:71], v[66:67]
	v_fma_f64 v[0:1], -v[0:1], v[68:69], v[70:71]
	v_div_fmas_f64 v[0:1], v[0:1], v[66:67], v[68:69]
	ds_read2_b64 v[66:69], v62 offset0:1 offset1:2
	ds_read2_b64 v[70:73], v62 offset0:3 offset1:4
	;; [unrolled: 1-line block ×12, first 2 shown]
	v_div_fixup_f64 v[0:1], v[0:1], v[56:57], 1.0
	v_cndmask_b32_e64 v1, v1, v57, s0
	v_cndmask_b32_e64 v0, v0, v56, s0
	v_mul_f64 v[42:43], v[0:1], v[42:43]
	s_waitcnt lgkmcnt(11)
	v_fma_f64 v[38:39], -v[42:43], v[66:67], v[38:39]
	v_fma_f64 v[40:41], -v[42:43], v[68:69], v[40:41]
	s_waitcnt lgkmcnt(10)
	v_fma_f64 v[8:9], -v[42:43], v[70:71], v[8:9]
	v_fma_f64 v[48:49], -v[42:43], v[72:73], v[48:49]
	;; [unrolled: 3-line block ×12, first 2 shown]
.LBB48_16:
	s_or_b32 exec_lo, exec_lo, s1
	v_lshl_add_u32 v0, v65, 3, v62
	s_barrier
	buffer_gl0_inv
	v_mov_b32_e32 v56, 1
	ds_write_b64 v0, v[38:39]
	s_waitcnt lgkmcnt(0)
	s_barrier
	buffer_gl0_inv
	ds_read_b64 v[0:1], v62 offset:8
	s_cmp_lt_i32 s2, 3
	s_cbranch_scc1 .LBB48_19
; %bb.17:
	v_add3_u32 v57, v63, 0, 16
	v_mov_b32_e32 v56, 1
	s_mov_b32 s1, 2
.LBB48_18:                              ; =>This Inner Loop Header: Depth=1
	ds_read_b64 v[66:67], v57
	v_add_nc_u32_e32 v57, 8, v57
	s_waitcnt lgkmcnt(0)
	v_cmp_lt_f64_e64 vcc_lo, |v[0:1]|, |v[66:67]|
	v_cndmask_b32_e32 v1, v1, v67, vcc_lo
	v_cndmask_b32_e32 v0, v0, v66, vcc_lo
	v_cndmask_b32_e64 v56, v56, s1, vcc_lo
	s_add_i32 s1, s1, 1
	s_cmp_lg_u32 s2, s1
	s_cbranch_scc1 .LBB48_18
.LBB48_19:
	s_mov_b32 s1, exec_lo
	v_cmpx_ne_u32_e64 v65, v56
	s_xor_b32 s1, exec_lo, s1
	s_cbranch_execz .LBB48_25
; %bb.20:
	s_mov_b32 s3, exec_lo
	v_cmpx_eq_u32_e32 1, v65
	s_cbranch_execz .LBB48_24
; %bb.21:
	v_cmp_ne_u32_e32 vcc_lo, 1, v56
	s_xor_b32 s7, s6, -1
	s_and_b32 s9, s7, vcc_lo
	s_and_saveexec_b32 s7, s9
	s_cbranch_execz .LBB48_23
; %bb.22:
	v_ashrrev_i32_e32 v57, 31, v56
	v_lshlrev_b64 v[57:58], 2, v[56:57]
	v_add_co_u32 v57, vcc_lo, v52, v57
	v_add_co_ci_u32_e64 v58, null, v53, v58, vcc_lo
	s_clause 0x1
	global_load_dword v59, v[57:58], off
	global_load_dword v64, v[52:53], off offset:4
	s_waitcnt vmcnt(1)
	global_store_dword v[52:53], v59, off offset:4
	s_waitcnt vmcnt(0)
	global_store_dword v[57:58], v64, off
.LBB48_23:
	s_or_b32 exec_lo, exec_lo, s7
	v_mov_b32_e32 v59, v56
	v_mov_b32_e32 v65, v56
.LBB48_24:
	s_or_b32 exec_lo, exec_lo, s3
.LBB48_25:
	s_andn2_saveexec_b32 s1, s1
	s_cbranch_execz .LBB48_27
; %bb.26:
	v_mov_b32_e32 v56, v40
	v_mov_b32_e32 v57, v41
	;; [unrolled: 1-line block ×8, first 2 shown]
	ds_write2_b64 v62, v[56:57], v[64:65] offset0:2 offset1:3
	ds_write2_b64 v62, v[66:67], v[68:69] offset0:4 offset1:5
	v_mov_b32_e32 v56, v26
	v_mov_b32_e32 v57, v27
	;; [unrolled: 1-line block ×20, first 2 shown]
	ds_write2_b64 v62, v[56:57], v[64:65] offset0:6 offset1:7
	ds_write2_b64 v62, v[66:67], v[68:69] offset0:8 offset1:9
	;; [unrolled: 1-line block ×5, first 2 shown]
	v_mov_b32_e32 v56, v46
	v_mov_b32_e32 v57, v47
	;; [unrolled: 1-line block ×8, first 2 shown]
	ds_write2_b64 v62, v[56:57], v[64:65] offset0:16 offset1:17
	v_mov_b32_e32 v65, 1
	v_mov_b32_e32 v70, v20
	v_mov_b32_e32 v71, v21
	v_mov_b32_e32 v72, v14
	v_mov_b32_e32 v73, v15
	v_mov_b32_e32 v74, v18
	v_mov_b32_e32 v75, v19
	v_mov_b32_e32 v76, v12
	v_mov_b32_e32 v77, v13
	ds_write2_b64 v62, v[66:67], v[68:69] offset0:18 offset1:19
	ds_write2_b64 v62, v[70:71], v[72:73] offset0:20 offset1:21
	;; [unrolled: 1-line block ×3, first 2 shown]
	ds_write_b64 v62, v[54:55] offset:192
.LBB48_27:
	s_or_b32 exec_lo, exec_lo, s1
	s_waitcnt lgkmcnt(0)
	v_cmp_neq_f64_e64 s1, 0, v[0:1]
	s_mov_b32 s3, exec_lo
	s_waitcnt_vscnt null, 0x0
	s_barrier
	buffer_gl0_inv
	v_cmpx_lt_i32_e32 1, v65
	s_cbranch_execz .LBB48_29
; %bb.28:
	v_div_scale_f64 v[56:57], null, v[0:1], v[0:1], 1.0
	v_div_scale_f64 v[70:71], vcc_lo, 1.0, v[0:1], 1.0
	v_rcp_f64_e32 v[66:67], v[56:57]
	v_fma_f64 v[68:69], -v[56:57], v[66:67], 1.0
	v_fma_f64 v[66:67], v[66:67], v[68:69], v[66:67]
	v_fma_f64 v[68:69], -v[56:57], v[66:67], 1.0
	v_fma_f64 v[66:67], v[66:67], v[68:69], v[66:67]
	v_mul_f64 v[68:69], v[70:71], v[66:67]
	v_fma_f64 v[56:57], -v[56:57], v[68:69], v[70:71]
	v_div_fmas_f64 v[56:57], v[56:57], v[66:67], v[68:69]
	v_div_fixup_f64 v[56:57], v[56:57], v[0:1], 1.0
	v_cndmask_b32_e64 v1, v1, v57, s1
	v_cndmask_b32_e64 v0, v0, v56, s1
	v_mul_f64 v[38:39], v[0:1], v[38:39]
	ds_read2_b64 v[66:69], v62 offset0:2 offset1:3
	ds_read2_b64 v[70:73], v62 offset0:4 offset1:5
	;; [unrolled: 1-line block ×11, first 2 shown]
	ds_read_b64 v[0:1], v62 offset:192
	s_waitcnt lgkmcnt(11)
	v_fma_f64 v[40:41], -v[38:39], v[66:67], v[40:41]
	v_fma_f64 v[8:9], -v[38:39], v[68:69], v[8:9]
	s_waitcnt lgkmcnt(10)
	v_fma_f64 v[48:49], -v[38:39], v[70:71], v[48:49]
	v_fma_f64 v[28:29], -v[38:39], v[72:73], v[28:29]
	;; [unrolled: 3-line block ×11, first 2 shown]
	s_waitcnt lgkmcnt(0)
	v_fma_f64 v[54:55], -v[38:39], v[0:1], v[54:55]
.LBB48_29:
	s_or_b32 exec_lo, exec_lo, s3
	v_lshl_add_u32 v0, v65, 3, v62
	s_barrier
	buffer_gl0_inv
	v_mov_b32_e32 v56, 2
	ds_write_b64 v0, v[40:41]
	s_waitcnt lgkmcnt(0)
	s_barrier
	buffer_gl0_inv
	ds_read_b64 v[0:1], v62 offset:16
	s_cmp_lt_i32 s2, 4
	s_mov_b32 s3, 3
	s_cbranch_scc1 .LBB48_32
; %bb.30:
	v_add3_u32 v57, v63, 0, 24
	v_mov_b32_e32 v56, 2
.LBB48_31:                              ; =>This Inner Loop Header: Depth=1
	ds_read_b64 v[66:67], v57
	v_add_nc_u32_e32 v57, 8, v57
	s_waitcnt lgkmcnt(0)
	v_cmp_lt_f64_e64 vcc_lo, |v[0:1]|, |v[66:67]|
	v_cndmask_b32_e32 v1, v1, v67, vcc_lo
	v_cndmask_b32_e32 v0, v0, v66, vcc_lo
	v_cndmask_b32_e64 v56, v56, s3, vcc_lo
	s_add_i32 s3, s3, 1
	s_cmp_lg_u32 s2, s3
	s_cbranch_scc1 .LBB48_31
.LBB48_32:
	v_cndmask_b32_e64 v57, 2, 1, s0
	v_cndmask_b32_e64 v58, 0, 1, s0
	s_mov_b32 s0, exec_lo
	v_cndmask_b32_e64 v64, v57, v58, s1
	s_waitcnt lgkmcnt(0)
	v_cmpx_eq_f64_e32 0, v[0:1]
	s_xor_b32 s0, exec_lo, s0
; %bb.33:
	v_cmp_ne_u32_e32 vcc_lo, 0, v64
	v_cndmask_b32_e32 v64, 3, v64, vcc_lo
; %bb.34:
	s_andn2_saveexec_b32 s0, s0
	s_cbranch_execz .LBB48_36
; %bb.35:
	v_div_scale_f64 v[57:58], null, v[0:1], v[0:1], 1.0
	v_rcp_f64_e32 v[66:67], v[57:58]
	v_fma_f64 v[68:69], -v[57:58], v[66:67], 1.0
	v_fma_f64 v[66:67], v[66:67], v[68:69], v[66:67]
	v_fma_f64 v[68:69], -v[57:58], v[66:67], 1.0
	v_fma_f64 v[66:67], v[66:67], v[68:69], v[66:67]
	v_div_scale_f64 v[68:69], vcc_lo, 1.0, v[0:1], 1.0
	v_mul_f64 v[70:71], v[68:69], v[66:67]
	v_fma_f64 v[57:58], -v[57:58], v[70:71], v[68:69]
	v_div_fmas_f64 v[57:58], v[57:58], v[66:67], v[70:71]
	v_div_fixup_f64 v[0:1], v[57:58], v[0:1], 1.0
.LBB48_36:
	s_or_b32 exec_lo, exec_lo, s0
	s_mov_b32 s0, exec_lo
	v_cmpx_ne_u32_e64 v65, v56
	s_xor_b32 s0, exec_lo, s0
	s_cbranch_execz .LBB48_42
; %bb.37:
	s_mov_b32 s1, exec_lo
	v_cmpx_eq_u32_e32 2, v65
	s_cbranch_execz .LBB48_41
; %bb.38:
	v_cmp_ne_u32_e32 vcc_lo, 2, v56
	s_xor_b32 s3, s6, -1
	s_and_b32 s7, s3, vcc_lo
	s_and_saveexec_b32 s3, s7
	s_cbranch_execz .LBB48_40
; %bb.39:
	v_ashrrev_i32_e32 v57, 31, v56
	v_lshlrev_b64 v[57:58], 2, v[56:57]
	v_add_co_u32 v57, vcc_lo, v52, v57
	v_add_co_ci_u32_e64 v58, null, v53, v58, vcc_lo
	s_clause 0x1
	global_load_dword v59, v[57:58], off
	global_load_dword v65, v[52:53], off offset:8
	s_waitcnt vmcnt(1)
	global_store_dword v[52:53], v59, off offset:8
	s_waitcnt vmcnt(0)
	global_store_dword v[57:58], v65, off
.LBB48_40:
	s_or_b32 exec_lo, exec_lo, s3
	v_mov_b32_e32 v59, v56
	v_mov_b32_e32 v65, v56
.LBB48_41:
	s_or_b32 exec_lo, exec_lo, s1
.LBB48_42:
	s_andn2_saveexec_b32 s0, s0
	s_cbranch_execz .LBB48_44
; %bb.43:
	v_mov_b32_e32 v65, 2
	ds_write2_b64 v62, v[8:9], v[48:49] offset0:3 offset1:4
	ds_write2_b64 v62, v[28:29], v[26:27] offset0:5 offset1:6
	;; [unrolled: 1-line block ×11, first 2 shown]
.LBB48_44:
	s_or_b32 exec_lo, exec_lo, s0
	s_mov_b32 s0, exec_lo
	s_waitcnt lgkmcnt(0)
	s_waitcnt_vscnt null, 0x0
	s_barrier
	buffer_gl0_inv
	v_cmpx_lt_i32_e32 2, v65
	s_cbranch_execz .LBB48_46
; %bb.45:
	v_mul_f64 v[40:41], v[0:1], v[40:41]
	ds_read2_b64 v[66:69], v62 offset0:3 offset1:4
	ds_read2_b64 v[70:73], v62 offset0:5 offset1:6
	ds_read2_b64 v[74:77], v62 offset0:7 offset1:8
	ds_read2_b64 v[78:81], v62 offset0:9 offset1:10
	ds_read2_b64 v[82:85], v62 offset0:11 offset1:12
	ds_read2_b64 v[86:89], v62 offset0:13 offset1:14
	ds_read2_b64 v[90:93], v62 offset0:15 offset1:16
	ds_read2_b64 v[94:97], v62 offset0:17 offset1:18
	ds_read2_b64 v[98:101], v62 offset0:19 offset1:20
	ds_read2_b64 v[102:105], v62 offset0:21 offset1:22
	ds_read2_b64 v[106:109], v62 offset0:23 offset1:24
	s_waitcnt lgkmcnt(10)
	v_fma_f64 v[8:9], -v[40:41], v[66:67], v[8:9]
	v_fma_f64 v[48:49], -v[40:41], v[68:69], v[48:49]
	s_waitcnt lgkmcnt(9)
	v_fma_f64 v[28:29], -v[40:41], v[70:71], v[28:29]
	v_fma_f64 v[26:27], -v[40:41], v[72:73], v[26:27]
	;; [unrolled: 3-line block ×11, first 2 shown]
.LBB48_46:
	s_or_b32 exec_lo, exec_lo, s0
	v_lshl_add_u32 v0, v65, 3, v62
	s_barrier
	buffer_gl0_inv
	v_mov_b32_e32 v56, 3
	ds_write_b64 v0, v[8:9]
	s_waitcnt lgkmcnt(0)
	s_barrier
	buffer_gl0_inv
	ds_read_b64 v[0:1], v62 offset:24
	s_cmp_lt_i32 s2, 5
	s_cbranch_scc1 .LBB48_49
; %bb.47:
	v_mov_b32_e32 v56, 3
	v_add3_u32 v57, v63, 0, 32
	s_mov_b32 s0, 4
.LBB48_48:                              ; =>This Inner Loop Header: Depth=1
	ds_read_b64 v[66:67], v57
	v_add_nc_u32_e32 v57, 8, v57
	s_waitcnt lgkmcnt(0)
	v_cmp_lt_f64_e64 vcc_lo, |v[0:1]|, |v[66:67]|
	v_cndmask_b32_e32 v1, v1, v67, vcc_lo
	v_cndmask_b32_e32 v0, v0, v66, vcc_lo
	v_cndmask_b32_e64 v56, v56, s0, vcc_lo
	s_add_i32 s0, s0, 1
	s_cmp_lg_u32 s2, s0
	s_cbranch_scc1 .LBB48_48
.LBB48_49:
	s_mov_b32 s0, exec_lo
	s_waitcnt lgkmcnt(0)
	v_cmpx_eq_f64_e32 0, v[0:1]
	s_xor_b32 s0, exec_lo, s0
; %bb.50:
	v_cmp_ne_u32_e32 vcc_lo, 0, v64
	v_cndmask_b32_e32 v64, 4, v64, vcc_lo
; %bb.51:
	s_andn2_saveexec_b32 s0, s0
	s_cbranch_execz .LBB48_53
; %bb.52:
	v_div_scale_f64 v[57:58], null, v[0:1], v[0:1], 1.0
	v_rcp_f64_e32 v[66:67], v[57:58]
	v_fma_f64 v[68:69], -v[57:58], v[66:67], 1.0
	v_fma_f64 v[66:67], v[66:67], v[68:69], v[66:67]
	v_fma_f64 v[68:69], -v[57:58], v[66:67], 1.0
	v_fma_f64 v[66:67], v[66:67], v[68:69], v[66:67]
	v_div_scale_f64 v[68:69], vcc_lo, 1.0, v[0:1], 1.0
	v_mul_f64 v[70:71], v[68:69], v[66:67]
	v_fma_f64 v[57:58], -v[57:58], v[70:71], v[68:69]
	v_div_fmas_f64 v[57:58], v[57:58], v[66:67], v[70:71]
	v_div_fixup_f64 v[0:1], v[57:58], v[0:1], 1.0
.LBB48_53:
	s_or_b32 exec_lo, exec_lo, s0
	s_mov_b32 s0, exec_lo
	v_cmpx_ne_u32_e64 v65, v56
	s_xor_b32 s0, exec_lo, s0
	s_cbranch_execz .LBB48_59
; %bb.54:
	s_mov_b32 s1, exec_lo
	v_cmpx_eq_u32_e32 3, v65
	s_cbranch_execz .LBB48_58
; %bb.55:
	v_cmp_ne_u32_e32 vcc_lo, 3, v56
	s_xor_b32 s3, s6, -1
	s_and_b32 s7, s3, vcc_lo
	s_and_saveexec_b32 s3, s7
	s_cbranch_execz .LBB48_57
; %bb.56:
	v_ashrrev_i32_e32 v57, 31, v56
	v_lshlrev_b64 v[57:58], 2, v[56:57]
	v_add_co_u32 v57, vcc_lo, v52, v57
	v_add_co_ci_u32_e64 v58, null, v53, v58, vcc_lo
	s_clause 0x1
	global_load_dword v59, v[57:58], off
	global_load_dword v65, v[52:53], off offset:12
	s_waitcnt vmcnt(1)
	global_store_dword v[52:53], v59, off offset:12
	s_waitcnt vmcnt(0)
	global_store_dword v[57:58], v65, off
.LBB48_57:
	s_or_b32 exec_lo, exec_lo, s3
	v_mov_b32_e32 v59, v56
	v_mov_b32_e32 v65, v56
.LBB48_58:
	s_or_b32 exec_lo, exec_lo, s1
.LBB48_59:
	s_andn2_saveexec_b32 s0, s0
	s_cbranch_execz .LBB48_61
; %bb.60:
	v_mov_b32_e32 v56, v48
	v_mov_b32_e32 v57, v49
	;; [unrolled: 1-line block ×8, first 2 shown]
	ds_write2_b64 v62, v[56:57], v[65:66] offset0:4 offset1:5
	v_mov_b32_e32 v56, v24
	v_mov_b32_e32 v57, v25
	;; [unrolled: 1-line block ×16, first 2 shown]
	ds_write2_b64 v62, v[67:68], v[56:57] offset0:6 offset1:7
	ds_write2_b64 v62, v[65:66], v[69:70] offset0:8 offset1:9
	;; [unrolled: 1-line block ×5, first 2 shown]
	v_mov_b32_e32 v56, v46
	v_mov_b32_e32 v57, v47
	;; [unrolled: 1-line block ×8, first 2 shown]
	ds_write2_b64 v62, v[56:57], v[65:66] offset0:16 offset1:17
	v_mov_b32_e32 v65, 3
	v_mov_b32_e32 v71, v20
	;; [unrolled: 1-line block ×9, first 2 shown]
	ds_write2_b64 v62, v[67:68], v[69:70] offset0:18 offset1:19
	ds_write2_b64 v62, v[71:72], v[73:74] offset0:20 offset1:21
	ds_write2_b64 v62, v[75:76], v[77:78] offset0:22 offset1:23
	ds_write_b64 v62, v[54:55] offset:192
.LBB48_61:
	s_or_b32 exec_lo, exec_lo, s0
	s_mov_b32 s0, exec_lo
	s_waitcnt lgkmcnt(0)
	s_waitcnt_vscnt null, 0x0
	s_barrier
	buffer_gl0_inv
	v_cmpx_lt_i32_e32 3, v65
	s_cbranch_execz .LBB48_63
; %bb.62:
	v_mul_f64 v[8:9], v[0:1], v[8:9]
	ds_read2_b64 v[66:69], v62 offset0:4 offset1:5
	ds_read2_b64 v[70:73], v62 offset0:6 offset1:7
	ds_read2_b64 v[74:77], v62 offset0:8 offset1:9
	ds_read2_b64 v[78:81], v62 offset0:10 offset1:11
	ds_read2_b64 v[82:85], v62 offset0:12 offset1:13
	ds_read2_b64 v[86:89], v62 offset0:14 offset1:15
	ds_read2_b64 v[90:93], v62 offset0:16 offset1:17
	ds_read2_b64 v[94:97], v62 offset0:18 offset1:19
	ds_read2_b64 v[98:101], v62 offset0:20 offset1:21
	ds_read2_b64 v[102:105], v62 offset0:22 offset1:23
	ds_read_b64 v[0:1], v62 offset:192
	s_waitcnt lgkmcnt(10)
	v_fma_f64 v[48:49], -v[8:9], v[66:67], v[48:49]
	v_fma_f64 v[28:29], -v[8:9], v[68:69], v[28:29]
	s_waitcnt lgkmcnt(9)
	v_fma_f64 v[26:27], -v[8:9], v[70:71], v[26:27]
	v_fma_f64 v[24:25], -v[8:9], v[72:73], v[24:25]
	;; [unrolled: 3-line block ×10, first 2 shown]
	s_waitcnt lgkmcnt(0)
	v_fma_f64 v[54:55], -v[8:9], v[0:1], v[54:55]
.LBB48_63:
	s_or_b32 exec_lo, exec_lo, s0
	v_lshl_add_u32 v0, v65, 3, v62
	s_barrier
	buffer_gl0_inv
	v_mov_b32_e32 v56, 4
	ds_write_b64 v0, v[48:49]
	s_waitcnt lgkmcnt(0)
	s_barrier
	buffer_gl0_inv
	ds_read_b64 v[0:1], v62 offset:32
	s_cmp_lt_i32 s2, 6
	s_cbranch_scc1 .LBB48_66
; %bb.64:
	v_add3_u32 v57, v63, 0, 40
	v_mov_b32_e32 v56, 4
	s_mov_b32 s0, 5
.LBB48_65:                              ; =>This Inner Loop Header: Depth=1
	ds_read_b64 v[66:67], v57
	v_add_nc_u32_e32 v57, 8, v57
	s_waitcnt lgkmcnt(0)
	v_cmp_lt_f64_e64 vcc_lo, |v[0:1]|, |v[66:67]|
	v_cndmask_b32_e32 v1, v1, v67, vcc_lo
	v_cndmask_b32_e32 v0, v0, v66, vcc_lo
	v_cndmask_b32_e64 v56, v56, s0, vcc_lo
	s_add_i32 s0, s0, 1
	s_cmp_lg_u32 s2, s0
	s_cbranch_scc1 .LBB48_65
.LBB48_66:
	s_mov_b32 s0, exec_lo
	s_waitcnt lgkmcnt(0)
	v_cmpx_eq_f64_e32 0, v[0:1]
	s_xor_b32 s0, exec_lo, s0
; %bb.67:
	v_cmp_ne_u32_e32 vcc_lo, 0, v64
	v_cndmask_b32_e32 v64, 5, v64, vcc_lo
; %bb.68:
	s_andn2_saveexec_b32 s0, s0
	s_cbranch_execz .LBB48_70
; %bb.69:
	v_div_scale_f64 v[57:58], null, v[0:1], v[0:1], 1.0
	v_rcp_f64_e32 v[66:67], v[57:58]
	v_fma_f64 v[68:69], -v[57:58], v[66:67], 1.0
	v_fma_f64 v[66:67], v[66:67], v[68:69], v[66:67]
	v_fma_f64 v[68:69], -v[57:58], v[66:67], 1.0
	v_fma_f64 v[66:67], v[66:67], v[68:69], v[66:67]
	v_div_scale_f64 v[68:69], vcc_lo, 1.0, v[0:1], 1.0
	v_mul_f64 v[70:71], v[68:69], v[66:67]
	v_fma_f64 v[57:58], -v[57:58], v[70:71], v[68:69]
	v_div_fmas_f64 v[57:58], v[57:58], v[66:67], v[70:71]
	v_div_fixup_f64 v[0:1], v[57:58], v[0:1], 1.0
.LBB48_70:
	s_or_b32 exec_lo, exec_lo, s0
	s_mov_b32 s0, exec_lo
	v_cmpx_ne_u32_e64 v65, v56
	s_xor_b32 s0, exec_lo, s0
	s_cbranch_execz .LBB48_76
; %bb.71:
	s_mov_b32 s1, exec_lo
	v_cmpx_eq_u32_e32 4, v65
	s_cbranch_execz .LBB48_75
; %bb.72:
	v_cmp_ne_u32_e32 vcc_lo, 4, v56
	s_xor_b32 s3, s6, -1
	s_and_b32 s7, s3, vcc_lo
	s_and_saveexec_b32 s3, s7
	s_cbranch_execz .LBB48_74
; %bb.73:
	v_ashrrev_i32_e32 v57, 31, v56
	v_lshlrev_b64 v[57:58], 2, v[56:57]
	v_add_co_u32 v57, vcc_lo, v52, v57
	v_add_co_ci_u32_e64 v58, null, v53, v58, vcc_lo
	s_clause 0x1
	global_load_dword v59, v[57:58], off
	global_load_dword v65, v[52:53], off offset:16
	s_waitcnt vmcnt(1)
	global_store_dword v[52:53], v59, off offset:16
	s_waitcnt vmcnt(0)
	global_store_dword v[57:58], v65, off
.LBB48_74:
	s_or_b32 exec_lo, exec_lo, s3
	v_mov_b32_e32 v59, v56
	v_mov_b32_e32 v65, v56
.LBB48_75:
	s_or_b32 exec_lo, exec_lo, s1
.LBB48_76:
	s_andn2_saveexec_b32 s0, s0
	s_cbranch_execz .LBB48_78
; %bb.77:
	v_mov_b32_e32 v65, 4
	ds_write2_b64 v62, v[28:29], v[26:27] offset0:5 offset1:6
	ds_write2_b64 v62, v[24:25], v[36:37] offset0:7 offset1:8
	;; [unrolled: 1-line block ×10, first 2 shown]
.LBB48_78:
	s_or_b32 exec_lo, exec_lo, s0
	s_mov_b32 s0, exec_lo
	s_waitcnt lgkmcnt(0)
	s_waitcnt_vscnt null, 0x0
	s_barrier
	buffer_gl0_inv
	v_cmpx_lt_i32_e32 4, v65
	s_cbranch_execz .LBB48_80
; %bb.79:
	v_mul_f64 v[48:49], v[0:1], v[48:49]
	ds_read2_b64 v[66:69], v62 offset0:5 offset1:6
	ds_read2_b64 v[70:73], v62 offset0:7 offset1:8
	;; [unrolled: 1-line block ×10, first 2 shown]
	s_waitcnt lgkmcnt(9)
	v_fma_f64 v[28:29], -v[48:49], v[66:67], v[28:29]
	v_fma_f64 v[26:27], -v[48:49], v[68:69], v[26:27]
	s_waitcnt lgkmcnt(8)
	v_fma_f64 v[24:25], -v[48:49], v[70:71], v[24:25]
	v_fma_f64 v[36:37], -v[48:49], v[72:73], v[36:37]
	;; [unrolled: 3-line block ×10, first 2 shown]
.LBB48_80:
	s_or_b32 exec_lo, exec_lo, s0
	v_lshl_add_u32 v0, v65, 3, v62
	s_barrier
	buffer_gl0_inv
	v_mov_b32_e32 v56, 5
	ds_write_b64 v0, v[28:29]
	s_waitcnt lgkmcnt(0)
	s_barrier
	buffer_gl0_inv
	ds_read_b64 v[0:1], v62 offset:40
	s_cmp_lt_i32 s2, 7
	s_cbranch_scc1 .LBB48_83
; %bb.81:
	v_add3_u32 v57, v63, 0, 48
	v_mov_b32_e32 v56, 5
	s_mov_b32 s0, 6
.LBB48_82:                              ; =>This Inner Loop Header: Depth=1
	ds_read_b64 v[66:67], v57
	v_add_nc_u32_e32 v57, 8, v57
	s_waitcnt lgkmcnt(0)
	v_cmp_lt_f64_e64 vcc_lo, |v[0:1]|, |v[66:67]|
	v_cndmask_b32_e32 v1, v1, v67, vcc_lo
	v_cndmask_b32_e32 v0, v0, v66, vcc_lo
	v_cndmask_b32_e64 v56, v56, s0, vcc_lo
	s_add_i32 s0, s0, 1
	s_cmp_lg_u32 s2, s0
	s_cbranch_scc1 .LBB48_82
.LBB48_83:
	s_mov_b32 s0, exec_lo
	s_waitcnt lgkmcnt(0)
	v_cmpx_eq_f64_e32 0, v[0:1]
	s_xor_b32 s0, exec_lo, s0
; %bb.84:
	v_cmp_ne_u32_e32 vcc_lo, 0, v64
	v_cndmask_b32_e32 v64, 6, v64, vcc_lo
; %bb.85:
	s_andn2_saveexec_b32 s0, s0
	s_cbranch_execz .LBB48_87
; %bb.86:
	v_div_scale_f64 v[57:58], null, v[0:1], v[0:1], 1.0
	v_rcp_f64_e32 v[66:67], v[57:58]
	v_fma_f64 v[68:69], -v[57:58], v[66:67], 1.0
	v_fma_f64 v[66:67], v[66:67], v[68:69], v[66:67]
	v_fma_f64 v[68:69], -v[57:58], v[66:67], 1.0
	v_fma_f64 v[66:67], v[66:67], v[68:69], v[66:67]
	v_div_scale_f64 v[68:69], vcc_lo, 1.0, v[0:1], 1.0
	v_mul_f64 v[70:71], v[68:69], v[66:67]
	v_fma_f64 v[57:58], -v[57:58], v[70:71], v[68:69]
	v_div_fmas_f64 v[57:58], v[57:58], v[66:67], v[70:71]
	v_div_fixup_f64 v[0:1], v[57:58], v[0:1], 1.0
.LBB48_87:
	s_or_b32 exec_lo, exec_lo, s0
	s_mov_b32 s0, exec_lo
	v_cmpx_ne_u32_e64 v65, v56
	s_xor_b32 s0, exec_lo, s0
	s_cbranch_execz .LBB48_93
; %bb.88:
	s_mov_b32 s1, exec_lo
	v_cmpx_eq_u32_e32 5, v65
	s_cbranch_execz .LBB48_92
; %bb.89:
	v_cmp_ne_u32_e32 vcc_lo, 5, v56
	s_xor_b32 s3, s6, -1
	s_and_b32 s7, s3, vcc_lo
	s_and_saveexec_b32 s3, s7
	s_cbranch_execz .LBB48_91
; %bb.90:
	v_ashrrev_i32_e32 v57, 31, v56
	v_lshlrev_b64 v[57:58], 2, v[56:57]
	v_add_co_u32 v57, vcc_lo, v52, v57
	v_add_co_ci_u32_e64 v58, null, v53, v58, vcc_lo
	s_clause 0x1
	global_load_dword v59, v[57:58], off
	global_load_dword v65, v[52:53], off offset:20
	s_waitcnt vmcnt(1)
	global_store_dword v[52:53], v59, off offset:20
	s_waitcnt vmcnt(0)
	global_store_dword v[57:58], v65, off
.LBB48_91:
	s_or_b32 exec_lo, exec_lo, s3
	v_mov_b32_e32 v59, v56
	v_mov_b32_e32 v65, v56
.LBB48_92:
	s_or_b32 exec_lo, exec_lo, s1
.LBB48_93:
	s_andn2_saveexec_b32 s0, s0
	s_cbranch_execz .LBB48_95
; %bb.94:
	v_mov_b32_e32 v56, v26
	v_mov_b32_e32 v57, v27
	;; [unrolled: 1-line block ×20, first 2 shown]
	ds_write2_b64 v62, v[56:57], v[65:66] offset0:6 offset1:7
	ds_write2_b64 v62, v[67:68], v[69:70] offset0:8 offset1:9
	;; [unrolled: 1-line block ×5, first 2 shown]
	v_mov_b32_e32 v56, v46
	v_mov_b32_e32 v57, v47
	;; [unrolled: 1-line block ×8, first 2 shown]
	ds_write2_b64 v62, v[56:57], v[65:66] offset0:16 offset1:17
	v_mov_b32_e32 v65, 5
	v_mov_b32_e32 v71, v20
	;; [unrolled: 1-line block ×9, first 2 shown]
	ds_write2_b64 v62, v[67:68], v[69:70] offset0:18 offset1:19
	ds_write2_b64 v62, v[71:72], v[73:74] offset0:20 offset1:21
	;; [unrolled: 1-line block ×3, first 2 shown]
	ds_write_b64 v62, v[54:55] offset:192
.LBB48_95:
	s_or_b32 exec_lo, exec_lo, s0
	s_mov_b32 s0, exec_lo
	s_waitcnt lgkmcnt(0)
	s_waitcnt_vscnt null, 0x0
	s_barrier
	buffer_gl0_inv
	v_cmpx_lt_i32_e32 5, v65
	s_cbranch_execz .LBB48_97
; %bb.96:
	v_mul_f64 v[28:29], v[0:1], v[28:29]
	ds_read2_b64 v[66:69], v62 offset0:6 offset1:7
	ds_read2_b64 v[70:73], v62 offset0:8 offset1:9
	;; [unrolled: 1-line block ×9, first 2 shown]
	ds_read_b64 v[0:1], v62 offset:192
	s_waitcnt lgkmcnt(9)
	v_fma_f64 v[26:27], -v[28:29], v[66:67], v[26:27]
	v_fma_f64 v[24:25], -v[28:29], v[68:69], v[24:25]
	s_waitcnt lgkmcnt(8)
	v_fma_f64 v[36:37], -v[28:29], v[70:71], v[36:37]
	v_fma_f64 v[34:35], -v[28:29], v[72:73], v[34:35]
	;; [unrolled: 3-line block ×9, first 2 shown]
	s_waitcnt lgkmcnt(0)
	v_fma_f64 v[54:55], -v[28:29], v[0:1], v[54:55]
.LBB48_97:
	s_or_b32 exec_lo, exec_lo, s0
	v_lshl_add_u32 v0, v65, 3, v62
	s_barrier
	buffer_gl0_inv
	v_mov_b32_e32 v56, 6
	ds_write_b64 v0, v[26:27]
	s_waitcnt lgkmcnt(0)
	s_barrier
	buffer_gl0_inv
	ds_read_b64 v[0:1], v62 offset:48
	s_cmp_lt_i32 s2, 8
	s_cbranch_scc1 .LBB48_100
; %bb.98:
	v_add3_u32 v57, v63, 0, 56
	v_mov_b32_e32 v56, 6
	s_mov_b32 s0, 7
.LBB48_99:                              ; =>This Inner Loop Header: Depth=1
	ds_read_b64 v[66:67], v57
	v_add_nc_u32_e32 v57, 8, v57
	s_waitcnt lgkmcnt(0)
	v_cmp_lt_f64_e64 vcc_lo, |v[0:1]|, |v[66:67]|
	v_cndmask_b32_e32 v1, v1, v67, vcc_lo
	v_cndmask_b32_e32 v0, v0, v66, vcc_lo
	v_cndmask_b32_e64 v56, v56, s0, vcc_lo
	s_add_i32 s0, s0, 1
	s_cmp_lg_u32 s2, s0
	s_cbranch_scc1 .LBB48_99
.LBB48_100:
	s_mov_b32 s0, exec_lo
	s_waitcnt lgkmcnt(0)
	v_cmpx_eq_f64_e32 0, v[0:1]
	s_xor_b32 s0, exec_lo, s0
; %bb.101:
	v_cmp_ne_u32_e32 vcc_lo, 0, v64
	v_cndmask_b32_e32 v64, 7, v64, vcc_lo
; %bb.102:
	s_andn2_saveexec_b32 s0, s0
	s_cbranch_execz .LBB48_104
; %bb.103:
	v_div_scale_f64 v[57:58], null, v[0:1], v[0:1], 1.0
	v_rcp_f64_e32 v[66:67], v[57:58]
	v_fma_f64 v[68:69], -v[57:58], v[66:67], 1.0
	v_fma_f64 v[66:67], v[66:67], v[68:69], v[66:67]
	v_fma_f64 v[68:69], -v[57:58], v[66:67], 1.0
	v_fma_f64 v[66:67], v[66:67], v[68:69], v[66:67]
	v_div_scale_f64 v[68:69], vcc_lo, 1.0, v[0:1], 1.0
	v_mul_f64 v[70:71], v[68:69], v[66:67]
	v_fma_f64 v[57:58], -v[57:58], v[70:71], v[68:69]
	v_div_fmas_f64 v[57:58], v[57:58], v[66:67], v[70:71]
	v_div_fixup_f64 v[0:1], v[57:58], v[0:1], 1.0
.LBB48_104:
	s_or_b32 exec_lo, exec_lo, s0
	s_mov_b32 s0, exec_lo
	v_cmpx_ne_u32_e64 v65, v56
	s_xor_b32 s0, exec_lo, s0
	s_cbranch_execz .LBB48_110
; %bb.105:
	s_mov_b32 s1, exec_lo
	v_cmpx_eq_u32_e32 6, v65
	s_cbranch_execz .LBB48_109
; %bb.106:
	v_cmp_ne_u32_e32 vcc_lo, 6, v56
	s_xor_b32 s3, s6, -1
	s_and_b32 s7, s3, vcc_lo
	s_and_saveexec_b32 s3, s7
	s_cbranch_execz .LBB48_108
; %bb.107:
	v_ashrrev_i32_e32 v57, 31, v56
	v_lshlrev_b64 v[57:58], 2, v[56:57]
	v_add_co_u32 v57, vcc_lo, v52, v57
	v_add_co_ci_u32_e64 v58, null, v53, v58, vcc_lo
	s_clause 0x1
	global_load_dword v59, v[57:58], off
	global_load_dword v65, v[52:53], off offset:24
	s_waitcnt vmcnt(1)
	global_store_dword v[52:53], v59, off offset:24
	s_waitcnt vmcnt(0)
	global_store_dword v[57:58], v65, off
.LBB48_108:
	s_or_b32 exec_lo, exec_lo, s3
	v_mov_b32_e32 v59, v56
	v_mov_b32_e32 v65, v56
.LBB48_109:
	s_or_b32 exec_lo, exec_lo, s1
.LBB48_110:
	s_andn2_saveexec_b32 s0, s0
	s_cbranch_execz .LBB48_112
; %bb.111:
	v_mov_b32_e32 v65, 6
	ds_write2_b64 v62, v[24:25], v[36:37] offset0:7 offset1:8
	ds_write2_b64 v62, v[34:35], v[10:11] offset0:9 offset1:10
	;; [unrolled: 1-line block ×9, first 2 shown]
.LBB48_112:
	s_or_b32 exec_lo, exec_lo, s0
	s_mov_b32 s0, exec_lo
	s_waitcnt lgkmcnt(0)
	s_waitcnt_vscnt null, 0x0
	s_barrier
	buffer_gl0_inv
	v_cmpx_lt_i32_e32 6, v65
	s_cbranch_execz .LBB48_114
; %bb.113:
	v_mul_f64 v[26:27], v[0:1], v[26:27]
	ds_read2_b64 v[66:69], v62 offset0:7 offset1:8
	ds_read2_b64 v[70:73], v62 offset0:9 offset1:10
	;; [unrolled: 1-line block ×9, first 2 shown]
	s_waitcnt lgkmcnt(8)
	v_fma_f64 v[24:25], -v[26:27], v[66:67], v[24:25]
	v_fma_f64 v[36:37], -v[26:27], v[68:69], v[36:37]
	s_waitcnt lgkmcnt(7)
	v_fma_f64 v[34:35], -v[26:27], v[70:71], v[34:35]
	v_fma_f64 v[10:11], -v[26:27], v[72:73], v[10:11]
	;; [unrolled: 3-line block ×9, first 2 shown]
.LBB48_114:
	s_or_b32 exec_lo, exec_lo, s0
	v_lshl_add_u32 v0, v65, 3, v62
	s_barrier
	buffer_gl0_inv
	v_mov_b32_e32 v56, 7
	ds_write_b64 v0, v[24:25]
	s_waitcnt lgkmcnt(0)
	s_barrier
	buffer_gl0_inv
	ds_read_b64 v[0:1], v62 offset:56
	s_cmp_lt_i32 s2, 9
	s_cbranch_scc1 .LBB48_117
; %bb.115:
	v_add3_u32 v57, v63, 0, 64
	v_mov_b32_e32 v56, 7
	s_mov_b32 s0, 8
.LBB48_116:                             ; =>This Inner Loop Header: Depth=1
	ds_read_b64 v[66:67], v57
	v_add_nc_u32_e32 v57, 8, v57
	s_waitcnt lgkmcnt(0)
	v_cmp_lt_f64_e64 vcc_lo, |v[0:1]|, |v[66:67]|
	v_cndmask_b32_e32 v1, v1, v67, vcc_lo
	v_cndmask_b32_e32 v0, v0, v66, vcc_lo
	v_cndmask_b32_e64 v56, v56, s0, vcc_lo
	s_add_i32 s0, s0, 1
	s_cmp_lg_u32 s2, s0
	s_cbranch_scc1 .LBB48_116
.LBB48_117:
	s_mov_b32 s0, exec_lo
	s_waitcnt lgkmcnt(0)
	v_cmpx_eq_f64_e32 0, v[0:1]
	s_xor_b32 s0, exec_lo, s0
; %bb.118:
	v_cmp_ne_u32_e32 vcc_lo, 0, v64
	v_cndmask_b32_e32 v64, 8, v64, vcc_lo
; %bb.119:
	s_andn2_saveexec_b32 s0, s0
	s_cbranch_execz .LBB48_121
; %bb.120:
	v_div_scale_f64 v[57:58], null, v[0:1], v[0:1], 1.0
	v_rcp_f64_e32 v[66:67], v[57:58]
	v_fma_f64 v[68:69], -v[57:58], v[66:67], 1.0
	v_fma_f64 v[66:67], v[66:67], v[68:69], v[66:67]
	v_fma_f64 v[68:69], -v[57:58], v[66:67], 1.0
	v_fma_f64 v[66:67], v[66:67], v[68:69], v[66:67]
	v_div_scale_f64 v[68:69], vcc_lo, 1.0, v[0:1], 1.0
	v_mul_f64 v[70:71], v[68:69], v[66:67]
	v_fma_f64 v[57:58], -v[57:58], v[70:71], v[68:69]
	v_div_fmas_f64 v[57:58], v[57:58], v[66:67], v[70:71]
	v_div_fixup_f64 v[0:1], v[57:58], v[0:1], 1.0
.LBB48_121:
	s_or_b32 exec_lo, exec_lo, s0
	s_mov_b32 s0, exec_lo
	v_cmpx_ne_u32_e64 v65, v56
	s_xor_b32 s0, exec_lo, s0
	s_cbranch_execz .LBB48_127
; %bb.122:
	s_mov_b32 s1, exec_lo
	v_cmpx_eq_u32_e32 7, v65
	s_cbranch_execz .LBB48_126
; %bb.123:
	v_cmp_ne_u32_e32 vcc_lo, 7, v56
	s_xor_b32 s3, s6, -1
	s_and_b32 s7, s3, vcc_lo
	s_and_saveexec_b32 s3, s7
	s_cbranch_execz .LBB48_125
; %bb.124:
	v_ashrrev_i32_e32 v57, 31, v56
	v_lshlrev_b64 v[57:58], 2, v[56:57]
	v_add_co_u32 v57, vcc_lo, v52, v57
	v_add_co_ci_u32_e64 v58, null, v53, v58, vcc_lo
	s_clause 0x1
	global_load_dword v59, v[57:58], off
	global_load_dword v65, v[52:53], off offset:28
	s_waitcnt vmcnt(1)
	global_store_dword v[52:53], v59, off offset:28
	s_waitcnt vmcnt(0)
	global_store_dword v[57:58], v65, off
.LBB48_125:
	s_or_b32 exec_lo, exec_lo, s3
	v_mov_b32_e32 v59, v56
	v_mov_b32_e32 v65, v56
.LBB48_126:
	s_or_b32 exec_lo, exec_lo, s1
.LBB48_127:
	s_andn2_saveexec_b32 s0, s0
	s_cbranch_execz .LBB48_129
; %bb.128:
	v_mov_b32_e32 v56, v36
	v_mov_b32_e32 v57, v37
	;; [unrolled: 1-line block ×16, first 2 shown]
	ds_write2_b64 v62, v[56:57], v[65:66] offset0:8 offset1:9
	ds_write2_b64 v62, v[67:68], v[69:70] offset0:10 offset1:11
	;; [unrolled: 1-line block ×4, first 2 shown]
	v_mov_b32_e32 v56, v46
	v_mov_b32_e32 v57, v47
	v_mov_b32_e32 v65, v44
	v_mov_b32_e32 v66, v45
	v_mov_b32_e32 v67, v22
	v_mov_b32_e32 v68, v23
	v_mov_b32_e32 v69, v16
	v_mov_b32_e32 v70, v17
	ds_write2_b64 v62, v[56:57], v[65:66] offset0:16 offset1:17
	v_mov_b32_e32 v65, 7
	v_mov_b32_e32 v71, v20
	;; [unrolled: 1-line block ×9, first 2 shown]
	ds_write2_b64 v62, v[67:68], v[69:70] offset0:18 offset1:19
	ds_write2_b64 v62, v[71:72], v[73:74] offset0:20 offset1:21
	;; [unrolled: 1-line block ×3, first 2 shown]
	ds_write_b64 v62, v[54:55] offset:192
.LBB48_129:
	s_or_b32 exec_lo, exec_lo, s0
	s_mov_b32 s0, exec_lo
	s_waitcnt lgkmcnt(0)
	s_waitcnt_vscnt null, 0x0
	s_barrier
	buffer_gl0_inv
	v_cmpx_lt_i32_e32 7, v65
	s_cbranch_execz .LBB48_131
; %bb.130:
	v_mul_f64 v[24:25], v[0:1], v[24:25]
	ds_read2_b64 v[66:69], v62 offset0:8 offset1:9
	ds_read2_b64 v[70:73], v62 offset0:10 offset1:11
	;; [unrolled: 1-line block ×8, first 2 shown]
	ds_read_b64 v[0:1], v62 offset:192
	s_waitcnt lgkmcnt(8)
	v_fma_f64 v[36:37], -v[24:25], v[66:67], v[36:37]
	v_fma_f64 v[34:35], -v[24:25], v[68:69], v[34:35]
	s_waitcnt lgkmcnt(7)
	v_fma_f64 v[10:11], -v[24:25], v[70:71], v[10:11]
	v_fma_f64 v[6:7], -v[24:25], v[72:73], v[6:7]
	;; [unrolled: 3-line block ×8, first 2 shown]
	s_waitcnt lgkmcnt(0)
	v_fma_f64 v[54:55], -v[24:25], v[0:1], v[54:55]
.LBB48_131:
	s_or_b32 exec_lo, exec_lo, s0
	v_lshl_add_u32 v0, v65, 3, v62
	s_barrier
	buffer_gl0_inv
	v_mov_b32_e32 v56, 8
	ds_write_b64 v0, v[36:37]
	s_waitcnt lgkmcnt(0)
	s_barrier
	buffer_gl0_inv
	ds_read_b64 v[0:1], v62 offset:64
	s_cmp_lt_i32 s2, 10
	s_cbranch_scc1 .LBB48_134
; %bb.132:
	v_add3_u32 v57, v63, 0, 0x48
	v_mov_b32_e32 v56, 8
	s_mov_b32 s0, 9
.LBB48_133:                             ; =>This Inner Loop Header: Depth=1
	ds_read_b64 v[66:67], v57
	v_add_nc_u32_e32 v57, 8, v57
	s_waitcnt lgkmcnt(0)
	v_cmp_lt_f64_e64 vcc_lo, |v[0:1]|, |v[66:67]|
	v_cndmask_b32_e32 v1, v1, v67, vcc_lo
	v_cndmask_b32_e32 v0, v0, v66, vcc_lo
	v_cndmask_b32_e64 v56, v56, s0, vcc_lo
	s_add_i32 s0, s0, 1
	s_cmp_lg_u32 s2, s0
	s_cbranch_scc1 .LBB48_133
.LBB48_134:
	s_mov_b32 s0, exec_lo
	s_waitcnt lgkmcnt(0)
	v_cmpx_eq_f64_e32 0, v[0:1]
	s_xor_b32 s0, exec_lo, s0
; %bb.135:
	v_cmp_ne_u32_e32 vcc_lo, 0, v64
	v_cndmask_b32_e32 v64, 9, v64, vcc_lo
; %bb.136:
	s_andn2_saveexec_b32 s0, s0
	s_cbranch_execz .LBB48_138
; %bb.137:
	v_div_scale_f64 v[57:58], null, v[0:1], v[0:1], 1.0
	v_rcp_f64_e32 v[66:67], v[57:58]
	v_fma_f64 v[68:69], -v[57:58], v[66:67], 1.0
	v_fma_f64 v[66:67], v[66:67], v[68:69], v[66:67]
	v_fma_f64 v[68:69], -v[57:58], v[66:67], 1.0
	v_fma_f64 v[66:67], v[66:67], v[68:69], v[66:67]
	v_div_scale_f64 v[68:69], vcc_lo, 1.0, v[0:1], 1.0
	v_mul_f64 v[70:71], v[68:69], v[66:67]
	v_fma_f64 v[57:58], -v[57:58], v[70:71], v[68:69]
	v_div_fmas_f64 v[57:58], v[57:58], v[66:67], v[70:71]
	v_div_fixup_f64 v[0:1], v[57:58], v[0:1], 1.0
.LBB48_138:
	s_or_b32 exec_lo, exec_lo, s0
	s_mov_b32 s0, exec_lo
	v_cmpx_ne_u32_e64 v65, v56
	s_xor_b32 s0, exec_lo, s0
	s_cbranch_execz .LBB48_144
; %bb.139:
	s_mov_b32 s1, exec_lo
	v_cmpx_eq_u32_e32 8, v65
	s_cbranch_execz .LBB48_143
; %bb.140:
	v_cmp_ne_u32_e32 vcc_lo, 8, v56
	s_xor_b32 s3, s6, -1
	s_and_b32 s7, s3, vcc_lo
	s_and_saveexec_b32 s3, s7
	s_cbranch_execz .LBB48_142
; %bb.141:
	v_ashrrev_i32_e32 v57, 31, v56
	v_lshlrev_b64 v[57:58], 2, v[56:57]
	v_add_co_u32 v57, vcc_lo, v52, v57
	v_add_co_ci_u32_e64 v58, null, v53, v58, vcc_lo
	s_clause 0x1
	global_load_dword v59, v[57:58], off
	global_load_dword v65, v[52:53], off offset:32
	s_waitcnt vmcnt(1)
	global_store_dword v[52:53], v59, off offset:32
	s_waitcnt vmcnt(0)
	global_store_dword v[57:58], v65, off
.LBB48_142:
	s_or_b32 exec_lo, exec_lo, s3
	v_mov_b32_e32 v59, v56
	v_mov_b32_e32 v65, v56
.LBB48_143:
	s_or_b32 exec_lo, exec_lo, s1
.LBB48_144:
	s_andn2_saveexec_b32 s0, s0
	s_cbranch_execz .LBB48_146
; %bb.145:
	v_mov_b32_e32 v65, 8
	ds_write2_b64 v62, v[34:35], v[10:11] offset0:9 offset1:10
	ds_write2_b64 v62, v[6:7], v[50:51] offset0:11 offset1:12
	;; [unrolled: 1-line block ×8, first 2 shown]
.LBB48_146:
	s_or_b32 exec_lo, exec_lo, s0
	s_mov_b32 s0, exec_lo
	s_waitcnt lgkmcnt(0)
	s_waitcnt_vscnt null, 0x0
	s_barrier
	buffer_gl0_inv
	v_cmpx_lt_i32_e32 8, v65
	s_cbranch_execz .LBB48_148
; %bb.147:
	v_mul_f64 v[36:37], v[0:1], v[36:37]
	ds_read2_b64 v[66:69], v62 offset0:9 offset1:10
	ds_read2_b64 v[70:73], v62 offset0:11 offset1:12
	;; [unrolled: 1-line block ×8, first 2 shown]
	s_waitcnt lgkmcnt(7)
	v_fma_f64 v[34:35], -v[36:37], v[66:67], v[34:35]
	v_fma_f64 v[10:11], -v[36:37], v[68:69], v[10:11]
	s_waitcnt lgkmcnt(6)
	v_fma_f64 v[6:7], -v[36:37], v[70:71], v[6:7]
	v_fma_f64 v[50:51], -v[36:37], v[72:73], v[50:51]
	;; [unrolled: 3-line block ×8, first 2 shown]
.LBB48_148:
	s_or_b32 exec_lo, exec_lo, s0
	v_lshl_add_u32 v0, v65, 3, v62
	s_barrier
	buffer_gl0_inv
	v_mov_b32_e32 v56, 9
	ds_write_b64 v0, v[34:35]
	s_waitcnt lgkmcnt(0)
	s_barrier
	buffer_gl0_inv
	ds_read_b64 v[0:1], v62 offset:72
	s_cmp_lt_i32 s2, 11
	s_cbranch_scc1 .LBB48_151
; %bb.149:
	v_add3_u32 v57, v63, 0, 0x50
	v_mov_b32_e32 v56, 9
	s_mov_b32 s0, 10
.LBB48_150:                             ; =>This Inner Loop Header: Depth=1
	ds_read_b64 v[66:67], v57
	v_add_nc_u32_e32 v57, 8, v57
	s_waitcnt lgkmcnt(0)
	v_cmp_lt_f64_e64 vcc_lo, |v[0:1]|, |v[66:67]|
	v_cndmask_b32_e32 v1, v1, v67, vcc_lo
	v_cndmask_b32_e32 v0, v0, v66, vcc_lo
	v_cndmask_b32_e64 v56, v56, s0, vcc_lo
	s_add_i32 s0, s0, 1
	s_cmp_lg_u32 s2, s0
	s_cbranch_scc1 .LBB48_150
.LBB48_151:
	s_mov_b32 s0, exec_lo
	s_waitcnt lgkmcnt(0)
	v_cmpx_eq_f64_e32 0, v[0:1]
	s_xor_b32 s0, exec_lo, s0
; %bb.152:
	v_cmp_ne_u32_e32 vcc_lo, 0, v64
	v_cndmask_b32_e32 v64, 10, v64, vcc_lo
; %bb.153:
	s_andn2_saveexec_b32 s0, s0
	s_cbranch_execz .LBB48_155
; %bb.154:
	v_div_scale_f64 v[57:58], null, v[0:1], v[0:1], 1.0
	v_rcp_f64_e32 v[66:67], v[57:58]
	v_fma_f64 v[68:69], -v[57:58], v[66:67], 1.0
	v_fma_f64 v[66:67], v[66:67], v[68:69], v[66:67]
	v_fma_f64 v[68:69], -v[57:58], v[66:67], 1.0
	v_fma_f64 v[66:67], v[66:67], v[68:69], v[66:67]
	v_div_scale_f64 v[68:69], vcc_lo, 1.0, v[0:1], 1.0
	v_mul_f64 v[70:71], v[68:69], v[66:67]
	v_fma_f64 v[57:58], -v[57:58], v[70:71], v[68:69]
	v_div_fmas_f64 v[57:58], v[57:58], v[66:67], v[70:71]
	v_div_fixup_f64 v[0:1], v[57:58], v[0:1], 1.0
.LBB48_155:
	s_or_b32 exec_lo, exec_lo, s0
	s_mov_b32 s0, exec_lo
	v_cmpx_ne_u32_e64 v65, v56
	s_xor_b32 s0, exec_lo, s0
	s_cbranch_execz .LBB48_161
; %bb.156:
	s_mov_b32 s1, exec_lo
	v_cmpx_eq_u32_e32 9, v65
	s_cbranch_execz .LBB48_160
; %bb.157:
	v_cmp_ne_u32_e32 vcc_lo, 9, v56
	s_xor_b32 s3, s6, -1
	s_and_b32 s7, s3, vcc_lo
	s_and_saveexec_b32 s3, s7
	s_cbranch_execz .LBB48_159
; %bb.158:
	v_ashrrev_i32_e32 v57, 31, v56
	v_lshlrev_b64 v[57:58], 2, v[56:57]
	v_add_co_u32 v57, vcc_lo, v52, v57
	v_add_co_ci_u32_e64 v58, null, v53, v58, vcc_lo
	s_clause 0x1
	global_load_dword v59, v[57:58], off
	global_load_dword v65, v[52:53], off offset:36
	s_waitcnt vmcnt(1)
	global_store_dword v[52:53], v59, off offset:36
	s_waitcnt vmcnt(0)
	global_store_dword v[57:58], v65, off
.LBB48_159:
	s_or_b32 exec_lo, exec_lo, s3
	v_mov_b32_e32 v59, v56
	v_mov_b32_e32 v65, v56
.LBB48_160:
	s_or_b32 exec_lo, exec_lo, s1
.LBB48_161:
	s_andn2_saveexec_b32 s0, s0
	s_cbranch_execz .LBB48_163
; %bb.162:
	v_mov_b32_e32 v56, v10
	v_mov_b32_e32 v57, v11
	;; [unrolled: 1-line block ×12, first 2 shown]
	ds_write2_b64 v62, v[56:57], v[65:66] offset0:10 offset1:11
	ds_write2_b64 v62, v[67:68], v[69:70] offset0:12 offset1:13
	;; [unrolled: 1-line block ×3, first 2 shown]
	v_mov_b32_e32 v56, v46
	v_mov_b32_e32 v57, v47
	v_mov_b32_e32 v65, v44
	v_mov_b32_e32 v66, v45
	v_mov_b32_e32 v67, v22
	v_mov_b32_e32 v68, v23
	v_mov_b32_e32 v69, v16
	v_mov_b32_e32 v70, v17
	ds_write2_b64 v62, v[56:57], v[65:66] offset0:16 offset1:17
	v_mov_b32_e32 v65, 9
	v_mov_b32_e32 v71, v20
	;; [unrolled: 1-line block ×9, first 2 shown]
	ds_write2_b64 v62, v[67:68], v[69:70] offset0:18 offset1:19
	ds_write2_b64 v62, v[71:72], v[73:74] offset0:20 offset1:21
	;; [unrolled: 1-line block ×3, first 2 shown]
	ds_write_b64 v62, v[54:55] offset:192
.LBB48_163:
	s_or_b32 exec_lo, exec_lo, s0
	s_mov_b32 s0, exec_lo
	s_waitcnt lgkmcnt(0)
	s_waitcnt_vscnt null, 0x0
	s_barrier
	buffer_gl0_inv
	v_cmpx_lt_i32_e32 9, v65
	s_cbranch_execz .LBB48_165
; %bb.164:
	v_mul_f64 v[34:35], v[0:1], v[34:35]
	ds_read2_b64 v[66:69], v62 offset0:10 offset1:11
	ds_read2_b64 v[70:73], v62 offset0:12 offset1:13
	ds_read2_b64 v[74:77], v62 offset0:14 offset1:15
	ds_read2_b64 v[78:81], v62 offset0:16 offset1:17
	ds_read2_b64 v[82:85], v62 offset0:18 offset1:19
	ds_read2_b64 v[86:89], v62 offset0:20 offset1:21
	ds_read2_b64 v[90:93], v62 offset0:22 offset1:23
	ds_read_b64 v[0:1], v62 offset:192
	s_waitcnt lgkmcnt(7)
	v_fma_f64 v[10:11], -v[34:35], v[66:67], v[10:11]
	v_fma_f64 v[6:7], -v[34:35], v[68:69], v[6:7]
	s_waitcnt lgkmcnt(6)
	v_fma_f64 v[50:51], -v[34:35], v[70:71], v[50:51]
	v_fma_f64 v[30:31], -v[34:35], v[72:73], v[30:31]
	;; [unrolled: 3-line block ×7, first 2 shown]
	s_waitcnt lgkmcnt(0)
	v_fma_f64 v[54:55], -v[34:35], v[0:1], v[54:55]
.LBB48_165:
	s_or_b32 exec_lo, exec_lo, s0
	v_lshl_add_u32 v0, v65, 3, v62
	s_barrier
	buffer_gl0_inv
	v_mov_b32_e32 v56, 10
	ds_write_b64 v0, v[10:11]
	s_waitcnt lgkmcnt(0)
	s_barrier
	buffer_gl0_inv
	ds_read_b64 v[0:1], v62 offset:80
	s_cmp_lt_i32 s2, 12
	s_cbranch_scc1 .LBB48_168
; %bb.166:
	v_add3_u32 v57, v63, 0, 0x58
	v_mov_b32_e32 v56, 10
	s_mov_b32 s0, 11
.LBB48_167:                             ; =>This Inner Loop Header: Depth=1
	ds_read_b64 v[66:67], v57
	v_add_nc_u32_e32 v57, 8, v57
	s_waitcnt lgkmcnt(0)
	v_cmp_lt_f64_e64 vcc_lo, |v[0:1]|, |v[66:67]|
	v_cndmask_b32_e32 v1, v1, v67, vcc_lo
	v_cndmask_b32_e32 v0, v0, v66, vcc_lo
	v_cndmask_b32_e64 v56, v56, s0, vcc_lo
	s_add_i32 s0, s0, 1
	s_cmp_lg_u32 s2, s0
	s_cbranch_scc1 .LBB48_167
.LBB48_168:
	s_mov_b32 s0, exec_lo
	s_waitcnt lgkmcnt(0)
	v_cmpx_eq_f64_e32 0, v[0:1]
	s_xor_b32 s0, exec_lo, s0
; %bb.169:
	v_cmp_ne_u32_e32 vcc_lo, 0, v64
	v_cndmask_b32_e32 v64, 11, v64, vcc_lo
; %bb.170:
	s_andn2_saveexec_b32 s0, s0
	s_cbranch_execz .LBB48_172
; %bb.171:
	v_div_scale_f64 v[57:58], null, v[0:1], v[0:1], 1.0
	v_rcp_f64_e32 v[66:67], v[57:58]
	v_fma_f64 v[68:69], -v[57:58], v[66:67], 1.0
	v_fma_f64 v[66:67], v[66:67], v[68:69], v[66:67]
	v_fma_f64 v[68:69], -v[57:58], v[66:67], 1.0
	v_fma_f64 v[66:67], v[66:67], v[68:69], v[66:67]
	v_div_scale_f64 v[68:69], vcc_lo, 1.0, v[0:1], 1.0
	v_mul_f64 v[70:71], v[68:69], v[66:67]
	v_fma_f64 v[57:58], -v[57:58], v[70:71], v[68:69]
	v_div_fmas_f64 v[57:58], v[57:58], v[66:67], v[70:71]
	v_div_fixup_f64 v[0:1], v[57:58], v[0:1], 1.0
.LBB48_172:
	s_or_b32 exec_lo, exec_lo, s0
	s_mov_b32 s0, exec_lo
	v_cmpx_ne_u32_e64 v65, v56
	s_xor_b32 s0, exec_lo, s0
	s_cbranch_execz .LBB48_178
; %bb.173:
	s_mov_b32 s1, exec_lo
	v_cmpx_eq_u32_e32 10, v65
	s_cbranch_execz .LBB48_177
; %bb.174:
	v_cmp_ne_u32_e32 vcc_lo, 10, v56
	s_xor_b32 s3, s6, -1
	s_and_b32 s7, s3, vcc_lo
	s_and_saveexec_b32 s3, s7
	s_cbranch_execz .LBB48_176
; %bb.175:
	v_ashrrev_i32_e32 v57, 31, v56
	v_lshlrev_b64 v[57:58], 2, v[56:57]
	v_add_co_u32 v57, vcc_lo, v52, v57
	v_add_co_ci_u32_e64 v58, null, v53, v58, vcc_lo
	s_clause 0x1
	global_load_dword v59, v[57:58], off
	global_load_dword v65, v[52:53], off offset:40
	s_waitcnt vmcnt(1)
	global_store_dword v[52:53], v59, off offset:40
	s_waitcnt vmcnt(0)
	global_store_dword v[57:58], v65, off
.LBB48_176:
	s_or_b32 exec_lo, exec_lo, s3
	v_mov_b32_e32 v59, v56
	v_mov_b32_e32 v65, v56
.LBB48_177:
	s_or_b32 exec_lo, exec_lo, s1
.LBB48_178:
	s_andn2_saveexec_b32 s0, s0
	s_cbranch_execz .LBB48_180
; %bb.179:
	v_mov_b32_e32 v65, 10
	ds_write2_b64 v62, v[6:7], v[50:51] offset0:11 offset1:12
	ds_write2_b64 v62, v[30:31], v[32:33] offset0:13 offset1:14
	;; [unrolled: 1-line block ×7, first 2 shown]
.LBB48_180:
	s_or_b32 exec_lo, exec_lo, s0
	s_mov_b32 s0, exec_lo
	s_waitcnt lgkmcnt(0)
	s_waitcnt_vscnt null, 0x0
	s_barrier
	buffer_gl0_inv
	v_cmpx_lt_i32_e32 10, v65
	s_cbranch_execz .LBB48_182
; %bb.181:
	v_mul_f64 v[10:11], v[0:1], v[10:11]
	ds_read2_b64 v[66:69], v62 offset0:11 offset1:12
	ds_read2_b64 v[70:73], v62 offset0:13 offset1:14
	ds_read2_b64 v[74:77], v62 offset0:15 offset1:16
	ds_read2_b64 v[78:81], v62 offset0:17 offset1:18
	ds_read2_b64 v[82:85], v62 offset0:19 offset1:20
	ds_read2_b64 v[86:89], v62 offset0:21 offset1:22
	ds_read2_b64 v[90:93], v62 offset0:23 offset1:24
	s_waitcnt lgkmcnt(6)
	v_fma_f64 v[6:7], -v[10:11], v[66:67], v[6:7]
	v_fma_f64 v[50:51], -v[10:11], v[68:69], v[50:51]
	s_waitcnt lgkmcnt(5)
	v_fma_f64 v[30:31], -v[10:11], v[70:71], v[30:31]
	v_fma_f64 v[32:33], -v[10:11], v[72:73], v[32:33]
	;; [unrolled: 3-line block ×7, first 2 shown]
.LBB48_182:
	s_or_b32 exec_lo, exec_lo, s0
	v_lshl_add_u32 v0, v65, 3, v62
	s_barrier
	buffer_gl0_inv
	v_mov_b32_e32 v56, 11
	ds_write_b64 v0, v[6:7]
	s_waitcnt lgkmcnt(0)
	s_barrier
	buffer_gl0_inv
	ds_read_b64 v[0:1], v62 offset:88
	s_cmp_lt_i32 s2, 13
	s_cbranch_scc1 .LBB48_185
; %bb.183:
	v_add3_u32 v57, v63, 0, 0x60
	v_mov_b32_e32 v56, 11
	s_mov_b32 s0, 12
.LBB48_184:                             ; =>This Inner Loop Header: Depth=1
	ds_read_b64 v[66:67], v57
	v_add_nc_u32_e32 v57, 8, v57
	s_waitcnt lgkmcnt(0)
	v_cmp_lt_f64_e64 vcc_lo, |v[0:1]|, |v[66:67]|
	v_cndmask_b32_e32 v1, v1, v67, vcc_lo
	v_cndmask_b32_e32 v0, v0, v66, vcc_lo
	v_cndmask_b32_e64 v56, v56, s0, vcc_lo
	s_add_i32 s0, s0, 1
	s_cmp_lg_u32 s2, s0
	s_cbranch_scc1 .LBB48_184
.LBB48_185:
	s_mov_b32 s0, exec_lo
	s_waitcnt lgkmcnt(0)
	v_cmpx_eq_f64_e32 0, v[0:1]
	s_xor_b32 s0, exec_lo, s0
; %bb.186:
	v_cmp_ne_u32_e32 vcc_lo, 0, v64
	v_cndmask_b32_e32 v64, 12, v64, vcc_lo
; %bb.187:
	s_andn2_saveexec_b32 s0, s0
	s_cbranch_execz .LBB48_189
; %bb.188:
	v_div_scale_f64 v[57:58], null, v[0:1], v[0:1], 1.0
	v_rcp_f64_e32 v[66:67], v[57:58]
	v_fma_f64 v[68:69], -v[57:58], v[66:67], 1.0
	v_fma_f64 v[66:67], v[66:67], v[68:69], v[66:67]
	v_fma_f64 v[68:69], -v[57:58], v[66:67], 1.0
	v_fma_f64 v[66:67], v[66:67], v[68:69], v[66:67]
	v_div_scale_f64 v[68:69], vcc_lo, 1.0, v[0:1], 1.0
	v_mul_f64 v[70:71], v[68:69], v[66:67]
	v_fma_f64 v[57:58], -v[57:58], v[70:71], v[68:69]
	v_div_fmas_f64 v[57:58], v[57:58], v[66:67], v[70:71]
	v_div_fixup_f64 v[0:1], v[57:58], v[0:1], 1.0
.LBB48_189:
	s_or_b32 exec_lo, exec_lo, s0
	s_mov_b32 s0, exec_lo
	v_cmpx_ne_u32_e64 v65, v56
	s_xor_b32 s0, exec_lo, s0
	s_cbranch_execz .LBB48_195
; %bb.190:
	s_mov_b32 s1, exec_lo
	v_cmpx_eq_u32_e32 11, v65
	s_cbranch_execz .LBB48_194
; %bb.191:
	v_cmp_ne_u32_e32 vcc_lo, 11, v56
	s_xor_b32 s3, s6, -1
	s_and_b32 s7, s3, vcc_lo
	s_and_saveexec_b32 s3, s7
	s_cbranch_execz .LBB48_193
; %bb.192:
	v_ashrrev_i32_e32 v57, 31, v56
	v_lshlrev_b64 v[57:58], 2, v[56:57]
	v_add_co_u32 v57, vcc_lo, v52, v57
	v_add_co_ci_u32_e64 v58, null, v53, v58, vcc_lo
	s_clause 0x1
	global_load_dword v59, v[57:58], off
	global_load_dword v65, v[52:53], off offset:44
	s_waitcnt vmcnt(1)
	global_store_dword v[52:53], v59, off offset:44
	s_waitcnt vmcnt(0)
	global_store_dword v[57:58], v65, off
.LBB48_193:
	s_or_b32 exec_lo, exec_lo, s3
	v_mov_b32_e32 v59, v56
	v_mov_b32_e32 v65, v56
.LBB48_194:
	s_or_b32 exec_lo, exec_lo, s1
.LBB48_195:
	s_andn2_saveexec_b32 s0, s0
	s_cbranch_execz .LBB48_197
; %bb.196:
	v_mov_b32_e32 v56, v50
	v_mov_b32_e32 v57, v51
	;; [unrolled: 1-line block ×8, first 2 shown]
	ds_write2_b64 v62, v[56:57], v[65:66] offset0:12 offset1:13
	ds_write2_b64 v62, v[67:68], v[69:70] offset0:14 offset1:15
	v_mov_b32_e32 v56, v46
	v_mov_b32_e32 v57, v47
	;; [unrolled: 1-line block ×8, first 2 shown]
	ds_write2_b64 v62, v[56:57], v[65:66] offset0:16 offset1:17
	v_mov_b32_e32 v65, 11
	v_mov_b32_e32 v71, v20
	;; [unrolled: 1-line block ×9, first 2 shown]
	ds_write2_b64 v62, v[67:68], v[69:70] offset0:18 offset1:19
	ds_write2_b64 v62, v[71:72], v[73:74] offset0:20 offset1:21
	;; [unrolled: 1-line block ×3, first 2 shown]
	ds_write_b64 v62, v[54:55] offset:192
.LBB48_197:
	s_or_b32 exec_lo, exec_lo, s0
	s_mov_b32 s0, exec_lo
	s_waitcnt lgkmcnt(0)
	s_waitcnt_vscnt null, 0x0
	s_barrier
	buffer_gl0_inv
	v_cmpx_lt_i32_e32 11, v65
	s_cbranch_execz .LBB48_199
; %bb.198:
	v_mul_f64 v[6:7], v[0:1], v[6:7]
	ds_read2_b64 v[66:69], v62 offset0:12 offset1:13
	ds_read2_b64 v[70:73], v62 offset0:14 offset1:15
	;; [unrolled: 1-line block ×6, first 2 shown]
	ds_read_b64 v[0:1], v62 offset:192
	s_waitcnt lgkmcnt(6)
	v_fma_f64 v[50:51], -v[6:7], v[66:67], v[50:51]
	v_fma_f64 v[30:31], -v[6:7], v[68:69], v[30:31]
	s_waitcnt lgkmcnt(5)
	v_fma_f64 v[32:33], -v[6:7], v[70:71], v[32:33]
	v_fma_f64 v[4:5], -v[6:7], v[72:73], v[4:5]
	s_waitcnt lgkmcnt(4)
	v_fma_f64 v[46:47], -v[6:7], v[74:75], v[46:47]
	v_fma_f64 v[44:45], -v[6:7], v[76:77], v[44:45]
	s_waitcnt lgkmcnt(3)
	v_fma_f64 v[22:23], -v[6:7], v[78:79], v[22:23]
	v_fma_f64 v[16:17], -v[6:7], v[80:81], v[16:17]
	s_waitcnt lgkmcnt(2)
	v_fma_f64 v[20:21], -v[6:7], v[82:83], v[20:21]
	v_fma_f64 v[14:15], -v[6:7], v[84:85], v[14:15]
	s_waitcnt lgkmcnt(1)
	v_fma_f64 v[18:19], -v[6:7], v[86:87], v[18:19]
	v_fma_f64 v[12:13], -v[6:7], v[88:89], v[12:13]
	s_waitcnt lgkmcnt(0)
	v_fma_f64 v[54:55], -v[6:7], v[0:1], v[54:55]
.LBB48_199:
	s_or_b32 exec_lo, exec_lo, s0
	v_lshl_add_u32 v0, v65, 3, v62
	s_barrier
	buffer_gl0_inv
	v_mov_b32_e32 v56, 12
	ds_write_b64 v0, v[50:51]
	s_waitcnt lgkmcnt(0)
	s_barrier
	buffer_gl0_inv
	ds_read_b64 v[0:1], v62 offset:96
	s_cmp_lt_i32 s2, 14
	s_cbranch_scc1 .LBB48_202
; %bb.200:
	v_add3_u32 v57, v63, 0, 0x68
	v_mov_b32_e32 v56, 12
	s_mov_b32 s0, 13
.LBB48_201:                             ; =>This Inner Loop Header: Depth=1
	ds_read_b64 v[66:67], v57
	v_add_nc_u32_e32 v57, 8, v57
	s_waitcnt lgkmcnt(0)
	v_cmp_lt_f64_e64 vcc_lo, |v[0:1]|, |v[66:67]|
	v_cndmask_b32_e32 v1, v1, v67, vcc_lo
	v_cndmask_b32_e32 v0, v0, v66, vcc_lo
	v_cndmask_b32_e64 v56, v56, s0, vcc_lo
	s_add_i32 s0, s0, 1
	s_cmp_lg_u32 s2, s0
	s_cbranch_scc1 .LBB48_201
.LBB48_202:
	s_mov_b32 s0, exec_lo
	s_waitcnt lgkmcnt(0)
	v_cmpx_eq_f64_e32 0, v[0:1]
	s_xor_b32 s0, exec_lo, s0
; %bb.203:
	v_cmp_ne_u32_e32 vcc_lo, 0, v64
	v_cndmask_b32_e32 v64, 13, v64, vcc_lo
; %bb.204:
	s_andn2_saveexec_b32 s0, s0
	s_cbranch_execz .LBB48_206
; %bb.205:
	v_div_scale_f64 v[57:58], null, v[0:1], v[0:1], 1.0
	v_rcp_f64_e32 v[66:67], v[57:58]
	v_fma_f64 v[68:69], -v[57:58], v[66:67], 1.0
	v_fma_f64 v[66:67], v[66:67], v[68:69], v[66:67]
	v_fma_f64 v[68:69], -v[57:58], v[66:67], 1.0
	v_fma_f64 v[66:67], v[66:67], v[68:69], v[66:67]
	v_div_scale_f64 v[68:69], vcc_lo, 1.0, v[0:1], 1.0
	v_mul_f64 v[70:71], v[68:69], v[66:67]
	v_fma_f64 v[57:58], -v[57:58], v[70:71], v[68:69]
	v_div_fmas_f64 v[57:58], v[57:58], v[66:67], v[70:71]
	v_div_fixup_f64 v[0:1], v[57:58], v[0:1], 1.0
.LBB48_206:
	s_or_b32 exec_lo, exec_lo, s0
	s_mov_b32 s0, exec_lo
	v_cmpx_ne_u32_e64 v65, v56
	s_xor_b32 s0, exec_lo, s0
	s_cbranch_execz .LBB48_212
; %bb.207:
	s_mov_b32 s1, exec_lo
	v_cmpx_eq_u32_e32 12, v65
	s_cbranch_execz .LBB48_211
; %bb.208:
	v_cmp_ne_u32_e32 vcc_lo, 12, v56
	s_xor_b32 s3, s6, -1
	s_and_b32 s7, s3, vcc_lo
	s_and_saveexec_b32 s3, s7
	s_cbranch_execz .LBB48_210
; %bb.209:
	v_ashrrev_i32_e32 v57, 31, v56
	v_lshlrev_b64 v[57:58], 2, v[56:57]
	v_add_co_u32 v57, vcc_lo, v52, v57
	v_add_co_ci_u32_e64 v58, null, v53, v58, vcc_lo
	s_clause 0x1
	global_load_dword v59, v[57:58], off
	global_load_dword v65, v[52:53], off offset:48
	s_waitcnt vmcnt(1)
	global_store_dword v[52:53], v59, off offset:48
	s_waitcnt vmcnt(0)
	global_store_dword v[57:58], v65, off
.LBB48_210:
	s_or_b32 exec_lo, exec_lo, s3
	v_mov_b32_e32 v59, v56
	v_mov_b32_e32 v65, v56
.LBB48_211:
	s_or_b32 exec_lo, exec_lo, s1
.LBB48_212:
	s_andn2_saveexec_b32 s0, s0
	s_cbranch_execz .LBB48_214
; %bb.213:
	v_mov_b32_e32 v65, 12
	ds_write2_b64 v62, v[30:31], v[32:33] offset0:13 offset1:14
	ds_write2_b64 v62, v[4:5], v[46:47] offset0:15 offset1:16
	;; [unrolled: 1-line block ×6, first 2 shown]
.LBB48_214:
	s_or_b32 exec_lo, exec_lo, s0
	s_mov_b32 s0, exec_lo
	s_waitcnt lgkmcnt(0)
	s_waitcnt_vscnt null, 0x0
	s_barrier
	buffer_gl0_inv
	v_cmpx_lt_i32_e32 12, v65
	s_cbranch_execz .LBB48_216
; %bb.215:
	v_mul_f64 v[50:51], v[0:1], v[50:51]
	ds_read2_b64 v[66:69], v62 offset0:13 offset1:14
	ds_read2_b64 v[70:73], v62 offset0:15 offset1:16
	;; [unrolled: 1-line block ×6, first 2 shown]
	s_waitcnt lgkmcnt(5)
	v_fma_f64 v[30:31], -v[50:51], v[66:67], v[30:31]
	v_fma_f64 v[32:33], -v[50:51], v[68:69], v[32:33]
	s_waitcnt lgkmcnt(4)
	v_fma_f64 v[4:5], -v[50:51], v[70:71], v[4:5]
	v_fma_f64 v[46:47], -v[50:51], v[72:73], v[46:47]
	;; [unrolled: 3-line block ×6, first 2 shown]
.LBB48_216:
	s_or_b32 exec_lo, exec_lo, s0
	v_lshl_add_u32 v0, v65, 3, v62
	s_barrier
	buffer_gl0_inv
	v_mov_b32_e32 v56, 13
	ds_write_b64 v0, v[30:31]
	s_waitcnt lgkmcnt(0)
	s_barrier
	buffer_gl0_inv
	ds_read_b64 v[0:1], v62 offset:104
	s_cmp_lt_i32 s2, 15
	s_cbranch_scc1 .LBB48_219
; %bb.217:
	v_add3_u32 v57, v63, 0, 0x70
	v_mov_b32_e32 v56, 13
	s_mov_b32 s0, 14
.LBB48_218:                             ; =>This Inner Loop Header: Depth=1
	ds_read_b64 v[66:67], v57
	v_add_nc_u32_e32 v57, 8, v57
	s_waitcnt lgkmcnt(0)
	v_cmp_lt_f64_e64 vcc_lo, |v[0:1]|, |v[66:67]|
	v_cndmask_b32_e32 v1, v1, v67, vcc_lo
	v_cndmask_b32_e32 v0, v0, v66, vcc_lo
	v_cndmask_b32_e64 v56, v56, s0, vcc_lo
	s_add_i32 s0, s0, 1
	s_cmp_lg_u32 s2, s0
	s_cbranch_scc1 .LBB48_218
.LBB48_219:
	s_mov_b32 s0, exec_lo
	s_waitcnt lgkmcnt(0)
	v_cmpx_eq_f64_e32 0, v[0:1]
	s_xor_b32 s0, exec_lo, s0
; %bb.220:
	v_cmp_ne_u32_e32 vcc_lo, 0, v64
	v_cndmask_b32_e32 v64, 14, v64, vcc_lo
; %bb.221:
	s_andn2_saveexec_b32 s0, s0
	s_cbranch_execz .LBB48_223
; %bb.222:
	v_div_scale_f64 v[57:58], null, v[0:1], v[0:1], 1.0
	v_rcp_f64_e32 v[66:67], v[57:58]
	v_fma_f64 v[68:69], -v[57:58], v[66:67], 1.0
	v_fma_f64 v[66:67], v[66:67], v[68:69], v[66:67]
	v_fma_f64 v[68:69], -v[57:58], v[66:67], 1.0
	v_fma_f64 v[66:67], v[66:67], v[68:69], v[66:67]
	v_div_scale_f64 v[68:69], vcc_lo, 1.0, v[0:1], 1.0
	v_mul_f64 v[70:71], v[68:69], v[66:67]
	v_fma_f64 v[57:58], -v[57:58], v[70:71], v[68:69]
	v_div_fmas_f64 v[57:58], v[57:58], v[66:67], v[70:71]
	v_div_fixup_f64 v[0:1], v[57:58], v[0:1], 1.0
.LBB48_223:
	s_or_b32 exec_lo, exec_lo, s0
	s_mov_b32 s0, exec_lo
	v_cmpx_ne_u32_e64 v65, v56
	s_xor_b32 s0, exec_lo, s0
	s_cbranch_execz .LBB48_229
; %bb.224:
	s_mov_b32 s1, exec_lo
	v_cmpx_eq_u32_e32 13, v65
	s_cbranch_execz .LBB48_228
; %bb.225:
	v_cmp_ne_u32_e32 vcc_lo, 13, v56
	s_xor_b32 s3, s6, -1
	s_and_b32 s7, s3, vcc_lo
	s_and_saveexec_b32 s3, s7
	s_cbranch_execz .LBB48_227
; %bb.226:
	v_ashrrev_i32_e32 v57, 31, v56
	v_lshlrev_b64 v[57:58], 2, v[56:57]
	v_add_co_u32 v57, vcc_lo, v52, v57
	v_add_co_ci_u32_e64 v58, null, v53, v58, vcc_lo
	s_clause 0x1
	global_load_dword v59, v[57:58], off
	global_load_dword v65, v[52:53], off offset:52
	s_waitcnt vmcnt(1)
	global_store_dword v[52:53], v59, off offset:52
	s_waitcnt vmcnt(0)
	global_store_dword v[57:58], v65, off
.LBB48_227:
	s_or_b32 exec_lo, exec_lo, s3
	v_mov_b32_e32 v59, v56
	v_mov_b32_e32 v65, v56
.LBB48_228:
	s_or_b32 exec_lo, exec_lo, s1
.LBB48_229:
	s_andn2_saveexec_b32 s0, s0
	s_cbranch_execz .LBB48_231
; %bb.230:
	v_mov_b32_e32 v56, v32
	v_mov_b32_e32 v57, v33
	;; [unrolled: 1-line block ×8, first 2 shown]
	ds_write2_b64 v62, v[56:57], v[65:66] offset0:14 offset1:15
	v_mov_b32_e32 v56, v44
	v_mov_b32_e32 v57, v45
	;; [unrolled: 1-line block ×13, first 2 shown]
	ds_write2_b64 v62, v[67:68], v[56:57] offset0:16 offset1:17
	ds_write2_b64 v62, v[69:70], v[71:72] offset0:18 offset1:19
	;; [unrolled: 1-line block ×4, first 2 shown]
	ds_write_b64 v62, v[54:55] offset:192
.LBB48_231:
	s_or_b32 exec_lo, exec_lo, s0
	s_mov_b32 s0, exec_lo
	s_waitcnt lgkmcnt(0)
	s_waitcnt_vscnt null, 0x0
	s_barrier
	buffer_gl0_inv
	v_cmpx_lt_i32_e32 13, v65
	s_cbranch_execz .LBB48_233
; %bb.232:
	v_mul_f64 v[30:31], v[0:1], v[30:31]
	ds_read2_b64 v[66:69], v62 offset0:14 offset1:15
	ds_read2_b64 v[70:73], v62 offset0:16 offset1:17
	;; [unrolled: 1-line block ×5, first 2 shown]
	ds_read_b64 v[0:1], v62 offset:192
	s_waitcnt lgkmcnt(5)
	v_fma_f64 v[32:33], -v[30:31], v[66:67], v[32:33]
	v_fma_f64 v[4:5], -v[30:31], v[68:69], v[4:5]
	s_waitcnt lgkmcnt(4)
	v_fma_f64 v[46:47], -v[30:31], v[70:71], v[46:47]
	v_fma_f64 v[44:45], -v[30:31], v[72:73], v[44:45]
	;; [unrolled: 3-line block ×5, first 2 shown]
	s_waitcnt lgkmcnt(0)
	v_fma_f64 v[54:55], -v[30:31], v[0:1], v[54:55]
.LBB48_233:
	s_or_b32 exec_lo, exec_lo, s0
	v_lshl_add_u32 v0, v65, 3, v62
	s_barrier
	buffer_gl0_inv
	v_mov_b32_e32 v56, 14
	ds_write_b64 v0, v[32:33]
	s_waitcnt lgkmcnt(0)
	s_barrier
	buffer_gl0_inv
	ds_read_b64 v[0:1], v62 offset:112
	s_cmp_lt_i32 s2, 16
	s_cbranch_scc1 .LBB48_236
; %bb.234:
	v_add3_u32 v57, v63, 0, 0x78
	v_mov_b32_e32 v56, 14
	s_mov_b32 s0, 15
.LBB48_235:                             ; =>This Inner Loop Header: Depth=1
	ds_read_b64 v[66:67], v57
	v_add_nc_u32_e32 v57, 8, v57
	s_waitcnt lgkmcnt(0)
	v_cmp_lt_f64_e64 vcc_lo, |v[0:1]|, |v[66:67]|
	v_cndmask_b32_e32 v1, v1, v67, vcc_lo
	v_cndmask_b32_e32 v0, v0, v66, vcc_lo
	v_cndmask_b32_e64 v56, v56, s0, vcc_lo
	s_add_i32 s0, s0, 1
	s_cmp_lg_u32 s2, s0
	s_cbranch_scc1 .LBB48_235
.LBB48_236:
	s_mov_b32 s0, exec_lo
	s_waitcnt lgkmcnt(0)
	v_cmpx_eq_f64_e32 0, v[0:1]
	s_xor_b32 s0, exec_lo, s0
; %bb.237:
	v_cmp_ne_u32_e32 vcc_lo, 0, v64
	v_cndmask_b32_e32 v64, 15, v64, vcc_lo
; %bb.238:
	s_andn2_saveexec_b32 s0, s0
	s_cbranch_execz .LBB48_240
; %bb.239:
	v_div_scale_f64 v[57:58], null, v[0:1], v[0:1], 1.0
	v_rcp_f64_e32 v[66:67], v[57:58]
	v_fma_f64 v[68:69], -v[57:58], v[66:67], 1.0
	v_fma_f64 v[66:67], v[66:67], v[68:69], v[66:67]
	v_fma_f64 v[68:69], -v[57:58], v[66:67], 1.0
	v_fma_f64 v[66:67], v[66:67], v[68:69], v[66:67]
	v_div_scale_f64 v[68:69], vcc_lo, 1.0, v[0:1], 1.0
	v_mul_f64 v[70:71], v[68:69], v[66:67]
	v_fma_f64 v[57:58], -v[57:58], v[70:71], v[68:69]
	v_div_fmas_f64 v[57:58], v[57:58], v[66:67], v[70:71]
	v_div_fixup_f64 v[0:1], v[57:58], v[0:1], 1.0
.LBB48_240:
	s_or_b32 exec_lo, exec_lo, s0
	s_mov_b32 s0, exec_lo
	v_cmpx_ne_u32_e64 v65, v56
	s_xor_b32 s0, exec_lo, s0
	s_cbranch_execz .LBB48_246
; %bb.241:
	s_mov_b32 s1, exec_lo
	v_cmpx_eq_u32_e32 14, v65
	s_cbranch_execz .LBB48_245
; %bb.242:
	v_cmp_ne_u32_e32 vcc_lo, 14, v56
	s_xor_b32 s3, s6, -1
	s_and_b32 s7, s3, vcc_lo
	s_and_saveexec_b32 s3, s7
	s_cbranch_execz .LBB48_244
; %bb.243:
	v_ashrrev_i32_e32 v57, 31, v56
	v_lshlrev_b64 v[57:58], 2, v[56:57]
	v_add_co_u32 v57, vcc_lo, v52, v57
	v_add_co_ci_u32_e64 v58, null, v53, v58, vcc_lo
	s_clause 0x1
	global_load_dword v59, v[57:58], off
	global_load_dword v65, v[52:53], off offset:56
	s_waitcnt vmcnt(1)
	global_store_dword v[52:53], v59, off offset:56
	s_waitcnt vmcnt(0)
	global_store_dword v[57:58], v65, off
.LBB48_244:
	s_or_b32 exec_lo, exec_lo, s3
	v_mov_b32_e32 v59, v56
	v_mov_b32_e32 v65, v56
.LBB48_245:
	s_or_b32 exec_lo, exec_lo, s1
.LBB48_246:
	s_andn2_saveexec_b32 s0, s0
	s_cbranch_execz .LBB48_248
; %bb.247:
	v_mov_b32_e32 v65, 14
	ds_write2_b64 v62, v[4:5], v[46:47] offset0:15 offset1:16
	ds_write2_b64 v62, v[44:45], v[22:23] offset0:17 offset1:18
	ds_write2_b64 v62, v[16:17], v[20:21] offset0:19 offset1:20
	ds_write2_b64 v62, v[14:15], v[18:19] offset0:21 offset1:22
	ds_write2_b64 v62, v[12:13], v[54:55] offset0:23 offset1:24
.LBB48_248:
	s_or_b32 exec_lo, exec_lo, s0
	s_mov_b32 s0, exec_lo
	s_waitcnt lgkmcnt(0)
	s_waitcnt_vscnt null, 0x0
	s_barrier
	buffer_gl0_inv
	v_cmpx_lt_i32_e32 14, v65
	s_cbranch_execz .LBB48_250
; %bb.249:
	v_mul_f64 v[32:33], v[0:1], v[32:33]
	ds_read2_b64 v[66:69], v62 offset0:15 offset1:16
	ds_read2_b64 v[70:73], v62 offset0:17 offset1:18
	;; [unrolled: 1-line block ×5, first 2 shown]
	s_waitcnt lgkmcnt(4)
	v_fma_f64 v[4:5], -v[32:33], v[66:67], v[4:5]
	v_fma_f64 v[46:47], -v[32:33], v[68:69], v[46:47]
	s_waitcnt lgkmcnt(3)
	v_fma_f64 v[44:45], -v[32:33], v[70:71], v[44:45]
	v_fma_f64 v[22:23], -v[32:33], v[72:73], v[22:23]
	;; [unrolled: 3-line block ×5, first 2 shown]
.LBB48_250:
	s_or_b32 exec_lo, exec_lo, s0
	v_lshl_add_u32 v0, v65, 3, v62
	s_barrier
	buffer_gl0_inv
	v_mov_b32_e32 v56, 15
	ds_write_b64 v0, v[4:5]
	s_waitcnt lgkmcnt(0)
	s_barrier
	buffer_gl0_inv
	ds_read_b64 v[0:1], v62 offset:120
	s_cmp_lt_i32 s2, 17
	s_cbranch_scc1 .LBB48_253
; %bb.251:
	v_add3_u32 v57, v63, 0, 0x80
	v_mov_b32_e32 v56, 15
	s_mov_b32 s0, 16
.LBB48_252:                             ; =>This Inner Loop Header: Depth=1
	ds_read_b64 v[66:67], v57
	v_add_nc_u32_e32 v57, 8, v57
	s_waitcnt lgkmcnt(0)
	v_cmp_lt_f64_e64 vcc_lo, |v[0:1]|, |v[66:67]|
	v_cndmask_b32_e32 v1, v1, v67, vcc_lo
	v_cndmask_b32_e32 v0, v0, v66, vcc_lo
	v_cndmask_b32_e64 v56, v56, s0, vcc_lo
	s_add_i32 s0, s0, 1
	s_cmp_lg_u32 s2, s0
	s_cbranch_scc1 .LBB48_252
.LBB48_253:
	s_mov_b32 s0, exec_lo
	s_waitcnt lgkmcnt(0)
	v_cmpx_eq_f64_e32 0, v[0:1]
	s_xor_b32 s0, exec_lo, s0
; %bb.254:
	v_cmp_ne_u32_e32 vcc_lo, 0, v64
	v_cndmask_b32_e32 v64, 16, v64, vcc_lo
; %bb.255:
	s_andn2_saveexec_b32 s0, s0
	s_cbranch_execz .LBB48_257
; %bb.256:
	v_div_scale_f64 v[57:58], null, v[0:1], v[0:1], 1.0
	v_rcp_f64_e32 v[66:67], v[57:58]
	v_fma_f64 v[68:69], -v[57:58], v[66:67], 1.0
	v_fma_f64 v[66:67], v[66:67], v[68:69], v[66:67]
	v_fma_f64 v[68:69], -v[57:58], v[66:67], 1.0
	v_fma_f64 v[66:67], v[66:67], v[68:69], v[66:67]
	v_div_scale_f64 v[68:69], vcc_lo, 1.0, v[0:1], 1.0
	v_mul_f64 v[70:71], v[68:69], v[66:67]
	v_fma_f64 v[57:58], -v[57:58], v[70:71], v[68:69]
	v_div_fmas_f64 v[57:58], v[57:58], v[66:67], v[70:71]
	v_div_fixup_f64 v[0:1], v[57:58], v[0:1], 1.0
.LBB48_257:
	s_or_b32 exec_lo, exec_lo, s0
	s_mov_b32 s0, exec_lo
	v_cmpx_ne_u32_e64 v65, v56
	s_xor_b32 s0, exec_lo, s0
	s_cbranch_execz .LBB48_263
; %bb.258:
	s_mov_b32 s1, exec_lo
	v_cmpx_eq_u32_e32 15, v65
	s_cbranch_execz .LBB48_262
; %bb.259:
	v_cmp_ne_u32_e32 vcc_lo, 15, v56
	s_xor_b32 s3, s6, -1
	s_and_b32 s7, s3, vcc_lo
	s_and_saveexec_b32 s3, s7
	s_cbranch_execz .LBB48_261
; %bb.260:
	v_ashrrev_i32_e32 v57, 31, v56
	v_lshlrev_b64 v[57:58], 2, v[56:57]
	v_add_co_u32 v57, vcc_lo, v52, v57
	v_add_co_ci_u32_e64 v58, null, v53, v58, vcc_lo
	s_clause 0x1
	global_load_dword v59, v[57:58], off
	global_load_dword v65, v[52:53], off offset:60
	s_waitcnt vmcnt(1)
	global_store_dword v[52:53], v59, off offset:60
	s_waitcnt vmcnt(0)
	global_store_dword v[57:58], v65, off
.LBB48_261:
	s_or_b32 exec_lo, exec_lo, s3
	v_mov_b32_e32 v59, v56
	v_mov_b32_e32 v65, v56
.LBB48_262:
	s_or_b32 exec_lo, exec_lo, s1
.LBB48_263:
	s_andn2_saveexec_b32 s0, s0
	s_cbranch_execz .LBB48_265
; %bb.264:
	v_mov_b32_e32 v56, v46
	v_mov_b32_e32 v57, v47
	;; [unrolled: 1-line block ×8, first 2 shown]
	ds_write2_b64 v62, v[56:57], v[65:66] offset0:16 offset1:17
	v_mov_b32_e32 v65, 15
	v_mov_b32_e32 v71, v20
	;; [unrolled: 1-line block ×9, first 2 shown]
	ds_write2_b64 v62, v[67:68], v[69:70] offset0:18 offset1:19
	ds_write2_b64 v62, v[71:72], v[73:74] offset0:20 offset1:21
	;; [unrolled: 1-line block ×3, first 2 shown]
	ds_write_b64 v62, v[54:55] offset:192
.LBB48_265:
	s_or_b32 exec_lo, exec_lo, s0
	s_mov_b32 s0, exec_lo
	s_waitcnt lgkmcnt(0)
	s_waitcnt_vscnt null, 0x0
	s_barrier
	buffer_gl0_inv
	v_cmpx_lt_i32_e32 15, v65
	s_cbranch_execz .LBB48_267
; %bb.266:
	v_mul_f64 v[4:5], v[0:1], v[4:5]
	ds_read2_b64 v[66:69], v62 offset0:16 offset1:17
	ds_read2_b64 v[70:73], v62 offset0:18 offset1:19
	;; [unrolled: 1-line block ×4, first 2 shown]
	ds_read_b64 v[0:1], v62 offset:192
	s_waitcnt lgkmcnt(4)
	v_fma_f64 v[46:47], -v[4:5], v[66:67], v[46:47]
	v_fma_f64 v[44:45], -v[4:5], v[68:69], v[44:45]
	s_waitcnt lgkmcnt(3)
	v_fma_f64 v[22:23], -v[4:5], v[70:71], v[22:23]
	v_fma_f64 v[16:17], -v[4:5], v[72:73], v[16:17]
	;; [unrolled: 3-line block ×4, first 2 shown]
	s_waitcnt lgkmcnt(0)
	v_fma_f64 v[54:55], -v[4:5], v[0:1], v[54:55]
.LBB48_267:
	s_or_b32 exec_lo, exec_lo, s0
	v_lshl_add_u32 v0, v65, 3, v62
	s_barrier
	buffer_gl0_inv
	v_mov_b32_e32 v56, 16
	ds_write_b64 v0, v[46:47]
	s_waitcnt lgkmcnt(0)
	s_barrier
	buffer_gl0_inv
	ds_read_b64 v[0:1], v62 offset:128
	s_cmp_lt_i32 s2, 18
	s_cbranch_scc1 .LBB48_270
; %bb.268:
	v_add3_u32 v57, v63, 0, 0x88
	v_mov_b32_e32 v56, 16
	s_mov_b32 s0, 17
.LBB48_269:                             ; =>This Inner Loop Header: Depth=1
	ds_read_b64 v[66:67], v57
	v_add_nc_u32_e32 v57, 8, v57
	s_waitcnt lgkmcnt(0)
	v_cmp_lt_f64_e64 vcc_lo, |v[0:1]|, |v[66:67]|
	v_cndmask_b32_e32 v1, v1, v67, vcc_lo
	v_cndmask_b32_e32 v0, v0, v66, vcc_lo
	v_cndmask_b32_e64 v56, v56, s0, vcc_lo
	s_add_i32 s0, s0, 1
	s_cmp_lg_u32 s2, s0
	s_cbranch_scc1 .LBB48_269
.LBB48_270:
	s_mov_b32 s0, exec_lo
	s_waitcnt lgkmcnt(0)
	v_cmpx_eq_f64_e32 0, v[0:1]
	s_xor_b32 s0, exec_lo, s0
; %bb.271:
	v_cmp_ne_u32_e32 vcc_lo, 0, v64
	v_cndmask_b32_e32 v64, 17, v64, vcc_lo
; %bb.272:
	s_andn2_saveexec_b32 s0, s0
	s_cbranch_execz .LBB48_274
; %bb.273:
	v_div_scale_f64 v[57:58], null, v[0:1], v[0:1], 1.0
	v_rcp_f64_e32 v[66:67], v[57:58]
	v_fma_f64 v[68:69], -v[57:58], v[66:67], 1.0
	v_fma_f64 v[66:67], v[66:67], v[68:69], v[66:67]
	v_fma_f64 v[68:69], -v[57:58], v[66:67], 1.0
	v_fma_f64 v[66:67], v[66:67], v[68:69], v[66:67]
	v_div_scale_f64 v[68:69], vcc_lo, 1.0, v[0:1], 1.0
	v_mul_f64 v[70:71], v[68:69], v[66:67]
	v_fma_f64 v[57:58], -v[57:58], v[70:71], v[68:69]
	v_div_fmas_f64 v[57:58], v[57:58], v[66:67], v[70:71]
	v_div_fixup_f64 v[0:1], v[57:58], v[0:1], 1.0
.LBB48_274:
	s_or_b32 exec_lo, exec_lo, s0
	s_mov_b32 s0, exec_lo
	v_cmpx_ne_u32_e64 v65, v56
	s_xor_b32 s0, exec_lo, s0
	s_cbranch_execz .LBB48_280
; %bb.275:
	s_mov_b32 s1, exec_lo
	v_cmpx_eq_u32_e32 16, v65
	s_cbranch_execz .LBB48_279
; %bb.276:
	v_cmp_ne_u32_e32 vcc_lo, 16, v56
	s_xor_b32 s3, s6, -1
	s_and_b32 s7, s3, vcc_lo
	s_and_saveexec_b32 s3, s7
	s_cbranch_execz .LBB48_278
; %bb.277:
	v_ashrrev_i32_e32 v57, 31, v56
	v_lshlrev_b64 v[57:58], 2, v[56:57]
	v_add_co_u32 v57, vcc_lo, v52, v57
	v_add_co_ci_u32_e64 v58, null, v53, v58, vcc_lo
	s_clause 0x1
	global_load_dword v59, v[57:58], off
	global_load_dword v65, v[52:53], off offset:64
	s_waitcnt vmcnt(1)
	global_store_dword v[52:53], v59, off offset:64
	s_waitcnt vmcnt(0)
	global_store_dword v[57:58], v65, off
.LBB48_278:
	s_or_b32 exec_lo, exec_lo, s3
	v_mov_b32_e32 v59, v56
	v_mov_b32_e32 v65, v56
.LBB48_279:
	s_or_b32 exec_lo, exec_lo, s1
.LBB48_280:
	s_andn2_saveexec_b32 s0, s0
	s_cbranch_execz .LBB48_282
; %bb.281:
	v_mov_b32_e32 v65, 16
	ds_write2_b64 v62, v[44:45], v[22:23] offset0:17 offset1:18
	ds_write2_b64 v62, v[16:17], v[20:21] offset0:19 offset1:20
	;; [unrolled: 1-line block ×4, first 2 shown]
.LBB48_282:
	s_or_b32 exec_lo, exec_lo, s0
	s_mov_b32 s0, exec_lo
	s_waitcnt lgkmcnt(0)
	s_waitcnt_vscnt null, 0x0
	s_barrier
	buffer_gl0_inv
	v_cmpx_lt_i32_e32 16, v65
	s_cbranch_execz .LBB48_284
; %bb.283:
	v_mul_f64 v[46:47], v[0:1], v[46:47]
	ds_read2_b64 v[66:69], v62 offset0:17 offset1:18
	ds_read2_b64 v[70:73], v62 offset0:19 offset1:20
	;; [unrolled: 1-line block ×4, first 2 shown]
	s_waitcnt lgkmcnt(3)
	v_fma_f64 v[44:45], -v[46:47], v[66:67], v[44:45]
	v_fma_f64 v[22:23], -v[46:47], v[68:69], v[22:23]
	s_waitcnt lgkmcnt(2)
	v_fma_f64 v[16:17], -v[46:47], v[70:71], v[16:17]
	v_fma_f64 v[20:21], -v[46:47], v[72:73], v[20:21]
	;; [unrolled: 3-line block ×4, first 2 shown]
.LBB48_284:
	s_or_b32 exec_lo, exec_lo, s0
	v_lshl_add_u32 v0, v65, 3, v62
	s_barrier
	buffer_gl0_inv
	v_mov_b32_e32 v56, 17
	ds_write_b64 v0, v[44:45]
	s_waitcnt lgkmcnt(0)
	s_barrier
	buffer_gl0_inv
	ds_read_b64 v[0:1], v62 offset:136
	s_cmp_lt_i32 s2, 19
	s_cbranch_scc1 .LBB48_287
; %bb.285:
	v_add3_u32 v57, v63, 0, 0x90
	v_mov_b32_e32 v56, 17
	s_mov_b32 s0, 18
.LBB48_286:                             ; =>This Inner Loop Header: Depth=1
	ds_read_b64 v[66:67], v57
	v_add_nc_u32_e32 v57, 8, v57
	s_waitcnt lgkmcnt(0)
	v_cmp_lt_f64_e64 vcc_lo, |v[0:1]|, |v[66:67]|
	v_cndmask_b32_e32 v1, v1, v67, vcc_lo
	v_cndmask_b32_e32 v0, v0, v66, vcc_lo
	v_cndmask_b32_e64 v56, v56, s0, vcc_lo
	s_add_i32 s0, s0, 1
	s_cmp_lg_u32 s2, s0
	s_cbranch_scc1 .LBB48_286
.LBB48_287:
	s_mov_b32 s0, exec_lo
	s_waitcnt lgkmcnt(0)
	v_cmpx_eq_f64_e32 0, v[0:1]
	s_xor_b32 s0, exec_lo, s0
; %bb.288:
	v_cmp_ne_u32_e32 vcc_lo, 0, v64
	v_cndmask_b32_e32 v64, 18, v64, vcc_lo
; %bb.289:
	s_andn2_saveexec_b32 s0, s0
	s_cbranch_execz .LBB48_291
; %bb.290:
	v_div_scale_f64 v[57:58], null, v[0:1], v[0:1], 1.0
	v_rcp_f64_e32 v[66:67], v[57:58]
	v_fma_f64 v[68:69], -v[57:58], v[66:67], 1.0
	v_fma_f64 v[66:67], v[66:67], v[68:69], v[66:67]
	v_fma_f64 v[68:69], -v[57:58], v[66:67], 1.0
	v_fma_f64 v[66:67], v[66:67], v[68:69], v[66:67]
	v_div_scale_f64 v[68:69], vcc_lo, 1.0, v[0:1], 1.0
	v_mul_f64 v[70:71], v[68:69], v[66:67]
	v_fma_f64 v[57:58], -v[57:58], v[70:71], v[68:69]
	v_div_fmas_f64 v[57:58], v[57:58], v[66:67], v[70:71]
	v_div_fixup_f64 v[0:1], v[57:58], v[0:1], 1.0
.LBB48_291:
	s_or_b32 exec_lo, exec_lo, s0
	s_mov_b32 s0, exec_lo
	v_cmpx_ne_u32_e64 v65, v56
	s_xor_b32 s0, exec_lo, s0
	s_cbranch_execz .LBB48_297
; %bb.292:
	s_mov_b32 s1, exec_lo
	v_cmpx_eq_u32_e32 17, v65
	s_cbranch_execz .LBB48_296
; %bb.293:
	v_cmp_ne_u32_e32 vcc_lo, 17, v56
	s_xor_b32 s3, s6, -1
	s_and_b32 s7, s3, vcc_lo
	s_and_saveexec_b32 s3, s7
	s_cbranch_execz .LBB48_295
; %bb.294:
	v_ashrrev_i32_e32 v57, 31, v56
	v_lshlrev_b64 v[57:58], 2, v[56:57]
	v_add_co_u32 v57, vcc_lo, v52, v57
	v_add_co_ci_u32_e64 v58, null, v53, v58, vcc_lo
	s_clause 0x1
	global_load_dword v59, v[57:58], off
	global_load_dword v65, v[52:53], off offset:68
	s_waitcnt vmcnt(1)
	global_store_dword v[52:53], v59, off offset:68
	s_waitcnt vmcnt(0)
	global_store_dword v[57:58], v65, off
.LBB48_295:
	s_or_b32 exec_lo, exec_lo, s3
	v_mov_b32_e32 v59, v56
	v_mov_b32_e32 v65, v56
.LBB48_296:
	s_or_b32 exec_lo, exec_lo, s1
.LBB48_297:
	s_andn2_saveexec_b32 s0, s0
	s_cbranch_execz .LBB48_299
; %bb.298:
	v_mov_b32_e32 v56, v22
	v_mov_b32_e32 v57, v23
	;; [unrolled: 1-line block ×13, first 2 shown]
	ds_write2_b64 v62, v[56:57], v[66:67] offset0:18 offset1:19
	ds_write2_b64 v62, v[68:69], v[70:71] offset0:20 offset1:21
	;; [unrolled: 1-line block ×3, first 2 shown]
	ds_write_b64 v62, v[54:55] offset:192
.LBB48_299:
	s_or_b32 exec_lo, exec_lo, s0
	s_mov_b32 s0, exec_lo
	s_waitcnt lgkmcnt(0)
	s_waitcnt_vscnt null, 0x0
	s_barrier
	buffer_gl0_inv
	v_cmpx_lt_i32_e32 17, v65
	s_cbranch_execz .LBB48_301
; %bb.300:
	v_mul_f64 v[44:45], v[0:1], v[44:45]
	ds_read2_b64 v[66:69], v62 offset0:18 offset1:19
	ds_read2_b64 v[70:73], v62 offset0:20 offset1:21
	;; [unrolled: 1-line block ×3, first 2 shown]
	ds_read_b64 v[0:1], v62 offset:192
	s_waitcnt lgkmcnt(3)
	v_fma_f64 v[22:23], -v[44:45], v[66:67], v[22:23]
	v_fma_f64 v[16:17], -v[44:45], v[68:69], v[16:17]
	s_waitcnt lgkmcnt(2)
	v_fma_f64 v[20:21], -v[44:45], v[70:71], v[20:21]
	v_fma_f64 v[14:15], -v[44:45], v[72:73], v[14:15]
	;; [unrolled: 3-line block ×3, first 2 shown]
	s_waitcnt lgkmcnt(0)
	v_fma_f64 v[54:55], -v[44:45], v[0:1], v[54:55]
.LBB48_301:
	s_or_b32 exec_lo, exec_lo, s0
	v_lshl_add_u32 v0, v65, 3, v62
	s_barrier
	buffer_gl0_inv
	v_mov_b32_e32 v56, 18
	ds_write_b64 v0, v[22:23]
	s_waitcnt lgkmcnt(0)
	s_barrier
	buffer_gl0_inv
	ds_read_b64 v[0:1], v62 offset:144
	s_cmp_lt_i32 s2, 20
	s_cbranch_scc1 .LBB48_304
; %bb.302:
	v_add3_u32 v57, v63, 0, 0x98
	v_mov_b32_e32 v56, 18
	s_mov_b32 s0, 19
.LBB48_303:                             ; =>This Inner Loop Header: Depth=1
	ds_read_b64 v[66:67], v57
	v_add_nc_u32_e32 v57, 8, v57
	s_waitcnt lgkmcnt(0)
	v_cmp_lt_f64_e64 vcc_lo, |v[0:1]|, |v[66:67]|
	v_cndmask_b32_e32 v1, v1, v67, vcc_lo
	v_cndmask_b32_e32 v0, v0, v66, vcc_lo
	v_cndmask_b32_e64 v56, v56, s0, vcc_lo
	s_add_i32 s0, s0, 1
	s_cmp_lg_u32 s2, s0
	s_cbranch_scc1 .LBB48_303
.LBB48_304:
	s_mov_b32 s0, exec_lo
	s_waitcnt lgkmcnt(0)
	v_cmpx_eq_f64_e32 0, v[0:1]
	s_xor_b32 s0, exec_lo, s0
; %bb.305:
	v_cmp_ne_u32_e32 vcc_lo, 0, v64
	v_cndmask_b32_e32 v64, 19, v64, vcc_lo
; %bb.306:
	s_andn2_saveexec_b32 s0, s0
	s_cbranch_execz .LBB48_308
; %bb.307:
	v_div_scale_f64 v[57:58], null, v[0:1], v[0:1], 1.0
	v_rcp_f64_e32 v[66:67], v[57:58]
	v_fma_f64 v[68:69], -v[57:58], v[66:67], 1.0
	v_fma_f64 v[66:67], v[66:67], v[68:69], v[66:67]
	v_fma_f64 v[68:69], -v[57:58], v[66:67], 1.0
	v_fma_f64 v[66:67], v[66:67], v[68:69], v[66:67]
	v_div_scale_f64 v[68:69], vcc_lo, 1.0, v[0:1], 1.0
	v_mul_f64 v[70:71], v[68:69], v[66:67]
	v_fma_f64 v[57:58], -v[57:58], v[70:71], v[68:69]
	v_div_fmas_f64 v[57:58], v[57:58], v[66:67], v[70:71]
	v_div_fixup_f64 v[0:1], v[57:58], v[0:1], 1.0
.LBB48_308:
	s_or_b32 exec_lo, exec_lo, s0
	s_mov_b32 s0, exec_lo
	v_cmpx_ne_u32_e64 v65, v56
	s_xor_b32 s0, exec_lo, s0
	s_cbranch_execz .LBB48_314
; %bb.309:
	s_mov_b32 s1, exec_lo
	v_cmpx_eq_u32_e32 18, v65
	s_cbranch_execz .LBB48_313
; %bb.310:
	v_cmp_ne_u32_e32 vcc_lo, 18, v56
	s_xor_b32 s3, s6, -1
	s_and_b32 s7, s3, vcc_lo
	s_and_saveexec_b32 s3, s7
	s_cbranch_execz .LBB48_312
; %bb.311:
	v_ashrrev_i32_e32 v57, 31, v56
	v_lshlrev_b64 v[57:58], 2, v[56:57]
	v_add_co_u32 v57, vcc_lo, v52, v57
	v_add_co_ci_u32_e64 v58, null, v53, v58, vcc_lo
	s_clause 0x1
	global_load_dword v59, v[57:58], off
	global_load_dword v65, v[52:53], off offset:72
	s_waitcnt vmcnt(1)
	global_store_dword v[52:53], v59, off offset:72
	s_waitcnt vmcnt(0)
	global_store_dword v[57:58], v65, off
.LBB48_312:
	s_or_b32 exec_lo, exec_lo, s3
	v_mov_b32_e32 v59, v56
	v_mov_b32_e32 v65, v56
.LBB48_313:
	s_or_b32 exec_lo, exec_lo, s1
.LBB48_314:
	s_andn2_saveexec_b32 s0, s0
	s_cbranch_execz .LBB48_316
; %bb.315:
	v_mov_b32_e32 v65, 18
	ds_write2_b64 v62, v[16:17], v[20:21] offset0:19 offset1:20
	ds_write2_b64 v62, v[14:15], v[18:19] offset0:21 offset1:22
	;; [unrolled: 1-line block ×3, first 2 shown]
.LBB48_316:
	s_or_b32 exec_lo, exec_lo, s0
	s_mov_b32 s0, exec_lo
	s_waitcnt lgkmcnt(0)
	s_waitcnt_vscnt null, 0x0
	s_barrier
	buffer_gl0_inv
	v_cmpx_lt_i32_e32 18, v65
	s_cbranch_execz .LBB48_318
; %bb.317:
	v_mul_f64 v[22:23], v[0:1], v[22:23]
	ds_read2_b64 v[66:69], v62 offset0:19 offset1:20
	ds_read2_b64 v[70:73], v62 offset0:21 offset1:22
	;; [unrolled: 1-line block ×3, first 2 shown]
	s_waitcnt lgkmcnt(2)
	v_fma_f64 v[16:17], -v[22:23], v[66:67], v[16:17]
	v_fma_f64 v[20:21], -v[22:23], v[68:69], v[20:21]
	s_waitcnt lgkmcnt(1)
	v_fma_f64 v[14:15], -v[22:23], v[70:71], v[14:15]
	v_fma_f64 v[18:19], -v[22:23], v[72:73], v[18:19]
	;; [unrolled: 3-line block ×3, first 2 shown]
.LBB48_318:
	s_or_b32 exec_lo, exec_lo, s0
	v_lshl_add_u32 v0, v65, 3, v62
	s_barrier
	buffer_gl0_inv
	v_mov_b32_e32 v56, 19
	ds_write_b64 v0, v[16:17]
	s_waitcnt lgkmcnt(0)
	s_barrier
	buffer_gl0_inv
	ds_read_b64 v[0:1], v62 offset:152
	s_cmp_lt_i32 s2, 21
	s_cbranch_scc1 .LBB48_321
; %bb.319:
	v_add3_u32 v57, v63, 0, 0xa0
	v_mov_b32_e32 v56, 19
	s_mov_b32 s0, 20
.LBB48_320:                             ; =>This Inner Loop Header: Depth=1
	ds_read_b64 v[66:67], v57
	v_add_nc_u32_e32 v57, 8, v57
	s_waitcnt lgkmcnt(0)
	v_cmp_lt_f64_e64 vcc_lo, |v[0:1]|, |v[66:67]|
	v_cndmask_b32_e32 v1, v1, v67, vcc_lo
	v_cndmask_b32_e32 v0, v0, v66, vcc_lo
	v_cndmask_b32_e64 v56, v56, s0, vcc_lo
	s_add_i32 s0, s0, 1
	s_cmp_lg_u32 s2, s0
	s_cbranch_scc1 .LBB48_320
.LBB48_321:
	s_mov_b32 s0, exec_lo
	s_waitcnt lgkmcnt(0)
	v_cmpx_eq_f64_e32 0, v[0:1]
	s_xor_b32 s0, exec_lo, s0
; %bb.322:
	v_cmp_ne_u32_e32 vcc_lo, 0, v64
	v_cndmask_b32_e32 v64, 20, v64, vcc_lo
; %bb.323:
	s_andn2_saveexec_b32 s0, s0
	s_cbranch_execz .LBB48_325
; %bb.324:
	v_div_scale_f64 v[57:58], null, v[0:1], v[0:1], 1.0
	v_rcp_f64_e32 v[66:67], v[57:58]
	v_fma_f64 v[68:69], -v[57:58], v[66:67], 1.0
	v_fma_f64 v[66:67], v[66:67], v[68:69], v[66:67]
	v_fma_f64 v[68:69], -v[57:58], v[66:67], 1.0
	v_fma_f64 v[66:67], v[66:67], v[68:69], v[66:67]
	v_div_scale_f64 v[68:69], vcc_lo, 1.0, v[0:1], 1.0
	v_mul_f64 v[70:71], v[68:69], v[66:67]
	v_fma_f64 v[57:58], -v[57:58], v[70:71], v[68:69]
	v_div_fmas_f64 v[57:58], v[57:58], v[66:67], v[70:71]
	v_div_fixup_f64 v[0:1], v[57:58], v[0:1], 1.0
.LBB48_325:
	s_or_b32 exec_lo, exec_lo, s0
	s_mov_b32 s0, exec_lo
	v_cmpx_ne_u32_e64 v65, v56
	s_xor_b32 s0, exec_lo, s0
	s_cbranch_execz .LBB48_331
; %bb.326:
	s_mov_b32 s1, exec_lo
	v_cmpx_eq_u32_e32 19, v65
	s_cbranch_execz .LBB48_330
; %bb.327:
	v_cmp_ne_u32_e32 vcc_lo, 19, v56
	s_xor_b32 s3, s6, -1
	s_and_b32 s7, s3, vcc_lo
	s_and_saveexec_b32 s3, s7
	s_cbranch_execz .LBB48_329
; %bb.328:
	v_ashrrev_i32_e32 v57, 31, v56
	v_lshlrev_b64 v[57:58], 2, v[56:57]
	v_add_co_u32 v57, vcc_lo, v52, v57
	v_add_co_ci_u32_e64 v58, null, v53, v58, vcc_lo
	s_clause 0x1
	global_load_dword v59, v[57:58], off
	global_load_dword v65, v[52:53], off offset:76
	s_waitcnt vmcnt(1)
	global_store_dword v[52:53], v59, off offset:76
	s_waitcnt vmcnt(0)
	global_store_dword v[57:58], v65, off
.LBB48_329:
	s_or_b32 exec_lo, exec_lo, s3
	v_mov_b32_e32 v59, v56
	v_mov_b32_e32 v65, v56
.LBB48_330:
	s_or_b32 exec_lo, exec_lo, s1
.LBB48_331:
	s_andn2_saveexec_b32 s0, s0
	s_cbranch_execz .LBB48_333
; %bb.332:
	v_mov_b32_e32 v56, v20
	v_mov_b32_e32 v57, v21
	;; [unrolled: 1-line block ×9, first 2 shown]
	ds_write2_b64 v62, v[56:57], v[66:67] offset0:20 offset1:21
	ds_write2_b64 v62, v[68:69], v[70:71] offset0:22 offset1:23
	ds_write_b64 v62, v[54:55] offset:192
.LBB48_333:
	s_or_b32 exec_lo, exec_lo, s0
	s_mov_b32 s0, exec_lo
	s_waitcnt lgkmcnt(0)
	s_waitcnt_vscnt null, 0x0
	s_barrier
	buffer_gl0_inv
	v_cmpx_lt_i32_e32 19, v65
	s_cbranch_execz .LBB48_335
; %bb.334:
	v_mul_f64 v[16:17], v[0:1], v[16:17]
	ds_read2_b64 v[66:69], v62 offset0:20 offset1:21
	ds_read2_b64 v[70:73], v62 offset0:22 offset1:23
	ds_read_b64 v[0:1], v62 offset:192
	s_waitcnt lgkmcnt(2)
	v_fma_f64 v[20:21], -v[16:17], v[66:67], v[20:21]
	v_fma_f64 v[14:15], -v[16:17], v[68:69], v[14:15]
	s_waitcnt lgkmcnt(1)
	v_fma_f64 v[18:19], -v[16:17], v[70:71], v[18:19]
	v_fma_f64 v[12:13], -v[16:17], v[72:73], v[12:13]
	s_waitcnt lgkmcnt(0)
	v_fma_f64 v[54:55], -v[16:17], v[0:1], v[54:55]
.LBB48_335:
	s_or_b32 exec_lo, exec_lo, s0
	v_lshl_add_u32 v0, v65, 3, v62
	s_barrier
	buffer_gl0_inv
	v_mov_b32_e32 v56, 20
	ds_write_b64 v0, v[20:21]
	s_waitcnt lgkmcnt(0)
	s_barrier
	buffer_gl0_inv
	ds_read_b64 v[0:1], v62 offset:160
	s_cmp_lt_i32 s2, 22
	s_cbranch_scc1 .LBB48_338
; %bb.336:
	v_add3_u32 v57, v63, 0, 0xa8
	v_mov_b32_e32 v56, 20
	s_mov_b32 s0, 21
.LBB48_337:                             ; =>This Inner Loop Header: Depth=1
	ds_read_b64 v[66:67], v57
	v_add_nc_u32_e32 v57, 8, v57
	s_waitcnt lgkmcnt(0)
	v_cmp_lt_f64_e64 vcc_lo, |v[0:1]|, |v[66:67]|
	v_cndmask_b32_e32 v1, v1, v67, vcc_lo
	v_cndmask_b32_e32 v0, v0, v66, vcc_lo
	v_cndmask_b32_e64 v56, v56, s0, vcc_lo
	s_add_i32 s0, s0, 1
	s_cmp_lg_u32 s2, s0
	s_cbranch_scc1 .LBB48_337
.LBB48_338:
	s_mov_b32 s0, exec_lo
	s_waitcnt lgkmcnt(0)
	v_cmpx_eq_f64_e32 0, v[0:1]
	s_xor_b32 s0, exec_lo, s0
; %bb.339:
	v_cmp_ne_u32_e32 vcc_lo, 0, v64
	v_cndmask_b32_e32 v64, 21, v64, vcc_lo
; %bb.340:
	s_andn2_saveexec_b32 s0, s0
	s_cbranch_execz .LBB48_342
; %bb.341:
	v_div_scale_f64 v[57:58], null, v[0:1], v[0:1], 1.0
	v_rcp_f64_e32 v[66:67], v[57:58]
	v_fma_f64 v[68:69], -v[57:58], v[66:67], 1.0
	v_fma_f64 v[66:67], v[66:67], v[68:69], v[66:67]
	v_fma_f64 v[68:69], -v[57:58], v[66:67], 1.0
	v_fma_f64 v[66:67], v[66:67], v[68:69], v[66:67]
	v_div_scale_f64 v[68:69], vcc_lo, 1.0, v[0:1], 1.0
	v_mul_f64 v[70:71], v[68:69], v[66:67]
	v_fma_f64 v[57:58], -v[57:58], v[70:71], v[68:69]
	v_div_fmas_f64 v[57:58], v[57:58], v[66:67], v[70:71]
	v_div_fixup_f64 v[0:1], v[57:58], v[0:1], 1.0
.LBB48_342:
	s_or_b32 exec_lo, exec_lo, s0
	s_mov_b32 s0, exec_lo
	v_cmpx_ne_u32_e64 v65, v56
	s_xor_b32 s0, exec_lo, s0
	s_cbranch_execz .LBB48_348
; %bb.343:
	s_mov_b32 s1, exec_lo
	v_cmpx_eq_u32_e32 20, v65
	s_cbranch_execz .LBB48_347
; %bb.344:
	v_cmp_ne_u32_e32 vcc_lo, 20, v56
	s_xor_b32 s3, s6, -1
	s_and_b32 s7, s3, vcc_lo
	s_and_saveexec_b32 s3, s7
	s_cbranch_execz .LBB48_346
; %bb.345:
	v_ashrrev_i32_e32 v57, 31, v56
	v_lshlrev_b64 v[57:58], 2, v[56:57]
	v_add_co_u32 v57, vcc_lo, v52, v57
	v_add_co_ci_u32_e64 v58, null, v53, v58, vcc_lo
	s_clause 0x1
	global_load_dword v59, v[57:58], off
	global_load_dword v65, v[52:53], off offset:80
	s_waitcnt vmcnt(1)
	global_store_dword v[52:53], v59, off offset:80
	s_waitcnt vmcnt(0)
	global_store_dword v[57:58], v65, off
.LBB48_346:
	s_or_b32 exec_lo, exec_lo, s3
	v_mov_b32_e32 v59, v56
	v_mov_b32_e32 v65, v56
.LBB48_347:
	s_or_b32 exec_lo, exec_lo, s1
.LBB48_348:
	s_andn2_saveexec_b32 s0, s0
	s_cbranch_execz .LBB48_350
; %bb.349:
	v_mov_b32_e32 v65, 20
	ds_write2_b64 v62, v[14:15], v[18:19] offset0:21 offset1:22
	ds_write2_b64 v62, v[12:13], v[54:55] offset0:23 offset1:24
.LBB48_350:
	s_or_b32 exec_lo, exec_lo, s0
	s_mov_b32 s0, exec_lo
	s_waitcnt lgkmcnt(0)
	s_waitcnt_vscnt null, 0x0
	s_barrier
	buffer_gl0_inv
	v_cmpx_lt_i32_e32 20, v65
	s_cbranch_execz .LBB48_352
; %bb.351:
	v_mul_f64 v[20:21], v[0:1], v[20:21]
	ds_read2_b64 v[66:69], v62 offset0:21 offset1:22
	ds_read2_b64 v[70:73], v62 offset0:23 offset1:24
	s_waitcnt lgkmcnt(1)
	v_fma_f64 v[14:15], -v[20:21], v[66:67], v[14:15]
	v_fma_f64 v[18:19], -v[20:21], v[68:69], v[18:19]
	s_waitcnt lgkmcnt(0)
	v_fma_f64 v[12:13], -v[20:21], v[70:71], v[12:13]
	v_fma_f64 v[54:55], -v[20:21], v[72:73], v[54:55]
.LBB48_352:
	s_or_b32 exec_lo, exec_lo, s0
	v_lshl_add_u32 v0, v65, 3, v62
	s_barrier
	buffer_gl0_inv
	v_mov_b32_e32 v56, 21
	ds_write_b64 v0, v[14:15]
	s_waitcnt lgkmcnt(0)
	s_barrier
	buffer_gl0_inv
	ds_read_b64 v[0:1], v62 offset:168
	s_cmp_lt_i32 s2, 23
	s_cbranch_scc1 .LBB48_355
; %bb.353:
	v_add3_u32 v57, v63, 0, 0xb0
	v_mov_b32_e32 v56, 21
	s_mov_b32 s0, 22
.LBB48_354:                             ; =>This Inner Loop Header: Depth=1
	ds_read_b64 v[66:67], v57
	v_add_nc_u32_e32 v57, 8, v57
	s_waitcnt lgkmcnt(0)
	v_cmp_lt_f64_e64 vcc_lo, |v[0:1]|, |v[66:67]|
	v_cndmask_b32_e32 v1, v1, v67, vcc_lo
	v_cndmask_b32_e32 v0, v0, v66, vcc_lo
	v_cndmask_b32_e64 v56, v56, s0, vcc_lo
	s_add_i32 s0, s0, 1
	s_cmp_lg_u32 s2, s0
	s_cbranch_scc1 .LBB48_354
.LBB48_355:
	s_mov_b32 s0, exec_lo
	s_waitcnt lgkmcnt(0)
	v_cmpx_eq_f64_e32 0, v[0:1]
	s_xor_b32 s0, exec_lo, s0
; %bb.356:
	v_cmp_ne_u32_e32 vcc_lo, 0, v64
	v_cndmask_b32_e32 v64, 22, v64, vcc_lo
; %bb.357:
	s_andn2_saveexec_b32 s0, s0
	s_cbranch_execz .LBB48_359
; %bb.358:
	v_div_scale_f64 v[57:58], null, v[0:1], v[0:1], 1.0
	v_rcp_f64_e32 v[66:67], v[57:58]
	v_fma_f64 v[68:69], -v[57:58], v[66:67], 1.0
	v_fma_f64 v[66:67], v[66:67], v[68:69], v[66:67]
	v_fma_f64 v[68:69], -v[57:58], v[66:67], 1.0
	v_fma_f64 v[66:67], v[66:67], v[68:69], v[66:67]
	v_div_scale_f64 v[68:69], vcc_lo, 1.0, v[0:1], 1.0
	v_mul_f64 v[70:71], v[68:69], v[66:67]
	v_fma_f64 v[57:58], -v[57:58], v[70:71], v[68:69]
	v_div_fmas_f64 v[57:58], v[57:58], v[66:67], v[70:71]
	v_div_fixup_f64 v[0:1], v[57:58], v[0:1], 1.0
.LBB48_359:
	s_or_b32 exec_lo, exec_lo, s0
	s_mov_b32 s0, exec_lo
	v_cmpx_ne_u32_e64 v65, v56
	s_xor_b32 s0, exec_lo, s0
	s_cbranch_execz .LBB48_365
; %bb.360:
	s_mov_b32 s1, exec_lo
	v_cmpx_eq_u32_e32 21, v65
	s_cbranch_execz .LBB48_364
; %bb.361:
	v_cmp_ne_u32_e32 vcc_lo, 21, v56
	s_xor_b32 s3, s6, -1
	s_and_b32 s7, s3, vcc_lo
	s_and_saveexec_b32 s3, s7
	s_cbranch_execz .LBB48_363
; %bb.362:
	v_ashrrev_i32_e32 v57, 31, v56
	v_lshlrev_b64 v[57:58], 2, v[56:57]
	v_add_co_u32 v57, vcc_lo, v52, v57
	v_add_co_ci_u32_e64 v58, null, v53, v58, vcc_lo
	s_clause 0x1
	global_load_dword v59, v[57:58], off
	global_load_dword v65, v[52:53], off offset:84
	s_waitcnt vmcnt(1)
	global_store_dword v[52:53], v59, off offset:84
	s_waitcnt vmcnt(0)
	global_store_dword v[57:58], v65, off
.LBB48_363:
	s_or_b32 exec_lo, exec_lo, s3
	v_mov_b32_e32 v59, v56
	v_mov_b32_e32 v65, v56
.LBB48_364:
	s_or_b32 exec_lo, exec_lo, s1
.LBB48_365:
	s_andn2_saveexec_b32 s0, s0
	s_cbranch_execz .LBB48_367
; %bb.366:
	v_mov_b32_e32 v56, v18
	v_mov_b32_e32 v57, v19
	;; [unrolled: 1-line block ×5, first 2 shown]
	ds_write2_b64 v62, v[56:57], v[66:67] offset0:22 offset1:23
	ds_write_b64 v62, v[54:55] offset:192
.LBB48_367:
	s_or_b32 exec_lo, exec_lo, s0
	s_mov_b32 s0, exec_lo
	s_waitcnt lgkmcnt(0)
	s_waitcnt_vscnt null, 0x0
	s_barrier
	buffer_gl0_inv
	v_cmpx_lt_i32_e32 21, v65
	s_cbranch_execz .LBB48_369
; %bb.368:
	v_mul_f64 v[14:15], v[0:1], v[14:15]
	ds_read2_b64 v[66:69], v62 offset0:22 offset1:23
	ds_read_b64 v[0:1], v62 offset:192
	s_waitcnt lgkmcnt(1)
	v_fma_f64 v[18:19], -v[14:15], v[66:67], v[18:19]
	v_fma_f64 v[12:13], -v[14:15], v[68:69], v[12:13]
	s_waitcnt lgkmcnt(0)
	v_fma_f64 v[54:55], -v[14:15], v[0:1], v[54:55]
.LBB48_369:
	s_or_b32 exec_lo, exec_lo, s0
	v_lshl_add_u32 v0, v65, 3, v62
	s_barrier
	buffer_gl0_inv
	v_mov_b32_e32 v56, 22
	ds_write_b64 v0, v[18:19]
	s_waitcnt lgkmcnt(0)
	s_barrier
	buffer_gl0_inv
	ds_read_b64 v[0:1], v62 offset:176
	s_cmp_lt_i32 s2, 24
	s_cbranch_scc1 .LBB48_372
; %bb.370:
	v_add3_u32 v57, v63, 0, 0xb8
	v_mov_b32_e32 v56, 22
	s_mov_b32 s0, 23
.LBB48_371:                             ; =>This Inner Loop Header: Depth=1
	ds_read_b64 v[66:67], v57
	v_add_nc_u32_e32 v57, 8, v57
	s_waitcnt lgkmcnt(0)
	v_cmp_lt_f64_e64 vcc_lo, |v[0:1]|, |v[66:67]|
	v_cndmask_b32_e32 v1, v1, v67, vcc_lo
	v_cndmask_b32_e32 v0, v0, v66, vcc_lo
	v_cndmask_b32_e64 v56, v56, s0, vcc_lo
	s_add_i32 s0, s0, 1
	s_cmp_lg_u32 s2, s0
	s_cbranch_scc1 .LBB48_371
.LBB48_372:
	s_mov_b32 s0, exec_lo
	s_waitcnt lgkmcnt(0)
	v_cmpx_eq_f64_e32 0, v[0:1]
	s_xor_b32 s0, exec_lo, s0
; %bb.373:
	v_cmp_ne_u32_e32 vcc_lo, 0, v64
	v_cndmask_b32_e32 v64, 23, v64, vcc_lo
; %bb.374:
	s_andn2_saveexec_b32 s0, s0
	s_cbranch_execz .LBB48_376
; %bb.375:
	v_div_scale_f64 v[57:58], null, v[0:1], v[0:1], 1.0
	v_rcp_f64_e32 v[66:67], v[57:58]
	v_fma_f64 v[68:69], -v[57:58], v[66:67], 1.0
	v_fma_f64 v[66:67], v[66:67], v[68:69], v[66:67]
	v_fma_f64 v[68:69], -v[57:58], v[66:67], 1.0
	v_fma_f64 v[66:67], v[66:67], v[68:69], v[66:67]
	v_div_scale_f64 v[68:69], vcc_lo, 1.0, v[0:1], 1.0
	v_mul_f64 v[70:71], v[68:69], v[66:67]
	v_fma_f64 v[57:58], -v[57:58], v[70:71], v[68:69]
	v_div_fmas_f64 v[57:58], v[57:58], v[66:67], v[70:71]
	v_div_fixup_f64 v[0:1], v[57:58], v[0:1], 1.0
.LBB48_376:
	s_or_b32 exec_lo, exec_lo, s0
	s_mov_b32 s0, exec_lo
	v_cmpx_ne_u32_e64 v65, v56
	s_xor_b32 s0, exec_lo, s0
	s_cbranch_execz .LBB48_382
; %bb.377:
	s_mov_b32 s1, exec_lo
	v_cmpx_eq_u32_e32 22, v65
	s_cbranch_execz .LBB48_381
; %bb.378:
	v_cmp_ne_u32_e32 vcc_lo, 22, v56
	s_xor_b32 s3, s6, -1
	s_and_b32 s7, s3, vcc_lo
	s_and_saveexec_b32 s3, s7
	s_cbranch_execz .LBB48_380
; %bb.379:
	v_ashrrev_i32_e32 v57, 31, v56
	v_lshlrev_b64 v[57:58], 2, v[56:57]
	v_add_co_u32 v57, vcc_lo, v52, v57
	v_add_co_ci_u32_e64 v58, null, v53, v58, vcc_lo
	s_clause 0x1
	global_load_dword v59, v[57:58], off
	global_load_dword v65, v[52:53], off offset:88
	s_waitcnt vmcnt(1)
	global_store_dword v[52:53], v59, off offset:88
	s_waitcnt vmcnt(0)
	global_store_dword v[57:58], v65, off
.LBB48_380:
	s_or_b32 exec_lo, exec_lo, s3
	v_mov_b32_e32 v59, v56
	v_mov_b32_e32 v65, v56
.LBB48_381:
	s_or_b32 exec_lo, exec_lo, s1
.LBB48_382:
	s_andn2_saveexec_b32 s0, s0
; %bb.383:
	v_mov_b32_e32 v65, 22
	ds_write2_b64 v62, v[12:13], v[54:55] offset0:23 offset1:24
; %bb.384:
	s_or_b32 exec_lo, exec_lo, s0
	s_mov_b32 s0, exec_lo
	s_waitcnt lgkmcnt(0)
	s_waitcnt_vscnt null, 0x0
	s_barrier
	buffer_gl0_inv
	v_cmpx_lt_i32_e32 22, v65
	s_cbranch_execz .LBB48_386
; %bb.385:
	v_mul_f64 v[18:19], v[0:1], v[18:19]
	ds_read2_b64 v[66:69], v62 offset0:23 offset1:24
	s_waitcnt lgkmcnt(0)
	v_fma_f64 v[12:13], -v[18:19], v[66:67], v[12:13]
	v_fma_f64 v[54:55], -v[18:19], v[68:69], v[54:55]
.LBB48_386:
	s_or_b32 exec_lo, exec_lo, s0
	v_lshl_add_u32 v0, v65, 3, v62
	s_barrier
	buffer_gl0_inv
	v_mov_b32_e32 v56, 23
	ds_write_b64 v0, v[12:13]
	s_waitcnt lgkmcnt(0)
	s_barrier
	buffer_gl0_inv
	ds_read_b64 v[0:1], v62 offset:184
	s_cmp_lt_i32 s2, 25
	s_cbranch_scc1 .LBB48_389
; %bb.387:
	v_add3_u32 v57, v63, 0, 0xc0
	v_mov_b32_e32 v56, 23
	s_mov_b32 s0, 24
.LBB48_388:                             ; =>This Inner Loop Header: Depth=1
	ds_read_b64 v[66:67], v57
	v_add_nc_u32_e32 v57, 8, v57
	s_waitcnt lgkmcnt(0)
	v_cmp_lt_f64_e64 vcc_lo, |v[0:1]|, |v[66:67]|
	v_cndmask_b32_e32 v1, v1, v67, vcc_lo
	v_cndmask_b32_e32 v0, v0, v66, vcc_lo
	v_cndmask_b32_e64 v56, v56, s0, vcc_lo
	s_add_i32 s0, s0, 1
	s_cmp_lg_u32 s2, s0
	s_cbranch_scc1 .LBB48_388
.LBB48_389:
	s_mov_b32 s0, exec_lo
	s_waitcnt lgkmcnt(0)
	v_cmpx_eq_f64_e32 0, v[0:1]
	s_xor_b32 s0, exec_lo, s0
; %bb.390:
	v_cmp_ne_u32_e32 vcc_lo, 0, v64
	v_cndmask_b32_e32 v64, 24, v64, vcc_lo
; %bb.391:
	s_andn2_saveexec_b32 s0, s0
	s_cbranch_execz .LBB48_393
; %bb.392:
	v_div_scale_f64 v[57:58], null, v[0:1], v[0:1], 1.0
	v_rcp_f64_e32 v[66:67], v[57:58]
	v_fma_f64 v[68:69], -v[57:58], v[66:67], 1.0
	v_fma_f64 v[66:67], v[66:67], v[68:69], v[66:67]
	v_fma_f64 v[68:69], -v[57:58], v[66:67], 1.0
	v_fma_f64 v[66:67], v[66:67], v[68:69], v[66:67]
	v_div_scale_f64 v[68:69], vcc_lo, 1.0, v[0:1], 1.0
	v_mul_f64 v[70:71], v[68:69], v[66:67]
	v_fma_f64 v[57:58], -v[57:58], v[70:71], v[68:69]
	v_div_fmas_f64 v[57:58], v[57:58], v[66:67], v[70:71]
	v_div_fixup_f64 v[0:1], v[57:58], v[0:1], 1.0
.LBB48_393:
	s_or_b32 exec_lo, exec_lo, s0
	s_mov_b32 s0, exec_lo
	v_cmpx_ne_u32_e64 v65, v56
	s_xor_b32 s0, exec_lo, s0
	s_cbranch_execz .LBB48_399
; %bb.394:
	s_mov_b32 s1, exec_lo
	v_cmpx_eq_u32_e32 23, v65
	s_cbranch_execz .LBB48_398
; %bb.395:
	v_cmp_ne_u32_e32 vcc_lo, 23, v56
	s_xor_b32 s3, s6, -1
	s_and_b32 s7, s3, vcc_lo
	s_and_saveexec_b32 s3, s7
	s_cbranch_execz .LBB48_397
; %bb.396:
	v_ashrrev_i32_e32 v57, 31, v56
	v_lshlrev_b64 v[57:58], 2, v[56:57]
	v_add_co_u32 v57, vcc_lo, v52, v57
	v_add_co_ci_u32_e64 v58, null, v53, v58, vcc_lo
	s_clause 0x1
	global_load_dword v59, v[57:58], off
	global_load_dword v65, v[52:53], off offset:92
	s_waitcnt vmcnt(1)
	global_store_dword v[52:53], v59, off offset:92
	s_waitcnt vmcnt(0)
	global_store_dword v[57:58], v65, off
.LBB48_397:
	s_or_b32 exec_lo, exec_lo, s3
	v_mov_b32_e32 v59, v56
	v_mov_b32_e32 v65, v56
.LBB48_398:
	s_or_b32 exec_lo, exec_lo, s1
.LBB48_399:
	s_andn2_saveexec_b32 s0, s0
; %bb.400:
	v_mov_b32_e32 v65, 23
	ds_write_b64 v62, v[54:55] offset:192
; %bb.401:
	s_or_b32 exec_lo, exec_lo, s0
	s_mov_b32 s0, exec_lo
	s_waitcnt lgkmcnt(0)
	s_waitcnt_vscnt null, 0x0
	s_barrier
	buffer_gl0_inv
	v_cmpx_lt_i32_e32 23, v65
	s_cbranch_execz .LBB48_403
; %bb.402:
	v_mul_f64 v[12:13], v[0:1], v[12:13]
	ds_read_b64 v[0:1], v62 offset:192
	s_waitcnt lgkmcnt(0)
	v_fma_f64 v[54:55], -v[12:13], v[0:1], v[54:55]
.LBB48_403:
	s_or_b32 exec_lo, exec_lo, s0
	v_lshl_add_u32 v0, v65, 3, v62
	s_barrier
	buffer_gl0_inv
	v_mov_b32_e32 v56, 24
	ds_write_b64 v0, v[54:55]
	s_waitcnt lgkmcnt(0)
	s_barrier
	buffer_gl0_inv
	ds_read_b64 v[0:1], v62 offset:192
	s_cmp_lt_i32 s2, 26
	s_cbranch_scc1 .LBB48_406
; %bb.404:
	v_add3_u32 v57, v63, 0, 0xc8
	v_mov_b32_e32 v56, 24
	s_mov_b32 s0, 25
.LBB48_405:                             ; =>This Inner Loop Header: Depth=1
	ds_read_b64 v[62:63], v57
	v_add_nc_u32_e32 v57, 8, v57
	s_waitcnt lgkmcnt(0)
	v_cmp_lt_f64_e64 vcc_lo, |v[0:1]|, |v[62:63]|
	v_cndmask_b32_e32 v1, v1, v63, vcc_lo
	v_cndmask_b32_e32 v0, v0, v62, vcc_lo
	v_cndmask_b32_e64 v56, v56, s0, vcc_lo
	s_add_i32 s0, s0, 1
	s_cmp_lg_u32 s2, s0
	s_cbranch_scc1 .LBB48_405
.LBB48_406:
	s_mov_b32 s0, exec_lo
	s_waitcnt lgkmcnt(0)
	v_cmpx_eq_f64_e32 0, v[0:1]
	s_xor_b32 s0, exec_lo, s0
; %bb.407:
	v_cmp_ne_u32_e32 vcc_lo, 0, v64
	v_cndmask_b32_e32 v64, 25, v64, vcc_lo
; %bb.408:
	s_andn2_saveexec_b32 s0, s0
	s_cbranch_execz .LBB48_410
; %bb.409:
	v_div_scale_f64 v[57:58], null, v[0:1], v[0:1], 1.0
	v_rcp_f64_e32 v[62:63], v[57:58]
	v_fma_f64 v[66:67], -v[57:58], v[62:63], 1.0
	v_fma_f64 v[62:63], v[62:63], v[66:67], v[62:63]
	v_fma_f64 v[66:67], -v[57:58], v[62:63], 1.0
	v_fma_f64 v[62:63], v[62:63], v[66:67], v[62:63]
	v_div_scale_f64 v[66:67], vcc_lo, 1.0, v[0:1], 1.0
	v_mul_f64 v[68:69], v[66:67], v[62:63]
	v_fma_f64 v[57:58], -v[57:58], v[68:69], v[66:67]
	v_div_fmas_f64 v[57:58], v[57:58], v[62:63], v[68:69]
	v_div_fixup_f64 v[0:1], v[57:58], v[0:1], 1.0
.LBB48_410:
	s_or_b32 exec_lo, exec_lo, s0
	v_mov_b32_e32 v57, 24
	s_mov_b32 s0, exec_lo
	v_cmpx_ne_u32_e64 v65, v56
	s_cbranch_execz .LBB48_416
; %bb.411:
	s_mov_b32 s1, exec_lo
	v_cmpx_eq_u32_e32 24, v65
	s_cbranch_execz .LBB48_415
; %bb.412:
	v_cmp_ne_u32_e32 vcc_lo, 24, v56
	s_xor_b32 s2, s6, -1
	s_and_b32 s3, s2, vcc_lo
	s_and_saveexec_b32 s2, s3
	s_cbranch_execz .LBB48_414
; %bb.413:
	v_ashrrev_i32_e32 v57, 31, v56
	v_lshlrev_b64 v[57:58], 2, v[56:57]
	v_add_co_u32 v57, vcc_lo, v52, v57
	v_add_co_ci_u32_e64 v58, null, v53, v58, vcc_lo
	s_clause 0x1
	global_load_dword v59, v[57:58], off
	global_load_dword v62, v[52:53], off offset:96
	s_waitcnt vmcnt(1)
	global_store_dword v[52:53], v59, off offset:96
	s_waitcnt vmcnt(0)
	global_store_dword v[57:58], v62, off
.LBB48_414:
	s_or_b32 exec_lo, exec_lo, s2
	v_mov_b32_e32 v59, v56
	v_mov_b32_e32 v65, v56
.LBB48_415:
	s_or_b32 exec_lo, exec_lo, s1
	v_mov_b32_e32 v57, v65
.LBB48_416:
	s_or_b32 exec_lo, exec_lo, s0
	s_load_dwordx8 s[0:7], s[4:5], 0x28
	v_ashrrev_i32_e32 v58, 31, v57
	s_mov_b32 s9, exec_lo
	s_waitcnt lgkmcnt(0)
	s_waitcnt_vscnt null, 0x0
	s_barrier
	buffer_gl0_inv
	s_barrier
	buffer_gl0_inv
	v_cmpx_gt_i32_e32 25, v57
	s_cbranch_execz .LBB48_418
; %bb.417:
	v_mul_lo_u32 v56, s5, v2
	v_mul_lo_u32 v62, s4, v3
	v_mad_u64_u32 v[52:53], null, s4, v2, 0
	s_lshl_b64 s[2:3], s[2:3], 2
	v_add3_u32 v53, v53, v62, v56
	v_lshlrev_b64 v[52:53], 2, v[52:53]
	v_add_co_u32 v56, vcc_lo, s0, v52
	v_add_co_ci_u32_e64 v62, null, s1, v53, vcc_lo
	v_lshlrev_b64 v[52:53], 2, v[57:58]
	v_add_co_u32 v56, vcc_lo, v56, s2
	v_add_co_ci_u32_e64 v62, null, s3, v62, vcc_lo
	v_add_co_u32 v52, vcc_lo, v56, v52
	v_add_co_ci_u32_e64 v53, null, v62, v53, vcc_lo
	v_add3_u32 v56, v59, s13, 1
	global_store_dword v[52:53], v56, off
.LBB48_418:
	s_or_b32 exec_lo, exec_lo, s9
	s_mov_b32 s1, exec_lo
	v_cmpx_eq_u32_e32 0, v57
	s_cbranch_execz .LBB48_421
; %bb.419:
	v_lshlrev_b64 v[2:3], 2, v[2:3]
	v_cmp_ne_u32_e64 s0, 0, v64
	v_add_co_u32 v2, vcc_lo, s6, v2
	v_add_co_ci_u32_e64 v3, null, s7, v3, vcc_lo
	global_load_dword v52, v[2:3], off
	s_waitcnt vmcnt(0)
	v_cmp_eq_u32_e32 vcc_lo, 0, v52
	s_and_b32 s0, vcc_lo, s0
	s_and_b32 exec_lo, exec_lo, s0
	s_cbranch_execz .LBB48_421
; %bb.420:
	v_add_nc_u32_e32 v52, s13, v64
	global_store_dword v[2:3], v52, off
.LBB48_421:
	s_or_b32 exec_lo, exec_lo, s1
	v_add3_u32 v2, s8, s8, v57
	v_lshlrev_b64 v[52:53], 3, v[57:58]
	v_mul_f64 v[0:1], v[0:1], v[54:55]
	v_cmp_lt_i32_e32 vcc_lo, 24, v57
	v_ashrrev_i32_e32 v3, 31, v2
	v_add_nc_u32_e32 v56, s8, v2
	v_add_co_u32 v52, s0, v60, v52
	v_add_co_ci_u32_e64 v53, null, v61, v53, s0
	v_lshlrev_b64 v[2:3], 3, v[2:3]
	v_add_co_u32 v62, s0, v52, s10
	v_ashrrev_i32_e32 v57, 31, v56
	v_add_co_ci_u32_e64 v63, null, s11, v53, s0
	v_add_co_u32 v2, s0, v60, v2
	v_add_nc_u32_e32 v58, s8, v56
	v_add_co_ci_u32_e64 v3, null, v61, v3, s0
	flat_store_dwordx2 v[52:53], v[42:43]
	v_lshlrev_b64 v[42:43], 3, v[56:57]
	flat_store_dwordx2 v[62:63], v[38:39]
	flat_store_dwordx2 v[2:3], v[40:41]
	v_add_nc_u32_e32 v38, s8, v58
	v_ashrrev_i32_e32 v59, 31, v58
	v_cndmask_b32_e32 v1, v55, v1, vcc_lo
	v_cndmask_b32_e32 v0, v54, v0, vcc_lo
	v_add_co_u32 v40, vcc_lo, v60, v42
	v_add_nc_u32_e32 v42, s8, v38
	v_lshlrev_b64 v[2:3], 3, v[58:59]
	v_ashrrev_i32_e32 v39, 31, v38
	v_add_co_ci_u32_e64 v41, null, v61, v43, vcc_lo
	v_add_nc_u32_e32 v52, s8, v42
	v_ashrrev_i32_e32 v43, 31, v42
	v_add_co_u32 v2, vcc_lo, v60, v2
	v_lshlrev_b64 v[38:39], 3, v[38:39]
	v_add_co_ci_u32_e64 v3, null, v61, v3, vcc_lo
	v_ashrrev_i32_e32 v53, 31, v52
	flat_store_dwordx2 v[40:41], v[8:9]
	flat_store_dwordx2 v[2:3], v[48:49]
	v_lshlrev_b64 v[2:3], 3, v[42:43]
	v_add_co_u32 v8, vcc_lo, v60, v38
	v_add_co_ci_u32_e64 v9, null, v61, v39, vcc_lo
	v_lshlrev_b64 v[38:39], 3, v[52:53]
	v_add_nc_u32_e32 v40, s8, v52
	v_add_co_u32 v2, vcc_lo, v60, v2
	v_add_co_ci_u32_e64 v3, null, v61, v3, vcc_lo
	v_add_co_u32 v38, vcc_lo, v60, v38
	v_add_nc_u32_e32 v42, s8, v40
	v_add_co_ci_u32_e64 v39, null, v61, v39, vcc_lo
	v_ashrrev_i32_e32 v41, 31, v40
	flat_store_dwordx2 v[8:9], v[28:29]
	flat_store_dwordx2 v[2:3], v[26:27]
	;; [unrolled: 1-line block ×3, first 2 shown]
	v_add_nc_u32_e32 v24, s8, v42
	v_ashrrev_i32_e32 v43, 31, v42
	v_lshlrev_b64 v[8:9], 3, v[40:41]
	v_add_nc_u32_e32 v26, s8, v24
	v_lshlrev_b64 v[2:3], 3, v[42:43]
	v_ashrrev_i32_e32 v25, 31, v24
	v_add_co_u32 v8, vcc_lo, v60, v8
	v_add_nc_u32_e32 v28, s8, v26
	v_add_co_ci_u32_e64 v9, null, v61, v9, vcc_lo
	v_add_co_u32 v2, vcc_lo, v60, v2
	v_lshlrev_b64 v[24:25], 3, v[24:25]
	v_ashrrev_i32_e32 v27, 31, v26
	v_add_co_ci_u32_e64 v3, null, v61, v3, vcc_lo
	v_ashrrev_i32_e32 v29, 31, v28
	flat_store_dwordx2 v[8:9], v[36:37]
	flat_store_dwordx2 v[2:3], v[34:35]
	v_lshlrev_b64 v[2:3], 3, v[26:27]
	v_add_co_u32 v8, vcc_lo, v60, v24
	v_add_co_ci_u32_e64 v9, null, v61, v25, vcc_lo
	v_lshlrev_b64 v[24:25], 3, v[28:29]
	v_add_nc_u32_e32 v26, s8, v28
	v_add_co_u32 v2, vcc_lo, v60, v2
	v_add_co_ci_u32_e64 v3, null, v61, v3, vcc_lo
	v_add_co_u32 v24, vcc_lo, v60, v24
	v_add_nc_u32_e32 v28, s8, v26
	v_add_co_ci_u32_e64 v25, null, v61, v25, vcc_lo
	v_ashrrev_i32_e32 v27, 31, v26
	flat_store_dwordx2 v[8:9], v[10:11]
	v_ashrrev_i32_e32 v29, 31, v28
	flat_store_dwordx2 v[2:3], v[6:7]
	flat_store_dwordx2 v[24:25], v[50:51]
	v_add_nc_u32_e32 v6, s8, v28
	v_lshlrev_b64 v[8:9], 3, v[26:27]
	v_lshlrev_b64 v[2:3], 3, v[28:29]
	v_add_nc_u32_e32 v10, s8, v6
	v_ashrrev_i32_e32 v7, 31, v6
	v_add_co_u32 v8, vcc_lo, v60, v8
	v_add_co_ci_u32_e64 v9, null, v61, v9, vcc_lo
	v_add_nc_u32_e32 v24, s8, v10
	v_add_co_u32 v2, vcc_lo, v60, v2
	v_ashrrev_i32_e32 v11, 31, v10
	v_add_co_ci_u32_e64 v3, null, v61, v3, vcc_lo
	v_lshlrev_b64 v[6:7], 3, v[6:7]
	v_ashrrev_i32_e32 v25, 31, v24
	flat_store_dwordx2 v[8:9], v[30:31]
	flat_store_dwordx2 v[2:3], v[32:33]
	v_lshlrev_b64 v[2:3], 3, v[10:11]
	v_add_nc_u32_e32 v10, s8, v24
	v_add_co_u32 v6, vcc_lo, v60, v6
	v_lshlrev_b64 v[8:9], 3, v[24:25]
	v_add_co_ci_u32_e64 v7, null, v61, v7, vcc_lo
	v_add_nc_u32_e32 v24, s8, v10
	v_add_co_u32 v2, vcc_lo, v60, v2
	v_ashrrev_i32_e32 v11, 31, v10
	v_add_co_ci_u32_e64 v3, null, v61, v3, vcc_lo
	v_add_co_u32 v8, vcc_lo, v60, v8
	flat_store_dwordx2 v[6:7], v[4:5]
	v_add_nc_u32_e32 v6, s8, v24
	v_add_co_ci_u32_e64 v9, null, v61, v9, vcc_lo
	v_ashrrev_i32_e32 v25, 31, v24
	v_lshlrev_b64 v[4:5], 3, v[10:11]
	flat_store_dwordx2 v[2:3], v[46:47]
	flat_store_dwordx2 v[8:9], v[44:45]
	v_add_nc_u32_e32 v8, s8, v6
	v_ashrrev_i32_e32 v7, 31, v6
	v_lshlrev_b64 v[2:3], 3, v[24:25]
	v_add_co_u32 v4, vcc_lo, v60, v4
	v_add_co_ci_u32_e64 v5, null, v61, v5, vcc_lo
	v_add_nc_u32_e32 v10, s8, v8
	v_add_co_u32 v2, vcc_lo, v60, v2
	v_add_co_ci_u32_e64 v3, null, v61, v3, vcc_lo
	v_ashrrev_i32_e32 v9, 31, v8
	flat_store_dwordx2 v[4:5], v[22:23]
	v_lshlrev_b64 v[4:5], 3, v[6:7]
	v_ashrrev_i32_e32 v11, 31, v10
	v_add_nc_u32_e32 v6, s8, v10
	flat_store_dwordx2 v[2:3], v[16:17]
	v_lshlrev_b64 v[2:3], 3, v[8:9]
	v_lshlrev_b64 v[8:9], 3, v[10:11]
	v_add_nc_u32_e32 v10, s8, v6
	v_ashrrev_i32_e32 v7, 31, v6
	v_add_co_u32 v4, vcc_lo, v60, v4
	v_add_co_ci_u32_e64 v5, null, v61, v5, vcc_lo
	v_ashrrev_i32_e32 v11, 31, v10
	v_lshlrev_b64 v[6:7], 3, v[6:7]
	v_add_co_u32 v2, vcc_lo, v60, v2
	v_add_co_ci_u32_e64 v3, null, v61, v3, vcc_lo
	v_lshlrev_b64 v[10:11], 3, v[10:11]
	v_add_co_u32 v8, vcc_lo, v60, v8
	v_add_co_ci_u32_e64 v9, null, v61, v9, vcc_lo
	v_add_co_u32 v6, vcc_lo, v60, v6
	v_add_co_ci_u32_e64 v7, null, v61, v7, vcc_lo
	;; [unrolled: 2-line block ×3, first 2 shown]
	flat_store_dwordx2 v[4:5], v[20:21]
	flat_store_dwordx2 v[2:3], v[14:15]
	flat_store_dwordx2 v[8:9], v[18:19]
	flat_store_dwordx2 v[6:7], v[12:13]
	flat_store_dwordx2 v[10:11], v[0:1]
.LBB48_422:
	s_endpgm
	.section	.rodata,"a",@progbits
	.p2align	6, 0x0
	.amdhsa_kernel _ZN9rocsolver6v33100L18getf2_small_kernelILi25EdiiPKPdEEvT1_T3_lS5_lPS5_llPT2_S5_S5_S7_l
		.amdhsa_group_segment_fixed_size 0
		.amdhsa_private_segment_fixed_size 0
		.amdhsa_kernarg_size 352
		.amdhsa_user_sgpr_count 6
		.amdhsa_user_sgpr_private_segment_buffer 1
		.amdhsa_user_sgpr_dispatch_ptr 0
		.amdhsa_user_sgpr_queue_ptr 0
		.amdhsa_user_sgpr_kernarg_segment_ptr 1
		.amdhsa_user_sgpr_dispatch_id 0
		.amdhsa_user_sgpr_flat_scratch_init 0
		.amdhsa_user_sgpr_private_segment_size 0
		.amdhsa_wavefront_size32 1
		.amdhsa_uses_dynamic_stack 0
		.amdhsa_system_sgpr_private_segment_wavefront_offset 0
		.amdhsa_system_sgpr_workgroup_id_x 1
		.amdhsa_system_sgpr_workgroup_id_y 1
		.amdhsa_system_sgpr_workgroup_id_z 0
		.amdhsa_system_sgpr_workgroup_info 0
		.amdhsa_system_vgpr_workitem_id 1
		.amdhsa_next_free_vgpr 114
		.amdhsa_next_free_sgpr 14
		.amdhsa_reserve_vcc 1
		.amdhsa_reserve_flat_scratch 1
		.amdhsa_float_round_mode_32 0
		.amdhsa_float_round_mode_16_64 0
		.amdhsa_float_denorm_mode_32 3
		.amdhsa_float_denorm_mode_16_64 3
		.amdhsa_dx10_clamp 1
		.amdhsa_ieee_mode 1
		.amdhsa_fp16_overflow 0
		.amdhsa_workgroup_processor_mode 1
		.amdhsa_memory_ordered 1
		.amdhsa_forward_progress 1
		.amdhsa_shared_vgpr_count 0
		.amdhsa_exception_fp_ieee_invalid_op 0
		.amdhsa_exception_fp_denorm_src 0
		.amdhsa_exception_fp_ieee_div_zero 0
		.amdhsa_exception_fp_ieee_overflow 0
		.amdhsa_exception_fp_ieee_underflow 0
		.amdhsa_exception_fp_ieee_inexact 0
		.amdhsa_exception_int_div_zero 0
	.end_amdhsa_kernel
	.section	.text._ZN9rocsolver6v33100L18getf2_small_kernelILi25EdiiPKPdEEvT1_T3_lS5_lPS5_llPT2_S5_S5_S7_l,"axG",@progbits,_ZN9rocsolver6v33100L18getf2_small_kernelILi25EdiiPKPdEEvT1_T3_lS5_lPS5_llPT2_S5_S5_S7_l,comdat
.Lfunc_end48:
	.size	_ZN9rocsolver6v33100L18getf2_small_kernelILi25EdiiPKPdEEvT1_T3_lS5_lPS5_llPT2_S5_S5_S7_l, .Lfunc_end48-_ZN9rocsolver6v33100L18getf2_small_kernelILi25EdiiPKPdEEvT1_T3_lS5_lPS5_llPT2_S5_S5_S7_l
                                        ; -- End function
	.set _ZN9rocsolver6v33100L18getf2_small_kernelILi25EdiiPKPdEEvT1_T3_lS5_lPS5_llPT2_S5_S5_S7_l.num_vgpr, 114
	.set _ZN9rocsolver6v33100L18getf2_small_kernelILi25EdiiPKPdEEvT1_T3_lS5_lPS5_llPT2_S5_S5_S7_l.num_agpr, 0
	.set _ZN9rocsolver6v33100L18getf2_small_kernelILi25EdiiPKPdEEvT1_T3_lS5_lPS5_llPT2_S5_S5_S7_l.numbered_sgpr, 14
	.set _ZN9rocsolver6v33100L18getf2_small_kernelILi25EdiiPKPdEEvT1_T3_lS5_lPS5_llPT2_S5_S5_S7_l.num_named_barrier, 0
	.set _ZN9rocsolver6v33100L18getf2_small_kernelILi25EdiiPKPdEEvT1_T3_lS5_lPS5_llPT2_S5_S5_S7_l.private_seg_size, 0
	.set _ZN9rocsolver6v33100L18getf2_small_kernelILi25EdiiPKPdEEvT1_T3_lS5_lPS5_llPT2_S5_S5_S7_l.uses_vcc, 1
	.set _ZN9rocsolver6v33100L18getf2_small_kernelILi25EdiiPKPdEEvT1_T3_lS5_lPS5_llPT2_S5_S5_S7_l.uses_flat_scratch, 1
	.set _ZN9rocsolver6v33100L18getf2_small_kernelILi25EdiiPKPdEEvT1_T3_lS5_lPS5_llPT2_S5_S5_S7_l.has_dyn_sized_stack, 0
	.set _ZN9rocsolver6v33100L18getf2_small_kernelILi25EdiiPKPdEEvT1_T3_lS5_lPS5_llPT2_S5_S5_S7_l.has_recursion, 0
	.set _ZN9rocsolver6v33100L18getf2_small_kernelILi25EdiiPKPdEEvT1_T3_lS5_lPS5_llPT2_S5_S5_S7_l.has_indirect_call, 0
	.section	.AMDGPU.csdata,"",@progbits
; Kernel info:
; codeLenInByte = 20420
; TotalNumSgprs: 16
; NumVgprs: 114
; ScratchSize: 0
; MemoryBound: 0
; FloatMode: 240
; IeeeMode: 1
; LDSByteSize: 0 bytes/workgroup (compile time only)
; SGPRBlocks: 0
; VGPRBlocks: 14
; NumSGPRsForWavesPerEU: 16
; NumVGPRsForWavesPerEU: 114
; Occupancy: 8
; WaveLimiterHint : 1
; COMPUTE_PGM_RSRC2:SCRATCH_EN: 0
; COMPUTE_PGM_RSRC2:USER_SGPR: 6
; COMPUTE_PGM_RSRC2:TRAP_HANDLER: 0
; COMPUTE_PGM_RSRC2:TGID_X_EN: 1
; COMPUTE_PGM_RSRC2:TGID_Y_EN: 1
; COMPUTE_PGM_RSRC2:TGID_Z_EN: 0
; COMPUTE_PGM_RSRC2:TIDIG_COMP_CNT: 1
	.section	.text._ZN9rocsolver6v33100L23getf2_npvt_small_kernelILi25EdiiPKPdEEvT1_T3_lS5_lPT2_S5_S5_,"axG",@progbits,_ZN9rocsolver6v33100L23getf2_npvt_small_kernelILi25EdiiPKPdEEvT1_T3_lS5_lPT2_S5_S5_,comdat
	.globl	_ZN9rocsolver6v33100L23getf2_npvt_small_kernelILi25EdiiPKPdEEvT1_T3_lS5_lPT2_S5_S5_ ; -- Begin function _ZN9rocsolver6v33100L23getf2_npvt_small_kernelILi25EdiiPKPdEEvT1_T3_lS5_lPT2_S5_S5_
	.p2align	8
	.type	_ZN9rocsolver6v33100L23getf2_npvt_small_kernelILi25EdiiPKPdEEvT1_T3_lS5_lPT2_S5_S5_,@function
_ZN9rocsolver6v33100L23getf2_npvt_small_kernelILi25EdiiPKPdEEvT1_T3_lS5_lPT2_S5_S5_: ; @_ZN9rocsolver6v33100L23getf2_npvt_small_kernelILi25EdiiPKPdEEvT1_T3_lS5_lPT2_S5_S5_
; %bb.0:
	s_clause 0x1
	s_load_dword s0, s[4:5], 0x44
	s_load_dwordx2 s[8:9], s[4:5], 0x30
	s_waitcnt lgkmcnt(0)
	s_lshr_b32 s10, s0, 16
	s_mov_b32 s0, exec_lo
	v_mad_u64_u32 v[2:3], null, s7, s10, v[1:2]
	v_cmpx_gt_i32_e64 s8, v2
	s_cbranch_execz .LBB49_128
; %bb.1:
	s_clause 0x1
	s_load_dwordx4 s[0:3], s[4:5], 0x8
	s_load_dword s6, s[4:5], 0x18
	v_ashrrev_i32_e32 v3, 31, v2
	v_lshlrev_b32_e32 v54, 3, v0
	v_lshlrev_b32_e32 v104, 3, v1
	s_mulk_i32 s10, 0xc8
	v_mad_u32_u24 v152, 0xc8, v1, 0
	v_lshlrev_b64 v[4:5], 3, v[2:3]
	v_add3_u32 v1, 0, s10, v104
	s_waitcnt lgkmcnt(0)
	v_add_co_u32 v4, vcc_lo, s0, v4
	v_add_co_ci_u32_e64 v5, null, s1, v5, vcc_lo
	v_add3_u32 v6, s6, s6, v0
	s_lshl_b64 s[2:3], s[2:3], 3
	s_ashr_i32 s7, s6, 31
	global_load_dwordx2 v[4:5], v[4:5], off
	s_lshl_b64 s[0:1], s[6:7], 3
	v_add_nc_u32_e32 v8, s6, v6
	v_ashrrev_i32_e32 v7, 31, v6
	v_add_nc_u32_e32 v10, s6, v8
	v_ashrrev_i32_e32 v9, 31, v8
	v_lshlrev_b64 v[6:7], 3, v[6:7]
	v_add_nc_u32_e32 v12, s6, v10
	v_ashrrev_i32_e32 v11, 31, v10
	v_lshlrev_b64 v[8:9], 3, v[8:9]
	;; [unrolled: 3-line block ×17, first 2 shown]
	v_add_nc_u32_e32 v44, s6, v42
	v_lshlrev_b64 v[50:51], 3, v[40:41]
	v_ashrrev_i32_e32 v43, 31, v42
	v_add_nc_u32_e32 v46, s6, v44
	v_ashrrev_i32_e32 v45, 31, v44
	v_lshlrev_b64 v[42:43], 3, v[42:43]
	v_add_nc_u32_e32 v48, s6, v46
	v_ashrrev_i32_e32 v47, 31, v46
	v_lshlrev_b64 v[44:45], 3, v[44:45]
	;; [unrolled: 3-line block ×3, first 2 shown]
	v_ashrrev_i32_e32 v41, 31, v40
	v_lshlrev_b64 v[48:49], 3, v[48:49]
	v_lshlrev_b64 v[52:53], 3, v[40:41]
	s_waitcnt vmcnt(0)
	v_add_co_u32 v55, vcc_lo, v4, s2
	v_add_co_ci_u32_e64 v56, null, s3, v5, vcc_lo
	v_add_co_u32 v4, vcc_lo, v55, v54
	v_add_co_ci_u32_e64 v5, null, 0, v56, vcc_lo
	;; [unrolled: 2-line block ×26, first 2 shown]
	s_clause 0x18
	flat_load_dwordx2 v[90:91], v[10:11]
	flat_load_dwordx2 v[74:75], v[12:13]
	;; [unrolled: 1-line block ×25, first 2 shown]
	v_cmp_ne_u32_e64 s1, 0, v0
	v_cmp_eq_u32_e64 s0, 0, v0
	s_and_saveexec_b32 s2, s0
	s_cbranch_execz .LBB49_4
; %bb.2:
	s_waitcnt vmcnt(4) lgkmcnt(4)
	ds_write_b64 v1, v[96:97]
	s_waitcnt vmcnt(2) lgkmcnt(3)
	ds_write2_b64 v152, v[100:101], v[102:103] offset0:1 offset1:2
	s_waitcnt vmcnt(1) lgkmcnt(3)
	ds_write2_b64 v152, v[98:99], v[90:91] offset0:3 offset1:4
	ds_write2_b64 v152, v[74:75], v[88:89] offset0:5 offset1:6
	;; [unrolled: 1-line block ×10, first 2 shown]
	s_waitcnt vmcnt(0) lgkmcnt(12)
	ds_write2_b64 v152, v[52:53], v[94:95] offset0:23 offset1:24
	ds_read_b64 v[104:105], v1
	s_waitcnt lgkmcnt(0)
	v_cmp_neq_f64_e32 vcc_lo, 0, v[104:105]
	s_and_b32 exec_lo, exec_lo, vcc_lo
	s_cbranch_execz .LBB49_4
; %bb.3:
	v_div_scale_f64 v[106:107], null, v[104:105], v[104:105], 1.0
	v_rcp_f64_e32 v[108:109], v[106:107]
	v_fma_f64 v[110:111], -v[106:107], v[108:109], 1.0
	v_fma_f64 v[108:109], v[108:109], v[110:111], v[108:109]
	v_fma_f64 v[110:111], -v[106:107], v[108:109], 1.0
	v_fma_f64 v[108:109], v[108:109], v[110:111], v[108:109]
	v_div_scale_f64 v[110:111], vcc_lo, 1.0, v[104:105], 1.0
	v_mul_f64 v[112:113], v[110:111], v[108:109]
	v_fma_f64 v[106:107], -v[106:107], v[112:113], v[110:111]
	v_div_fmas_f64 v[106:107], v[106:107], v[108:109], v[112:113]
	v_div_fixup_f64 v[104:105], v[106:107], v[104:105], 1.0
	ds_write_b64 v1, v[104:105]
.LBB49_4:
	s_or_b32 exec_lo, exec_lo, s2
	s_waitcnt vmcnt(0) lgkmcnt(0)
	s_barrier
	buffer_gl0_inv
	ds_read_b64 v[104:105], v1
	s_and_saveexec_b32 s2, s1
	s_cbranch_execz .LBB49_6
; %bb.5:
	s_waitcnt lgkmcnt(0)
	v_mul_f64 v[96:97], v[104:105], v[96:97]
	ds_read2_b64 v[106:109], v152 offset0:1 offset1:2
	ds_read2_b64 v[110:113], v152 offset0:3 offset1:4
	;; [unrolled: 1-line block ×12, first 2 shown]
	s_waitcnt lgkmcnt(11)
	v_fma_f64 v[100:101], -v[96:97], v[106:107], v[100:101]
	v_fma_f64 v[102:103], -v[96:97], v[108:109], v[102:103]
	s_waitcnt lgkmcnt(10)
	v_fma_f64 v[98:99], -v[96:97], v[110:111], v[98:99]
	v_fma_f64 v[90:91], -v[96:97], v[112:113], v[90:91]
	;; [unrolled: 3-line block ×12, first 2 shown]
.LBB49_6:
	s_or_b32 exec_lo, exec_lo, s2
	s_mov_b32 s1, exec_lo
	s_waitcnt lgkmcnt(0)
	s_barrier
	buffer_gl0_inv
	v_cmpx_eq_u32_e32 1, v0
	s_cbranch_execz .LBB49_9
; %bb.7:
	v_mov_b32_e32 v106, v102
	v_mov_b32_e32 v107, v103
	v_mov_b32_e32 v108, v98
	v_mov_b32_e32 v109, v99
	ds_write_b64 v1, v[100:101]
	ds_write2_b64 v152, v[106:107], v[108:109] offset0:2 offset1:3
	v_mov_b32_e32 v106, v90
	v_mov_b32_e32 v107, v91
	;; [unrolled: 1-line block ×20, first 2 shown]
	ds_write2_b64 v152, v[106:107], v[108:109] offset0:4 offset1:5
	ds_write2_b64 v152, v[110:111], v[112:113] offset0:6 offset1:7
	;; [unrolled: 1-line block ×5, first 2 shown]
	v_mov_b32_e32 v106, v80
	v_mov_b32_e32 v107, v81
	;; [unrolled: 1-line block ×20, first 2 shown]
	ds_write2_b64 v152, v[106:107], v[108:109] offset0:14 offset1:15
	ds_write2_b64 v152, v[110:111], v[112:113] offset0:16 offset1:17
	;; [unrolled: 1-line block ×5, first 2 shown]
	ds_write_b64 v152, v[94:95] offset:192
	ds_read_b64 v[106:107], v1
	s_waitcnt lgkmcnt(0)
	v_cmp_neq_f64_e32 vcc_lo, 0, v[106:107]
	s_and_b32 exec_lo, exec_lo, vcc_lo
	s_cbranch_execz .LBB49_9
; %bb.8:
	v_div_scale_f64 v[108:109], null, v[106:107], v[106:107], 1.0
	v_rcp_f64_e32 v[110:111], v[108:109]
	v_fma_f64 v[112:113], -v[108:109], v[110:111], 1.0
	v_fma_f64 v[110:111], v[110:111], v[112:113], v[110:111]
	v_fma_f64 v[112:113], -v[108:109], v[110:111], 1.0
	v_fma_f64 v[110:111], v[110:111], v[112:113], v[110:111]
	v_div_scale_f64 v[112:113], vcc_lo, 1.0, v[106:107], 1.0
	v_mul_f64 v[114:115], v[112:113], v[110:111]
	v_fma_f64 v[108:109], -v[108:109], v[114:115], v[112:113]
	v_div_fmas_f64 v[108:109], v[108:109], v[110:111], v[114:115]
	v_div_fixup_f64 v[106:107], v[108:109], v[106:107], 1.0
	ds_write_b64 v1, v[106:107]
.LBB49_9:
	s_or_b32 exec_lo, exec_lo, s1
	s_waitcnt lgkmcnt(0)
	s_barrier
	buffer_gl0_inv
	ds_read_b64 v[106:107], v1
	s_mov_b32 s1, exec_lo
	v_cmpx_lt_u32_e32 1, v0
	s_cbranch_execz .LBB49_11
; %bb.10:
	s_waitcnt lgkmcnt(0)
	v_mul_f64 v[100:101], v[106:107], v[100:101]
	ds_read2_b64 v[108:111], v152 offset0:2 offset1:3
	ds_read2_b64 v[112:115], v152 offset0:4 offset1:5
	;; [unrolled: 1-line block ×11, first 2 shown]
	ds_read_b64 v[153:154], v152 offset:192
	s_waitcnt lgkmcnt(11)
	v_fma_f64 v[102:103], -v[100:101], v[108:109], v[102:103]
	v_fma_f64 v[98:99], -v[100:101], v[110:111], v[98:99]
	s_waitcnt lgkmcnt(10)
	v_fma_f64 v[90:91], -v[100:101], v[112:113], v[90:91]
	v_fma_f64 v[74:75], -v[100:101], v[114:115], v[74:75]
	;; [unrolled: 3-line block ×11, first 2 shown]
	s_waitcnt lgkmcnt(0)
	v_fma_f64 v[94:95], -v[100:101], v[153:154], v[94:95]
.LBB49_11:
	s_or_b32 exec_lo, exec_lo, s1
	s_mov_b32 s1, exec_lo
	s_waitcnt lgkmcnt(0)
	s_barrier
	buffer_gl0_inv
	v_cmpx_eq_u32_e32 2, v0
	s_cbranch_execz .LBB49_14
; %bb.12:
	ds_write_b64 v1, v[102:103]
	ds_write2_b64 v152, v[98:99], v[90:91] offset0:3 offset1:4
	ds_write2_b64 v152, v[74:75], v[88:89] offset0:5 offset1:6
	;; [unrolled: 1-line block ×11, first 2 shown]
	ds_read_b64 v[108:109], v1
	s_waitcnt lgkmcnt(0)
	v_cmp_neq_f64_e32 vcc_lo, 0, v[108:109]
	s_and_b32 exec_lo, exec_lo, vcc_lo
	s_cbranch_execz .LBB49_14
; %bb.13:
	v_div_scale_f64 v[110:111], null, v[108:109], v[108:109], 1.0
	v_rcp_f64_e32 v[112:113], v[110:111]
	v_fma_f64 v[114:115], -v[110:111], v[112:113], 1.0
	v_fma_f64 v[112:113], v[112:113], v[114:115], v[112:113]
	v_fma_f64 v[114:115], -v[110:111], v[112:113], 1.0
	v_fma_f64 v[112:113], v[112:113], v[114:115], v[112:113]
	v_div_scale_f64 v[114:115], vcc_lo, 1.0, v[108:109], 1.0
	v_mul_f64 v[116:117], v[114:115], v[112:113]
	v_fma_f64 v[110:111], -v[110:111], v[116:117], v[114:115]
	v_div_fmas_f64 v[110:111], v[110:111], v[112:113], v[116:117]
	v_div_fixup_f64 v[108:109], v[110:111], v[108:109], 1.0
	ds_write_b64 v1, v[108:109]
.LBB49_14:
	s_or_b32 exec_lo, exec_lo, s1
	s_waitcnt lgkmcnt(0)
	s_barrier
	buffer_gl0_inv
	ds_read_b64 v[108:109], v1
	s_mov_b32 s1, exec_lo
	v_cmpx_lt_u32_e32 2, v0
	s_cbranch_execz .LBB49_16
; %bb.15:
	s_waitcnt lgkmcnt(0)
	v_mul_f64 v[102:103], v[108:109], v[102:103]
	ds_read2_b64 v[110:113], v152 offset0:3 offset1:4
	ds_read2_b64 v[114:117], v152 offset0:5 offset1:6
	;; [unrolled: 1-line block ×11, first 2 shown]
	s_waitcnt lgkmcnt(10)
	v_fma_f64 v[98:99], -v[102:103], v[110:111], v[98:99]
	v_fma_f64 v[90:91], -v[102:103], v[112:113], v[90:91]
	s_waitcnt lgkmcnt(9)
	v_fma_f64 v[74:75], -v[102:103], v[114:115], v[74:75]
	v_fma_f64 v[88:89], -v[102:103], v[116:117], v[88:89]
	;; [unrolled: 3-line block ×11, first 2 shown]
.LBB49_16:
	s_or_b32 exec_lo, exec_lo, s1
	s_mov_b32 s1, exec_lo
	s_waitcnt lgkmcnt(0)
	s_barrier
	buffer_gl0_inv
	v_cmpx_eq_u32_e32 3, v0
	s_cbranch_execz .LBB49_19
; %bb.17:
	v_mov_b32_e32 v110, v90
	v_mov_b32_e32 v111, v91
	;; [unrolled: 1-line block ×20, first 2 shown]
	ds_write_b64 v1, v[98:99]
	ds_write2_b64 v152, v[110:111], v[112:113] offset0:4 offset1:5
	ds_write2_b64 v152, v[114:115], v[116:117] offset0:6 offset1:7
	;; [unrolled: 1-line block ×5, first 2 shown]
	v_mov_b32_e32 v110, v80
	v_mov_b32_e32 v111, v81
	;; [unrolled: 1-line block ×20, first 2 shown]
	ds_write2_b64 v152, v[110:111], v[112:113] offset0:14 offset1:15
	ds_write2_b64 v152, v[114:115], v[116:117] offset0:16 offset1:17
	;; [unrolled: 1-line block ×5, first 2 shown]
	ds_write_b64 v152, v[94:95] offset:192
	ds_read_b64 v[110:111], v1
	s_waitcnt lgkmcnt(0)
	v_cmp_neq_f64_e32 vcc_lo, 0, v[110:111]
	s_and_b32 exec_lo, exec_lo, vcc_lo
	s_cbranch_execz .LBB49_19
; %bb.18:
	v_div_scale_f64 v[112:113], null, v[110:111], v[110:111], 1.0
	v_rcp_f64_e32 v[114:115], v[112:113]
	v_fma_f64 v[116:117], -v[112:113], v[114:115], 1.0
	v_fma_f64 v[114:115], v[114:115], v[116:117], v[114:115]
	v_fma_f64 v[116:117], -v[112:113], v[114:115], 1.0
	v_fma_f64 v[114:115], v[114:115], v[116:117], v[114:115]
	v_div_scale_f64 v[116:117], vcc_lo, 1.0, v[110:111], 1.0
	v_mul_f64 v[118:119], v[116:117], v[114:115]
	v_fma_f64 v[112:113], -v[112:113], v[118:119], v[116:117]
	v_div_fmas_f64 v[112:113], v[112:113], v[114:115], v[118:119]
	v_div_fixup_f64 v[110:111], v[112:113], v[110:111], 1.0
	ds_write_b64 v1, v[110:111]
.LBB49_19:
	s_or_b32 exec_lo, exec_lo, s1
	s_waitcnt lgkmcnt(0)
	s_barrier
	buffer_gl0_inv
	ds_read_b64 v[110:111], v1
	s_mov_b32 s1, exec_lo
	v_cmpx_lt_u32_e32 3, v0
	s_cbranch_execz .LBB49_21
; %bb.20:
	s_waitcnt lgkmcnt(0)
	v_mul_f64 v[98:99], v[110:111], v[98:99]
	ds_read2_b64 v[112:115], v152 offset0:4 offset1:5
	ds_read2_b64 v[116:119], v152 offset0:6 offset1:7
	;; [unrolled: 1-line block ×10, first 2 shown]
	ds_read_b64 v[153:154], v152 offset:192
	s_waitcnt lgkmcnt(10)
	v_fma_f64 v[90:91], -v[98:99], v[112:113], v[90:91]
	v_fma_f64 v[74:75], -v[98:99], v[114:115], v[74:75]
	s_waitcnt lgkmcnt(9)
	v_fma_f64 v[88:89], -v[98:99], v[116:117], v[88:89]
	v_fma_f64 v[72:73], -v[98:99], v[118:119], v[72:73]
	;; [unrolled: 3-line block ×10, first 2 shown]
	s_waitcnt lgkmcnt(0)
	v_fma_f64 v[94:95], -v[98:99], v[153:154], v[94:95]
.LBB49_21:
	s_or_b32 exec_lo, exec_lo, s1
	s_mov_b32 s1, exec_lo
	s_waitcnt lgkmcnt(0)
	s_barrier
	buffer_gl0_inv
	v_cmpx_eq_u32_e32 4, v0
	s_cbranch_execz .LBB49_24
; %bb.22:
	ds_write_b64 v1, v[90:91]
	ds_write2_b64 v152, v[74:75], v[88:89] offset0:5 offset1:6
	ds_write2_b64 v152, v[72:73], v[86:87] offset0:7 offset1:8
	ds_write2_b64 v152, v[70:71], v[84:85] offset0:9 offset1:10
	ds_write2_b64 v152, v[68:69], v[82:83] offset0:11 offset1:12
	ds_write2_b64 v152, v[66:67], v[80:81] offset0:13 offset1:14
	ds_write2_b64 v152, v[64:65], v[78:79] offset0:15 offset1:16
	ds_write2_b64 v152, v[62:63], v[76:77] offset0:17 offset1:18
	ds_write2_b64 v152, v[56:57], v[60:61] offset0:19 offset1:20
	ds_write2_b64 v152, v[54:55], v[58:59] offset0:21 offset1:22
	ds_write2_b64 v152, v[52:53], v[94:95] offset0:23 offset1:24
	ds_read_b64 v[112:113], v1
	s_waitcnt lgkmcnt(0)
	v_cmp_neq_f64_e32 vcc_lo, 0, v[112:113]
	s_and_b32 exec_lo, exec_lo, vcc_lo
	s_cbranch_execz .LBB49_24
; %bb.23:
	v_div_scale_f64 v[114:115], null, v[112:113], v[112:113], 1.0
	v_rcp_f64_e32 v[116:117], v[114:115]
	v_fma_f64 v[118:119], -v[114:115], v[116:117], 1.0
	v_fma_f64 v[116:117], v[116:117], v[118:119], v[116:117]
	v_fma_f64 v[118:119], -v[114:115], v[116:117], 1.0
	v_fma_f64 v[116:117], v[116:117], v[118:119], v[116:117]
	v_div_scale_f64 v[118:119], vcc_lo, 1.0, v[112:113], 1.0
	v_mul_f64 v[120:121], v[118:119], v[116:117]
	v_fma_f64 v[114:115], -v[114:115], v[120:121], v[118:119]
	v_div_fmas_f64 v[114:115], v[114:115], v[116:117], v[120:121]
	v_div_fixup_f64 v[112:113], v[114:115], v[112:113], 1.0
	ds_write_b64 v1, v[112:113]
.LBB49_24:
	s_or_b32 exec_lo, exec_lo, s1
	s_waitcnt lgkmcnt(0)
	s_barrier
	buffer_gl0_inv
	ds_read_b64 v[112:113], v1
	s_mov_b32 s1, exec_lo
	v_cmpx_lt_u32_e32 4, v0
	s_cbranch_execz .LBB49_26
; %bb.25:
	s_waitcnt lgkmcnt(0)
	v_mul_f64 v[90:91], v[112:113], v[90:91]
	ds_read2_b64 v[114:117], v152 offset0:5 offset1:6
	ds_read2_b64 v[118:121], v152 offset0:7 offset1:8
	ds_read2_b64 v[122:125], v152 offset0:9 offset1:10
	ds_read2_b64 v[126:129], v152 offset0:11 offset1:12
	ds_read2_b64 v[130:133], v152 offset0:13 offset1:14
	ds_read2_b64 v[134:137], v152 offset0:15 offset1:16
	ds_read2_b64 v[138:141], v152 offset0:17 offset1:18
	ds_read2_b64 v[142:145], v152 offset0:19 offset1:20
	ds_read2_b64 v[146:149], v152 offset0:21 offset1:22
	ds_read2_b64 v[153:156], v152 offset0:23 offset1:24
	s_waitcnt lgkmcnt(9)
	v_fma_f64 v[74:75], -v[90:91], v[114:115], v[74:75]
	v_fma_f64 v[88:89], -v[90:91], v[116:117], v[88:89]
	s_waitcnt lgkmcnt(8)
	v_fma_f64 v[72:73], -v[90:91], v[118:119], v[72:73]
	v_fma_f64 v[86:87], -v[90:91], v[120:121], v[86:87]
	;; [unrolled: 3-line block ×10, first 2 shown]
.LBB49_26:
	s_or_b32 exec_lo, exec_lo, s1
	s_mov_b32 s1, exec_lo
	s_waitcnt lgkmcnt(0)
	s_barrier
	buffer_gl0_inv
	v_cmpx_eq_u32_e32 5, v0
	s_cbranch_execz .LBB49_29
; %bb.27:
	v_mov_b32_e32 v114, v88
	v_mov_b32_e32 v115, v89
	;; [unrolled: 1-line block ×16, first 2 shown]
	ds_write_b64 v1, v[74:75]
	ds_write2_b64 v152, v[114:115], v[116:117] offset0:6 offset1:7
	ds_write2_b64 v152, v[118:119], v[120:121] offset0:8 offset1:9
	;; [unrolled: 1-line block ×4, first 2 shown]
	v_mov_b32_e32 v114, v80
	v_mov_b32_e32 v115, v81
	;; [unrolled: 1-line block ×20, first 2 shown]
	ds_write2_b64 v152, v[114:115], v[116:117] offset0:14 offset1:15
	ds_write2_b64 v152, v[118:119], v[120:121] offset0:16 offset1:17
	;; [unrolled: 1-line block ×5, first 2 shown]
	ds_write_b64 v152, v[94:95] offset:192
	ds_read_b64 v[114:115], v1
	s_waitcnt lgkmcnt(0)
	v_cmp_neq_f64_e32 vcc_lo, 0, v[114:115]
	s_and_b32 exec_lo, exec_lo, vcc_lo
	s_cbranch_execz .LBB49_29
; %bb.28:
	v_div_scale_f64 v[116:117], null, v[114:115], v[114:115], 1.0
	v_rcp_f64_e32 v[118:119], v[116:117]
	v_fma_f64 v[120:121], -v[116:117], v[118:119], 1.0
	v_fma_f64 v[118:119], v[118:119], v[120:121], v[118:119]
	v_fma_f64 v[120:121], -v[116:117], v[118:119], 1.0
	v_fma_f64 v[118:119], v[118:119], v[120:121], v[118:119]
	v_div_scale_f64 v[120:121], vcc_lo, 1.0, v[114:115], 1.0
	v_mul_f64 v[122:123], v[120:121], v[118:119]
	v_fma_f64 v[116:117], -v[116:117], v[122:123], v[120:121]
	v_div_fmas_f64 v[116:117], v[116:117], v[118:119], v[122:123]
	v_div_fixup_f64 v[114:115], v[116:117], v[114:115], 1.0
	ds_write_b64 v1, v[114:115]
.LBB49_29:
	s_or_b32 exec_lo, exec_lo, s1
	s_waitcnt lgkmcnt(0)
	s_barrier
	buffer_gl0_inv
	ds_read_b64 v[114:115], v1
	s_mov_b32 s1, exec_lo
	v_cmpx_lt_u32_e32 5, v0
	s_cbranch_execz .LBB49_31
; %bb.30:
	s_waitcnt lgkmcnt(0)
	v_mul_f64 v[74:75], v[114:115], v[74:75]
	ds_read2_b64 v[116:119], v152 offset0:6 offset1:7
	ds_read2_b64 v[120:123], v152 offset0:8 offset1:9
	;; [unrolled: 1-line block ×9, first 2 shown]
	ds_read_b64 v[153:154], v152 offset:192
	s_waitcnt lgkmcnt(9)
	v_fma_f64 v[88:89], -v[74:75], v[116:117], v[88:89]
	v_fma_f64 v[72:73], -v[74:75], v[118:119], v[72:73]
	s_waitcnt lgkmcnt(8)
	v_fma_f64 v[86:87], -v[74:75], v[120:121], v[86:87]
	v_fma_f64 v[70:71], -v[74:75], v[122:123], v[70:71]
	;; [unrolled: 3-line block ×9, first 2 shown]
	s_waitcnt lgkmcnt(0)
	v_fma_f64 v[94:95], -v[74:75], v[153:154], v[94:95]
.LBB49_31:
	s_or_b32 exec_lo, exec_lo, s1
	s_mov_b32 s1, exec_lo
	s_waitcnt lgkmcnt(0)
	s_barrier
	buffer_gl0_inv
	v_cmpx_eq_u32_e32 6, v0
	s_cbranch_execz .LBB49_34
; %bb.32:
	ds_write_b64 v1, v[88:89]
	ds_write2_b64 v152, v[72:73], v[86:87] offset0:7 offset1:8
	ds_write2_b64 v152, v[70:71], v[84:85] offset0:9 offset1:10
	;; [unrolled: 1-line block ×9, first 2 shown]
	ds_read_b64 v[116:117], v1
	s_waitcnt lgkmcnt(0)
	v_cmp_neq_f64_e32 vcc_lo, 0, v[116:117]
	s_and_b32 exec_lo, exec_lo, vcc_lo
	s_cbranch_execz .LBB49_34
; %bb.33:
	v_div_scale_f64 v[118:119], null, v[116:117], v[116:117], 1.0
	v_rcp_f64_e32 v[120:121], v[118:119]
	v_fma_f64 v[122:123], -v[118:119], v[120:121], 1.0
	v_fma_f64 v[120:121], v[120:121], v[122:123], v[120:121]
	v_fma_f64 v[122:123], -v[118:119], v[120:121], 1.0
	v_fma_f64 v[120:121], v[120:121], v[122:123], v[120:121]
	v_div_scale_f64 v[122:123], vcc_lo, 1.0, v[116:117], 1.0
	v_mul_f64 v[124:125], v[122:123], v[120:121]
	v_fma_f64 v[118:119], -v[118:119], v[124:125], v[122:123]
	v_div_fmas_f64 v[118:119], v[118:119], v[120:121], v[124:125]
	v_div_fixup_f64 v[116:117], v[118:119], v[116:117], 1.0
	ds_write_b64 v1, v[116:117]
.LBB49_34:
	s_or_b32 exec_lo, exec_lo, s1
	s_waitcnt lgkmcnt(0)
	s_barrier
	buffer_gl0_inv
	ds_read_b64 v[116:117], v1
	s_mov_b32 s1, exec_lo
	v_cmpx_lt_u32_e32 6, v0
	s_cbranch_execz .LBB49_36
; %bb.35:
	s_waitcnt lgkmcnt(0)
	v_mul_f64 v[88:89], v[116:117], v[88:89]
	ds_read2_b64 v[118:121], v152 offset0:7 offset1:8
	ds_read2_b64 v[122:125], v152 offset0:9 offset1:10
	;; [unrolled: 1-line block ×9, first 2 shown]
	s_waitcnt lgkmcnt(8)
	v_fma_f64 v[72:73], -v[88:89], v[118:119], v[72:73]
	v_fma_f64 v[86:87], -v[88:89], v[120:121], v[86:87]
	s_waitcnt lgkmcnt(7)
	v_fma_f64 v[70:71], -v[88:89], v[122:123], v[70:71]
	v_fma_f64 v[84:85], -v[88:89], v[124:125], v[84:85]
	;; [unrolled: 3-line block ×9, first 2 shown]
.LBB49_36:
	s_or_b32 exec_lo, exec_lo, s1
	s_mov_b32 s1, exec_lo
	s_waitcnt lgkmcnt(0)
	s_barrier
	buffer_gl0_inv
	v_cmpx_eq_u32_e32 7, v0
	s_cbranch_execz .LBB49_39
; %bb.37:
	v_mov_b32_e32 v118, v86
	v_mov_b32_e32 v119, v87
	;; [unrolled: 1-line block ×12, first 2 shown]
	ds_write_b64 v1, v[72:73]
	ds_write2_b64 v152, v[118:119], v[120:121] offset0:8 offset1:9
	ds_write2_b64 v152, v[122:123], v[124:125] offset0:10 offset1:11
	;; [unrolled: 1-line block ×3, first 2 shown]
	v_mov_b32_e32 v118, v80
	v_mov_b32_e32 v119, v81
	v_mov_b32_e32 v120, v64
	v_mov_b32_e32 v121, v65
	v_mov_b32_e32 v122, v78
	v_mov_b32_e32 v123, v79
	v_mov_b32_e32 v124, v62
	v_mov_b32_e32 v125, v63
	v_mov_b32_e32 v126, v76
	v_mov_b32_e32 v127, v77
	v_mov_b32_e32 v128, v56
	v_mov_b32_e32 v129, v57
	v_mov_b32_e32 v130, v60
	v_mov_b32_e32 v131, v61
	v_mov_b32_e32 v132, v54
	v_mov_b32_e32 v133, v55
	v_mov_b32_e32 v134, v58
	v_mov_b32_e32 v135, v59
	v_mov_b32_e32 v136, v52
	v_mov_b32_e32 v137, v53
	ds_write2_b64 v152, v[118:119], v[120:121] offset0:14 offset1:15
	ds_write2_b64 v152, v[122:123], v[124:125] offset0:16 offset1:17
	;; [unrolled: 1-line block ×5, first 2 shown]
	ds_write_b64 v152, v[94:95] offset:192
	ds_read_b64 v[118:119], v1
	s_waitcnt lgkmcnt(0)
	v_cmp_neq_f64_e32 vcc_lo, 0, v[118:119]
	s_and_b32 exec_lo, exec_lo, vcc_lo
	s_cbranch_execz .LBB49_39
; %bb.38:
	v_div_scale_f64 v[120:121], null, v[118:119], v[118:119], 1.0
	v_rcp_f64_e32 v[122:123], v[120:121]
	v_fma_f64 v[124:125], -v[120:121], v[122:123], 1.0
	v_fma_f64 v[122:123], v[122:123], v[124:125], v[122:123]
	v_fma_f64 v[124:125], -v[120:121], v[122:123], 1.0
	v_fma_f64 v[122:123], v[122:123], v[124:125], v[122:123]
	v_div_scale_f64 v[124:125], vcc_lo, 1.0, v[118:119], 1.0
	v_mul_f64 v[126:127], v[124:125], v[122:123]
	v_fma_f64 v[120:121], -v[120:121], v[126:127], v[124:125]
	v_div_fmas_f64 v[120:121], v[120:121], v[122:123], v[126:127]
	v_div_fixup_f64 v[118:119], v[120:121], v[118:119], 1.0
	ds_write_b64 v1, v[118:119]
.LBB49_39:
	s_or_b32 exec_lo, exec_lo, s1
	s_waitcnt lgkmcnt(0)
	s_barrier
	buffer_gl0_inv
	ds_read_b64 v[118:119], v1
	s_mov_b32 s1, exec_lo
	v_cmpx_lt_u32_e32 7, v0
	s_cbranch_execz .LBB49_41
; %bb.40:
	s_waitcnt lgkmcnt(0)
	v_mul_f64 v[72:73], v[118:119], v[72:73]
	ds_read2_b64 v[120:123], v152 offset0:8 offset1:9
	ds_read2_b64 v[124:127], v152 offset0:10 offset1:11
	ds_read2_b64 v[128:131], v152 offset0:12 offset1:13
	ds_read2_b64 v[132:135], v152 offset0:14 offset1:15
	ds_read2_b64 v[136:139], v152 offset0:16 offset1:17
	ds_read2_b64 v[140:143], v152 offset0:18 offset1:19
	ds_read2_b64 v[144:147], v152 offset0:20 offset1:21
	ds_read2_b64 v[148:151], v152 offset0:22 offset1:23
	ds_read_b64 v[153:154], v152 offset:192
	s_waitcnt lgkmcnt(8)
	v_fma_f64 v[86:87], -v[72:73], v[120:121], v[86:87]
	v_fma_f64 v[70:71], -v[72:73], v[122:123], v[70:71]
	s_waitcnt lgkmcnt(7)
	v_fma_f64 v[84:85], -v[72:73], v[124:125], v[84:85]
	v_fma_f64 v[68:69], -v[72:73], v[126:127], v[68:69]
	;; [unrolled: 3-line block ×8, first 2 shown]
	s_waitcnt lgkmcnt(0)
	v_fma_f64 v[94:95], -v[72:73], v[153:154], v[94:95]
.LBB49_41:
	s_or_b32 exec_lo, exec_lo, s1
	s_mov_b32 s1, exec_lo
	s_waitcnt lgkmcnt(0)
	s_barrier
	buffer_gl0_inv
	v_cmpx_eq_u32_e32 8, v0
	s_cbranch_execz .LBB49_44
; %bb.42:
	ds_write_b64 v1, v[86:87]
	ds_write2_b64 v152, v[70:71], v[84:85] offset0:9 offset1:10
	ds_write2_b64 v152, v[68:69], v[82:83] offset0:11 offset1:12
	;; [unrolled: 1-line block ×8, first 2 shown]
	ds_read_b64 v[120:121], v1
	s_waitcnt lgkmcnt(0)
	v_cmp_neq_f64_e32 vcc_lo, 0, v[120:121]
	s_and_b32 exec_lo, exec_lo, vcc_lo
	s_cbranch_execz .LBB49_44
; %bb.43:
	v_div_scale_f64 v[122:123], null, v[120:121], v[120:121], 1.0
	v_rcp_f64_e32 v[124:125], v[122:123]
	v_fma_f64 v[126:127], -v[122:123], v[124:125], 1.0
	v_fma_f64 v[124:125], v[124:125], v[126:127], v[124:125]
	v_fma_f64 v[126:127], -v[122:123], v[124:125], 1.0
	v_fma_f64 v[124:125], v[124:125], v[126:127], v[124:125]
	v_div_scale_f64 v[126:127], vcc_lo, 1.0, v[120:121], 1.0
	v_mul_f64 v[128:129], v[126:127], v[124:125]
	v_fma_f64 v[122:123], -v[122:123], v[128:129], v[126:127]
	v_div_fmas_f64 v[122:123], v[122:123], v[124:125], v[128:129]
	v_div_fixup_f64 v[120:121], v[122:123], v[120:121], 1.0
	ds_write_b64 v1, v[120:121]
.LBB49_44:
	s_or_b32 exec_lo, exec_lo, s1
	s_waitcnt lgkmcnt(0)
	s_barrier
	buffer_gl0_inv
	ds_read_b64 v[120:121], v1
	s_mov_b32 s1, exec_lo
	v_cmpx_lt_u32_e32 8, v0
	s_cbranch_execz .LBB49_46
; %bb.45:
	s_waitcnt lgkmcnt(0)
	v_mul_f64 v[86:87], v[120:121], v[86:87]
	ds_read2_b64 v[122:125], v152 offset0:9 offset1:10
	ds_read2_b64 v[126:129], v152 offset0:11 offset1:12
	;; [unrolled: 1-line block ×8, first 2 shown]
	s_waitcnt lgkmcnt(7)
	v_fma_f64 v[70:71], -v[86:87], v[122:123], v[70:71]
	v_fma_f64 v[84:85], -v[86:87], v[124:125], v[84:85]
	s_waitcnt lgkmcnt(6)
	v_fma_f64 v[68:69], -v[86:87], v[126:127], v[68:69]
	v_fma_f64 v[82:83], -v[86:87], v[128:129], v[82:83]
	;; [unrolled: 3-line block ×8, first 2 shown]
.LBB49_46:
	s_or_b32 exec_lo, exec_lo, s1
	s_mov_b32 s1, exec_lo
	s_waitcnt lgkmcnt(0)
	s_barrier
	buffer_gl0_inv
	v_cmpx_eq_u32_e32 9, v0
	s_cbranch_execz .LBB49_49
; %bb.47:
	v_mov_b32_e32 v122, v84
	v_mov_b32_e32 v123, v85
	;; [unrolled: 1-line block ×8, first 2 shown]
	ds_write_b64 v1, v[70:71]
	ds_write2_b64 v152, v[122:123], v[124:125] offset0:10 offset1:11
	ds_write2_b64 v152, v[126:127], v[128:129] offset0:12 offset1:13
	v_mov_b32_e32 v122, v80
	v_mov_b32_e32 v123, v81
	;; [unrolled: 1-line block ×20, first 2 shown]
	ds_write2_b64 v152, v[122:123], v[124:125] offset0:14 offset1:15
	ds_write2_b64 v152, v[126:127], v[128:129] offset0:16 offset1:17
	;; [unrolled: 1-line block ×5, first 2 shown]
	ds_write_b64 v152, v[94:95] offset:192
	ds_read_b64 v[122:123], v1
	s_waitcnt lgkmcnt(0)
	v_cmp_neq_f64_e32 vcc_lo, 0, v[122:123]
	s_and_b32 exec_lo, exec_lo, vcc_lo
	s_cbranch_execz .LBB49_49
; %bb.48:
	v_div_scale_f64 v[124:125], null, v[122:123], v[122:123], 1.0
	v_rcp_f64_e32 v[126:127], v[124:125]
	v_fma_f64 v[128:129], -v[124:125], v[126:127], 1.0
	v_fma_f64 v[126:127], v[126:127], v[128:129], v[126:127]
	v_fma_f64 v[128:129], -v[124:125], v[126:127], 1.0
	v_fma_f64 v[126:127], v[126:127], v[128:129], v[126:127]
	v_div_scale_f64 v[128:129], vcc_lo, 1.0, v[122:123], 1.0
	v_mul_f64 v[130:131], v[128:129], v[126:127]
	v_fma_f64 v[124:125], -v[124:125], v[130:131], v[128:129]
	v_div_fmas_f64 v[124:125], v[124:125], v[126:127], v[130:131]
	v_div_fixup_f64 v[122:123], v[124:125], v[122:123], 1.0
	ds_write_b64 v1, v[122:123]
.LBB49_49:
	s_or_b32 exec_lo, exec_lo, s1
	s_waitcnt lgkmcnt(0)
	s_barrier
	buffer_gl0_inv
	ds_read_b64 v[122:123], v1
	s_mov_b32 s1, exec_lo
	v_cmpx_lt_u32_e32 9, v0
	s_cbranch_execz .LBB49_51
; %bb.50:
	s_waitcnt lgkmcnt(0)
	v_mul_f64 v[70:71], v[122:123], v[70:71]
	ds_read2_b64 v[124:127], v152 offset0:10 offset1:11
	ds_read2_b64 v[128:131], v152 offset0:12 offset1:13
	;; [unrolled: 1-line block ×7, first 2 shown]
	ds_read_b64 v[153:154], v152 offset:192
	s_waitcnt lgkmcnt(7)
	v_fma_f64 v[84:85], -v[70:71], v[124:125], v[84:85]
	v_fma_f64 v[68:69], -v[70:71], v[126:127], v[68:69]
	s_waitcnt lgkmcnt(6)
	v_fma_f64 v[82:83], -v[70:71], v[128:129], v[82:83]
	v_fma_f64 v[66:67], -v[70:71], v[130:131], v[66:67]
	;; [unrolled: 3-line block ×7, first 2 shown]
	s_waitcnt lgkmcnt(0)
	v_fma_f64 v[94:95], -v[70:71], v[153:154], v[94:95]
.LBB49_51:
	s_or_b32 exec_lo, exec_lo, s1
	s_mov_b32 s1, exec_lo
	s_waitcnt lgkmcnt(0)
	s_barrier
	buffer_gl0_inv
	v_cmpx_eq_u32_e32 10, v0
	s_cbranch_execz .LBB49_54
; %bb.52:
	ds_write_b64 v1, v[84:85]
	ds_write2_b64 v152, v[68:69], v[82:83] offset0:11 offset1:12
	ds_write2_b64 v152, v[66:67], v[80:81] offset0:13 offset1:14
	;; [unrolled: 1-line block ×7, first 2 shown]
	ds_read_b64 v[124:125], v1
	s_waitcnt lgkmcnt(0)
	v_cmp_neq_f64_e32 vcc_lo, 0, v[124:125]
	s_and_b32 exec_lo, exec_lo, vcc_lo
	s_cbranch_execz .LBB49_54
; %bb.53:
	v_div_scale_f64 v[126:127], null, v[124:125], v[124:125], 1.0
	v_rcp_f64_e32 v[128:129], v[126:127]
	v_fma_f64 v[130:131], -v[126:127], v[128:129], 1.0
	v_fma_f64 v[128:129], v[128:129], v[130:131], v[128:129]
	v_fma_f64 v[130:131], -v[126:127], v[128:129], 1.0
	v_fma_f64 v[128:129], v[128:129], v[130:131], v[128:129]
	v_div_scale_f64 v[130:131], vcc_lo, 1.0, v[124:125], 1.0
	v_mul_f64 v[132:133], v[130:131], v[128:129]
	v_fma_f64 v[126:127], -v[126:127], v[132:133], v[130:131]
	v_div_fmas_f64 v[126:127], v[126:127], v[128:129], v[132:133]
	v_div_fixup_f64 v[124:125], v[126:127], v[124:125], 1.0
	ds_write_b64 v1, v[124:125]
.LBB49_54:
	s_or_b32 exec_lo, exec_lo, s1
	s_waitcnt lgkmcnt(0)
	s_barrier
	buffer_gl0_inv
	ds_read_b64 v[124:125], v1
	s_mov_b32 s1, exec_lo
	v_cmpx_lt_u32_e32 10, v0
	s_cbranch_execz .LBB49_56
; %bb.55:
	s_waitcnt lgkmcnt(0)
	v_mul_f64 v[84:85], v[124:125], v[84:85]
	ds_read2_b64 v[126:129], v152 offset0:11 offset1:12
	ds_read2_b64 v[130:133], v152 offset0:13 offset1:14
	ds_read2_b64 v[134:137], v152 offset0:15 offset1:16
	ds_read2_b64 v[138:141], v152 offset0:17 offset1:18
	ds_read2_b64 v[142:145], v152 offset0:19 offset1:20
	ds_read2_b64 v[146:149], v152 offset0:21 offset1:22
	ds_read2_b64 v[153:156], v152 offset0:23 offset1:24
	s_waitcnt lgkmcnt(6)
	v_fma_f64 v[68:69], -v[84:85], v[126:127], v[68:69]
	v_fma_f64 v[82:83], -v[84:85], v[128:129], v[82:83]
	s_waitcnt lgkmcnt(5)
	v_fma_f64 v[66:67], -v[84:85], v[130:131], v[66:67]
	v_fma_f64 v[80:81], -v[84:85], v[132:133], v[80:81]
	;; [unrolled: 3-line block ×7, first 2 shown]
.LBB49_56:
	s_or_b32 exec_lo, exec_lo, s1
	s_mov_b32 s1, exec_lo
	s_waitcnt lgkmcnt(0)
	s_barrier
	buffer_gl0_inv
	v_cmpx_eq_u32_e32 11, v0
	s_cbranch_execz .LBB49_59
; %bb.57:
	v_mov_b32_e32 v126, v82
	v_mov_b32_e32 v127, v83
	;; [unrolled: 1-line block ×4, first 2 shown]
	ds_write_b64 v1, v[68:69]
	ds_write2_b64 v152, v[126:127], v[128:129] offset0:12 offset1:13
	v_mov_b32_e32 v126, v80
	v_mov_b32_e32 v127, v81
	v_mov_b32_e32 v128, v64
	v_mov_b32_e32 v129, v65
	v_mov_b32_e32 v130, v78
	v_mov_b32_e32 v131, v79
	v_mov_b32_e32 v132, v62
	v_mov_b32_e32 v133, v63
	v_mov_b32_e32 v134, v76
	v_mov_b32_e32 v135, v77
	v_mov_b32_e32 v136, v56
	v_mov_b32_e32 v137, v57
	v_mov_b32_e32 v138, v60
	v_mov_b32_e32 v139, v61
	v_mov_b32_e32 v140, v54
	v_mov_b32_e32 v141, v55
	v_mov_b32_e32 v142, v58
	v_mov_b32_e32 v143, v59
	v_mov_b32_e32 v144, v52
	v_mov_b32_e32 v145, v53
	ds_write2_b64 v152, v[126:127], v[128:129] offset0:14 offset1:15
	ds_write2_b64 v152, v[130:131], v[132:133] offset0:16 offset1:17
	;; [unrolled: 1-line block ×5, first 2 shown]
	ds_write_b64 v152, v[94:95] offset:192
	ds_read_b64 v[126:127], v1
	s_waitcnt lgkmcnt(0)
	v_cmp_neq_f64_e32 vcc_lo, 0, v[126:127]
	s_and_b32 exec_lo, exec_lo, vcc_lo
	s_cbranch_execz .LBB49_59
; %bb.58:
	v_div_scale_f64 v[128:129], null, v[126:127], v[126:127], 1.0
	v_rcp_f64_e32 v[130:131], v[128:129]
	v_fma_f64 v[132:133], -v[128:129], v[130:131], 1.0
	v_fma_f64 v[130:131], v[130:131], v[132:133], v[130:131]
	v_fma_f64 v[132:133], -v[128:129], v[130:131], 1.0
	v_fma_f64 v[130:131], v[130:131], v[132:133], v[130:131]
	v_div_scale_f64 v[132:133], vcc_lo, 1.0, v[126:127], 1.0
	v_mul_f64 v[134:135], v[132:133], v[130:131]
	v_fma_f64 v[128:129], -v[128:129], v[134:135], v[132:133]
	v_div_fmas_f64 v[128:129], v[128:129], v[130:131], v[134:135]
	v_div_fixup_f64 v[126:127], v[128:129], v[126:127], 1.0
	ds_write_b64 v1, v[126:127]
.LBB49_59:
	s_or_b32 exec_lo, exec_lo, s1
	s_waitcnt lgkmcnt(0)
	s_barrier
	buffer_gl0_inv
	ds_read_b64 v[126:127], v1
	s_mov_b32 s1, exec_lo
	v_cmpx_lt_u32_e32 11, v0
	s_cbranch_execz .LBB49_61
; %bb.60:
	s_waitcnt lgkmcnt(0)
	v_mul_f64 v[68:69], v[126:127], v[68:69]
	ds_read2_b64 v[128:131], v152 offset0:12 offset1:13
	ds_read2_b64 v[132:135], v152 offset0:14 offset1:15
	;; [unrolled: 1-line block ×6, first 2 shown]
	ds_read_b64 v[153:154], v152 offset:192
	s_waitcnt lgkmcnt(6)
	v_fma_f64 v[82:83], -v[68:69], v[128:129], v[82:83]
	v_fma_f64 v[66:67], -v[68:69], v[130:131], v[66:67]
	s_waitcnt lgkmcnt(5)
	v_fma_f64 v[80:81], -v[68:69], v[132:133], v[80:81]
	v_fma_f64 v[64:65], -v[68:69], v[134:135], v[64:65]
	s_waitcnt lgkmcnt(4)
	v_fma_f64 v[78:79], -v[68:69], v[136:137], v[78:79]
	v_fma_f64 v[62:63], -v[68:69], v[138:139], v[62:63]
	s_waitcnt lgkmcnt(3)
	v_fma_f64 v[76:77], -v[68:69], v[140:141], v[76:77]
	v_fma_f64 v[56:57], -v[68:69], v[142:143], v[56:57]
	s_waitcnt lgkmcnt(2)
	v_fma_f64 v[60:61], -v[68:69], v[144:145], v[60:61]
	v_fma_f64 v[54:55], -v[68:69], v[146:147], v[54:55]
	s_waitcnt lgkmcnt(1)
	v_fma_f64 v[58:59], -v[68:69], v[148:149], v[58:59]
	v_fma_f64 v[52:53], -v[68:69], v[150:151], v[52:53]
	s_waitcnt lgkmcnt(0)
	v_fma_f64 v[94:95], -v[68:69], v[153:154], v[94:95]
.LBB49_61:
	s_or_b32 exec_lo, exec_lo, s1
	s_mov_b32 s1, exec_lo
	s_waitcnt lgkmcnt(0)
	s_barrier
	buffer_gl0_inv
	v_cmpx_eq_u32_e32 12, v0
	s_cbranch_execz .LBB49_64
; %bb.62:
	ds_write_b64 v1, v[82:83]
	ds_write2_b64 v152, v[66:67], v[80:81] offset0:13 offset1:14
	ds_write2_b64 v152, v[64:65], v[78:79] offset0:15 offset1:16
	;; [unrolled: 1-line block ×6, first 2 shown]
	ds_read_b64 v[128:129], v1
	s_waitcnt lgkmcnt(0)
	v_cmp_neq_f64_e32 vcc_lo, 0, v[128:129]
	s_and_b32 exec_lo, exec_lo, vcc_lo
	s_cbranch_execz .LBB49_64
; %bb.63:
	v_div_scale_f64 v[130:131], null, v[128:129], v[128:129], 1.0
	v_rcp_f64_e32 v[132:133], v[130:131]
	v_fma_f64 v[134:135], -v[130:131], v[132:133], 1.0
	v_fma_f64 v[132:133], v[132:133], v[134:135], v[132:133]
	v_fma_f64 v[134:135], -v[130:131], v[132:133], 1.0
	v_fma_f64 v[132:133], v[132:133], v[134:135], v[132:133]
	v_div_scale_f64 v[134:135], vcc_lo, 1.0, v[128:129], 1.0
	v_mul_f64 v[136:137], v[134:135], v[132:133]
	v_fma_f64 v[130:131], -v[130:131], v[136:137], v[134:135]
	v_div_fmas_f64 v[130:131], v[130:131], v[132:133], v[136:137]
	v_div_fixup_f64 v[128:129], v[130:131], v[128:129], 1.0
	ds_write_b64 v1, v[128:129]
.LBB49_64:
	s_or_b32 exec_lo, exec_lo, s1
	s_waitcnt lgkmcnt(0)
	s_barrier
	buffer_gl0_inv
	ds_read_b64 v[128:129], v1
	s_mov_b32 s1, exec_lo
	v_cmpx_lt_u32_e32 12, v0
	s_cbranch_execz .LBB49_66
; %bb.65:
	s_waitcnt lgkmcnt(0)
	v_mul_f64 v[82:83], v[128:129], v[82:83]
	ds_read2_b64 v[130:133], v152 offset0:13 offset1:14
	ds_read2_b64 v[134:137], v152 offset0:15 offset1:16
	;; [unrolled: 1-line block ×6, first 2 shown]
	s_waitcnt lgkmcnt(5)
	v_fma_f64 v[66:67], -v[82:83], v[130:131], v[66:67]
	v_fma_f64 v[80:81], -v[82:83], v[132:133], v[80:81]
	s_waitcnt lgkmcnt(4)
	v_fma_f64 v[64:65], -v[82:83], v[134:135], v[64:65]
	v_fma_f64 v[78:79], -v[82:83], v[136:137], v[78:79]
	;; [unrolled: 3-line block ×6, first 2 shown]
.LBB49_66:
	s_or_b32 exec_lo, exec_lo, s1
	s_mov_b32 s1, exec_lo
	s_waitcnt lgkmcnt(0)
	s_barrier
	buffer_gl0_inv
	v_cmpx_eq_u32_e32 13, v0
	s_cbranch_execz .LBB49_69
; %bb.67:
	v_mov_b32_e32 v130, v80
	v_mov_b32_e32 v131, v81
	;; [unrolled: 1-line block ×20, first 2 shown]
	ds_write_b64 v1, v[66:67]
	ds_write2_b64 v152, v[130:131], v[132:133] offset0:14 offset1:15
	ds_write2_b64 v152, v[134:135], v[136:137] offset0:16 offset1:17
	;; [unrolled: 1-line block ×5, first 2 shown]
	ds_write_b64 v152, v[94:95] offset:192
	ds_read_b64 v[130:131], v1
	s_waitcnt lgkmcnt(0)
	v_cmp_neq_f64_e32 vcc_lo, 0, v[130:131]
	s_and_b32 exec_lo, exec_lo, vcc_lo
	s_cbranch_execz .LBB49_69
; %bb.68:
	v_div_scale_f64 v[132:133], null, v[130:131], v[130:131], 1.0
	v_rcp_f64_e32 v[134:135], v[132:133]
	v_fma_f64 v[136:137], -v[132:133], v[134:135], 1.0
	v_fma_f64 v[134:135], v[134:135], v[136:137], v[134:135]
	v_fma_f64 v[136:137], -v[132:133], v[134:135], 1.0
	v_fma_f64 v[134:135], v[134:135], v[136:137], v[134:135]
	v_div_scale_f64 v[136:137], vcc_lo, 1.0, v[130:131], 1.0
	v_mul_f64 v[138:139], v[136:137], v[134:135]
	v_fma_f64 v[132:133], -v[132:133], v[138:139], v[136:137]
	v_div_fmas_f64 v[132:133], v[132:133], v[134:135], v[138:139]
	v_div_fixup_f64 v[130:131], v[132:133], v[130:131], 1.0
	ds_write_b64 v1, v[130:131]
.LBB49_69:
	s_or_b32 exec_lo, exec_lo, s1
	s_waitcnt lgkmcnt(0)
	s_barrier
	buffer_gl0_inv
	ds_read_b64 v[130:131], v1
	s_mov_b32 s1, exec_lo
	v_cmpx_lt_u32_e32 13, v0
	s_cbranch_execz .LBB49_71
; %bb.70:
	s_waitcnt lgkmcnt(0)
	v_mul_f64 v[66:67], v[130:131], v[66:67]
	ds_read2_b64 v[132:135], v152 offset0:14 offset1:15
	ds_read2_b64 v[136:139], v152 offset0:16 offset1:17
	;; [unrolled: 1-line block ×5, first 2 shown]
	ds_read_b64 v[153:154], v152 offset:192
	s_waitcnt lgkmcnt(5)
	v_fma_f64 v[80:81], -v[66:67], v[132:133], v[80:81]
	v_fma_f64 v[64:65], -v[66:67], v[134:135], v[64:65]
	s_waitcnt lgkmcnt(4)
	v_fma_f64 v[78:79], -v[66:67], v[136:137], v[78:79]
	v_fma_f64 v[62:63], -v[66:67], v[138:139], v[62:63]
	;; [unrolled: 3-line block ×5, first 2 shown]
	s_waitcnt lgkmcnt(0)
	v_fma_f64 v[94:95], -v[66:67], v[153:154], v[94:95]
.LBB49_71:
	s_or_b32 exec_lo, exec_lo, s1
	s_mov_b32 s1, exec_lo
	s_waitcnt lgkmcnt(0)
	s_barrier
	buffer_gl0_inv
	v_cmpx_eq_u32_e32 14, v0
	s_cbranch_execz .LBB49_74
; %bb.72:
	ds_write_b64 v1, v[80:81]
	ds_write2_b64 v152, v[64:65], v[78:79] offset0:15 offset1:16
	ds_write2_b64 v152, v[62:63], v[76:77] offset0:17 offset1:18
	ds_write2_b64 v152, v[56:57], v[60:61] offset0:19 offset1:20
	ds_write2_b64 v152, v[54:55], v[58:59] offset0:21 offset1:22
	ds_write2_b64 v152, v[52:53], v[94:95] offset0:23 offset1:24
	ds_read_b64 v[132:133], v1
	s_waitcnt lgkmcnt(0)
	v_cmp_neq_f64_e32 vcc_lo, 0, v[132:133]
	s_and_b32 exec_lo, exec_lo, vcc_lo
	s_cbranch_execz .LBB49_74
; %bb.73:
	v_div_scale_f64 v[134:135], null, v[132:133], v[132:133], 1.0
	v_rcp_f64_e32 v[136:137], v[134:135]
	v_fma_f64 v[138:139], -v[134:135], v[136:137], 1.0
	v_fma_f64 v[136:137], v[136:137], v[138:139], v[136:137]
	v_fma_f64 v[138:139], -v[134:135], v[136:137], 1.0
	v_fma_f64 v[136:137], v[136:137], v[138:139], v[136:137]
	v_div_scale_f64 v[138:139], vcc_lo, 1.0, v[132:133], 1.0
	v_mul_f64 v[140:141], v[138:139], v[136:137]
	v_fma_f64 v[134:135], -v[134:135], v[140:141], v[138:139]
	v_div_fmas_f64 v[134:135], v[134:135], v[136:137], v[140:141]
	v_div_fixup_f64 v[132:133], v[134:135], v[132:133], 1.0
	ds_write_b64 v1, v[132:133]
.LBB49_74:
	s_or_b32 exec_lo, exec_lo, s1
	s_waitcnt lgkmcnt(0)
	s_barrier
	buffer_gl0_inv
	ds_read_b64 v[132:133], v1
	s_mov_b32 s1, exec_lo
	v_cmpx_lt_u32_e32 14, v0
	s_cbranch_execz .LBB49_76
; %bb.75:
	s_waitcnt lgkmcnt(0)
	v_mul_f64 v[80:81], v[132:133], v[80:81]
	ds_read2_b64 v[134:137], v152 offset0:15 offset1:16
	ds_read2_b64 v[138:141], v152 offset0:17 offset1:18
	;; [unrolled: 1-line block ×5, first 2 shown]
	s_waitcnt lgkmcnt(4)
	v_fma_f64 v[64:65], -v[80:81], v[134:135], v[64:65]
	v_fma_f64 v[78:79], -v[80:81], v[136:137], v[78:79]
	s_waitcnt lgkmcnt(3)
	v_fma_f64 v[62:63], -v[80:81], v[138:139], v[62:63]
	v_fma_f64 v[76:77], -v[80:81], v[140:141], v[76:77]
	;; [unrolled: 3-line block ×5, first 2 shown]
.LBB49_76:
	s_or_b32 exec_lo, exec_lo, s1
	s_mov_b32 s1, exec_lo
	s_waitcnt lgkmcnt(0)
	s_barrier
	buffer_gl0_inv
	v_cmpx_eq_u32_e32 15, v0
	s_cbranch_execz .LBB49_79
; %bb.77:
	v_mov_b32_e32 v134, v78
	v_mov_b32_e32 v135, v79
	;; [unrolled: 1-line block ×16, first 2 shown]
	ds_write_b64 v1, v[64:65]
	ds_write2_b64 v152, v[134:135], v[136:137] offset0:16 offset1:17
	ds_write2_b64 v152, v[138:139], v[140:141] offset0:18 offset1:19
	;; [unrolled: 1-line block ×4, first 2 shown]
	ds_write_b64 v152, v[94:95] offset:192
	ds_read_b64 v[134:135], v1
	s_waitcnt lgkmcnt(0)
	v_cmp_neq_f64_e32 vcc_lo, 0, v[134:135]
	s_and_b32 exec_lo, exec_lo, vcc_lo
	s_cbranch_execz .LBB49_79
; %bb.78:
	v_div_scale_f64 v[136:137], null, v[134:135], v[134:135], 1.0
	v_rcp_f64_e32 v[138:139], v[136:137]
	v_fma_f64 v[140:141], -v[136:137], v[138:139], 1.0
	v_fma_f64 v[138:139], v[138:139], v[140:141], v[138:139]
	v_fma_f64 v[140:141], -v[136:137], v[138:139], 1.0
	v_fma_f64 v[138:139], v[138:139], v[140:141], v[138:139]
	v_div_scale_f64 v[140:141], vcc_lo, 1.0, v[134:135], 1.0
	v_mul_f64 v[142:143], v[140:141], v[138:139]
	v_fma_f64 v[136:137], -v[136:137], v[142:143], v[140:141]
	v_div_fmas_f64 v[136:137], v[136:137], v[138:139], v[142:143]
	v_div_fixup_f64 v[134:135], v[136:137], v[134:135], 1.0
	ds_write_b64 v1, v[134:135]
.LBB49_79:
	s_or_b32 exec_lo, exec_lo, s1
	s_waitcnt lgkmcnt(0)
	s_barrier
	buffer_gl0_inv
	ds_read_b64 v[134:135], v1
	s_mov_b32 s1, exec_lo
	v_cmpx_lt_u32_e32 15, v0
	s_cbranch_execz .LBB49_81
; %bb.80:
	s_waitcnt lgkmcnt(0)
	v_mul_f64 v[64:65], v[134:135], v[64:65]
	ds_read2_b64 v[136:139], v152 offset0:16 offset1:17
	ds_read2_b64 v[140:143], v152 offset0:18 offset1:19
	;; [unrolled: 1-line block ×4, first 2 shown]
	ds_read_b64 v[153:154], v152 offset:192
	s_waitcnt lgkmcnt(4)
	v_fma_f64 v[78:79], -v[64:65], v[136:137], v[78:79]
	v_fma_f64 v[62:63], -v[64:65], v[138:139], v[62:63]
	s_waitcnt lgkmcnt(3)
	v_fma_f64 v[76:77], -v[64:65], v[140:141], v[76:77]
	v_fma_f64 v[56:57], -v[64:65], v[142:143], v[56:57]
	;; [unrolled: 3-line block ×4, first 2 shown]
	s_waitcnt lgkmcnt(0)
	v_fma_f64 v[94:95], -v[64:65], v[153:154], v[94:95]
.LBB49_81:
	s_or_b32 exec_lo, exec_lo, s1
	s_mov_b32 s1, exec_lo
	s_waitcnt lgkmcnt(0)
	s_barrier
	buffer_gl0_inv
	v_cmpx_eq_u32_e32 16, v0
	s_cbranch_execz .LBB49_84
; %bb.82:
	ds_write_b64 v1, v[78:79]
	ds_write2_b64 v152, v[62:63], v[76:77] offset0:17 offset1:18
	ds_write2_b64 v152, v[56:57], v[60:61] offset0:19 offset1:20
	;; [unrolled: 1-line block ×4, first 2 shown]
	ds_read_b64 v[136:137], v1
	s_waitcnt lgkmcnt(0)
	v_cmp_neq_f64_e32 vcc_lo, 0, v[136:137]
	s_and_b32 exec_lo, exec_lo, vcc_lo
	s_cbranch_execz .LBB49_84
; %bb.83:
	v_div_scale_f64 v[138:139], null, v[136:137], v[136:137], 1.0
	v_rcp_f64_e32 v[140:141], v[138:139]
	v_fma_f64 v[142:143], -v[138:139], v[140:141], 1.0
	v_fma_f64 v[140:141], v[140:141], v[142:143], v[140:141]
	v_fma_f64 v[142:143], -v[138:139], v[140:141], 1.0
	v_fma_f64 v[140:141], v[140:141], v[142:143], v[140:141]
	v_div_scale_f64 v[142:143], vcc_lo, 1.0, v[136:137], 1.0
	v_mul_f64 v[144:145], v[142:143], v[140:141]
	v_fma_f64 v[138:139], -v[138:139], v[144:145], v[142:143]
	v_div_fmas_f64 v[138:139], v[138:139], v[140:141], v[144:145]
	v_div_fixup_f64 v[136:137], v[138:139], v[136:137], 1.0
	ds_write_b64 v1, v[136:137]
.LBB49_84:
	s_or_b32 exec_lo, exec_lo, s1
	s_waitcnt lgkmcnt(0)
	s_barrier
	buffer_gl0_inv
	ds_read_b64 v[136:137], v1
	s_mov_b32 s1, exec_lo
	v_cmpx_lt_u32_e32 16, v0
	s_cbranch_execz .LBB49_86
; %bb.85:
	s_waitcnt lgkmcnt(0)
	v_mul_f64 v[78:79], v[136:137], v[78:79]
	ds_read2_b64 v[138:141], v152 offset0:17 offset1:18
	ds_read2_b64 v[142:145], v152 offset0:19 offset1:20
	;; [unrolled: 1-line block ×4, first 2 shown]
	s_waitcnt lgkmcnt(3)
	v_fma_f64 v[62:63], -v[78:79], v[138:139], v[62:63]
	v_fma_f64 v[76:77], -v[78:79], v[140:141], v[76:77]
	s_waitcnt lgkmcnt(2)
	v_fma_f64 v[56:57], -v[78:79], v[142:143], v[56:57]
	v_fma_f64 v[60:61], -v[78:79], v[144:145], v[60:61]
	;; [unrolled: 3-line block ×4, first 2 shown]
.LBB49_86:
	s_or_b32 exec_lo, exec_lo, s1
	s_mov_b32 s1, exec_lo
	s_waitcnt lgkmcnt(0)
	s_barrier
	buffer_gl0_inv
	v_cmpx_eq_u32_e32 17, v0
	s_cbranch_execz .LBB49_89
; %bb.87:
	v_mov_b32_e32 v138, v76
	v_mov_b32_e32 v139, v77
	;; [unrolled: 1-line block ×12, first 2 shown]
	ds_write_b64 v1, v[62:63]
	ds_write2_b64 v152, v[138:139], v[140:141] offset0:18 offset1:19
	ds_write2_b64 v152, v[142:143], v[144:145] offset0:20 offset1:21
	;; [unrolled: 1-line block ×3, first 2 shown]
	ds_write_b64 v152, v[94:95] offset:192
	ds_read_b64 v[138:139], v1
	s_waitcnt lgkmcnt(0)
	v_cmp_neq_f64_e32 vcc_lo, 0, v[138:139]
	s_and_b32 exec_lo, exec_lo, vcc_lo
	s_cbranch_execz .LBB49_89
; %bb.88:
	v_div_scale_f64 v[140:141], null, v[138:139], v[138:139], 1.0
	v_rcp_f64_e32 v[142:143], v[140:141]
	v_fma_f64 v[144:145], -v[140:141], v[142:143], 1.0
	v_fma_f64 v[142:143], v[142:143], v[144:145], v[142:143]
	v_fma_f64 v[144:145], -v[140:141], v[142:143], 1.0
	v_fma_f64 v[142:143], v[142:143], v[144:145], v[142:143]
	v_div_scale_f64 v[144:145], vcc_lo, 1.0, v[138:139], 1.0
	v_mul_f64 v[146:147], v[144:145], v[142:143]
	v_fma_f64 v[140:141], -v[140:141], v[146:147], v[144:145]
	v_div_fmas_f64 v[140:141], v[140:141], v[142:143], v[146:147]
	v_div_fixup_f64 v[138:139], v[140:141], v[138:139], 1.0
	ds_write_b64 v1, v[138:139]
.LBB49_89:
	s_or_b32 exec_lo, exec_lo, s1
	s_waitcnt lgkmcnt(0)
	s_barrier
	buffer_gl0_inv
	ds_read_b64 v[138:139], v1
	s_mov_b32 s1, exec_lo
	v_cmpx_lt_u32_e32 17, v0
	s_cbranch_execz .LBB49_91
; %bb.90:
	s_waitcnt lgkmcnt(0)
	v_mul_f64 v[62:63], v[138:139], v[62:63]
	ds_read2_b64 v[140:143], v152 offset0:18 offset1:19
	ds_read2_b64 v[144:147], v152 offset0:20 offset1:21
	ds_read2_b64 v[148:151], v152 offset0:22 offset1:23
	ds_read_b64 v[153:154], v152 offset:192
	s_waitcnt lgkmcnt(3)
	v_fma_f64 v[76:77], -v[62:63], v[140:141], v[76:77]
	v_fma_f64 v[56:57], -v[62:63], v[142:143], v[56:57]
	s_waitcnt lgkmcnt(2)
	v_fma_f64 v[60:61], -v[62:63], v[144:145], v[60:61]
	v_fma_f64 v[54:55], -v[62:63], v[146:147], v[54:55]
	;; [unrolled: 3-line block ×3, first 2 shown]
	s_waitcnt lgkmcnt(0)
	v_fma_f64 v[94:95], -v[62:63], v[153:154], v[94:95]
.LBB49_91:
	s_or_b32 exec_lo, exec_lo, s1
	s_mov_b32 s1, exec_lo
	s_waitcnt lgkmcnt(0)
	s_barrier
	buffer_gl0_inv
	v_cmpx_eq_u32_e32 18, v0
	s_cbranch_execz .LBB49_94
; %bb.92:
	ds_write_b64 v1, v[76:77]
	ds_write2_b64 v152, v[56:57], v[60:61] offset0:19 offset1:20
	ds_write2_b64 v152, v[54:55], v[58:59] offset0:21 offset1:22
	;; [unrolled: 1-line block ×3, first 2 shown]
	ds_read_b64 v[140:141], v1
	s_waitcnt lgkmcnt(0)
	v_cmp_neq_f64_e32 vcc_lo, 0, v[140:141]
	s_and_b32 exec_lo, exec_lo, vcc_lo
	s_cbranch_execz .LBB49_94
; %bb.93:
	v_div_scale_f64 v[142:143], null, v[140:141], v[140:141], 1.0
	v_rcp_f64_e32 v[144:145], v[142:143]
	v_fma_f64 v[146:147], -v[142:143], v[144:145], 1.0
	v_fma_f64 v[144:145], v[144:145], v[146:147], v[144:145]
	v_fma_f64 v[146:147], -v[142:143], v[144:145], 1.0
	v_fma_f64 v[144:145], v[144:145], v[146:147], v[144:145]
	v_div_scale_f64 v[146:147], vcc_lo, 1.0, v[140:141], 1.0
	v_mul_f64 v[148:149], v[146:147], v[144:145]
	v_fma_f64 v[142:143], -v[142:143], v[148:149], v[146:147]
	v_div_fmas_f64 v[142:143], v[142:143], v[144:145], v[148:149]
	v_div_fixup_f64 v[140:141], v[142:143], v[140:141], 1.0
	ds_write_b64 v1, v[140:141]
.LBB49_94:
	s_or_b32 exec_lo, exec_lo, s1
	s_waitcnt lgkmcnt(0)
	s_barrier
	buffer_gl0_inv
	ds_read_b64 v[140:141], v1
	s_mov_b32 s1, exec_lo
	v_cmpx_lt_u32_e32 18, v0
	s_cbranch_execz .LBB49_96
; %bb.95:
	s_waitcnt lgkmcnt(0)
	v_mul_f64 v[76:77], v[140:141], v[76:77]
	ds_read2_b64 v[142:145], v152 offset0:19 offset1:20
	ds_read2_b64 v[146:149], v152 offset0:21 offset1:22
	;; [unrolled: 1-line block ×3, first 2 shown]
	s_waitcnt lgkmcnt(2)
	v_fma_f64 v[56:57], -v[76:77], v[142:143], v[56:57]
	v_fma_f64 v[60:61], -v[76:77], v[144:145], v[60:61]
	s_waitcnt lgkmcnt(1)
	v_fma_f64 v[54:55], -v[76:77], v[146:147], v[54:55]
	v_fma_f64 v[58:59], -v[76:77], v[148:149], v[58:59]
	s_waitcnt lgkmcnt(0)
	v_fma_f64 v[52:53], -v[76:77], v[153:154], v[52:53]
	v_fma_f64 v[94:95], -v[76:77], v[155:156], v[94:95]
.LBB49_96:
	s_or_b32 exec_lo, exec_lo, s1
	s_mov_b32 s1, exec_lo
	s_waitcnt lgkmcnt(0)
	s_barrier
	buffer_gl0_inv
	v_cmpx_eq_u32_e32 19, v0
	s_cbranch_execz .LBB49_99
; %bb.97:
	v_mov_b32_e32 v142, v60
	v_mov_b32_e32 v143, v61
	;; [unrolled: 1-line block ×8, first 2 shown]
	ds_write_b64 v1, v[56:57]
	ds_write2_b64 v152, v[142:143], v[144:145] offset0:20 offset1:21
	ds_write2_b64 v152, v[146:147], v[148:149] offset0:22 offset1:23
	ds_write_b64 v152, v[94:95] offset:192
	ds_read_b64 v[142:143], v1
	s_waitcnt lgkmcnt(0)
	v_cmp_neq_f64_e32 vcc_lo, 0, v[142:143]
	s_and_b32 exec_lo, exec_lo, vcc_lo
	s_cbranch_execz .LBB49_99
; %bb.98:
	v_div_scale_f64 v[144:145], null, v[142:143], v[142:143], 1.0
	v_rcp_f64_e32 v[146:147], v[144:145]
	v_fma_f64 v[148:149], -v[144:145], v[146:147], 1.0
	v_fma_f64 v[146:147], v[146:147], v[148:149], v[146:147]
	v_fma_f64 v[148:149], -v[144:145], v[146:147], 1.0
	v_fma_f64 v[146:147], v[146:147], v[148:149], v[146:147]
	v_div_scale_f64 v[148:149], vcc_lo, 1.0, v[142:143], 1.0
	v_mul_f64 v[150:151], v[148:149], v[146:147]
	v_fma_f64 v[144:145], -v[144:145], v[150:151], v[148:149]
	v_div_fmas_f64 v[144:145], v[144:145], v[146:147], v[150:151]
	v_div_fixup_f64 v[142:143], v[144:145], v[142:143], 1.0
	ds_write_b64 v1, v[142:143]
.LBB49_99:
	s_or_b32 exec_lo, exec_lo, s1
	s_waitcnt lgkmcnt(0)
	s_barrier
	buffer_gl0_inv
	ds_read_b64 v[142:143], v1
	s_mov_b32 s1, exec_lo
	v_cmpx_lt_u32_e32 19, v0
	s_cbranch_execz .LBB49_101
; %bb.100:
	s_waitcnt lgkmcnt(0)
	v_mul_f64 v[56:57], v[142:143], v[56:57]
	ds_read2_b64 v[144:147], v152 offset0:20 offset1:21
	ds_read2_b64 v[148:151], v152 offset0:22 offset1:23
	ds_read_b64 v[153:154], v152 offset:192
	s_waitcnt lgkmcnt(2)
	v_fma_f64 v[60:61], -v[56:57], v[144:145], v[60:61]
	v_fma_f64 v[54:55], -v[56:57], v[146:147], v[54:55]
	s_waitcnt lgkmcnt(1)
	v_fma_f64 v[58:59], -v[56:57], v[148:149], v[58:59]
	v_fma_f64 v[52:53], -v[56:57], v[150:151], v[52:53]
	s_waitcnt lgkmcnt(0)
	v_fma_f64 v[94:95], -v[56:57], v[153:154], v[94:95]
.LBB49_101:
	s_or_b32 exec_lo, exec_lo, s1
	s_mov_b32 s1, exec_lo
	s_waitcnt lgkmcnt(0)
	s_barrier
	buffer_gl0_inv
	v_cmpx_eq_u32_e32 20, v0
	s_cbranch_execz .LBB49_104
; %bb.102:
	ds_write_b64 v1, v[60:61]
	ds_write2_b64 v152, v[54:55], v[58:59] offset0:21 offset1:22
	ds_write2_b64 v152, v[52:53], v[94:95] offset0:23 offset1:24
	ds_read_b64 v[144:145], v1
	s_waitcnt lgkmcnt(0)
	v_cmp_neq_f64_e32 vcc_lo, 0, v[144:145]
	s_and_b32 exec_lo, exec_lo, vcc_lo
	s_cbranch_execz .LBB49_104
; %bb.103:
	v_div_scale_f64 v[146:147], null, v[144:145], v[144:145], 1.0
	v_rcp_f64_e32 v[148:149], v[146:147]
	v_fma_f64 v[150:151], -v[146:147], v[148:149], 1.0
	v_fma_f64 v[148:149], v[148:149], v[150:151], v[148:149]
	v_fma_f64 v[150:151], -v[146:147], v[148:149], 1.0
	v_fma_f64 v[148:149], v[148:149], v[150:151], v[148:149]
	v_div_scale_f64 v[150:151], vcc_lo, 1.0, v[144:145], 1.0
	v_mul_f64 v[153:154], v[150:151], v[148:149]
	v_fma_f64 v[146:147], -v[146:147], v[153:154], v[150:151]
	v_div_fmas_f64 v[146:147], v[146:147], v[148:149], v[153:154]
	v_div_fixup_f64 v[144:145], v[146:147], v[144:145], 1.0
	ds_write_b64 v1, v[144:145]
.LBB49_104:
	s_or_b32 exec_lo, exec_lo, s1
	s_waitcnt lgkmcnt(0)
	s_barrier
	buffer_gl0_inv
	ds_read_b64 v[144:145], v1
	s_mov_b32 s1, exec_lo
	v_cmpx_lt_u32_e32 20, v0
	s_cbranch_execz .LBB49_106
; %bb.105:
	s_waitcnt lgkmcnt(0)
	v_mul_f64 v[60:61], v[144:145], v[60:61]
	ds_read2_b64 v[146:149], v152 offset0:21 offset1:22
	ds_read2_b64 v[153:156], v152 offset0:23 offset1:24
	s_waitcnt lgkmcnt(1)
	v_fma_f64 v[54:55], -v[60:61], v[146:147], v[54:55]
	v_fma_f64 v[58:59], -v[60:61], v[148:149], v[58:59]
	s_waitcnt lgkmcnt(0)
	v_fma_f64 v[52:53], -v[60:61], v[153:154], v[52:53]
	v_fma_f64 v[94:95], -v[60:61], v[155:156], v[94:95]
.LBB49_106:
	s_or_b32 exec_lo, exec_lo, s1
	s_mov_b32 s1, exec_lo
	s_waitcnt lgkmcnt(0)
	s_barrier
	buffer_gl0_inv
	v_cmpx_eq_u32_e32 21, v0
	s_cbranch_execz .LBB49_109
; %bb.107:
	v_mov_b32_e32 v146, v58
	v_mov_b32_e32 v147, v59
	;; [unrolled: 1-line block ×4, first 2 shown]
	ds_write_b64 v1, v[54:55]
	ds_write2_b64 v152, v[146:147], v[148:149] offset0:22 offset1:23
	ds_write_b64 v152, v[94:95] offset:192
	ds_read_b64 v[146:147], v1
	s_waitcnt lgkmcnt(0)
	v_cmp_neq_f64_e32 vcc_lo, 0, v[146:147]
	s_and_b32 exec_lo, exec_lo, vcc_lo
	s_cbranch_execz .LBB49_109
; %bb.108:
	v_div_scale_f64 v[148:149], null, v[146:147], v[146:147], 1.0
	v_rcp_f64_e32 v[150:151], v[148:149]
	v_fma_f64 v[153:154], -v[148:149], v[150:151], 1.0
	v_fma_f64 v[150:151], v[150:151], v[153:154], v[150:151]
	v_fma_f64 v[153:154], -v[148:149], v[150:151], 1.0
	v_fma_f64 v[150:151], v[150:151], v[153:154], v[150:151]
	v_div_scale_f64 v[153:154], vcc_lo, 1.0, v[146:147], 1.0
	v_mul_f64 v[155:156], v[153:154], v[150:151]
	v_fma_f64 v[148:149], -v[148:149], v[155:156], v[153:154]
	v_div_fmas_f64 v[148:149], v[148:149], v[150:151], v[155:156]
	v_div_fixup_f64 v[146:147], v[148:149], v[146:147], 1.0
	ds_write_b64 v1, v[146:147]
.LBB49_109:
	s_or_b32 exec_lo, exec_lo, s1
	s_waitcnt lgkmcnt(0)
	s_barrier
	buffer_gl0_inv
	ds_read_b64 v[146:147], v1
	s_mov_b32 s1, exec_lo
	v_cmpx_lt_u32_e32 21, v0
	s_cbranch_execz .LBB49_111
; %bb.110:
	s_waitcnt lgkmcnt(0)
	v_mul_f64 v[54:55], v[146:147], v[54:55]
	ds_read2_b64 v[148:151], v152 offset0:22 offset1:23
	ds_read_b64 v[153:154], v152 offset:192
	s_waitcnt lgkmcnt(1)
	v_fma_f64 v[58:59], -v[54:55], v[148:149], v[58:59]
	v_fma_f64 v[52:53], -v[54:55], v[150:151], v[52:53]
	s_waitcnt lgkmcnt(0)
	v_fma_f64 v[94:95], -v[54:55], v[153:154], v[94:95]
.LBB49_111:
	s_or_b32 exec_lo, exec_lo, s1
	s_mov_b32 s1, exec_lo
	s_waitcnt lgkmcnt(0)
	s_barrier
	buffer_gl0_inv
	v_cmpx_eq_u32_e32 22, v0
	s_cbranch_execz .LBB49_114
; %bb.112:
	ds_write_b64 v1, v[58:59]
	ds_write2_b64 v152, v[52:53], v[94:95] offset0:23 offset1:24
	ds_read_b64 v[148:149], v1
	s_waitcnt lgkmcnt(0)
	v_cmp_neq_f64_e32 vcc_lo, 0, v[148:149]
	s_and_b32 exec_lo, exec_lo, vcc_lo
	s_cbranch_execz .LBB49_114
; %bb.113:
	v_div_scale_f64 v[150:151], null, v[148:149], v[148:149], 1.0
	v_rcp_f64_e32 v[153:154], v[150:151]
	v_fma_f64 v[155:156], -v[150:151], v[153:154], 1.0
	v_fma_f64 v[153:154], v[153:154], v[155:156], v[153:154]
	v_fma_f64 v[155:156], -v[150:151], v[153:154], 1.0
	v_fma_f64 v[153:154], v[153:154], v[155:156], v[153:154]
	v_div_scale_f64 v[155:156], vcc_lo, 1.0, v[148:149], 1.0
	v_mul_f64 v[157:158], v[155:156], v[153:154]
	v_fma_f64 v[150:151], -v[150:151], v[157:158], v[155:156]
	v_div_fmas_f64 v[150:151], v[150:151], v[153:154], v[157:158]
	v_div_fixup_f64 v[148:149], v[150:151], v[148:149], 1.0
	ds_write_b64 v1, v[148:149]
.LBB49_114:
	s_or_b32 exec_lo, exec_lo, s1
	s_waitcnt lgkmcnt(0)
	s_barrier
	buffer_gl0_inv
	ds_read_b64 v[148:149], v1
	s_mov_b32 s1, exec_lo
	v_cmpx_lt_u32_e32 22, v0
	s_cbranch_execz .LBB49_116
; %bb.115:
	s_waitcnt lgkmcnt(0)
	v_mul_f64 v[58:59], v[148:149], v[58:59]
	ds_read2_b64 v[153:156], v152 offset0:23 offset1:24
	s_waitcnt lgkmcnt(0)
	v_fma_f64 v[52:53], -v[58:59], v[153:154], v[52:53]
	v_fma_f64 v[94:95], -v[58:59], v[155:156], v[94:95]
.LBB49_116:
	s_or_b32 exec_lo, exec_lo, s1
	s_mov_b32 s1, exec_lo
	s_waitcnt lgkmcnt(0)
	s_barrier
	buffer_gl0_inv
	v_cmpx_eq_u32_e32 23, v0
	s_cbranch_execz .LBB49_119
; %bb.117:
	ds_write_b64 v1, v[52:53]
	ds_write_b64 v152, v[94:95] offset:192
	ds_read_b64 v[150:151], v1
	s_waitcnt lgkmcnt(0)
	v_cmp_neq_f64_e32 vcc_lo, 0, v[150:151]
	s_and_b32 exec_lo, exec_lo, vcc_lo
	s_cbranch_execz .LBB49_119
; %bb.118:
	v_div_scale_f64 v[153:154], null, v[150:151], v[150:151], 1.0
	v_rcp_f64_e32 v[155:156], v[153:154]
	v_fma_f64 v[157:158], -v[153:154], v[155:156], 1.0
	v_fma_f64 v[155:156], v[155:156], v[157:158], v[155:156]
	v_fma_f64 v[157:158], -v[153:154], v[155:156], 1.0
	v_fma_f64 v[155:156], v[155:156], v[157:158], v[155:156]
	v_div_scale_f64 v[157:158], vcc_lo, 1.0, v[150:151], 1.0
	v_mul_f64 v[159:160], v[157:158], v[155:156]
	v_fma_f64 v[153:154], -v[153:154], v[159:160], v[157:158]
	v_div_fmas_f64 v[153:154], v[153:154], v[155:156], v[159:160]
	v_div_fixup_f64 v[150:151], v[153:154], v[150:151], 1.0
	ds_write_b64 v1, v[150:151]
.LBB49_119:
	s_or_b32 exec_lo, exec_lo, s1
	s_waitcnt lgkmcnt(0)
	s_barrier
	buffer_gl0_inv
	ds_read_b64 v[150:151], v1
	s_mov_b32 s1, exec_lo
	v_cmpx_lt_u32_e32 23, v0
	s_cbranch_execz .LBB49_121
; %bb.120:
	s_waitcnt lgkmcnt(0)
	v_mul_f64 v[52:53], v[150:151], v[52:53]
	ds_read_b64 v[152:153], v152 offset:192
	s_waitcnt lgkmcnt(0)
	v_fma_f64 v[94:95], -v[52:53], v[152:153], v[94:95]
.LBB49_121:
	s_or_b32 exec_lo, exec_lo, s1
	s_mov_b32 s1, exec_lo
	s_waitcnt lgkmcnt(0)
	s_barrier
	buffer_gl0_inv
	v_cmpx_eq_u32_e32 24, v0
	s_cbranch_execz .LBB49_124
; %bb.122:
	v_cmp_neq_f64_e32 vcc_lo, 0, v[94:95]
	ds_write_b64 v1, v[94:95]
	s_and_b32 exec_lo, exec_lo, vcc_lo
	s_cbranch_execz .LBB49_124
; %bb.123:
	v_div_scale_f64 v[152:153], null, v[94:95], v[94:95], 1.0
	v_rcp_f64_e32 v[154:155], v[152:153]
	v_fma_f64 v[156:157], -v[152:153], v[154:155], 1.0
	v_fma_f64 v[154:155], v[154:155], v[156:157], v[154:155]
	v_fma_f64 v[156:157], -v[152:153], v[154:155], 1.0
	v_fma_f64 v[154:155], v[154:155], v[156:157], v[154:155]
	v_div_scale_f64 v[156:157], vcc_lo, 1.0, v[94:95], 1.0
	v_mul_f64 v[158:159], v[156:157], v[154:155]
	v_fma_f64 v[152:153], -v[152:153], v[158:159], v[156:157]
	v_div_fmas_f64 v[152:153], v[152:153], v[154:155], v[158:159]
	v_div_fixup_f64 v[152:153], v[152:153], v[94:95], 1.0
	ds_write_b64 v1, v[152:153]
.LBB49_124:
	s_or_b32 exec_lo, exec_lo, s1
	s_waitcnt lgkmcnt(0)
	s_barrier
	buffer_gl0_inv
	ds_read_b64 v[152:153], v1
	s_waitcnt lgkmcnt(0)
	s_barrier
	buffer_gl0_inv
	s_and_saveexec_b32 s3, s0
	s_cbranch_execz .LBB49_127
; %bb.125:
	s_load_dwordx2 s[0:1], s[4:5], 0x28
	v_lshlrev_b64 v[1:2], 2, v[2:3]
	v_cmp_eq_f64_e64 s2, 0, v[110:111]
	s_waitcnt lgkmcnt(0)
	v_add_co_u32 v1, vcc_lo, s0, v1
	v_add_co_ci_u32_e64 v2, null, s1, v2, vcc_lo
	v_cmp_eq_f64_e32 vcc_lo, 0, v[104:105]
	v_cmp_neq_f64_e64 s0, 0, v[106:107]
	v_cmp_eq_f64_e64 s1, 0, v[108:109]
	global_load_dword v154, v[1:2], off
	v_cndmask_b32_e64 v3, 0, 1, vcc_lo
	s_or_b32 vcc_lo, s0, vcc_lo
	v_cmp_eq_f64_e64 s0, 0, v[112:113]
	v_cndmask_b32_e32 v3, 2, v3, vcc_lo
	v_cmp_eq_u32_e32 vcc_lo, 0, v3
	s_and_b32 s1, s1, vcc_lo
	v_cndmask_b32_e64 v3, v3, 3, s1
	v_cmp_eq_f64_e64 s1, 0, v[114:115]
	v_cmp_eq_u32_e32 vcc_lo, 0, v3
	s_and_b32 s2, s2, vcc_lo
	v_cndmask_b32_e64 v3, v3, 4, s2
	v_cmp_eq_f64_e64 s2, 0, v[116:117]
	;; [unrolled: 4-line block ×20, first 2 shown]
	v_cmp_eq_u32_e32 vcc_lo, 0, v3
	s_and_b32 s0, s0, vcc_lo
	v_cndmask_b32_e64 v3, v3, 23, s0
	v_cmp_eq_u32_e32 vcc_lo, 0, v3
	s_and_b32 s0, s1, vcc_lo
	v_cndmask_b32_e64 v3, v3, 24, s0
	v_cmp_eq_u32_e32 vcc_lo, 0, v3
	s_and_b32 s0, s2, vcc_lo
	v_cndmask_b32_e64 v3, v3, 25, s0
	v_cmp_ne_u32_e64 s0, 0, v3
	s_waitcnt vmcnt(0)
	v_cmp_eq_u32_e32 vcc_lo, 0, v154
	s_and_b32 s0, vcc_lo, s0
	s_and_b32 exec_lo, exec_lo, s0
	s_cbranch_execz .LBB49_127
; %bb.126:
	v_add_nc_u32_e32 v3, s9, v3
	global_store_dword v[1:2], v3, off
.LBB49_127:
	s_or_b32 exec_lo, exec_lo, s3
	v_mul_f64 v[1:2], v[152:153], v[94:95]
	v_cmp_lt_u32_e32 vcc_lo, 24, v0
	flat_store_dwordx2 v[4:5], v[96:97]
	flat_store_dwordx2 v[92:93], v[100:101]
	flat_store_dwordx2 v[6:7], v[102:103]
	flat_store_dwordx2 v[8:9], v[98:99]
	flat_store_dwordx2 v[10:11], v[90:91]
	flat_store_dwordx2 v[12:13], v[74:75]
	flat_store_dwordx2 v[14:15], v[88:89]
	flat_store_dwordx2 v[16:17], v[72:73]
	flat_store_dwordx2 v[18:19], v[86:87]
	flat_store_dwordx2 v[20:21], v[70:71]
	flat_store_dwordx2 v[22:23], v[84:85]
	flat_store_dwordx2 v[24:25], v[68:69]
	flat_store_dwordx2 v[26:27], v[82:83]
	flat_store_dwordx2 v[28:29], v[66:67]
	flat_store_dwordx2 v[30:31], v[80:81]
	flat_store_dwordx2 v[32:33], v[64:65]
	flat_store_dwordx2 v[34:35], v[78:79]
	flat_store_dwordx2 v[36:37], v[62:63]
	flat_store_dwordx2 v[40:41], v[76:77]
	v_cndmask_b32_e32 v2, v95, v2, vcc_lo
	v_cndmask_b32_e32 v1, v94, v1, vcc_lo
	flat_store_dwordx2 v[38:39], v[56:57]
	flat_store_dwordx2 v[42:43], v[60:61]
	;; [unrolled: 1-line block ×6, first 2 shown]
.LBB49_128:
	s_endpgm
	.section	.rodata,"a",@progbits
	.p2align	6, 0x0
	.amdhsa_kernel _ZN9rocsolver6v33100L23getf2_npvt_small_kernelILi25EdiiPKPdEEvT1_T3_lS5_lPT2_S5_S5_
		.amdhsa_group_segment_fixed_size 0
		.amdhsa_private_segment_fixed_size 0
		.amdhsa_kernarg_size 312
		.amdhsa_user_sgpr_count 6
		.amdhsa_user_sgpr_private_segment_buffer 1
		.amdhsa_user_sgpr_dispatch_ptr 0
		.amdhsa_user_sgpr_queue_ptr 0
		.amdhsa_user_sgpr_kernarg_segment_ptr 1
		.amdhsa_user_sgpr_dispatch_id 0
		.amdhsa_user_sgpr_flat_scratch_init 0
		.amdhsa_user_sgpr_private_segment_size 0
		.amdhsa_wavefront_size32 1
		.amdhsa_uses_dynamic_stack 0
		.amdhsa_system_sgpr_private_segment_wavefront_offset 0
		.amdhsa_system_sgpr_workgroup_id_x 1
		.amdhsa_system_sgpr_workgroup_id_y 1
		.amdhsa_system_sgpr_workgroup_id_z 0
		.amdhsa_system_sgpr_workgroup_info 0
		.amdhsa_system_vgpr_workitem_id 1
		.amdhsa_next_free_vgpr 161
		.amdhsa_next_free_sgpr 11
		.amdhsa_reserve_vcc 1
		.amdhsa_reserve_flat_scratch 1
		.amdhsa_float_round_mode_32 0
		.amdhsa_float_round_mode_16_64 0
		.amdhsa_float_denorm_mode_32 3
		.amdhsa_float_denorm_mode_16_64 3
		.amdhsa_dx10_clamp 1
		.amdhsa_ieee_mode 1
		.amdhsa_fp16_overflow 0
		.amdhsa_workgroup_processor_mode 1
		.amdhsa_memory_ordered 1
		.amdhsa_forward_progress 1
		.amdhsa_shared_vgpr_count 0
		.amdhsa_exception_fp_ieee_invalid_op 0
		.amdhsa_exception_fp_denorm_src 0
		.amdhsa_exception_fp_ieee_div_zero 0
		.amdhsa_exception_fp_ieee_overflow 0
		.amdhsa_exception_fp_ieee_underflow 0
		.amdhsa_exception_fp_ieee_inexact 0
		.amdhsa_exception_int_div_zero 0
	.end_amdhsa_kernel
	.section	.text._ZN9rocsolver6v33100L23getf2_npvt_small_kernelILi25EdiiPKPdEEvT1_T3_lS5_lPT2_S5_S5_,"axG",@progbits,_ZN9rocsolver6v33100L23getf2_npvt_small_kernelILi25EdiiPKPdEEvT1_T3_lS5_lPT2_S5_S5_,comdat
.Lfunc_end49:
	.size	_ZN9rocsolver6v33100L23getf2_npvt_small_kernelILi25EdiiPKPdEEvT1_T3_lS5_lPT2_S5_S5_, .Lfunc_end49-_ZN9rocsolver6v33100L23getf2_npvt_small_kernelILi25EdiiPKPdEEvT1_T3_lS5_lPT2_S5_S5_
                                        ; -- End function
	.set _ZN9rocsolver6v33100L23getf2_npvt_small_kernelILi25EdiiPKPdEEvT1_T3_lS5_lPT2_S5_S5_.num_vgpr, 161
	.set _ZN9rocsolver6v33100L23getf2_npvt_small_kernelILi25EdiiPKPdEEvT1_T3_lS5_lPT2_S5_S5_.num_agpr, 0
	.set _ZN9rocsolver6v33100L23getf2_npvt_small_kernelILi25EdiiPKPdEEvT1_T3_lS5_lPT2_S5_S5_.numbered_sgpr, 11
	.set _ZN9rocsolver6v33100L23getf2_npvt_small_kernelILi25EdiiPKPdEEvT1_T3_lS5_lPT2_S5_S5_.num_named_barrier, 0
	.set _ZN9rocsolver6v33100L23getf2_npvt_small_kernelILi25EdiiPKPdEEvT1_T3_lS5_lPT2_S5_S5_.private_seg_size, 0
	.set _ZN9rocsolver6v33100L23getf2_npvt_small_kernelILi25EdiiPKPdEEvT1_T3_lS5_lPT2_S5_S5_.uses_vcc, 1
	.set _ZN9rocsolver6v33100L23getf2_npvt_small_kernelILi25EdiiPKPdEEvT1_T3_lS5_lPT2_S5_S5_.uses_flat_scratch, 1
	.set _ZN9rocsolver6v33100L23getf2_npvt_small_kernelILi25EdiiPKPdEEvT1_T3_lS5_lPT2_S5_S5_.has_dyn_sized_stack, 0
	.set _ZN9rocsolver6v33100L23getf2_npvt_small_kernelILi25EdiiPKPdEEvT1_T3_lS5_lPT2_S5_S5_.has_recursion, 0
	.set _ZN9rocsolver6v33100L23getf2_npvt_small_kernelILi25EdiiPKPdEEvT1_T3_lS5_lPT2_S5_S5_.has_indirect_call, 0
	.section	.AMDGPU.csdata,"",@progbits
; Kernel info:
; codeLenInByte = 13812
; TotalNumSgprs: 13
; NumVgprs: 161
; ScratchSize: 0
; MemoryBound: 0
; FloatMode: 240
; IeeeMode: 1
; LDSByteSize: 0 bytes/workgroup (compile time only)
; SGPRBlocks: 0
; VGPRBlocks: 20
; NumSGPRsForWavesPerEU: 13
; NumVGPRsForWavesPerEU: 161
; Occupancy: 5
; WaveLimiterHint : 1
; COMPUTE_PGM_RSRC2:SCRATCH_EN: 0
; COMPUTE_PGM_RSRC2:USER_SGPR: 6
; COMPUTE_PGM_RSRC2:TRAP_HANDLER: 0
; COMPUTE_PGM_RSRC2:TGID_X_EN: 1
; COMPUTE_PGM_RSRC2:TGID_Y_EN: 1
; COMPUTE_PGM_RSRC2:TGID_Z_EN: 0
; COMPUTE_PGM_RSRC2:TIDIG_COMP_CNT: 1
	.section	.text._ZN9rocsolver6v33100L18getf2_small_kernelILi26EdiiPKPdEEvT1_T3_lS5_lPS5_llPT2_S5_S5_S7_l,"axG",@progbits,_ZN9rocsolver6v33100L18getf2_small_kernelILi26EdiiPKPdEEvT1_T3_lS5_lPS5_llPT2_S5_S5_S7_l,comdat
	.globl	_ZN9rocsolver6v33100L18getf2_small_kernelILi26EdiiPKPdEEvT1_T3_lS5_lPS5_llPT2_S5_S5_S7_l ; -- Begin function _ZN9rocsolver6v33100L18getf2_small_kernelILi26EdiiPKPdEEvT1_T3_lS5_lPS5_llPT2_S5_S5_S7_l
	.p2align	8
	.type	_ZN9rocsolver6v33100L18getf2_small_kernelILi26EdiiPKPdEEvT1_T3_lS5_lPS5_llPT2_S5_S5_S7_l,@function
_ZN9rocsolver6v33100L18getf2_small_kernelILi26EdiiPKPdEEvT1_T3_lS5_lPS5_llPT2_S5_S5_S7_l: ; @_ZN9rocsolver6v33100L18getf2_small_kernelILi26EdiiPKPdEEvT1_T3_lS5_lPS5_llPT2_S5_S5_S7_l
; %bb.0:
	s_clause 0x1
	s_load_dword s0, s[4:5], 0x6c
	s_load_dwordx2 s[12:13], s[4:5], 0x48
	s_waitcnt lgkmcnt(0)
	s_lshr_b32 s0, s0, 16
	v_mad_u64_u32 v[2:3], null, s7, s0, v[1:2]
	s_mov_b32 s0, exec_lo
	v_cmpx_gt_i32_e64 s12, v2
	s_cbranch_execz .LBB50_439
; %bb.1:
	s_clause 0x1
	s_load_dwordx4 s[0:3], s[4:5], 0x8
	s_load_dwordx4 s[8:11], s[4:5], 0x50
	v_ashrrev_i32_e32 v3, 31, v2
	v_lshlrev_b64 v[4:5], 3, v[2:3]
	s_waitcnt lgkmcnt(0)
	v_add_co_u32 v4, vcc_lo, s0, v4
	v_add_co_ci_u32_e64 v5, null, s1, v5, vcc_lo
	s_cmp_eq_u64 s[8:9], 0
	s_cselect_b32 s6, -1, 0
	global_load_dwordx2 v[6:7], v[4:5], off
	v_mov_b32_e32 v4, 0
	v_mov_b32_e32 v5, 0
	s_and_b32 vcc_lo, exec_lo, s6
	s_cbranch_vccnz .LBB50_3
; %bb.2:
	v_mul_lo_u32 v8, s11, v2
	v_mul_lo_u32 v9, s10, v3
	v_mad_u64_u32 v[4:5], null, s10, v2, 0
	v_add3_u32 v5, v5, v9, v8
	v_lshlrev_b64 v[4:5], 2, v[4:5]
	v_add_co_u32 v4, vcc_lo, s8, v4
	v_add_co_ci_u32_e64 v5, null, s9, v5, vcc_lo
.LBB50_3:
	s_load_dword s8, s[4:5], 0x18
	s_lshl_b64 s[0:1], s[2:3], 3
	s_load_dword s2, s[4:5], 0x0
	s_waitcnt vmcnt(0)
	v_add_co_u32 v62, vcc_lo, v6, s0
	v_lshlrev_b32_e32 v58, 3, v0
	v_add_co_ci_u32_e64 v63, null, s1, v7, vcc_lo
	v_add_co_u32 v10, vcc_lo, v62, v58
	v_add_co_ci_u32_e64 v11, null, 0, v63, vcc_lo
	s_waitcnt lgkmcnt(0)
	v_add3_u32 v8, s8, s8, v0
	s_ashr_i32 s9, s8, 31
	s_max_i32 s0, s2, 26
	s_lshl_b64 s[10:11], s[8:9], 3
	v_mul_lo_u32 v1, s0, v1
	v_add_nc_u32_e32 v6, s8, v8
	v_ashrrev_i32_e32 v9, 31, v8
	v_add_co_u32 v14, vcc_lo, v10, s10
	v_add_co_ci_u32_e64 v15, null, s11, v11, vcc_lo
	v_add_nc_u32_e32 v12, s8, v6
	v_ashrrev_i32_e32 v7, 31, v6
	v_lshlrev_b64 v[8:9], 3, v[8:9]
	v_lshl_add_u32 v64, v1, 3, 0
	v_lshlrev_b32_e32 v65, 3, v1
	v_add_nc_u32_e32 v16, s8, v12
	v_lshlrev_b64 v[6:7], 3, v[6:7]
	v_ashrrev_i32_e32 v13, 31, v12
	v_add_co_u32 v8, vcc_lo, v62, v8
	v_add_nc_u32_e32 v18, s8, v16
	v_ashrrev_i32_e32 v17, 31, v16
	v_add_co_ci_u32_e64 v9, null, v63, v9, vcc_lo
	v_add_co_u32 v6, vcc_lo, v62, v6
	v_add_nc_u32_e32 v20, s8, v18
	v_lshlrev_b64 v[12:13], 3, v[12:13]
	v_add_co_ci_u32_e64 v7, null, v63, v7, vcc_lo
	v_ashrrev_i32_e32 v19, 31, v18
	v_lshlrev_b64 v[16:17], 3, v[16:17]
	s_clause 0x3
	flat_load_dwordx2 v[54:55], v[10:11]
	flat_load_dwordx2 v[52:53], v[14:15]
	;; [unrolled: 1-line block ×4, first 2 shown]
	v_ashrrev_i32_e32 v21, 31, v20
	v_add_nc_u32_e32 v10, s8, v20
	v_add_co_u32 v6, vcc_lo, v62, v12
	v_lshlrev_b64 v[8:9], 3, v[18:19]
	v_add_co_ci_u32_e64 v7, null, v63, v13, vcc_lo
	v_add_co_u32 v12, vcc_lo, v62, v16
	v_lshlrev_b64 v[14:15], 3, v[20:21]
	v_add_nc_u32_e32 v16, s8, v10
	v_add_co_ci_u32_e64 v13, null, v63, v17, vcc_lo
	v_add_co_u32 v8, vcc_lo, v62, v8
	v_add_nc_u32_e32 v18, s8, v16
	v_add_co_ci_u32_e64 v9, null, v63, v9, vcc_lo
	v_add_co_u32 v14, vcc_lo, v62, v14
	v_add_co_ci_u32_e64 v15, null, v63, v15, vcc_lo
	s_clause 0x3
	flat_load_dwordx2 v[46:47], v[6:7]
	flat_load_dwordx2 v[44:45], v[12:13]
	;; [unrolled: 1-line block ×4, first 2 shown]
	v_add_nc_u32_e32 v8, s8, v18
	v_ashrrev_i32_e32 v11, 31, v10
	v_ashrrev_i32_e32 v17, 31, v16
	;; [unrolled: 1-line block ×3, first 2 shown]
	v_add_nc_u32_e32 v58, v64, v58
	v_ashrrev_i32_e32 v9, 31, v8
	v_lshlrev_b64 v[10:11], 3, v[10:11]
	v_lshlrev_b64 v[6:7], 3, v[16:17]
	;; [unrolled: 1-line block ×3, first 2 shown]
	s_cmp_lt_i32 s2, 2
	v_lshlrev_b64 v[14:15], 3, v[8:9]
	v_add_nc_u32_e32 v8, s8, v8
	v_add_co_u32 v10, vcc_lo, v62, v10
	v_add_co_ci_u32_e64 v11, null, v63, v11, vcc_lo
	v_add_nc_u32_e32 v16, s8, v8
	v_add_co_u32 v6, vcc_lo, v62, v6
	v_add_co_ci_u32_e64 v7, null, v63, v7, vcc_lo
	v_add_co_u32 v12, vcc_lo, v62, v12
	v_add_nc_u32_e32 v18, s8, v16
	v_add_co_ci_u32_e64 v13, null, v63, v13, vcc_lo
	v_add_co_u32 v14, vcc_lo, v62, v14
	v_add_co_ci_u32_e64 v15, null, v63, v15, vcc_lo
	s_clause 0x3
	flat_load_dwordx2 v[42:43], v[10:11]
	flat_load_dwordx2 v[34:35], v[6:7]
	;; [unrolled: 1-line block ×4, first 2 shown]
	v_add_nc_u32_e32 v10, s8, v18
	v_ashrrev_i32_e32 v9, 31, v8
	v_ashrrev_i32_e32 v17, 31, v16
	;; [unrolled: 1-line block ×4, first 2 shown]
	v_lshlrev_b64 v[8:9], 3, v[8:9]
	v_lshlrev_b64 v[6:7], 3, v[16:17]
	;; [unrolled: 1-line block ×4, first 2 shown]
	v_add_nc_u32_e32 v10, s8, v10
	v_add_co_u32 v8, vcc_lo, v62, v8
	v_add_co_ci_u32_e64 v9, null, v63, v9, vcc_lo
	v_add_nc_u32_e32 v16, s8, v10
	v_add_co_u32 v6, vcc_lo, v62, v6
	v_add_co_ci_u32_e64 v7, null, v63, v7, vcc_lo
	v_add_co_u32 v12, vcc_lo, v62, v12
	v_add_nc_u32_e32 v18, s8, v16
	v_add_co_ci_u32_e64 v13, null, v63, v13, vcc_lo
	v_add_co_u32 v14, vcc_lo, v62, v14
	v_add_co_ci_u32_e64 v15, null, v63, v15, vcc_lo
	s_clause 0x3
	flat_load_dwordx2 v[32:33], v[8:9]
	flat_load_dwordx2 v[30:31], v[6:7]
	;; [unrolled: 1-line block ×4, first 2 shown]
	v_add_nc_u32_e32 v8, s8, v18
	v_ashrrev_i32_e32 v11, 31, v10
	v_ashrrev_i32_e32 v17, 31, v16
	;; [unrolled: 1-line block ×4, first 2 shown]
	v_lshlrev_b64 v[10:11], 3, v[10:11]
	v_lshlrev_b64 v[6:7], 3, v[16:17]
	;; [unrolled: 1-line block ×4, first 2 shown]
	v_add_nc_u32_e32 v8, s8, v8
	v_add_co_u32 v10, vcc_lo, v62, v10
	v_add_co_ci_u32_e64 v11, null, v63, v11, vcc_lo
	v_add_nc_u32_e32 v16, s8, v8
	v_add_co_u32 v6, vcc_lo, v62, v6
	v_add_co_ci_u32_e64 v7, null, v63, v7, vcc_lo
	v_add_co_u32 v12, vcc_lo, v62, v12
	v_add_nc_u32_e32 v56, s8, v16
	v_add_co_ci_u32_e64 v13, null, v63, v13, vcc_lo
	v_add_co_u32 v14, vcc_lo, v62, v14
	v_add_co_ci_u32_e64 v15, null, v63, v15, vcc_lo
	v_ashrrev_i32_e32 v17, 31, v16
	s_clause 0x3
	flat_load_dwordx2 v[22:23], v[10:11]
	flat_load_dwordx2 v[18:19], v[6:7]
	;; [unrolled: 1-line block ×4, first 2 shown]
	v_add_nc_u32_e32 v10, s8, v56
	v_ashrrev_i32_e32 v9, 31, v8
	v_ashrrev_i32_e32 v57, 31, v56
	v_lshlrev_b64 v[6:7], 3, v[16:17]
	v_add_nc_u32_e32 v16, s8, v10
	v_lshlrev_b64 v[8:9], 3, v[8:9]
	v_lshlrev_b64 v[12:13], 3, v[56:57]
	v_ashrrev_i32_e32 v11, 31, v10
	v_add_nc_u32_e32 v56, s8, v16
	v_ashrrev_i32_e32 v17, 31, v16
	v_add_co_u32 v8, vcc_lo, v62, v8
	v_lshlrev_b64 v[10:11], 3, v[10:11]
	v_ashrrev_i32_e32 v57, 31, v56
	v_add_co_ci_u32_e64 v9, null, v63, v9, vcc_lo
	v_add_co_u32 v6, vcc_lo, v62, v6
	v_lshlrev_b64 v[16:17], 3, v[16:17]
	v_add_co_ci_u32_e64 v7, null, v63, v7, vcc_lo
	v_add_co_u32 v12, vcc_lo, v62, v12
	v_lshlrev_b64 v[56:57], 3, v[56:57]
	v_add_co_ci_u32_e64 v13, null, v63, v13, vcc_lo
	v_add_co_u32 v10, vcc_lo, v62, v10
	v_add_co_ci_u32_e64 v11, null, v63, v11, vcc_lo
	v_add_co_u32 v59, vcc_lo, v62, v16
	;; [unrolled: 2-line block ×3, first 2 shown]
	v_add_co_ci_u32_e64 v57, null, v63, v57, vcc_lo
	s_clause 0x5
	flat_load_dwordx2 v[16:17], v[8:9]
	flat_load_dwordx2 v[8:9], v[6:7]
	;; [unrolled: 1-line block ×6, first 2 shown]
	v_mov_b32_e32 v60, 0
	s_waitcnt vmcnt(25) lgkmcnt(25)
	ds_write_b64 v58, v[54:55]
	s_waitcnt vmcnt(0) lgkmcnt(0)
	s_barrier
	buffer_gl0_inv
	ds_read_b64 v[58:59], v64
	s_cbranch_scc1 .LBB50_6
; %bb.4:
	v_add3_u32 v1, v65, 0, 8
	v_mov_b32_e32 v60, 0
	s_mov_b32 s0, 1
.LBB50_5:                               ; =>This Inner Loop Header: Depth=1
	ds_read_b64 v[66:67], v1
	v_add_nc_u32_e32 v1, 8, v1
	s_waitcnt lgkmcnt(0)
	v_cmp_lt_f64_e64 vcc_lo, |v[58:59]|, |v[66:67]|
	v_cndmask_b32_e32 v59, v59, v67, vcc_lo
	v_cndmask_b32_e32 v58, v58, v66, vcc_lo
	v_cndmask_b32_e64 v60, v60, s0, vcc_lo
	s_add_i32 s0, s0, 1
	s_cmp_eq_u32 s2, s0
	s_cbranch_scc0 .LBB50_5
.LBB50_6:
	s_mov_b32 s0, exec_lo
                                        ; implicit-def: $vgpr67
	v_cmpx_ne_u32_e64 v0, v60
	s_xor_b32 s0, exec_lo, s0
	s_cbranch_execz .LBB50_12
; %bb.7:
	s_mov_b32 s1, exec_lo
	v_cmpx_eq_u32_e32 0, v0
	s_cbranch_execz .LBB50_11
; %bb.8:
	v_cmp_ne_u32_e32 vcc_lo, 0, v60
	s_xor_b32 s3, s6, -1
	s_and_b32 s7, s3, vcc_lo
	s_and_saveexec_b32 s3, s7
	s_cbranch_execz .LBB50_10
; %bb.9:
	v_ashrrev_i32_e32 v61, 31, v60
	v_lshlrev_b64 v[0:1], 2, v[60:61]
	v_add_co_u32 v0, vcc_lo, v4, v0
	v_add_co_ci_u32_e64 v1, null, v5, v1, vcc_lo
	s_clause 0x1
	global_load_dword v61, v[0:1], off
	global_load_dword v66, v[4:5], off
	s_waitcnt vmcnt(1)
	global_store_dword v[4:5], v61, off
	s_waitcnt vmcnt(0)
	global_store_dword v[0:1], v66, off
.LBB50_10:
	s_or_b32 exec_lo, exec_lo, s3
	v_mov_b32_e32 v0, v60
.LBB50_11:
	s_or_b32 exec_lo, exec_lo, s1
	v_mov_b32_e32 v67, v0
                                        ; implicit-def: $vgpr0
.LBB50_12:
	s_or_saveexec_b32 s0, s0
	v_mov_b32_e32 v61, v67
	s_xor_b32 exec_lo, exec_lo, s0
	s_cbranch_execz .LBB50_14
; %bb.13:
	v_mov_b32_e32 v67, 0
	v_mov_b32_e32 v61, v0
	ds_write2_b64 v64, v[52:53], v[50:51] offset0:1 offset1:2
	ds_write2_b64 v64, v[48:49], v[46:47] offset0:3 offset1:4
	;; [unrolled: 1-line block ×12, first 2 shown]
	ds_write_b64 v64, v[56:57] offset:200
.LBB50_14:
	s_or_b32 exec_lo, exec_lo, s0
	s_waitcnt lgkmcnt(0)
	v_cmp_eq_f64_e64 s0, 0, v[58:59]
	s_mov_b32 s1, exec_lo
	s_waitcnt_vscnt null, 0x0
	s_barrier
	buffer_gl0_inv
	v_cmpx_lt_i32_e32 0, v67
	s_cbranch_execz .LBB50_16
; %bb.15:
	v_div_scale_f64 v[0:1], null, v[58:59], v[58:59], 1.0
	v_div_scale_f64 v[72:73], vcc_lo, 1.0, v[58:59], 1.0
	v_rcp_f64_e32 v[68:69], v[0:1]
	v_fma_f64 v[70:71], -v[0:1], v[68:69], 1.0
	v_fma_f64 v[68:69], v[68:69], v[70:71], v[68:69]
	v_fma_f64 v[70:71], -v[0:1], v[68:69], 1.0
	v_fma_f64 v[68:69], v[68:69], v[70:71], v[68:69]
	v_mul_f64 v[70:71], v[72:73], v[68:69]
	v_fma_f64 v[0:1], -v[0:1], v[70:71], v[72:73]
	v_div_fmas_f64 v[0:1], v[0:1], v[68:69], v[70:71]
	v_div_fixup_f64 v[0:1], v[0:1], v[58:59], 1.0
	v_cndmask_b32_e64 v1, v1, v59, s0
	v_cndmask_b32_e64 v0, v0, v58, s0
	v_mul_f64 v[54:55], v[0:1], v[54:55]
	ds_read2_b64 v[68:71], v64 offset0:1 offset1:2
	ds_read2_b64 v[72:75], v64 offset0:3 offset1:4
	;; [unrolled: 1-line block ×12, first 2 shown]
	ds_read_b64 v[0:1], v64 offset:200
	s_waitcnt lgkmcnt(12)
	v_fma_f64 v[52:53], -v[54:55], v[68:69], v[52:53]
	v_fma_f64 v[50:51], -v[54:55], v[70:71], v[50:51]
	s_waitcnt lgkmcnt(11)
	v_fma_f64 v[48:49], -v[54:55], v[72:73], v[48:49]
	v_fma_f64 v[46:47], -v[54:55], v[74:75], v[46:47]
	;; [unrolled: 3-line block ×12, first 2 shown]
	s_waitcnt lgkmcnt(0)
	v_fma_f64 v[56:57], -v[54:55], v[0:1], v[56:57]
.LBB50_16:
	s_or_b32 exec_lo, exec_lo, s1
	v_lshl_add_u32 v0, v67, 3, v64
	s_barrier
	buffer_gl0_inv
	v_mov_b32_e32 v58, 1
	ds_write_b64 v0, v[52:53]
	s_waitcnt lgkmcnt(0)
	s_barrier
	buffer_gl0_inv
	ds_read_b64 v[0:1], v64 offset:8
	s_cmp_lt_i32 s2, 3
	s_cbranch_scc1 .LBB50_19
; %bb.17:
	v_add3_u32 v59, v65, 0, 16
	v_mov_b32_e32 v58, 1
	s_mov_b32 s1, 2
.LBB50_18:                              ; =>This Inner Loop Header: Depth=1
	ds_read_b64 v[68:69], v59
	v_add_nc_u32_e32 v59, 8, v59
	s_waitcnt lgkmcnt(0)
	v_cmp_lt_f64_e64 vcc_lo, |v[0:1]|, |v[68:69]|
	v_cndmask_b32_e32 v1, v1, v69, vcc_lo
	v_cndmask_b32_e32 v0, v0, v68, vcc_lo
	v_cndmask_b32_e64 v58, v58, s1, vcc_lo
	s_add_i32 s1, s1, 1
	s_cmp_lg_u32 s2, s1
	s_cbranch_scc1 .LBB50_18
.LBB50_19:
	s_mov_b32 s1, exec_lo
	v_cmpx_ne_u32_e64 v67, v58
	s_xor_b32 s1, exec_lo, s1
	s_cbranch_execz .LBB50_25
; %bb.20:
	s_mov_b32 s3, exec_lo
	v_cmpx_eq_u32_e32 1, v67
	s_cbranch_execz .LBB50_24
; %bb.21:
	v_cmp_ne_u32_e32 vcc_lo, 1, v58
	s_xor_b32 s7, s6, -1
	s_and_b32 s9, s7, vcc_lo
	s_and_saveexec_b32 s7, s9
	s_cbranch_execz .LBB50_23
; %bb.22:
	v_ashrrev_i32_e32 v59, 31, v58
	v_lshlrev_b64 v[59:60], 2, v[58:59]
	v_add_co_u32 v59, vcc_lo, v4, v59
	v_add_co_ci_u32_e64 v60, null, v5, v60, vcc_lo
	s_clause 0x1
	global_load_dword v61, v[59:60], off
	global_load_dword v66, v[4:5], off offset:4
	s_waitcnt vmcnt(1)
	global_store_dword v[4:5], v61, off offset:4
	s_waitcnt vmcnt(0)
	global_store_dword v[59:60], v66, off
.LBB50_23:
	s_or_b32 exec_lo, exec_lo, s7
	v_mov_b32_e32 v61, v58
	v_mov_b32_e32 v67, v58
.LBB50_24:
	s_or_b32 exec_lo, exec_lo, s3
.LBB50_25:
	s_andn2_saveexec_b32 s1, s1
	s_cbranch_execz .LBB50_27
; %bb.26:
	v_mov_b32_e32 v58, v50
	v_mov_b32_e32 v59, v51
	;; [unrolled: 1-line block ×12, first 2 shown]
	ds_write2_b64 v64, v[58:59], v[66:67] offset0:2 offset1:3
	ds_write2_b64 v64, v[68:69], v[70:71] offset0:4 offset1:5
	ds_write2_b64 v64, v[72:73], v[74:75] offset0:6 offset1:7
	v_mov_b32_e32 v58, v42
	v_mov_b32_e32 v59, v43
	;; [unrolled: 1-line block ×20, first 2 shown]
	ds_write2_b64 v64, v[58:59], v[66:67] offset0:8 offset1:9
	ds_write2_b64 v64, v[68:69], v[70:71] offset0:10 offset1:11
	;; [unrolled: 1-line block ×5, first 2 shown]
	v_mov_b32_e32 v58, v20
	v_mov_b32_e32 v59, v21
	;; [unrolled: 1-line block ×15, first 2 shown]
	ds_write2_b64 v64, v[58:59], v[68:69] offset0:18 offset1:19
	ds_write2_b64 v64, v[70:71], v[72:73] offset0:20 offset1:21
	;; [unrolled: 1-line block ×4, first 2 shown]
.LBB50_27:
	s_or_b32 exec_lo, exec_lo, s1
	s_waitcnt lgkmcnt(0)
	v_cmp_neq_f64_e64 s1, 0, v[0:1]
	s_mov_b32 s3, exec_lo
	s_waitcnt_vscnt null, 0x0
	s_barrier
	buffer_gl0_inv
	v_cmpx_lt_i32_e32 1, v67
	s_cbranch_execz .LBB50_29
; %bb.28:
	v_div_scale_f64 v[58:59], null, v[0:1], v[0:1], 1.0
	v_div_scale_f64 v[72:73], vcc_lo, 1.0, v[0:1], 1.0
	v_rcp_f64_e32 v[68:69], v[58:59]
	v_fma_f64 v[70:71], -v[58:59], v[68:69], 1.0
	v_fma_f64 v[68:69], v[68:69], v[70:71], v[68:69]
	v_fma_f64 v[70:71], -v[58:59], v[68:69], 1.0
	v_fma_f64 v[68:69], v[68:69], v[70:71], v[68:69]
	v_mul_f64 v[70:71], v[72:73], v[68:69]
	v_fma_f64 v[58:59], -v[58:59], v[70:71], v[72:73]
	v_div_fmas_f64 v[58:59], v[58:59], v[68:69], v[70:71]
	ds_read2_b64 v[68:71], v64 offset0:2 offset1:3
	ds_read2_b64 v[72:75], v64 offset0:4 offset1:5
	ds_read2_b64 v[76:79], v64 offset0:6 offset1:7
	ds_read2_b64 v[80:83], v64 offset0:8 offset1:9
	ds_read2_b64 v[84:87], v64 offset0:10 offset1:11
	ds_read2_b64 v[88:91], v64 offset0:12 offset1:13
	ds_read2_b64 v[92:95], v64 offset0:14 offset1:15
	ds_read2_b64 v[96:99], v64 offset0:16 offset1:17
	ds_read2_b64 v[100:103], v64 offset0:18 offset1:19
	ds_read2_b64 v[104:107], v64 offset0:20 offset1:21
	ds_read2_b64 v[108:111], v64 offset0:22 offset1:23
	ds_read2_b64 v[112:115], v64 offset0:24 offset1:25
	v_div_fixup_f64 v[58:59], v[58:59], v[0:1], 1.0
	v_cndmask_b32_e64 v1, v1, v59, s1
	v_cndmask_b32_e64 v0, v0, v58, s1
	v_mul_f64 v[52:53], v[0:1], v[52:53]
	s_waitcnt lgkmcnt(11)
	v_fma_f64 v[50:51], -v[52:53], v[68:69], v[50:51]
	v_fma_f64 v[48:49], -v[52:53], v[70:71], v[48:49]
	s_waitcnt lgkmcnt(10)
	v_fma_f64 v[46:47], -v[52:53], v[72:73], v[46:47]
	v_fma_f64 v[44:45], -v[52:53], v[74:75], v[44:45]
	;; [unrolled: 3-line block ×12, first 2 shown]
.LBB50_29:
	s_or_b32 exec_lo, exec_lo, s3
	v_lshl_add_u32 v0, v67, 3, v64
	s_barrier
	buffer_gl0_inv
	v_mov_b32_e32 v58, 2
	ds_write_b64 v0, v[50:51]
	s_waitcnt lgkmcnt(0)
	s_barrier
	buffer_gl0_inv
	ds_read_b64 v[0:1], v64 offset:16
	s_cmp_lt_i32 s2, 4
	s_mov_b32 s3, 3
	s_cbranch_scc1 .LBB50_32
; %bb.30:
	v_add3_u32 v59, v65, 0, 24
	v_mov_b32_e32 v58, 2
.LBB50_31:                              ; =>This Inner Loop Header: Depth=1
	ds_read_b64 v[68:69], v59
	v_add_nc_u32_e32 v59, 8, v59
	s_waitcnt lgkmcnt(0)
	v_cmp_lt_f64_e64 vcc_lo, |v[0:1]|, |v[68:69]|
	v_cndmask_b32_e32 v1, v1, v69, vcc_lo
	v_cndmask_b32_e32 v0, v0, v68, vcc_lo
	v_cndmask_b32_e64 v58, v58, s3, vcc_lo
	s_add_i32 s3, s3, 1
	s_cmp_lg_u32 s2, s3
	s_cbranch_scc1 .LBB50_31
.LBB50_32:
	v_cndmask_b32_e64 v59, 2, 1, s0
	v_cndmask_b32_e64 v60, 0, 1, s0
	s_mov_b32 s0, exec_lo
	v_cndmask_b32_e64 v66, v59, v60, s1
	s_waitcnt lgkmcnt(0)
	v_cmpx_eq_f64_e32 0, v[0:1]
	s_xor_b32 s0, exec_lo, s0
; %bb.33:
	v_cmp_ne_u32_e32 vcc_lo, 0, v66
	v_cndmask_b32_e32 v66, 3, v66, vcc_lo
; %bb.34:
	s_andn2_saveexec_b32 s0, s0
	s_cbranch_execz .LBB50_36
; %bb.35:
	v_div_scale_f64 v[59:60], null, v[0:1], v[0:1], 1.0
	v_rcp_f64_e32 v[68:69], v[59:60]
	v_fma_f64 v[70:71], -v[59:60], v[68:69], 1.0
	v_fma_f64 v[68:69], v[68:69], v[70:71], v[68:69]
	v_fma_f64 v[70:71], -v[59:60], v[68:69], 1.0
	v_fma_f64 v[68:69], v[68:69], v[70:71], v[68:69]
	v_div_scale_f64 v[70:71], vcc_lo, 1.0, v[0:1], 1.0
	v_mul_f64 v[72:73], v[70:71], v[68:69]
	v_fma_f64 v[59:60], -v[59:60], v[72:73], v[70:71]
	v_div_fmas_f64 v[59:60], v[59:60], v[68:69], v[72:73]
	v_div_fixup_f64 v[0:1], v[59:60], v[0:1], 1.0
.LBB50_36:
	s_or_b32 exec_lo, exec_lo, s0
	s_mov_b32 s0, exec_lo
	v_cmpx_ne_u32_e64 v67, v58
	s_xor_b32 s0, exec_lo, s0
	s_cbranch_execz .LBB50_42
; %bb.37:
	s_mov_b32 s1, exec_lo
	v_cmpx_eq_u32_e32 2, v67
	s_cbranch_execz .LBB50_41
; %bb.38:
	v_cmp_ne_u32_e32 vcc_lo, 2, v58
	s_xor_b32 s3, s6, -1
	s_and_b32 s7, s3, vcc_lo
	s_and_saveexec_b32 s3, s7
	s_cbranch_execz .LBB50_40
; %bb.39:
	v_ashrrev_i32_e32 v59, 31, v58
	v_lshlrev_b64 v[59:60], 2, v[58:59]
	v_add_co_u32 v59, vcc_lo, v4, v59
	v_add_co_ci_u32_e64 v60, null, v5, v60, vcc_lo
	s_clause 0x1
	global_load_dword v61, v[59:60], off
	global_load_dword v67, v[4:5], off offset:8
	s_waitcnt vmcnt(1)
	global_store_dword v[4:5], v61, off offset:8
	s_waitcnt vmcnt(0)
	global_store_dword v[59:60], v67, off
.LBB50_40:
	s_or_b32 exec_lo, exec_lo, s3
	v_mov_b32_e32 v61, v58
	v_mov_b32_e32 v67, v58
.LBB50_41:
	s_or_b32 exec_lo, exec_lo, s1
.LBB50_42:
	s_andn2_saveexec_b32 s0, s0
	s_cbranch_execz .LBB50_44
; %bb.43:
	v_mov_b32_e32 v67, 2
	ds_write2_b64 v64, v[48:49], v[46:47] offset0:3 offset1:4
	ds_write2_b64 v64, v[44:45], v[40:41] offset0:5 offset1:6
	;; [unrolled: 1-line block ×11, first 2 shown]
	ds_write_b64 v64, v[56:57] offset:200
.LBB50_44:
	s_or_b32 exec_lo, exec_lo, s0
	s_mov_b32 s0, exec_lo
	s_waitcnt lgkmcnt(0)
	s_waitcnt_vscnt null, 0x0
	s_barrier
	buffer_gl0_inv
	v_cmpx_lt_i32_e32 2, v67
	s_cbranch_execz .LBB50_46
; %bb.45:
	v_mul_f64 v[50:51], v[0:1], v[50:51]
	ds_read2_b64 v[68:71], v64 offset0:3 offset1:4
	ds_read2_b64 v[72:75], v64 offset0:5 offset1:6
	ds_read2_b64 v[76:79], v64 offset0:7 offset1:8
	ds_read2_b64 v[80:83], v64 offset0:9 offset1:10
	ds_read2_b64 v[84:87], v64 offset0:11 offset1:12
	ds_read2_b64 v[88:91], v64 offset0:13 offset1:14
	ds_read2_b64 v[92:95], v64 offset0:15 offset1:16
	ds_read2_b64 v[96:99], v64 offset0:17 offset1:18
	ds_read2_b64 v[100:103], v64 offset0:19 offset1:20
	ds_read2_b64 v[104:107], v64 offset0:21 offset1:22
	ds_read2_b64 v[108:111], v64 offset0:23 offset1:24
	ds_read_b64 v[0:1], v64 offset:200
	s_waitcnt lgkmcnt(11)
	v_fma_f64 v[48:49], -v[50:51], v[68:69], v[48:49]
	v_fma_f64 v[46:47], -v[50:51], v[70:71], v[46:47]
	s_waitcnt lgkmcnt(10)
	v_fma_f64 v[44:45], -v[50:51], v[72:73], v[44:45]
	v_fma_f64 v[40:41], -v[50:51], v[74:75], v[40:41]
	;; [unrolled: 3-line block ×11, first 2 shown]
	s_waitcnt lgkmcnt(0)
	v_fma_f64 v[56:57], -v[50:51], v[0:1], v[56:57]
.LBB50_46:
	s_or_b32 exec_lo, exec_lo, s0
	v_lshl_add_u32 v0, v67, 3, v64
	s_barrier
	buffer_gl0_inv
	v_mov_b32_e32 v58, 3
	ds_write_b64 v0, v[48:49]
	s_waitcnt lgkmcnt(0)
	s_barrier
	buffer_gl0_inv
	ds_read_b64 v[0:1], v64 offset:24
	s_cmp_lt_i32 s2, 5
	s_cbranch_scc1 .LBB50_49
; %bb.47:
	v_mov_b32_e32 v58, 3
	v_add3_u32 v59, v65, 0, 32
	s_mov_b32 s0, 4
.LBB50_48:                              ; =>This Inner Loop Header: Depth=1
	ds_read_b64 v[68:69], v59
	v_add_nc_u32_e32 v59, 8, v59
	s_waitcnt lgkmcnt(0)
	v_cmp_lt_f64_e64 vcc_lo, |v[0:1]|, |v[68:69]|
	v_cndmask_b32_e32 v1, v1, v69, vcc_lo
	v_cndmask_b32_e32 v0, v0, v68, vcc_lo
	v_cndmask_b32_e64 v58, v58, s0, vcc_lo
	s_add_i32 s0, s0, 1
	s_cmp_lg_u32 s2, s0
	s_cbranch_scc1 .LBB50_48
.LBB50_49:
	s_mov_b32 s0, exec_lo
	s_waitcnt lgkmcnt(0)
	v_cmpx_eq_f64_e32 0, v[0:1]
	s_xor_b32 s0, exec_lo, s0
; %bb.50:
	v_cmp_ne_u32_e32 vcc_lo, 0, v66
	v_cndmask_b32_e32 v66, 4, v66, vcc_lo
; %bb.51:
	s_andn2_saveexec_b32 s0, s0
	s_cbranch_execz .LBB50_53
; %bb.52:
	v_div_scale_f64 v[59:60], null, v[0:1], v[0:1], 1.0
	v_rcp_f64_e32 v[68:69], v[59:60]
	v_fma_f64 v[70:71], -v[59:60], v[68:69], 1.0
	v_fma_f64 v[68:69], v[68:69], v[70:71], v[68:69]
	v_fma_f64 v[70:71], -v[59:60], v[68:69], 1.0
	v_fma_f64 v[68:69], v[68:69], v[70:71], v[68:69]
	v_div_scale_f64 v[70:71], vcc_lo, 1.0, v[0:1], 1.0
	v_mul_f64 v[72:73], v[70:71], v[68:69]
	v_fma_f64 v[59:60], -v[59:60], v[72:73], v[70:71]
	v_div_fmas_f64 v[59:60], v[59:60], v[68:69], v[72:73]
	v_div_fixup_f64 v[0:1], v[59:60], v[0:1], 1.0
.LBB50_53:
	s_or_b32 exec_lo, exec_lo, s0
	s_mov_b32 s0, exec_lo
	v_cmpx_ne_u32_e64 v67, v58
	s_xor_b32 s0, exec_lo, s0
	s_cbranch_execz .LBB50_59
; %bb.54:
	s_mov_b32 s1, exec_lo
	v_cmpx_eq_u32_e32 3, v67
	s_cbranch_execz .LBB50_58
; %bb.55:
	v_cmp_ne_u32_e32 vcc_lo, 3, v58
	s_xor_b32 s3, s6, -1
	s_and_b32 s7, s3, vcc_lo
	s_and_saveexec_b32 s3, s7
	s_cbranch_execz .LBB50_57
; %bb.56:
	v_ashrrev_i32_e32 v59, 31, v58
	v_lshlrev_b64 v[59:60], 2, v[58:59]
	v_add_co_u32 v59, vcc_lo, v4, v59
	v_add_co_ci_u32_e64 v60, null, v5, v60, vcc_lo
	s_clause 0x1
	global_load_dword v61, v[59:60], off
	global_load_dword v67, v[4:5], off offset:12
	s_waitcnt vmcnt(1)
	global_store_dword v[4:5], v61, off offset:12
	s_waitcnt vmcnt(0)
	global_store_dword v[59:60], v67, off
.LBB50_57:
	s_or_b32 exec_lo, exec_lo, s3
	v_mov_b32_e32 v61, v58
	v_mov_b32_e32 v67, v58
.LBB50_58:
	s_or_b32 exec_lo, exec_lo, s1
.LBB50_59:
	s_andn2_saveexec_b32 s0, s0
	s_cbranch_execz .LBB50_61
; %bb.60:
	v_mov_b32_e32 v58, v46
	v_mov_b32_e32 v59, v47
	;; [unrolled: 1-line block ×8, first 2 shown]
	ds_write2_b64 v64, v[58:59], v[67:68] offset0:4 offset1:5
	ds_write2_b64 v64, v[69:70], v[71:72] offset0:6 offset1:7
	v_mov_b32_e32 v58, v42
	v_mov_b32_e32 v59, v43
	;; [unrolled: 1-line block ×20, first 2 shown]
	ds_write2_b64 v64, v[58:59], v[67:68] offset0:8 offset1:9
	ds_write2_b64 v64, v[69:70], v[71:72] offset0:10 offset1:11
	;; [unrolled: 1-line block ×5, first 2 shown]
	v_mov_b32_e32 v58, v20
	v_mov_b32_e32 v59, v21
	;; [unrolled: 1-line block ×15, first 2 shown]
	ds_write2_b64 v64, v[58:59], v[68:69] offset0:18 offset1:19
	ds_write2_b64 v64, v[70:71], v[72:73] offset0:20 offset1:21
	;; [unrolled: 1-line block ×4, first 2 shown]
.LBB50_61:
	s_or_b32 exec_lo, exec_lo, s0
	s_mov_b32 s0, exec_lo
	s_waitcnt lgkmcnt(0)
	s_waitcnt_vscnt null, 0x0
	s_barrier
	buffer_gl0_inv
	v_cmpx_lt_i32_e32 3, v67
	s_cbranch_execz .LBB50_63
; %bb.62:
	v_mul_f64 v[48:49], v[0:1], v[48:49]
	ds_read2_b64 v[68:71], v64 offset0:4 offset1:5
	ds_read2_b64 v[72:75], v64 offset0:6 offset1:7
	;; [unrolled: 1-line block ×11, first 2 shown]
	s_waitcnt lgkmcnt(10)
	v_fma_f64 v[46:47], -v[48:49], v[68:69], v[46:47]
	v_fma_f64 v[44:45], -v[48:49], v[70:71], v[44:45]
	s_waitcnt lgkmcnt(9)
	v_fma_f64 v[40:41], -v[48:49], v[72:73], v[40:41]
	v_fma_f64 v[38:39], -v[48:49], v[74:75], v[38:39]
	;; [unrolled: 3-line block ×11, first 2 shown]
.LBB50_63:
	s_or_b32 exec_lo, exec_lo, s0
	v_lshl_add_u32 v0, v67, 3, v64
	s_barrier
	buffer_gl0_inv
	v_mov_b32_e32 v58, 4
	ds_write_b64 v0, v[46:47]
	s_waitcnt lgkmcnt(0)
	s_barrier
	buffer_gl0_inv
	ds_read_b64 v[0:1], v64 offset:32
	s_cmp_lt_i32 s2, 6
	s_cbranch_scc1 .LBB50_66
; %bb.64:
	v_add3_u32 v59, v65, 0, 40
	v_mov_b32_e32 v58, 4
	s_mov_b32 s0, 5
.LBB50_65:                              ; =>This Inner Loop Header: Depth=1
	ds_read_b64 v[68:69], v59
	v_add_nc_u32_e32 v59, 8, v59
	s_waitcnt lgkmcnt(0)
	v_cmp_lt_f64_e64 vcc_lo, |v[0:1]|, |v[68:69]|
	v_cndmask_b32_e32 v1, v1, v69, vcc_lo
	v_cndmask_b32_e32 v0, v0, v68, vcc_lo
	v_cndmask_b32_e64 v58, v58, s0, vcc_lo
	s_add_i32 s0, s0, 1
	s_cmp_lg_u32 s2, s0
	s_cbranch_scc1 .LBB50_65
.LBB50_66:
	s_mov_b32 s0, exec_lo
	s_waitcnt lgkmcnt(0)
	v_cmpx_eq_f64_e32 0, v[0:1]
	s_xor_b32 s0, exec_lo, s0
; %bb.67:
	v_cmp_ne_u32_e32 vcc_lo, 0, v66
	v_cndmask_b32_e32 v66, 5, v66, vcc_lo
; %bb.68:
	s_andn2_saveexec_b32 s0, s0
	s_cbranch_execz .LBB50_70
; %bb.69:
	v_div_scale_f64 v[59:60], null, v[0:1], v[0:1], 1.0
	v_rcp_f64_e32 v[68:69], v[59:60]
	v_fma_f64 v[70:71], -v[59:60], v[68:69], 1.0
	v_fma_f64 v[68:69], v[68:69], v[70:71], v[68:69]
	v_fma_f64 v[70:71], -v[59:60], v[68:69], 1.0
	v_fma_f64 v[68:69], v[68:69], v[70:71], v[68:69]
	v_div_scale_f64 v[70:71], vcc_lo, 1.0, v[0:1], 1.0
	v_mul_f64 v[72:73], v[70:71], v[68:69]
	v_fma_f64 v[59:60], -v[59:60], v[72:73], v[70:71]
	v_div_fmas_f64 v[59:60], v[59:60], v[68:69], v[72:73]
	v_div_fixup_f64 v[0:1], v[59:60], v[0:1], 1.0
.LBB50_70:
	s_or_b32 exec_lo, exec_lo, s0
	s_mov_b32 s0, exec_lo
	v_cmpx_ne_u32_e64 v67, v58
	s_xor_b32 s0, exec_lo, s0
	s_cbranch_execz .LBB50_76
; %bb.71:
	s_mov_b32 s1, exec_lo
	v_cmpx_eq_u32_e32 4, v67
	s_cbranch_execz .LBB50_75
; %bb.72:
	v_cmp_ne_u32_e32 vcc_lo, 4, v58
	s_xor_b32 s3, s6, -1
	s_and_b32 s7, s3, vcc_lo
	s_and_saveexec_b32 s3, s7
	s_cbranch_execz .LBB50_74
; %bb.73:
	v_ashrrev_i32_e32 v59, 31, v58
	v_lshlrev_b64 v[59:60], 2, v[58:59]
	v_add_co_u32 v59, vcc_lo, v4, v59
	v_add_co_ci_u32_e64 v60, null, v5, v60, vcc_lo
	s_clause 0x1
	global_load_dword v61, v[59:60], off
	global_load_dword v67, v[4:5], off offset:16
	s_waitcnt vmcnt(1)
	global_store_dword v[4:5], v61, off offset:16
	s_waitcnt vmcnt(0)
	global_store_dword v[59:60], v67, off
.LBB50_74:
	s_or_b32 exec_lo, exec_lo, s3
	v_mov_b32_e32 v61, v58
	v_mov_b32_e32 v67, v58
.LBB50_75:
	s_or_b32 exec_lo, exec_lo, s1
.LBB50_76:
	s_andn2_saveexec_b32 s0, s0
	s_cbranch_execz .LBB50_78
; %bb.77:
	v_mov_b32_e32 v67, 4
	ds_write2_b64 v64, v[44:45], v[40:41] offset0:5 offset1:6
	ds_write2_b64 v64, v[38:39], v[42:43] offset0:7 offset1:8
	;; [unrolled: 1-line block ×10, first 2 shown]
	ds_write_b64 v64, v[56:57] offset:200
.LBB50_78:
	s_or_b32 exec_lo, exec_lo, s0
	s_mov_b32 s0, exec_lo
	s_waitcnt lgkmcnt(0)
	s_waitcnt_vscnt null, 0x0
	s_barrier
	buffer_gl0_inv
	v_cmpx_lt_i32_e32 4, v67
	s_cbranch_execz .LBB50_80
; %bb.79:
	v_mul_f64 v[46:47], v[0:1], v[46:47]
	ds_read2_b64 v[68:71], v64 offset0:5 offset1:6
	ds_read2_b64 v[72:75], v64 offset0:7 offset1:8
	ds_read2_b64 v[76:79], v64 offset0:9 offset1:10
	ds_read2_b64 v[80:83], v64 offset0:11 offset1:12
	ds_read2_b64 v[84:87], v64 offset0:13 offset1:14
	ds_read2_b64 v[88:91], v64 offset0:15 offset1:16
	ds_read2_b64 v[92:95], v64 offset0:17 offset1:18
	ds_read2_b64 v[96:99], v64 offset0:19 offset1:20
	ds_read2_b64 v[100:103], v64 offset0:21 offset1:22
	ds_read2_b64 v[104:107], v64 offset0:23 offset1:24
	ds_read_b64 v[0:1], v64 offset:200
	s_waitcnt lgkmcnt(10)
	v_fma_f64 v[44:45], -v[46:47], v[68:69], v[44:45]
	v_fma_f64 v[40:41], -v[46:47], v[70:71], v[40:41]
	s_waitcnt lgkmcnt(9)
	v_fma_f64 v[38:39], -v[46:47], v[72:73], v[38:39]
	v_fma_f64 v[42:43], -v[46:47], v[74:75], v[42:43]
	s_waitcnt lgkmcnt(8)
	v_fma_f64 v[34:35], -v[46:47], v[76:77], v[34:35]
	v_fma_f64 v[36:37], -v[46:47], v[78:79], v[36:37]
	s_waitcnt lgkmcnt(7)
	v_fma_f64 v[28:29], -v[46:47], v[80:81], v[28:29]
	v_fma_f64 v[32:33], -v[46:47], v[82:83], v[32:33]
	s_waitcnt lgkmcnt(6)
	v_fma_f64 v[30:31], -v[46:47], v[84:85], v[30:31]
	v_fma_f64 v[26:27], -v[46:47], v[86:87], v[26:27]
	s_waitcnt lgkmcnt(5)
	v_fma_f64 v[24:25], -v[46:47], v[88:89], v[24:25]
	v_fma_f64 v[22:23], -v[46:47], v[90:91], v[22:23]
	s_waitcnt lgkmcnt(4)
	v_fma_f64 v[18:19], -v[46:47], v[92:93], v[18:19]
	v_fma_f64 v[20:21], -v[46:47], v[94:95], v[20:21]
	s_waitcnt lgkmcnt(3)
	v_fma_f64 v[14:15], -v[46:47], v[96:97], v[14:15]
	v_fma_f64 v[16:17], -v[46:47], v[98:99], v[16:17]
	s_waitcnt lgkmcnt(2)
	v_fma_f64 v[8:9], -v[46:47], v[100:101], v[8:9]
	v_fma_f64 v[12:13], -v[46:47], v[102:103], v[12:13]
	s_waitcnt lgkmcnt(1)
	v_fma_f64 v[6:7], -v[46:47], v[104:105], v[6:7]
	v_fma_f64 v[10:11], -v[46:47], v[106:107], v[10:11]
	s_waitcnt lgkmcnt(0)
	v_fma_f64 v[56:57], -v[46:47], v[0:1], v[56:57]
.LBB50_80:
	s_or_b32 exec_lo, exec_lo, s0
	v_lshl_add_u32 v0, v67, 3, v64
	s_barrier
	buffer_gl0_inv
	v_mov_b32_e32 v58, 5
	ds_write_b64 v0, v[44:45]
	s_waitcnt lgkmcnt(0)
	s_barrier
	buffer_gl0_inv
	ds_read_b64 v[0:1], v64 offset:40
	s_cmp_lt_i32 s2, 7
	s_cbranch_scc1 .LBB50_83
; %bb.81:
	v_add3_u32 v59, v65, 0, 48
	v_mov_b32_e32 v58, 5
	s_mov_b32 s0, 6
.LBB50_82:                              ; =>This Inner Loop Header: Depth=1
	ds_read_b64 v[68:69], v59
	v_add_nc_u32_e32 v59, 8, v59
	s_waitcnt lgkmcnt(0)
	v_cmp_lt_f64_e64 vcc_lo, |v[0:1]|, |v[68:69]|
	v_cndmask_b32_e32 v1, v1, v69, vcc_lo
	v_cndmask_b32_e32 v0, v0, v68, vcc_lo
	v_cndmask_b32_e64 v58, v58, s0, vcc_lo
	s_add_i32 s0, s0, 1
	s_cmp_lg_u32 s2, s0
	s_cbranch_scc1 .LBB50_82
.LBB50_83:
	s_mov_b32 s0, exec_lo
	s_waitcnt lgkmcnt(0)
	v_cmpx_eq_f64_e32 0, v[0:1]
	s_xor_b32 s0, exec_lo, s0
; %bb.84:
	v_cmp_ne_u32_e32 vcc_lo, 0, v66
	v_cndmask_b32_e32 v66, 6, v66, vcc_lo
; %bb.85:
	s_andn2_saveexec_b32 s0, s0
	s_cbranch_execz .LBB50_87
; %bb.86:
	v_div_scale_f64 v[59:60], null, v[0:1], v[0:1], 1.0
	v_rcp_f64_e32 v[68:69], v[59:60]
	v_fma_f64 v[70:71], -v[59:60], v[68:69], 1.0
	v_fma_f64 v[68:69], v[68:69], v[70:71], v[68:69]
	v_fma_f64 v[70:71], -v[59:60], v[68:69], 1.0
	v_fma_f64 v[68:69], v[68:69], v[70:71], v[68:69]
	v_div_scale_f64 v[70:71], vcc_lo, 1.0, v[0:1], 1.0
	v_mul_f64 v[72:73], v[70:71], v[68:69]
	v_fma_f64 v[59:60], -v[59:60], v[72:73], v[70:71]
	v_div_fmas_f64 v[59:60], v[59:60], v[68:69], v[72:73]
	v_div_fixup_f64 v[0:1], v[59:60], v[0:1], 1.0
.LBB50_87:
	s_or_b32 exec_lo, exec_lo, s0
	s_mov_b32 s0, exec_lo
	v_cmpx_ne_u32_e64 v67, v58
	s_xor_b32 s0, exec_lo, s0
	s_cbranch_execz .LBB50_93
; %bb.88:
	s_mov_b32 s1, exec_lo
	v_cmpx_eq_u32_e32 5, v67
	s_cbranch_execz .LBB50_92
; %bb.89:
	v_cmp_ne_u32_e32 vcc_lo, 5, v58
	s_xor_b32 s3, s6, -1
	s_and_b32 s7, s3, vcc_lo
	s_and_saveexec_b32 s3, s7
	s_cbranch_execz .LBB50_91
; %bb.90:
	v_ashrrev_i32_e32 v59, 31, v58
	v_lshlrev_b64 v[59:60], 2, v[58:59]
	v_add_co_u32 v59, vcc_lo, v4, v59
	v_add_co_ci_u32_e64 v60, null, v5, v60, vcc_lo
	s_clause 0x1
	global_load_dword v61, v[59:60], off
	global_load_dword v67, v[4:5], off offset:20
	s_waitcnt vmcnt(1)
	global_store_dword v[4:5], v61, off offset:20
	s_waitcnt vmcnt(0)
	global_store_dword v[59:60], v67, off
.LBB50_91:
	s_or_b32 exec_lo, exec_lo, s3
	v_mov_b32_e32 v61, v58
	v_mov_b32_e32 v67, v58
.LBB50_92:
	s_or_b32 exec_lo, exec_lo, s1
.LBB50_93:
	s_andn2_saveexec_b32 s0, s0
	s_cbranch_execz .LBB50_95
; %bb.94:
	v_mov_b32_e32 v58, v40
	v_mov_b32_e32 v59, v41
	v_mov_b32_e32 v67, v38
	v_mov_b32_e32 v68, v39
	v_mov_b32_e32 v69, v42
	v_mov_b32_e32 v70, v43
	v_mov_b32_e32 v71, v28
	v_mov_b32_e32 v72, v29
	ds_write2_b64 v64, v[58:59], v[67:68] offset0:6 offset1:7
	v_mov_b32_e32 v58, v34
	v_mov_b32_e32 v59, v35
	;; [unrolled: 1-line block ×16, first 2 shown]
	ds_write2_b64 v64, v[69:70], v[58:59] offset0:8 offset1:9
	ds_write2_b64 v64, v[67:68], v[71:72] offset0:10 offset1:11
	;; [unrolled: 1-line block ×5, first 2 shown]
	v_mov_b32_e32 v58, v20
	v_mov_b32_e32 v59, v21
	v_mov_b32_e32 v68, v14
	v_mov_b32_e32 v69, v15
	v_mov_b32_e32 v67, 5
	v_mov_b32_e32 v70, v16
	v_mov_b32_e32 v71, v17
	v_mov_b32_e32 v72, v8
	v_mov_b32_e32 v73, v9
	v_mov_b32_e32 v74, v12
	v_mov_b32_e32 v75, v13
	v_mov_b32_e32 v76, v6
	v_mov_b32_e32 v77, v7
	v_mov_b32_e32 v78, v10
	v_mov_b32_e32 v79, v11
	ds_write2_b64 v64, v[58:59], v[68:69] offset0:18 offset1:19
	ds_write2_b64 v64, v[70:71], v[72:73] offset0:20 offset1:21
	;; [unrolled: 1-line block ×4, first 2 shown]
.LBB50_95:
	s_or_b32 exec_lo, exec_lo, s0
	s_mov_b32 s0, exec_lo
	s_waitcnt lgkmcnt(0)
	s_waitcnt_vscnt null, 0x0
	s_barrier
	buffer_gl0_inv
	v_cmpx_lt_i32_e32 5, v67
	s_cbranch_execz .LBB50_97
; %bb.96:
	v_mul_f64 v[44:45], v[0:1], v[44:45]
	ds_read2_b64 v[68:71], v64 offset0:6 offset1:7
	ds_read2_b64 v[72:75], v64 offset0:8 offset1:9
	;; [unrolled: 1-line block ×10, first 2 shown]
	s_waitcnt lgkmcnt(9)
	v_fma_f64 v[40:41], -v[44:45], v[68:69], v[40:41]
	v_fma_f64 v[38:39], -v[44:45], v[70:71], v[38:39]
	s_waitcnt lgkmcnt(8)
	v_fma_f64 v[42:43], -v[44:45], v[72:73], v[42:43]
	v_fma_f64 v[34:35], -v[44:45], v[74:75], v[34:35]
	;; [unrolled: 3-line block ×10, first 2 shown]
.LBB50_97:
	s_or_b32 exec_lo, exec_lo, s0
	v_lshl_add_u32 v0, v67, 3, v64
	s_barrier
	buffer_gl0_inv
	v_mov_b32_e32 v58, 6
	ds_write_b64 v0, v[40:41]
	s_waitcnt lgkmcnt(0)
	s_barrier
	buffer_gl0_inv
	ds_read_b64 v[0:1], v64 offset:48
	s_cmp_lt_i32 s2, 8
	s_cbranch_scc1 .LBB50_100
; %bb.98:
	v_add3_u32 v59, v65, 0, 56
	v_mov_b32_e32 v58, 6
	s_mov_b32 s0, 7
.LBB50_99:                              ; =>This Inner Loop Header: Depth=1
	ds_read_b64 v[68:69], v59
	v_add_nc_u32_e32 v59, 8, v59
	s_waitcnt lgkmcnt(0)
	v_cmp_lt_f64_e64 vcc_lo, |v[0:1]|, |v[68:69]|
	v_cndmask_b32_e32 v1, v1, v69, vcc_lo
	v_cndmask_b32_e32 v0, v0, v68, vcc_lo
	v_cndmask_b32_e64 v58, v58, s0, vcc_lo
	s_add_i32 s0, s0, 1
	s_cmp_lg_u32 s2, s0
	s_cbranch_scc1 .LBB50_99
.LBB50_100:
	s_mov_b32 s0, exec_lo
	s_waitcnt lgkmcnt(0)
	v_cmpx_eq_f64_e32 0, v[0:1]
	s_xor_b32 s0, exec_lo, s0
; %bb.101:
	v_cmp_ne_u32_e32 vcc_lo, 0, v66
	v_cndmask_b32_e32 v66, 7, v66, vcc_lo
; %bb.102:
	s_andn2_saveexec_b32 s0, s0
	s_cbranch_execz .LBB50_104
; %bb.103:
	v_div_scale_f64 v[59:60], null, v[0:1], v[0:1], 1.0
	v_rcp_f64_e32 v[68:69], v[59:60]
	v_fma_f64 v[70:71], -v[59:60], v[68:69], 1.0
	v_fma_f64 v[68:69], v[68:69], v[70:71], v[68:69]
	v_fma_f64 v[70:71], -v[59:60], v[68:69], 1.0
	v_fma_f64 v[68:69], v[68:69], v[70:71], v[68:69]
	v_div_scale_f64 v[70:71], vcc_lo, 1.0, v[0:1], 1.0
	v_mul_f64 v[72:73], v[70:71], v[68:69]
	v_fma_f64 v[59:60], -v[59:60], v[72:73], v[70:71]
	v_div_fmas_f64 v[59:60], v[59:60], v[68:69], v[72:73]
	v_div_fixup_f64 v[0:1], v[59:60], v[0:1], 1.0
.LBB50_104:
	s_or_b32 exec_lo, exec_lo, s0
	s_mov_b32 s0, exec_lo
	v_cmpx_ne_u32_e64 v67, v58
	s_xor_b32 s0, exec_lo, s0
	s_cbranch_execz .LBB50_110
; %bb.105:
	s_mov_b32 s1, exec_lo
	v_cmpx_eq_u32_e32 6, v67
	s_cbranch_execz .LBB50_109
; %bb.106:
	v_cmp_ne_u32_e32 vcc_lo, 6, v58
	s_xor_b32 s3, s6, -1
	s_and_b32 s7, s3, vcc_lo
	s_and_saveexec_b32 s3, s7
	s_cbranch_execz .LBB50_108
; %bb.107:
	v_ashrrev_i32_e32 v59, 31, v58
	v_lshlrev_b64 v[59:60], 2, v[58:59]
	v_add_co_u32 v59, vcc_lo, v4, v59
	v_add_co_ci_u32_e64 v60, null, v5, v60, vcc_lo
	s_clause 0x1
	global_load_dword v61, v[59:60], off
	global_load_dword v67, v[4:5], off offset:24
	s_waitcnt vmcnt(1)
	global_store_dword v[4:5], v61, off offset:24
	s_waitcnt vmcnt(0)
	global_store_dword v[59:60], v67, off
.LBB50_108:
	s_or_b32 exec_lo, exec_lo, s3
	v_mov_b32_e32 v61, v58
	v_mov_b32_e32 v67, v58
.LBB50_109:
	s_or_b32 exec_lo, exec_lo, s1
.LBB50_110:
	s_andn2_saveexec_b32 s0, s0
	s_cbranch_execz .LBB50_112
; %bb.111:
	v_mov_b32_e32 v67, 6
	ds_write2_b64 v64, v[38:39], v[42:43] offset0:7 offset1:8
	ds_write2_b64 v64, v[34:35], v[36:37] offset0:9 offset1:10
	;; [unrolled: 1-line block ×9, first 2 shown]
	ds_write_b64 v64, v[56:57] offset:200
.LBB50_112:
	s_or_b32 exec_lo, exec_lo, s0
	s_mov_b32 s0, exec_lo
	s_waitcnt lgkmcnt(0)
	s_waitcnt_vscnt null, 0x0
	s_barrier
	buffer_gl0_inv
	v_cmpx_lt_i32_e32 6, v67
	s_cbranch_execz .LBB50_114
; %bb.113:
	v_mul_f64 v[40:41], v[0:1], v[40:41]
	ds_read2_b64 v[68:71], v64 offset0:7 offset1:8
	ds_read2_b64 v[72:75], v64 offset0:9 offset1:10
	;; [unrolled: 1-line block ×9, first 2 shown]
	ds_read_b64 v[0:1], v64 offset:200
	s_waitcnt lgkmcnt(9)
	v_fma_f64 v[38:39], -v[40:41], v[68:69], v[38:39]
	v_fma_f64 v[42:43], -v[40:41], v[70:71], v[42:43]
	s_waitcnt lgkmcnt(8)
	v_fma_f64 v[34:35], -v[40:41], v[72:73], v[34:35]
	v_fma_f64 v[36:37], -v[40:41], v[74:75], v[36:37]
	;; [unrolled: 3-line block ×9, first 2 shown]
	s_waitcnt lgkmcnt(0)
	v_fma_f64 v[56:57], -v[40:41], v[0:1], v[56:57]
.LBB50_114:
	s_or_b32 exec_lo, exec_lo, s0
	v_lshl_add_u32 v0, v67, 3, v64
	s_barrier
	buffer_gl0_inv
	v_mov_b32_e32 v58, 7
	ds_write_b64 v0, v[38:39]
	s_waitcnt lgkmcnt(0)
	s_barrier
	buffer_gl0_inv
	ds_read_b64 v[0:1], v64 offset:56
	s_cmp_lt_i32 s2, 9
	s_cbranch_scc1 .LBB50_117
; %bb.115:
	v_add3_u32 v59, v65, 0, 64
	v_mov_b32_e32 v58, 7
	s_mov_b32 s0, 8
.LBB50_116:                             ; =>This Inner Loop Header: Depth=1
	ds_read_b64 v[68:69], v59
	v_add_nc_u32_e32 v59, 8, v59
	s_waitcnt lgkmcnt(0)
	v_cmp_lt_f64_e64 vcc_lo, |v[0:1]|, |v[68:69]|
	v_cndmask_b32_e32 v1, v1, v69, vcc_lo
	v_cndmask_b32_e32 v0, v0, v68, vcc_lo
	v_cndmask_b32_e64 v58, v58, s0, vcc_lo
	s_add_i32 s0, s0, 1
	s_cmp_lg_u32 s2, s0
	s_cbranch_scc1 .LBB50_116
.LBB50_117:
	s_mov_b32 s0, exec_lo
	s_waitcnt lgkmcnt(0)
	v_cmpx_eq_f64_e32 0, v[0:1]
	s_xor_b32 s0, exec_lo, s0
; %bb.118:
	v_cmp_ne_u32_e32 vcc_lo, 0, v66
	v_cndmask_b32_e32 v66, 8, v66, vcc_lo
; %bb.119:
	s_andn2_saveexec_b32 s0, s0
	s_cbranch_execz .LBB50_121
; %bb.120:
	v_div_scale_f64 v[59:60], null, v[0:1], v[0:1], 1.0
	v_rcp_f64_e32 v[68:69], v[59:60]
	v_fma_f64 v[70:71], -v[59:60], v[68:69], 1.0
	v_fma_f64 v[68:69], v[68:69], v[70:71], v[68:69]
	v_fma_f64 v[70:71], -v[59:60], v[68:69], 1.0
	v_fma_f64 v[68:69], v[68:69], v[70:71], v[68:69]
	v_div_scale_f64 v[70:71], vcc_lo, 1.0, v[0:1], 1.0
	v_mul_f64 v[72:73], v[70:71], v[68:69]
	v_fma_f64 v[59:60], -v[59:60], v[72:73], v[70:71]
	v_div_fmas_f64 v[59:60], v[59:60], v[68:69], v[72:73]
	v_div_fixup_f64 v[0:1], v[59:60], v[0:1], 1.0
.LBB50_121:
	s_or_b32 exec_lo, exec_lo, s0
	s_mov_b32 s0, exec_lo
	v_cmpx_ne_u32_e64 v67, v58
	s_xor_b32 s0, exec_lo, s0
	s_cbranch_execz .LBB50_127
; %bb.122:
	s_mov_b32 s1, exec_lo
	v_cmpx_eq_u32_e32 7, v67
	s_cbranch_execz .LBB50_126
; %bb.123:
	v_cmp_ne_u32_e32 vcc_lo, 7, v58
	s_xor_b32 s3, s6, -1
	s_and_b32 s7, s3, vcc_lo
	s_and_saveexec_b32 s3, s7
	s_cbranch_execz .LBB50_125
; %bb.124:
	v_ashrrev_i32_e32 v59, 31, v58
	v_lshlrev_b64 v[59:60], 2, v[58:59]
	v_add_co_u32 v59, vcc_lo, v4, v59
	v_add_co_ci_u32_e64 v60, null, v5, v60, vcc_lo
	s_clause 0x1
	global_load_dword v61, v[59:60], off
	global_load_dword v67, v[4:5], off offset:28
	s_waitcnt vmcnt(1)
	global_store_dword v[4:5], v61, off offset:28
	s_waitcnt vmcnt(0)
	global_store_dword v[59:60], v67, off
.LBB50_125:
	s_or_b32 exec_lo, exec_lo, s3
	v_mov_b32_e32 v61, v58
	v_mov_b32_e32 v67, v58
.LBB50_126:
	s_or_b32 exec_lo, exec_lo, s1
.LBB50_127:
	s_andn2_saveexec_b32 s0, s0
	s_cbranch_execz .LBB50_129
; %bb.128:
	v_mov_b32_e32 v58, v42
	v_mov_b32_e32 v59, v43
	v_mov_b32_e32 v67, v34
	v_mov_b32_e32 v68, v35
	v_mov_b32_e32 v69, v36
	v_mov_b32_e32 v70, v37
	v_mov_b32_e32 v71, v28
	v_mov_b32_e32 v72, v29
	v_mov_b32_e32 v73, v32
	v_mov_b32_e32 v74, v33
	v_mov_b32_e32 v75, v30
	v_mov_b32_e32 v76, v31
	v_mov_b32_e32 v77, v26
	v_mov_b32_e32 v78, v27
	v_mov_b32_e32 v79, v24
	v_mov_b32_e32 v80, v25
	v_mov_b32_e32 v81, v22
	v_mov_b32_e32 v82, v23
	v_mov_b32_e32 v83, v18
	v_mov_b32_e32 v84, v19
	ds_write2_b64 v64, v[58:59], v[67:68] offset0:8 offset1:9
	ds_write2_b64 v64, v[69:70], v[71:72] offset0:10 offset1:11
	;; [unrolled: 1-line block ×5, first 2 shown]
	v_mov_b32_e32 v58, v20
	v_mov_b32_e32 v59, v21
	v_mov_b32_e32 v68, v14
	v_mov_b32_e32 v69, v15
	v_mov_b32_e32 v67, 7
	v_mov_b32_e32 v70, v16
	v_mov_b32_e32 v71, v17
	v_mov_b32_e32 v72, v8
	v_mov_b32_e32 v73, v9
	v_mov_b32_e32 v74, v12
	v_mov_b32_e32 v75, v13
	v_mov_b32_e32 v76, v6
	v_mov_b32_e32 v77, v7
	v_mov_b32_e32 v78, v10
	v_mov_b32_e32 v79, v11
	ds_write2_b64 v64, v[58:59], v[68:69] offset0:18 offset1:19
	ds_write2_b64 v64, v[70:71], v[72:73] offset0:20 offset1:21
	;; [unrolled: 1-line block ×4, first 2 shown]
.LBB50_129:
	s_or_b32 exec_lo, exec_lo, s0
	s_mov_b32 s0, exec_lo
	s_waitcnt lgkmcnt(0)
	s_waitcnt_vscnt null, 0x0
	s_barrier
	buffer_gl0_inv
	v_cmpx_lt_i32_e32 7, v67
	s_cbranch_execz .LBB50_131
; %bb.130:
	v_mul_f64 v[38:39], v[0:1], v[38:39]
	ds_read2_b64 v[68:71], v64 offset0:8 offset1:9
	ds_read2_b64 v[72:75], v64 offset0:10 offset1:11
	;; [unrolled: 1-line block ×9, first 2 shown]
	s_waitcnt lgkmcnt(8)
	v_fma_f64 v[42:43], -v[38:39], v[68:69], v[42:43]
	v_fma_f64 v[34:35], -v[38:39], v[70:71], v[34:35]
	s_waitcnt lgkmcnt(7)
	v_fma_f64 v[36:37], -v[38:39], v[72:73], v[36:37]
	v_fma_f64 v[28:29], -v[38:39], v[74:75], v[28:29]
	;; [unrolled: 3-line block ×9, first 2 shown]
.LBB50_131:
	s_or_b32 exec_lo, exec_lo, s0
	v_lshl_add_u32 v0, v67, 3, v64
	s_barrier
	buffer_gl0_inv
	v_mov_b32_e32 v58, 8
	ds_write_b64 v0, v[42:43]
	s_waitcnt lgkmcnt(0)
	s_barrier
	buffer_gl0_inv
	ds_read_b64 v[0:1], v64 offset:64
	s_cmp_lt_i32 s2, 10
	s_cbranch_scc1 .LBB50_134
; %bb.132:
	v_add3_u32 v59, v65, 0, 0x48
	v_mov_b32_e32 v58, 8
	s_mov_b32 s0, 9
.LBB50_133:                             ; =>This Inner Loop Header: Depth=1
	ds_read_b64 v[68:69], v59
	v_add_nc_u32_e32 v59, 8, v59
	s_waitcnt lgkmcnt(0)
	v_cmp_lt_f64_e64 vcc_lo, |v[0:1]|, |v[68:69]|
	v_cndmask_b32_e32 v1, v1, v69, vcc_lo
	v_cndmask_b32_e32 v0, v0, v68, vcc_lo
	v_cndmask_b32_e64 v58, v58, s0, vcc_lo
	s_add_i32 s0, s0, 1
	s_cmp_lg_u32 s2, s0
	s_cbranch_scc1 .LBB50_133
.LBB50_134:
	s_mov_b32 s0, exec_lo
	s_waitcnt lgkmcnt(0)
	v_cmpx_eq_f64_e32 0, v[0:1]
	s_xor_b32 s0, exec_lo, s0
; %bb.135:
	v_cmp_ne_u32_e32 vcc_lo, 0, v66
	v_cndmask_b32_e32 v66, 9, v66, vcc_lo
; %bb.136:
	s_andn2_saveexec_b32 s0, s0
	s_cbranch_execz .LBB50_138
; %bb.137:
	v_div_scale_f64 v[59:60], null, v[0:1], v[0:1], 1.0
	v_rcp_f64_e32 v[68:69], v[59:60]
	v_fma_f64 v[70:71], -v[59:60], v[68:69], 1.0
	v_fma_f64 v[68:69], v[68:69], v[70:71], v[68:69]
	v_fma_f64 v[70:71], -v[59:60], v[68:69], 1.0
	v_fma_f64 v[68:69], v[68:69], v[70:71], v[68:69]
	v_div_scale_f64 v[70:71], vcc_lo, 1.0, v[0:1], 1.0
	v_mul_f64 v[72:73], v[70:71], v[68:69]
	v_fma_f64 v[59:60], -v[59:60], v[72:73], v[70:71]
	v_div_fmas_f64 v[59:60], v[59:60], v[68:69], v[72:73]
	v_div_fixup_f64 v[0:1], v[59:60], v[0:1], 1.0
.LBB50_138:
	s_or_b32 exec_lo, exec_lo, s0
	s_mov_b32 s0, exec_lo
	v_cmpx_ne_u32_e64 v67, v58
	s_xor_b32 s0, exec_lo, s0
	s_cbranch_execz .LBB50_144
; %bb.139:
	s_mov_b32 s1, exec_lo
	v_cmpx_eq_u32_e32 8, v67
	s_cbranch_execz .LBB50_143
; %bb.140:
	v_cmp_ne_u32_e32 vcc_lo, 8, v58
	s_xor_b32 s3, s6, -1
	s_and_b32 s7, s3, vcc_lo
	s_and_saveexec_b32 s3, s7
	s_cbranch_execz .LBB50_142
; %bb.141:
	v_ashrrev_i32_e32 v59, 31, v58
	v_lshlrev_b64 v[59:60], 2, v[58:59]
	v_add_co_u32 v59, vcc_lo, v4, v59
	v_add_co_ci_u32_e64 v60, null, v5, v60, vcc_lo
	s_clause 0x1
	global_load_dword v61, v[59:60], off
	global_load_dword v67, v[4:5], off offset:32
	s_waitcnt vmcnt(1)
	global_store_dword v[4:5], v61, off offset:32
	s_waitcnt vmcnt(0)
	global_store_dword v[59:60], v67, off
.LBB50_142:
	s_or_b32 exec_lo, exec_lo, s3
	v_mov_b32_e32 v61, v58
	v_mov_b32_e32 v67, v58
.LBB50_143:
	s_or_b32 exec_lo, exec_lo, s1
.LBB50_144:
	s_andn2_saveexec_b32 s0, s0
	s_cbranch_execz .LBB50_146
; %bb.145:
	v_mov_b32_e32 v67, 8
	ds_write2_b64 v64, v[34:35], v[36:37] offset0:9 offset1:10
	ds_write2_b64 v64, v[28:29], v[32:33] offset0:11 offset1:12
	;; [unrolled: 1-line block ×8, first 2 shown]
	ds_write_b64 v64, v[56:57] offset:200
.LBB50_146:
	s_or_b32 exec_lo, exec_lo, s0
	s_mov_b32 s0, exec_lo
	s_waitcnt lgkmcnt(0)
	s_waitcnt_vscnt null, 0x0
	s_barrier
	buffer_gl0_inv
	v_cmpx_lt_i32_e32 8, v67
	s_cbranch_execz .LBB50_148
; %bb.147:
	v_mul_f64 v[42:43], v[0:1], v[42:43]
	ds_read2_b64 v[68:71], v64 offset0:9 offset1:10
	ds_read2_b64 v[72:75], v64 offset0:11 offset1:12
	;; [unrolled: 1-line block ×8, first 2 shown]
	ds_read_b64 v[0:1], v64 offset:200
	s_waitcnt lgkmcnt(8)
	v_fma_f64 v[34:35], -v[42:43], v[68:69], v[34:35]
	v_fma_f64 v[36:37], -v[42:43], v[70:71], v[36:37]
	s_waitcnt lgkmcnt(7)
	v_fma_f64 v[28:29], -v[42:43], v[72:73], v[28:29]
	v_fma_f64 v[32:33], -v[42:43], v[74:75], v[32:33]
	;; [unrolled: 3-line block ×8, first 2 shown]
	s_waitcnt lgkmcnt(0)
	v_fma_f64 v[56:57], -v[42:43], v[0:1], v[56:57]
.LBB50_148:
	s_or_b32 exec_lo, exec_lo, s0
	v_lshl_add_u32 v0, v67, 3, v64
	s_barrier
	buffer_gl0_inv
	v_mov_b32_e32 v58, 9
	ds_write_b64 v0, v[34:35]
	s_waitcnt lgkmcnt(0)
	s_barrier
	buffer_gl0_inv
	ds_read_b64 v[0:1], v64 offset:72
	s_cmp_lt_i32 s2, 11
	s_cbranch_scc1 .LBB50_151
; %bb.149:
	v_add3_u32 v59, v65, 0, 0x50
	v_mov_b32_e32 v58, 9
	s_mov_b32 s0, 10
.LBB50_150:                             ; =>This Inner Loop Header: Depth=1
	ds_read_b64 v[68:69], v59
	v_add_nc_u32_e32 v59, 8, v59
	s_waitcnt lgkmcnt(0)
	v_cmp_lt_f64_e64 vcc_lo, |v[0:1]|, |v[68:69]|
	v_cndmask_b32_e32 v1, v1, v69, vcc_lo
	v_cndmask_b32_e32 v0, v0, v68, vcc_lo
	v_cndmask_b32_e64 v58, v58, s0, vcc_lo
	s_add_i32 s0, s0, 1
	s_cmp_lg_u32 s2, s0
	s_cbranch_scc1 .LBB50_150
.LBB50_151:
	s_mov_b32 s0, exec_lo
	s_waitcnt lgkmcnt(0)
	v_cmpx_eq_f64_e32 0, v[0:1]
	s_xor_b32 s0, exec_lo, s0
; %bb.152:
	v_cmp_ne_u32_e32 vcc_lo, 0, v66
	v_cndmask_b32_e32 v66, 10, v66, vcc_lo
; %bb.153:
	s_andn2_saveexec_b32 s0, s0
	s_cbranch_execz .LBB50_155
; %bb.154:
	v_div_scale_f64 v[59:60], null, v[0:1], v[0:1], 1.0
	v_rcp_f64_e32 v[68:69], v[59:60]
	v_fma_f64 v[70:71], -v[59:60], v[68:69], 1.0
	v_fma_f64 v[68:69], v[68:69], v[70:71], v[68:69]
	v_fma_f64 v[70:71], -v[59:60], v[68:69], 1.0
	v_fma_f64 v[68:69], v[68:69], v[70:71], v[68:69]
	v_div_scale_f64 v[70:71], vcc_lo, 1.0, v[0:1], 1.0
	v_mul_f64 v[72:73], v[70:71], v[68:69]
	v_fma_f64 v[59:60], -v[59:60], v[72:73], v[70:71]
	v_div_fmas_f64 v[59:60], v[59:60], v[68:69], v[72:73]
	v_div_fixup_f64 v[0:1], v[59:60], v[0:1], 1.0
.LBB50_155:
	s_or_b32 exec_lo, exec_lo, s0
	s_mov_b32 s0, exec_lo
	v_cmpx_ne_u32_e64 v67, v58
	s_xor_b32 s0, exec_lo, s0
	s_cbranch_execz .LBB50_161
; %bb.156:
	s_mov_b32 s1, exec_lo
	v_cmpx_eq_u32_e32 9, v67
	s_cbranch_execz .LBB50_160
; %bb.157:
	v_cmp_ne_u32_e32 vcc_lo, 9, v58
	s_xor_b32 s3, s6, -1
	s_and_b32 s7, s3, vcc_lo
	s_and_saveexec_b32 s3, s7
	s_cbranch_execz .LBB50_159
; %bb.158:
	v_ashrrev_i32_e32 v59, 31, v58
	v_lshlrev_b64 v[59:60], 2, v[58:59]
	v_add_co_u32 v59, vcc_lo, v4, v59
	v_add_co_ci_u32_e64 v60, null, v5, v60, vcc_lo
	s_clause 0x1
	global_load_dword v61, v[59:60], off
	global_load_dword v67, v[4:5], off offset:36
	s_waitcnt vmcnt(1)
	global_store_dword v[4:5], v61, off offset:36
	s_waitcnt vmcnt(0)
	global_store_dword v[59:60], v67, off
.LBB50_159:
	s_or_b32 exec_lo, exec_lo, s3
	v_mov_b32_e32 v61, v58
	v_mov_b32_e32 v67, v58
.LBB50_160:
	s_or_b32 exec_lo, exec_lo, s1
.LBB50_161:
	s_andn2_saveexec_b32 s0, s0
	s_cbranch_execz .LBB50_163
; %bb.162:
	v_mov_b32_e32 v58, v36
	v_mov_b32_e32 v59, v37
	;; [unrolled: 1-line block ×16, first 2 shown]
	ds_write2_b64 v64, v[58:59], v[67:68] offset0:10 offset1:11
	ds_write2_b64 v64, v[69:70], v[71:72] offset0:12 offset1:13
	;; [unrolled: 1-line block ×4, first 2 shown]
	v_mov_b32_e32 v58, v20
	v_mov_b32_e32 v59, v21
	;; [unrolled: 1-line block ×15, first 2 shown]
	ds_write2_b64 v64, v[58:59], v[68:69] offset0:18 offset1:19
	ds_write2_b64 v64, v[70:71], v[72:73] offset0:20 offset1:21
	;; [unrolled: 1-line block ×4, first 2 shown]
.LBB50_163:
	s_or_b32 exec_lo, exec_lo, s0
	s_mov_b32 s0, exec_lo
	s_waitcnt lgkmcnt(0)
	s_waitcnt_vscnt null, 0x0
	s_barrier
	buffer_gl0_inv
	v_cmpx_lt_i32_e32 9, v67
	s_cbranch_execz .LBB50_165
; %bb.164:
	v_mul_f64 v[34:35], v[0:1], v[34:35]
	ds_read2_b64 v[68:71], v64 offset0:10 offset1:11
	ds_read2_b64 v[72:75], v64 offset0:12 offset1:13
	;; [unrolled: 1-line block ×8, first 2 shown]
	s_waitcnt lgkmcnt(7)
	v_fma_f64 v[36:37], -v[34:35], v[68:69], v[36:37]
	v_fma_f64 v[28:29], -v[34:35], v[70:71], v[28:29]
	s_waitcnt lgkmcnt(6)
	v_fma_f64 v[32:33], -v[34:35], v[72:73], v[32:33]
	v_fma_f64 v[30:31], -v[34:35], v[74:75], v[30:31]
	;; [unrolled: 3-line block ×8, first 2 shown]
.LBB50_165:
	s_or_b32 exec_lo, exec_lo, s0
	v_lshl_add_u32 v0, v67, 3, v64
	s_barrier
	buffer_gl0_inv
	v_mov_b32_e32 v58, 10
	ds_write_b64 v0, v[36:37]
	s_waitcnt lgkmcnt(0)
	s_barrier
	buffer_gl0_inv
	ds_read_b64 v[0:1], v64 offset:80
	s_cmp_lt_i32 s2, 12
	s_cbranch_scc1 .LBB50_168
; %bb.166:
	v_add3_u32 v59, v65, 0, 0x58
	v_mov_b32_e32 v58, 10
	s_mov_b32 s0, 11
.LBB50_167:                             ; =>This Inner Loop Header: Depth=1
	ds_read_b64 v[68:69], v59
	v_add_nc_u32_e32 v59, 8, v59
	s_waitcnt lgkmcnt(0)
	v_cmp_lt_f64_e64 vcc_lo, |v[0:1]|, |v[68:69]|
	v_cndmask_b32_e32 v1, v1, v69, vcc_lo
	v_cndmask_b32_e32 v0, v0, v68, vcc_lo
	v_cndmask_b32_e64 v58, v58, s0, vcc_lo
	s_add_i32 s0, s0, 1
	s_cmp_lg_u32 s2, s0
	s_cbranch_scc1 .LBB50_167
.LBB50_168:
	s_mov_b32 s0, exec_lo
	s_waitcnt lgkmcnt(0)
	v_cmpx_eq_f64_e32 0, v[0:1]
	s_xor_b32 s0, exec_lo, s0
; %bb.169:
	v_cmp_ne_u32_e32 vcc_lo, 0, v66
	v_cndmask_b32_e32 v66, 11, v66, vcc_lo
; %bb.170:
	s_andn2_saveexec_b32 s0, s0
	s_cbranch_execz .LBB50_172
; %bb.171:
	v_div_scale_f64 v[59:60], null, v[0:1], v[0:1], 1.0
	v_rcp_f64_e32 v[68:69], v[59:60]
	v_fma_f64 v[70:71], -v[59:60], v[68:69], 1.0
	v_fma_f64 v[68:69], v[68:69], v[70:71], v[68:69]
	v_fma_f64 v[70:71], -v[59:60], v[68:69], 1.0
	v_fma_f64 v[68:69], v[68:69], v[70:71], v[68:69]
	v_div_scale_f64 v[70:71], vcc_lo, 1.0, v[0:1], 1.0
	v_mul_f64 v[72:73], v[70:71], v[68:69]
	v_fma_f64 v[59:60], -v[59:60], v[72:73], v[70:71]
	v_div_fmas_f64 v[59:60], v[59:60], v[68:69], v[72:73]
	v_div_fixup_f64 v[0:1], v[59:60], v[0:1], 1.0
.LBB50_172:
	s_or_b32 exec_lo, exec_lo, s0
	s_mov_b32 s0, exec_lo
	v_cmpx_ne_u32_e64 v67, v58
	s_xor_b32 s0, exec_lo, s0
	s_cbranch_execz .LBB50_178
; %bb.173:
	s_mov_b32 s1, exec_lo
	v_cmpx_eq_u32_e32 10, v67
	s_cbranch_execz .LBB50_177
; %bb.174:
	v_cmp_ne_u32_e32 vcc_lo, 10, v58
	s_xor_b32 s3, s6, -1
	s_and_b32 s7, s3, vcc_lo
	s_and_saveexec_b32 s3, s7
	s_cbranch_execz .LBB50_176
; %bb.175:
	v_ashrrev_i32_e32 v59, 31, v58
	v_lshlrev_b64 v[59:60], 2, v[58:59]
	v_add_co_u32 v59, vcc_lo, v4, v59
	v_add_co_ci_u32_e64 v60, null, v5, v60, vcc_lo
	s_clause 0x1
	global_load_dword v61, v[59:60], off
	global_load_dword v67, v[4:5], off offset:40
	s_waitcnt vmcnt(1)
	global_store_dword v[4:5], v61, off offset:40
	s_waitcnt vmcnt(0)
	global_store_dword v[59:60], v67, off
.LBB50_176:
	s_or_b32 exec_lo, exec_lo, s3
	v_mov_b32_e32 v61, v58
	v_mov_b32_e32 v67, v58
.LBB50_177:
	s_or_b32 exec_lo, exec_lo, s1
.LBB50_178:
	s_andn2_saveexec_b32 s0, s0
	s_cbranch_execz .LBB50_180
; %bb.179:
	v_mov_b32_e32 v67, 10
	ds_write2_b64 v64, v[28:29], v[32:33] offset0:11 offset1:12
	ds_write2_b64 v64, v[30:31], v[26:27] offset0:13 offset1:14
	;; [unrolled: 1-line block ×7, first 2 shown]
	ds_write_b64 v64, v[56:57] offset:200
.LBB50_180:
	s_or_b32 exec_lo, exec_lo, s0
	s_mov_b32 s0, exec_lo
	s_waitcnt lgkmcnt(0)
	s_waitcnt_vscnt null, 0x0
	s_barrier
	buffer_gl0_inv
	v_cmpx_lt_i32_e32 10, v67
	s_cbranch_execz .LBB50_182
; %bb.181:
	v_mul_f64 v[36:37], v[0:1], v[36:37]
	ds_read2_b64 v[68:71], v64 offset0:11 offset1:12
	ds_read2_b64 v[72:75], v64 offset0:13 offset1:14
	ds_read2_b64 v[76:79], v64 offset0:15 offset1:16
	ds_read2_b64 v[80:83], v64 offset0:17 offset1:18
	ds_read2_b64 v[84:87], v64 offset0:19 offset1:20
	ds_read2_b64 v[88:91], v64 offset0:21 offset1:22
	ds_read2_b64 v[92:95], v64 offset0:23 offset1:24
	ds_read_b64 v[0:1], v64 offset:200
	s_waitcnt lgkmcnt(7)
	v_fma_f64 v[28:29], -v[36:37], v[68:69], v[28:29]
	v_fma_f64 v[32:33], -v[36:37], v[70:71], v[32:33]
	s_waitcnt lgkmcnt(6)
	v_fma_f64 v[30:31], -v[36:37], v[72:73], v[30:31]
	v_fma_f64 v[26:27], -v[36:37], v[74:75], v[26:27]
	s_waitcnt lgkmcnt(5)
	v_fma_f64 v[24:25], -v[36:37], v[76:77], v[24:25]
	v_fma_f64 v[22:23], -v[36:37], v[78:79], v[22:23]
	s_waitcnt lgkmcnt(4)
	v_fma_f64 v[18:19], -v[36:37], v[80:81], v[18:19]
	v_fma_f64 v[20:21], -v[36:37], v[82:83], v[20:21]
	s_waitcnt lgkmcnt(3)
	v_fma_f64 v[14:15], -v[36:37], v[84:85], v[14:15]
	v_fma_f64 v[16:17], -v[36:37], v[86:87], v[16:17]
	s_waitcnt lgkmcnt(2)
	v_fma_f64 v[8:9], -v[36:37], v[88:89], v[8:9]
	v_fma_f64 v[12:13], -v[36:37], v[90:91], v[12:13]
	s_waitcnt lgkmcnt(1)
	v_fma_f64 v[6:7], -v[36:37], v[92:93], v[6:7]
	v_fma_f64 v[10:11], -v[36:37], v[94:95], v[10:11]
	s_waitcnt lgkmcnt(0)
	v_fma_f64 v[56:57], -v[36:37], v[0:1], v[56:57]
.LBB50_182:
	s_or_b32 exec_lo, exec_lo, s0
	v_lshl_add_u32 v0, v67, 3, v64
	s_barrier
	buffer_gl0_inv
	v_mov_b32_e32 v58, 11
	ds_write_b64 v0, v[28:29]
	s_waitcnt lgkmcnt(0)
	s_barrier
	buffer_gl0_inv
	ds_read_b64 v[0:1], v64 offset:88
	s_cmp_lt_i32 s2, 13
	s_cbranch_scc1 .LBB50_185
; %bb.183:
	v_add3_u32 v59, v65, 0, 0x60
	v_mov_b32_e32 v58, 11
	s_mov_b32 s0, 12
.LBB50_184:                             ; =>This Inner Loop Header: Depth=1
	ds_read_b64 v[68:69], v59
	v_add_nc_u32_e32 v59, 8, v59
	s_waitcnt lgkmcnt(0)
	v_cmp_lt_f64_e64 vcc_lo, |v[0:1]|, |v[68:69]|
	v_cndmask_b32_e32 v1, v1, v69, vcc_lo
	v_cndmask_b32_e32 v0, v0, v68, vcc_lo
	v_cndmask_b32_e64 v58, v58, s0, vcc_lo
	s_add_i32 s0, s0, 1
	s_cmp_lg_u32 s2, s0
	s_cbranch_scc1 .LBB50_184
.LBB50_185:
	s_mov_b32 s0, exec_lo
	s_waitcnt lgkmcnt(0)
	v_cmpx_eq_f64_e32 0, v[0:1]
	s_xor_b32 s0, exec_lo, s0
; %bb.186:
	v_cmp_ne_u32_e32 vcc_lo, 0, v66
	v_cndmask_b32_e32 v66, 12, v66, vcc_lo
; %bb.187:
	s_andn2_saveexec_b32 s0, s0
	s_cbranch_execz .LBB50_189
; %bb.188:
	v_div_scale_f64 v[59:60], null, v[0:1], v[0:1], 1.0
	v_rcp_f64_e32 v[68:69], v[59:60]
	v_fma_f64 v[70:71], -v[59:60], v[68:69], 1.0
	v_fma_f64 v[68:69], v[68:69], v[70:71], v[68:69]
	v_fma_f64 v[70:71], -v[59:60], v[68:69], 1.0
	v_fma_f64 v[68:69], v[68:69], v[70:71], v[68:69]
	v_div_scale_f64 v[70:71], vcc_lo, 1.0, v[0:1], 1.0
	v_mul_f64 v[72:73], v[70:71], v[68:69]
	v_fma_f64 v[59:60], -v[59:60], v[72:73], v[70:71]
	v_div_fmas_f64 v[59:60], v[59:60], v[68:69], v[72:73]
	v_div_fixup_f64 v[0:1], v[59:60], v[0:1], 1.0
.LBB50_189:
	s_or_b32 exec_lo, exec_lo, s0
	s_mov_b32 s0, exec_lo
	v_cmpx_ne_u32_e64 v67, v58
	s_xor_b32 s0, exec_lo, s0
	s_cbranch_execz .LBB50_195
; %bb.190:
	s_mov_b32 s1, exec_lo
	v_cmpx_eq_u32_e32 11, v67
	s_cbranch_execz .LBB50_194
; %bb.191:
	v_cmp_ne_u32_e32 vcc_lo, 11, v58
	s_xor_b32 s3, s6, -1
	s_and_b32 s7, s3, vcc_lo
	s_and_saveexec_b32 s3, s7
	s_cbranch_execz .LBB50_193
; %bb.192:
	v_ashrrev_i32_e32 v59, 31, v58
	v_lshlrev_b64 v[59:60], 2, v[58:59]
	v_add_co_u32 v59, vcc_lo, v4, v59
	v_add_co_ci_u32_e64 v60, null, v5, v60, vcc_lo
	s_clause 0x1
	global_load_dword v61, v[59:60], off
	global_load_dword v67, v[4:5], off offset:44
	s_waitcnt vmcnt(1)
	global_store_dword v[4:5], v61, off offset:44
	s_waitcnt vmcnt(0)
	global_store_dword v[59:60], v67, off
.LBB50_193:
	s_or_b32 exec_lo, exec_lo, s3
	v_mov_b32_e32 v61, v58
	v_mov_b32_e32 v67, v58
.LBB50_194:
	s_or_b32 exec_lo, exec_lo, s1
.LBB50_195:
	s_andn2_saveexec_b32 s0, s0
	s_cbranch_execz .LBB50_197
; %bb.196:
	v_mov_b32_e32 v58, v32
	v_mov_b32_e32 v59, v33
	;; [unrolled: 1-line block ×12, first 2 shown]
	ds_write2_b64 v64, v[58:59], v[67:68] offset0:12 offset1:13
	ds_write2_b64 v64, v[69:70], v[71:72] offset0:14 offset1:15
	;; [unrolled: 1-line block ×3, first 2 shown]
	v_mov_b32_e32 v58, v20
	v_mov_b32_e32 v59, v21
	;; [unrolled: 1-line block ×15, first 2 shown]
	ds_write2_b64 v64, v[58:59], v[68:69] offset0:18 offset1:19
	ds_write2_b64 v64, v[70:71], v[72:73] offset0:20 offset1:21
	;; [unrolled: 1-line block ×4, first 2 shown]
.LBB50_197:
	s_or_b32 exec_lo, exec_lo, s0
	s_mov_b32 s0, exec_lo
	s_waitcnt lgkmcnt(0)
	s_waitcnt_vscnt null, 0x0
	s_barrier
	buffer_gl0_inv
	v_cmpx_lt_i32_e32 11, v67
	s_cbranch_execz .LBB50_199
; %bb.198:
	v_mul_f64 v[28:29], v[0:1], v[28:29]
	ds_read2_b64 v[68:71], v64 offset0:12 offset1:13
	ds_read2_b64 v[72:75], v64 offset0:14 offset1:15
	;; [unrolled: 1-line block ×7, first 2 shown]
	s_waitcnt lgkmcnt(6)
	v_fma_f64 v[32:33], -v[28:29], v[68:69], v[32:33]
	v_fma_f64 v[30:31], -v[28:29], v[70:71], v[30:31]
	s_waitcnt lgkmcnt(5)
	v_fma_f64 v[26:27], -v[28:29], v[72:73], v[26:27]
	v_fma_f64 v[24:25], -v[28:29], v[74:75], v[24:25]
	;; [unrolled: 3-line block ×7, first 2 shown]
.LBB50_199:
	s_or_b32 exec_lo, exec_lo, s0
	v_lshl_add_u32 v0, v67, 3, v64
	s_barrier
	buffer_gl0_inv
	v_mov_b32_e32 v58, 12
	ds_write_b64 v0, v[32:33]
	s_waitcnt lgkmcnt(0)
	s_barrier
	buffer_gl0_inv
	ds_read_b64 v[0:1], v64 offset:96
	s_cmp_lt_i32 s2, 14
	s_cbranch_scc1 .LBB50_202
; %bb.200:
	v_add3_u32 v59, v65, 0, 0x68
	v_mov_b32_e32 v58, 12
	s_mov_b32 s0, 13
.LBB50_201:                             ; =>This Inner Loop Header: Depth=1
	ds_read_b64 v[68:69], v59
	v_add_nc_u32_e32 v59, 8, v59
	s_waitcnt lgkmcnt(0)
	v_cmp_lt_f64_e64 vcc_lo, |v[0:1]|, |v[68:69]|
	v_cndmask_b32_e32 v1, v1, v69, vcc_lo
	v_cndmask_b32_e32 v0, v0, v68, vcc_lo
	v_cndmask_b32_e64 v58, v58, s0, vcc_lo
	s_add_i32 s0, s0, 1
	s_cmp_lg_u32 s2, s0
	s_cbranch_scc1 .LBB50_201
.LBB50_202:
	s_mov_b32 s0, exec_lo
	s_waitcnt lgkmcnt(0)
	v_cmpx_eq_f64_e32 0, v[0:1]
	s_xor_b32 s0, exec_lo, s0
; %bb.203:
	v_cmp_ne_u32_e32 vcc_lo, 0, v66
	v_cndmask_b32_e32 v66, 13, v66, vcc_lo
; %bb.204:
	s_andn2_saveexec_b32 s0, s0
	s_cbranch_execz .LBB50_206
; %bb.205:
	v_div_scale_f64 v[59:60], null, v[0:1], v[0:1], 1.0
	v_rcp_f64_e32 v[68:69], v[59:60]
	v_fma_f64 v[70:71], -v[59:60], v[68:69], 1.0
	v_fma_f64 v[68:69], v[68:69], v[70:71], v[68:69]
	v_fma_f64 v[70:71], -v[59:60], v[68:69], 1.0
	v_fma_f64 v[68:69], v[68:69], v[70:71], v[68:69]
	v_div_scale_f64 v[70:71], vcc_lo, 1.0, v[0:1], 1.0
	v_mul_f64 v[72:73], v[70:71], v[68:69]
	v_fma_f64 v[59:60], -v[59:60], v[72:73], v[70:71]
	v_div_fmas_f64 v[59:60], v[59:60], v[68:69], v[72:73]
	v_div_fixup_f64 v[0:1], v[59:60], v[0:1], 1.0
.LBB50_206:
	s_or_b32 exec_lo, exec_lo, s0
	s_mov_b32 s0, exec_lo
	v_cmpx_ne_u32_e64 v67, v58
	s_xor_b32 s0, exec_lo, s0
	s_cbranch_execz .LBB50_212
; %bb.207:
	s_mov_b32 s1, exec_lo
	v_cmpx_eq_u32_e32 12, v67
	s_cbranch_execz .LBB50_211
; %bb.208:
	v_cmp_ne_u32_e32 vcc_lo, 12, v58
	s_xor_b32 s3, s6, -1
	s_and_b32 s7, s3, vcc_lo
	s_and_saveexec_b32 s3, s7
	s_cbranch_execz .LBB50_210
; %bb.209:
	v_ashrrev_i32_e32 v59, 31, v58
	v_lshlrev_b64 v[59:60], 2, v[58:59]
	v_add_co_u32 v59, vcc_lo, v4, v59
	v_add_co_ci_u32_e64 v60, null, v5, v60, vcc_lo
	s_clause 0x1
	global_load_dword v61, v[59:60], off
	global_load_dword v67, v[4:5], off offset:48
	s_waitcnt vmcnt(1)
	global_store_dword v[4:5], v61, off offset:48
	s_waitcnt vmcnt(0)
	global_store_dword v[59:60], v67, off
.LBB50_210:
	s_or_b32 exec_lo, exec_lo, s3
	v_mov_b32_e32 v61, v58
	v_mov_b32_e32 v67, v58
.LBB50_211:
	s_or_b32 exec_lo, exec_lo, s1
.LBB50_212:
	s_andn2_saveexec_b32 s0, s0
	s_cbranch_execz .LBB50_214
; %bb.213:
	v_mov_b32_e32 v67, 12
	ds_write2_b64 v64, v[30:31], v[26:27] offset0:13 offset1:14
	ds_write2_b64 v64, v[24:25], v[22:23] offset0:15 offset1:16
	;; [unrolled: 1-line block ×6, first 2 shown]
	ds_write_b64 v64, v[56:57] offset:200
.LBB50_214:
	s_or_b32 exec_lo, exec_lo, s0
	s_mov_b32 s0, exec_lo
	s_waitcnt lgkmcnt(0)
	s_waitcnt_vscnt null, 0x0
	s_barrier
	buffer_gl0_inv
	v_cmpx_lt_i32_e32 12, v67
	s_cbranch_execz .LBB50_216
; %bb.215:
	v_mul_f64 v[32:33], v[0:1], v[32:33]
	ds_read2_b64 v[68:71], v64 offset0:13 offset1:14
	ds_read2_b64 v[72:75], v64 offset0:15 offset1:16
	;; [unrolled: 1-line block ×6, first 2 shown]
	ds_read_b64 v[0:1], v64 offset:200
	s_waitcnt lgkmcnt(6)
	v_fma_f64 v[30:31], -v[32:33], v[68:69], v[30:31]
	v_fma_f64 v[26:27], -v[32:33], v[70:71], v[26:27]
	s_waitcnt lgkmcnt(5)
	v_fma_f64 v[24:25], -v[32:33], v[72:73], v[24:25]
	v_fma_f64 v[22:23], -v[32:33], v[74:75], v[22:23]
	;; [unrolled: 3-line block ×6, first 2 shown]
	s_waitcnt lgkmcnt(0)
	v_fma_f64 v[56:57], -v[32:33], v[0:1], v[56:57]
.LBB50_216:
	s_or_b32 exec_lo, exec_lo, s0
	v_lshl_add_u32 v0, v67, 3, v64
	s_barrier
	buffer_gl0_inv
	v_mov_b32_e32 v58, 13
	ds_write_b64 v0, v[30:31]
	s_waitcnt lgkmcnt(0)
	s_barrier
	buffer_gl0_inv
	ds_read_b64 v[0:1], v64 offset:104
	s_cmp_lt_i32 s2, 15
	s_cbranch_scc1 .LBB50_219
; %bb.217:
	v_add3_u32 v59, v65, 0, 0x70
	v_mov_b32_e32 v58, 13
	s_mov_b32 s0, 14
.LBB50_218:                             ; =>This Inner Loop Header: Depth=1
	ds_read_b64 v[68:69], v59
	v_add_nc_u32_e32 v59, 8, v59
	s_waitcnt lgkmcnt(0)
	v_cmp_lt_f64_e64 vcc_lo, |v[0:1]|, |v[68:69]|
	v_cndmask_b32_e32 v1, v1, v69, vcc_lo
	v_cndmask_b32_e32 v0, v0, v68, vcc_lo
	v_cndmask_b32_e64 v58, v58, s0, vcc_lo
	s_add_i32 s0, s0, 1
	s_cmp_lg_u32 s2, s0
	s_cbranch_scc1 .LBB50_218
.LBB50_219:
	s_mov_b32 s0, exec_lo
	s_waitcnt lgkmcnt(0)
	v_cmpx_eq_f64_e32 0, v[0:1]
	s_xor_b32 s0, exec_lo, s0
; %bb.220:
	v_cmp_ne_u32_e32 vcc_lo, 0, v66
	v_cndmask_b32_e32 v66, 14, v66, vcc_lo
; %bb.221:
	s_andn2_saveexec_b32 s0, s0
	s_cbranch_execz .LBB50_223
; %bb.222:
	v_div_scale_f64 v[59:60], null, v[0:1], v[0:1], 1.0
	v_rcp_f64_e32 v[68:69], v[59:60]
	v_fma_f64 v[70:71], -v[59:60], v[68:69], 1.0
	v_fma_f64 v[68:69], v[68:69], v[70:71], v[68:69]
	v_fma_f64 v[70:71], -v[59:60], v[68:69], 1.0
	v_fma_f64 v[68:69], v[68:69], v[70:71], v[68:69]
	v_div_scale_f64 v[70:71], vcc_lo, 1.0, v[0:1], 1.0
	v_mul_f64 v[72:73], v[70:71], v[68:69]
	v_fma_f64 v[59:60], -v[59:60], v[72:73], v[70:71]
	v_div_fmas_f64 v[59:60], v[59:60], v[68:69], v[72:73]
	v_div_fixup_f64 v[0:1], v[59:60], v[0:1], 1.0
.LBB50_223:
	s_or_b32 exec_lo, exec_lo, s0
	s_mov_b32 s0, exec_lo
	v_cmpx_ne_u32_e64 v67, v58
	s_xor_b32 s0, exec_lo, s0
	s_cbranch_execz .LBB50_229
; %bb.224:
	s_mov_b32 s1, exec_lo
	v_cmpx_eq_u32_e32 13, v67
	s_cbranch_execz .LBB50_228
; %bb.225:
	v_cmp_ne_u32_e32 vcc_lo, 13, v58
	s_xor_b32 s3, s6, -1
	s_and_b32 s7, s3, vcc_lo
	s_and_saveexec_b32 s3, s7
	s_cbranch_execz .LBB50_227
; %bb.226:
	v_ashrrev_i32_e32 v59, 31, v58
	v_lshlrev_b64 v[59:60], 2, v[58:59]
	v_add_co_u32 v59, vcc_lo, v4, v59
	v_add_co_ci_u32_e64 v60, null, v5, v60, vcc_lo
	s_clause 0x1
	global_load_dword v61, v[59:60], off
	global_load_dword v67, v[4:5], off offset:52
	s_waitcnt vmcnt(1)
	global_store_dword v[4:5], v61, off offset:52
	s_waitcnt vmcnt(0)
	global_store_dword v[59:60], v67, off
.LBB50_227:
	s_or_b32 exec_lo, exec_lo, s3
	v_mov_b32_e32 v61, v58
	v_mov_b32_e32 v67, v58
.LBB50_228:
	s_or_b32 exec_lo, exec_lo, s1
.LBB50_229:
	s_andn2_saveexec_b32 s0, s0
	s_cbranch_execz .LBB50_231
; %bb.230:
	v_mov_b32_e32 v58, v26
	v_mov_b32_e32 v59, v27
	;; [unrolled: 1-line block ×8, first 2 shown]
	ds_write2_b64 v64, v[58:59], v[67:68] offset0:14 offset1:15
	ds_write2_b64 v64, v[69:70], v[71:72] offset0:16 offset1:17
	v_mov_b32_e32 v58, v20
	v_mov_b32_e32 v59, v21
	;; [unrolled: 1-line block ×15, first 2 shown]
	ds_write2_b64 v64, v[58:59], v[68:69] offset0:18 offset1:19
	ds_write2_b64 v64, v[70:71], v[72:73] offset0:20 offset1:21
	;; [unrolled: 1-line block ×4, first 2 shown]
.LBB50_231:
	s_or_b32 exec_lo, exec_lo, s0
	s_mov_b32 s0, exec_lo
	s_waitcnt lgkmcnt(0)
	s_waitcnt_vscnt null, 0x0
	s_barrier
	buffer_gl0_inv
	v_cmpx_lt_i32_e32 13, v67
	s_cbranch_execz .LBB50_233
; %bb.232:
	v_mul_f64 v[30:31], v[0:1], v[30:31]
	ds_read2_b64 v[68:71], v64 offset0:14 offset1:15
	ds_read2_b64 v[72:75], v64 offset0:16 offset1:17
	;; [unrolled: 1-line block ×6, first 2 shown]
	s_waitcnt lgkmcnt(5)
	v_fma_f64 v[26:27], -v[30:31], v[68:69], v[26:27]
	v_fma_f64 v[24:25], -v[30:31], v[70:71], v[24:25]
	s_waitcnt lgkmcnt(4)
	v_fma_f64 v[22:23], -v[30:31], v[72:73], v[22:23]
	v_fma_f64 v[18:19], -v[30:31], v[74:75], v[18:19]
	;; [unrolled: 3-line block ×6, first 2 shown]
.LBB50_233:
	s_or_b32 exec_lo, exec_lo, s0
	v_lshl_add_u32 v0, v67, 3, v64
	s_barrier
	buffer_gl0_inv
	v_mov_b32_e32 v58, 14
	ds_write_b64 v0, v[26:27]
	s_waitcnt lgkmcnt(0)
	s_barrier
	buffer_gl0_inv
	ds_read_b64 v[0:1], v64 offset:112
	s_cmp_lt_i32 s2, 16
	s_cbranch_scc1 .LBB50_236
; %bb.234:
	v_add3_u32 v59, v65, 0, 0x78
	v_mov_b32_e32 v58, 14
	s_mov_b32 s0, 15
.LBB50_235:                             ; =>This Inner Loop Header: Depth=1
	ds_read_b64 v[68:69], v59
	v_add_nc_u32_e32 v59, 8, v59
	s_waitcnt lgkmcnt(0)
	v_cmp_lt_f64_e64 vcc_lo, |v[0:1]|, |v[68:69]|
	v_cndmask_b32_e32 v1, v1, v69, vcc_lo
	v_cndmask_b32_e32 v0, v0, v68, vcc_lo
	v_cndmask_b32_e64 v58, v58, s0, vcc_lo
	s_add_i32 s0, s0, 1
	s_cmp_lg_u32 s2, s0
	s_cbranch_scc1 .LBB50_235
.LBB50_236:
	s_mov_b32 s0, exec_lo
	s_waitcnt lgkmcnt(0)
	v_cmpx_eq_f64_e32 0, v[0:1]
	s_xor_b32 s0, exec_lo, s0
; %bb.237:
	v_cmp_ne_u32_e32 vcc_lo, 0, v66
	v_cndmask_b32_e32 v66, 15, v66, vcc_lo
; %bb.238:
	s_andn2_saveexec_b32 s0, s0
	s_cbranch_execz .LBB50_240
; %bb.239:
	v_div_scale_f64 v[59:60], null, v[0:1], v[0:1], 1.0
	v_rcp_f64_e32 v[68:69], v[59:60]
	v_fma_f64 v[70:71], -v[59:60], v[68:69], 1.0
	v_fma_f64 v[68:69], v[68:69], v[70:71], v[68:69]
	v_fma_f64 v[70:71], -v[59:60], v[68:69], 1.0
	v_fma_f64 v[68:69], v[68:69], v[70:71], v[68:69]
	v_div_scale_f64 v[70:71], vcc_lo, 1.0, v[0:1], 1.0
	v_mul_f64 v[72:73], v[70:71], v[68:69]
	v_fma_f64 v[59:60], -v[59:60], v[72:73], v[70:71]
	v_div_fmas_f64 v[59:60], v[59:60], v[68:69], v[72:73]
	v_div_fixup_f64 v[0:1], v[59:60], v[0:1], 1.0
.LBB50_240:
	s_or_b32 exec_lo, exec_lo, s0
	s_mov_b32 s0, exec_lo
	v_cmpx_ne_u32_e64 v67, v58
	s_xor_b32 s0, exec_lo, s0
	s_cbranch_execz .LBB50_246
; %bb.241:
	s_mov_b32 s1, exec_lo
	v_cmpx_eq_u32_e32 14, v67
	s_cbranch_execz .LBB50_245
; %bb.242:
	v_cmp_ne_u32_e32 vcc_lo, 14, v58
	s_xor_b32 s3, s6, -1
	s_and_b32 s7, s3, vcc_lo
	s_and_saveexec_b32 s3, s7
	s_cbranch_execz .LBB50_244
; %bb.243:
	v_ashrrev_i32_e32 v59, 31, v58
	v_lshlrev_b64 v[59:60], 2, v[58:59]
	v_add_co_u32 v59, vcc_lo, v4, v59
	v_add_co_ci_u32_e64 v60, null, v5, v60, vcc_lo
	s_clause 0x1
	global_load_dword v61, v[59:60], off
	global_load_dword v67, v[4:5], off offset:56
	s_waitcnt vmcnt(1)
	global_store_dword v[4:5], v61, off offset:56
	s_waitcnt vmcnt(0)
	global_store_dword v[59:60], v67, off
.LBB50_244:
	s_or_b32 exec_lo, exec_lo, s3
	v_mov_b32_e32 v61, v58
	v_mov_b32_e32 v67, v58
.LBB50_245:
	s_or_b32 exec_lo, exec_lo, s1
.LBB50_246:
	s_andn2_saveexec_b32 s0, s0
	s_cbranch_execz .LBB50_248
; %bb.247:
	v_mov_b32_e32 v67, 14
	ds_write2_b64 v64, v[24:25], v[22:23] offset0:15 offset1:16
	ds_write2_b64 v64, v[18:19], v[20:21] offset0:17 offset1:18
	;; [unrolled: 1-line block ×5, first 2 shown]
	ds_write_b64 v64, v[56:57] offset:200
.LBB50_248:
	s_or_b32 exec_lo, exec_lo, s0
	s_mov_b32 s0, exec_lo
	s_waitcnt lgkmcnt(0)
	s_waitcnt_vscnt null, 0x0
	s_barrier
	buffer_gl0_inv
	v_cmpx_lt_i32_e32 14, v67
	s_cbranch_execz .LBB50_250
; %bb.249:
	v_mul_f64 v[26:27], v[0:1], v[26:27]
	ds_read2_b64 v[68:71], v64 offset0:15 offset1:16
	ds_read2_b64 v[72:75], v64 offset0:17 offset1:18
	;; [unrolled: 1-line block ×5, first 2 shown]
	ds_read_b64 v[0:1], v64 offset:200
	s_waitcnt lgkmcnt(5)
	v_fma_f64 v[24:25], -v[26:27], v[68:69], v[24:25]
	v_fma_f64 v[22:23], -v[26:27], v[70:71], v[22:23]
	s_waitcnt lgkmcnt(4)
	v_fma_f64 v[18:19], -v[26:27], v[72:73], v[18:19]
	v_fma_f64 v[20:21], -v[26:27], v[74:75], v[20:21]
	;; [unrolled: 3-line block ×5, first 2 shown]
	s_waitcnt lgkmcnt(0)
	v_fma_f64 v[56:57], -v[26:27], v[0:1], v[56:57]
.LBB50_250:
	s_or_b32 exec_lo, exec_lo, s0
	v_lshl_add_u32 v0, v67, 3, v64
	s_barrier
	buffer_gl0_inv
	v_mov_b32_e32 v58, 15
	ds_write_b64 v0, v[24:25]
	s_waitcnt lgkmcnt(0)
	s_barrier
	buffer_gl0_inv
	ds_read_b64 v[0:1], v64 offset:120
	s_cmp_lt_i32 s2, 17
	s_cbranch_scc1 .LBB50_253
; %bb.251:
	v_add3_u32 v59, v65, 0, 0x80
	v_mov_b32_e32 v58, 15
	s_mov_b32 s0, 16
.LBB50_252:                             ; =>This Inner Loop Header: Depth=1
	ds_read_b64 v[68:69], v59
	v_add_nc_u32_e32 v59, 8, v59
	s_waitcnt lgkmcnt(0)
	v_cmp_lt_f64_e64 vcc_lo, |v[0:1]|, |v[68:69]|
	v_cndmask_b32_e32 v1, v1, v69, vcc_lo
	v_cndmask_b32_e32 v0, v0, v68, vcc_lo
	v_cndmask_b32_e64 v58, v58, s0, vcc_lo
	s_add_i32 s0, s0, 1
	s_cmp_lg_u32 s2, s0
	s_cbranch_scc1 .LBB50_252
.LBB50_253:
	s_mov_b32 s0, exec_lo
	s_waitcnt lgkmcnt(0)
	v_cmpx_eq_f64_e32 0, v[0:1]
	s_xor_b32 s0, exec_lo, s0
; %bb.254:
	v_cmp_ne_u32_e32 vcc_lo, 0, v66
	v_cndmask_b32_e32 v66, 16, v66, vcc_lo
; %bb.255:
	s_andn2_saveexec_b32 s0, s0
	s_cbranch_execz .LBB50_257
; %bb.256:
	v_div_scale_f64 v[59:60], null, v[0:1], v[0:1], 1.0
	v_rcp_f64_e32 v[68:69], v[59:60]
	v_fma_f64 v[70:71], -v[59:60], v[68:69], 1.0
	v_fma_f64 v[68:69], v[68:69], v[70:71], v[68:69]
	v_fma_f64 v[70:71], -v[59:60], v[68:69], 1.0
	v_fma_f64 v[68:69], v[68:69], v[70:71], v[68:69]
	v_div_scale_f64 v[70:71], vcc_lo, 1.0, v[0:1], 1.0
	v_mul_f64 v[72:73], v[70:71], v[68:69]
	v_fma_f64 v[59:60], -v[59:60], v[72:73], v[70:71]
	v_div_fmas_f64 v[59:60], v[59:60], v[68:69], v[72:73]
	v_div_fixup_f64 v[0:1], v[59:60], v[0:1], 1.0
.LBB50_257:
	s_or_b32 exec_lo, exec_lo, s0
	s_mov_b32 s0, exec_lo
	v_cmpx_ne_u32_e64 v67, v58
	s_xor_b32 s0, exec_lo, s0
	s_cbranch_execz .LBB50_263
; %bb.258:
	s_mov_b32 s1, exec_lo
	v_cmpx_eq_u32_e32 15, v67
	s_cbranch_execz .LBB50_262
; %bb.259:
	v_cmp_ne_u32_e32 vcc_lo, 15, v58
	s_xor_b32 s3, s6, -1
	s_and_b32 s7, s3, vcc_lo
	s_and_saveexec_b32 s3, s7
	s_cbranch_execz .LBB50_261
; %bb.260:
	v_ashrrev_i32_e32 v59, 31, v58
	v_lshlrev_b64 v[59:60], 2, v[58:59]
	v_add_co_u32 v59, vcc_lo, v4, v59
	v_add_co_ci_u32_e64 v60, null, v5, v60, vcc_lo
	s_clause 0x1
	global_load_dword v61, v[59:60], off
	global_load_dword v67, v[4:5], off offset:60
	s_waitcnt vmcnt(1)
	global_store_dword v[4:5], v61, off offset:60
	s_waitcnt vmcnt(0)
	global_store_dword v[59:60], v67, off
.LBB50_261:
	s_or_b32 exec_lo, exec_lo, s3
	v_mov_b32_e32 v61, v58
	v_mov_b32_e32 v67, v58
.LBB50_262:
	s_or_b32 exec_lo, exec_lo, s1
.LBB50_263:
	s_andn2_saveexec_b32 s0, s0
	s_cbranch_execz .LBB50_265
; %bb.264:
	v_mov_b32_e32 v58, v22
	v_mov_b32_e32 v59, v23
	;; [unrolled: 1-line block ×8, first 2 shown]
	ds_write2_b64 v64, v[58:59], v[67:68] offset0:16 offset1:17
	v_mov_b32_e32 v58, v14
	v_mov_b32_e32 v59, v15
	;; [unrolled: 1-line block ×11, first 2 shown]
	ds_write2_b64 v64, v[69:70], v[58:59] offset0:18 offset1:19
	ds_write2_b64 v64, v[71:72], v[73:74] offset0:20 offset1:21
	;; [unrolled: 1-line block ×4, first 2 shown]
.LBB50_265:
	s_or_b32 exec_lo, exec_lo, s0
	s_mov_b32 s0, exec_lo
	s_waitcnt lgkmcnt(0)
	s_waitcnt_vscnt null, 0x0
	s_barrier
	buffer_gl0_inv
	v_cmpx_lt_i32_e32 15, v67
	s_cbranch_execz .LBB50_267
; %bb.266:
	v_mul_f64 v[24:25], v[0:1], v[24:25]
	ds_read2_b64 v[68:71], v64 offset0:16 offset1:17
	ds_read2_b64 v[72:75], v64 offset0:18 offset1:19
	;; [unrolled: 1-line block ×5, first 2 shown]
	s_waitcnt lgkmcnt(4)
	v_fma_f64 v[22:23], -v[24:25], v[68:69], v[22:23]
	v_fma_f64 v[18:19], -v[24:25], v[70:71], v[18:19]
	s_waitcnt lgkmcnt(3)
	v_fma_f64 v[20:21], -v[24:25], v[72:73], v[20:21]
	v_fma_f64 v[14:15], -v[24:25], v[74:75], v[14:15]
	;; [unrolled: 3-line block ×5, first 2 shown]
.LBB50_267:
	s_or_b32 exec_lo, exec_lo, s0
	v_lshl_add_u32 v0, v67, 3, v64
	s_barrier
	buffer_gl0_inv
	v_mov_b32_e32 v58, 16
	ds_write_b64 v0, v[22:23]
	s_waitcnt lgkmcnt(0)
	s_barrier
	buffer_gl0_inv
	ds_read_b64 v[0:1], v64 offset:128
	s_cmp_lt_i32 s2, 18
	s_cbranch_scc1 .LBB50_270
; %bb.268:
	v_add3_u32 v59, v65, 0, 0x88
	v_mov_b32_e32 v58, 16
	s_mov_b32 s0, 17
.LBB50_269:                             ; =>This Inner Loop Header: Depth=1
	ds_read_b64 v[68:69], v59
	v_add_nc_u32_e32 v59, 8, v59
	s_waitcnt lgkmcnt(0)
	v_cmp_lt_f64_e64 vcc_lo, |v[0:1]|, |v[68:69]|
	v_cndmask_b32_e32 v1, v1, v69, vcc_lo
	v_cndmask_b32_e32 v0, v0, v68, vcc_lo
	v_cndmask_b32_e64 v58, v58, s0, vcc_lo
	s_add_i32 s0, s0, 1
	s_cmp_lg_u32 s2, s0
	s_cbranch_scc1 .LBB50_269
.LBB50_270:
	s_mov_b32 s0, exec_lo
	s_waitcnt lgkmcnt(0)
	v_cmpx_eq_f64_e32 0, v[0:1]
	s_xor_b32 s0, exec_lo, s0
; %bb.271:
	v_cmp_ne_u32_e32 vcc_lo, 0, v66
	v_cndmask_b32_e32 v66, 17, v66, vcc_lo
; %bb.272:
	s_andn2_saveexec_b32 s0, s0
	s_cbranch_execz .LBB50_274
; %bb.273:
	v_div_scale_f64 v[59:60], null, v[0:1], v[0:1], 1.0
	v_rcp_f64_e32 v[68:69], v[59:60]
	v_fma_f64 v[70:71], -v[59:60], v[68:69], 1.0
	v_fma_f64 v[68:69], v[68:69], v[70:71], v[68:69]
	v_fma_f64 v[70:71], -v[59:60], v[68:69], 1.0
	v_fma_f64 v[68:69], v[68:69], v[70:71], v[68:69]
	v_div_scale_f64 v[70:71], vcc_lo, 1.0, v[0:1], 1.0
	v_mul_f64 v[72:73], v[70:71], v[68:69]
	v_fma_f64 v[59:60], -v[59:60], v[72:73], v[70:71]
	v_div_fmas_f64 v[59:60], v[59:60], v[68:69], v[72:73]
	v_div_fixup_f64 v[0:1], v[59:60], v[0:1], 1.0
.LBB50_274:
	s_or_b32 exec_lo, exec_lo, s0
	s_mov_b32 s0, exec_lo
	v_cmpx_ne_u32_e64 v67, v58
	s_xor_b32 s0, exec_lo, s0
	s_cbranch_execz .LBB50_280
; %bb.275:
	s_mov_b32 s1, exec_lo
	v_cmpx_eq_u32_e32 16, v67
	s_cbranch_execz .LBB50_279
; %bb.276:
	v_cmp_ne_u32_e32 vcc_lo, 16, v58
	s_xor_b32 s3, s6, -1
	s_and_b32 s7, s3, vcc_lo
	s_and_saveexec_b32 s3, s7
	s_cbranch_execz .LBB50_278
; %bb.277:
	v_ashrrev_i32_e32 v59, 31, v58
	v_lshlrev_b64 v[59:60], 2, v[58:59]
	v_add_co_u32 v59, vcc_lo, v4, v59
	v_add_co_ci_u32_e64 v60, null, v5, v60, vcc_lo
	s_clause 0x1
	global_load_dword v61, v[59:60], off
	global_load_dword v67, v[4:5], off offset:64
	s_waitcnt vmcnt(1)
	global_store_dword v[4:5], v61, off offset:64
	s_waitcnt vmcnt(0)
	global_store_dword v[59:60], v67, off
.LBB50_278:
	s_or_b32 exec_lo, exec_lo, s3
	v_mov_b32_e32 v61, v58
	v_mov_b32_e32 v67, v58
.LBB50_279:
	s_or_b32 exec_lo, exec_lo, s1
.LBB50_280:
	s_andn2_saveexec_b32 s0, s0
	s_cbranch_execz .LBB50_282
; %bb.281:
	v_mov_b32_e32 v67, 16
	ds_write2_b64 v64, v[18:19], v[20:21] offset0:17 offset1:18
	ds_write2_b64 v64, v[14:15], v[16:17] offset0:19 offset1:20
	;; [unrolled: 1-line block ×4, first 2 shown]
	ds_write_b64 v64, v[56:57] offset:200
.LBB50_282:
	s_or_b32 exec_lo, exec_lo, s0
	s_mov_b32 s0, exec_lo
	s_waitcnt lgkmcnt(0)
	s_waitcnt_vscnt null, 0x0
	s_barrier
	buffer_gl0_inv
	v_cmpx_lt_i32_e32 16, v67
	s_cbranch_execz .LBB50_284
; %bb.283:
	v_mul_f64 v[22:23], v[0:1], v[22:23]
	ds_read2_b64 v[68:71], v64 offset0:17 offset1:18
	ds_read2_b64 v[72:75], v64 offset0:19 offset1:20
	ds_read2_b64 v[76:79], v64 offset0:21 offset1:22
	ds_read2_b64 v[80:83], v64 offset0:23 offset1:24
	ds_read_b64 v[0:1], v64 offset:200
	s_waitcnt lgkmcnt(4)
	v_fma_f64 v[18:19], -v[22:23], v[68:69], v[18:19]
	v_fma_f64 v[20:21], -v[22:23], v[70:71], v[20:21]
	s_waitcnt lgkmcnt(3)
	v_fma_f64 v[14:15], -v[22:23], v[72:73], v[14:15]
	v_fma_f64 v[16:17], -v[22:23], v[74:75], v[16:17]
	;; [unrolled: 3-line block ×4, first 2 shown]
	s_waitcnt lgkmcnt(0)
	v_fma_f64 v[56:57], -v[22:23], v[0:1], v[56:57]
.LBB50_284:
	s_or_b32 exec_lo, exec_lo, s0
	v_lshl_add_u32 v0, v67, 3, v64
	s_barrier
	buffer_gl0_inv
	v_mov_b32_e32 v58, 17
	ds_write_b64 v0, v[18:19]
	s_waitcnt lgkmcnt(0)
	s_barrier
	buffer_gl0_inv
	ds_read_b64 v[0:1], v64 offset:136
	s_cmp_lt_i32 s2, 19
	s_cbranch_scc1 .LBB50_287
; %bb.285:
	v_add3_u32 v59, v65, 0, 0x90
	v_mov_b32_e32 v58, 17
	s_mov_b32 s0, 18
.LBB50_286:                             ; =>This Inner Loop Header: Depth=1
	ds_read_b64 v[68:69], v59
	v_add_nc_u32_e32 v59, 8, v59
	s_waitcnt lgkmcnt(0)
	v_cmp_lt_f64_e64 vcc_lo, |v[0:1]|, |v[68:69]|
	v_cndmask_b32_e32 v1, v1, v69, vcc_lo
	v_cndmask_b32_e32 v0, v0, v68, vcc_lo
	v_cndmask_b32_e64 v58, v58, s0, vcc_lo
	s_add_i32 s0, s0, 1
	s_cmp_lg_u32 s2, s0
	s_cbranch_scc1 .LBB50_286
.LBB50_287:
	s_mov_b32 s0, exec_lo
	s_waitcnt lgkmcnt(0)
	v_cmpx_eq_f64_e32 0, v[0:1]
	s_xor_b32 s0, exec_lo, s0
; %bb.288:
	v_cmp_ne_u32_e32 vcc_lo, 0, v66
	v_cndmask_b32_e32 v66, 18, v66, vcc_lo
; %bb.289:
	s_andn2_saveexec_b32 s0, s0
	s_cbranch_execz .LBB50_291
; %bb.290:
	v_div_scale_f64 v[59:60], null, v[0:1], v[0:1], 1.0
	v_rcp_f64_e32 v[68:69], v[59:60]
	v_fma_f64 v[70:71], -v[59:60], v[68:69], 1.0
	v_fma_f64 v[68:69], v[68:69], v[70:71], v[68:69]
	v_fma_f64 v[70:71], -v[59:60], v[68:69], 1.0
	v_fma_f64 v[68:69], v[68:69], v[70:71], v[68:69]
	v_div_scale_f64 v[70:71], vcc_lo, 1.0, v[0:1], 1.0
	v_mul_f64 v[72:73], v[70:71], v[68:69]
	v_fma_f64 v[59:60], -v[59:60], v[72:73], v[70:71]
	v_div_fmas_f64 v[59:60], v[59:60], v[68:69], v[72:73]
	v_div_fixup_f64 v[0:1], v[59:60], v[0:1], 1.0
.LBB50_291:
	s_or_b32 exec_lo, exec_lo, s0
	s_mov_b32 s0, exec_lo
	v_cmpx_ne_u32_e64 v67, v58
	s_xor_b32 s0, exec_lo, s0
	s_cbranch_execz .LBB50_297
; %bb.292:
	s_mov_b32 s1, exec_lo
	v_cmpx_eq_u32_e32 17, v67
	s_cbranch_execz .LBB50_296
; %bb.293:
	v_cmp_ne_u32_e32 vcc_lo, 17, v58
	s_xor_b32 s3, s6, -1
	s_and_b32 s7, s3, vcc_lo
	s_and_saveexec_b32 s3, s7
	s_cbranch_execz .LBB50_295
; %bb.294:
	v_ashrrev_i32_e32 v59, 31, v58
	v_lshlrev_b64 v[59:60], 2, v[58:59]
	v_add_co_u32 v59, vcc_lo, v4, v59
	v_add_co_ci_u32_e64 v60, null, v5, v60, vcc_lo
	s_clause 0x1
	global_load_dword v61, v[59:60], off
	global_load_dword v67, v[4:5], off offset:68
	s_waitcnt vmcnt(1)
	global_store_dword v[4:5], v61, off offset:68
	s_waitcnt vmcnt(0)
	global_store_dword v[59:60], v67, off
.LBB50_295:
	s_or_b32 exec_lo, exec_lo, s3
	v_mov_b32_e32 v61, v58
	v_mov_b32_e32 v67, v58
.LBB50_296:
	s_or_b32 exec_lo, exec_lo, s1
.LBB50_297:
	s_andn2_saveexec_b32 s0, s0
	s_cbranch_execz .LBB50_299
; %bb.298:
	v_mov_b32_e32 v58, v20
	v_mov_b32_e32 v59, v21
	;; [unrolled: 1-line block ×15, first 2 shown]
	ds_write2_b64 v64, v[58:59], v[68:69] offset0:18 offset1:19
	ds_write2_b64 v64, v[70:71], v[72:73] offset0:20 offset1:21
	;; [unrolled: 1-line block ×4, first 2 shown]
.LBB50_299:
	s_or_b32 exec_lo, exec_lo, s0
	s_mov_b32 s0, exec_lo
	s_waitcnt lgkmcnt(0)
	s_waitcnt_vscnt null, 0x0
	s_barrier
	buffer_gl0_inv
	v_cmpx_lt_i32_e32 17, v67
	s_cbranch_execz .LBB50_301
; %bb.300:
	v_mul_f64 v[18:19], v[0:1], v[18:19]
	ds_read2_b64 v[68:71], v64 offset0:18 offset1:19
	ds_read2_b64 v[72:75], v64 offset0:20 offset1:21
	;; [unrolled: 1-line block ×4, first 2 shown]
	s_waitcnt lgkmcnt(3)
	v_fma_f64 v[20:21], -v[18:19], v[68:69], v[20:21]
	v_fma_f64 v[14:15], -v[18:19], v[70:71], v[14:15]
	s_waitcnt lgkmcnt(2)
	v_fma_f64 v[16:17], -v[18:19], v[72:73], v[16:17]
	v_fma_f64 v[8:9], -v[18:19], v[74:75], v[8:9]
	;; [unrolled: 3-line block ×4, first 2 shown]
.LBB50_301:
	s_or_b32 exec_lo, exec_lo, s0
	v_lshl_add_u32 v0, v67, 3, v64
	s_barrier
	buffer_gl0_inv
	v_mov_b32_e32 v58, 18
	ds_write_b64 v0, v[20:21]
	s_waitcnt lgkmcnt(0)
	s_barrier
	buffer_gl0_inv
	ds_read_b64 v[0:1], v64 offset:144
	s_cmp_lt_i32 s2, 20
	s_cbranch_scc1 .LBB50_304
; %bb.302:
	v_add3_u32 v59, v65, 0, 0x98
	v_mov_b32_e32 v58, 18
	s_mov_b32 s0, 19
.LBB50_303:                             ; =>This Inner Loop Header: Depth=1
	ds_read_b64 v[68:69], v59
	v_add_nc_u32_e32 v59, 8, v59
	s_waitcnt lgkmcnt(0)
	v_cmp_lt_f64_e64 vcc_lo, |v[0:1]|, |v[68:69]|
	v_cndmask_b32_e32 v1, v1, v69, vcc_lo
	v_cndmask_b32_e32 v0, v0, v68, vcc_lo
	v_cndmask_b32_e64 v58, v58, s0, vcc_lo
	s_add_i32 s0, s0, 1
	s_cmp_lg_u32 s2, s0
	s_cbranch_scc1 .LBB50_303
.LBB50_304:
	s_mov_b32 s0, exec_lo
	s_waitcnt lgkmcnt(0)
	v_cmpx_eq_f64_e32 0, v[0:1]
	s_xor_b32 s0, exec_lo, s0
; %bb.305:
	v_cmp_ne_u32_e32 vcc_lo, 0, v66
	v_cndmask_b32_e32 v66, 19, v66, vcc_lo
; %bb.306:
	s_andn2_saveexec_b32 s0, s0
	s_cbranch_execz .LBB50_308
; %bb.307:
	v_div_scale_f64 v[59:60], null, v[0:1], v[0:1], 1.0
	v_rcp_f64_e32 v[68:69], v[59:60]
	v_fma_f64 v[70:71], -v[59:60], v[68:69], 1.0
	v_fma_f64 v[68:69], v[68:69], v[70:71], v[68:69]
	v_fma_f64 v[70:71], -v[59:60], v[68:69], 1.0
	v_fma_f64 v[68:69], v[68:69], v[70:71], v[68:69]
	v_div_scale_f64 v[70:71], vcc_lo, 1.0, v[0:1], 1.0
	v_mul_f64 v[72:73], v[70:71], v[68:69]
	v_fma_f64 v[59:60], -v[59:60], v[72:73], v[70:71]
	v_div_fmas_f64 v[59:60], v[59:60], v[68:69], v[72:73]
	v_div_fixup_f64 v[0:1], v[59:60], v[0:1], 1.0
.LBB50_308:
	s_or_b32 exec_lo, exec_lo, s0
	s_mov_b32 s0, exec_lo
	v_cmpx_ne_u32_e64 v67, v58
	s_xor_b32 s0, exec_lo, s0
	s_cbranch_execz .LBB50_314
; %bb.309:
	s_mov_b32 s1, exec_lo
	v_cmpx_eq_u32_e32 18, v67
	s_cbranch_execz .LBB50_313
; %bb.310:
	v_cmp_ne_u32_e32 vcc_lo, 18, v58
	s_xor_b32 s3, s6, -1
	s_and_b32 s7, s3, vcc_lo
	s_and_saveexec_b32 s3, s7
	s_cbranch_execz .LBB50_312
; %bb.311:
	v_ashrrev_i32_e32 v59, 31, v58
	v_lshlrev_b64 v[59:60], 2, v[58:59]
	v_add_co_u32 v59, vcc_lo, v4, v59
	v_add_co_ci_u32_e64 v60, null, v5, v60, vcc_lo
	s_clause 0x1
	global_load_dword v61, v[59:60], off
	global_load_dword v67, v[4:5], off offset:72
	s_waitcnt vmcnt(1)
	global_store_dword v[4:5], v61, off offset:72
	s_waitcnt vmcnt(0)
	global_store_dword v[59:60], v67, off
.LBB50_312:
	s_or_b32 exec_lo, exec_lo, s3
	v_mov_b32_e32 v61, v58
	v_mov_b32_e32 v67, v58
.LBB50_313:
	s_or_b32 exec_lo, exec_lo, s1
.LBB50_314:
	s_andn2_saveexec_b32 s0, s0
	s_cbranch_execz .LBB50_316
; %bb.315:
	v_mov_b32_e32 v67, 18
	ds_write2_b64 v64, v[14:15], v[16:17] offset0:19 offset1:20
	ds_write2_b64 v64, v[8:9], v[12:13] offset0:21 offset1:22
	;; [unrolled: 1-line block ×3, first 2 shown]
	ds_write_b64 v64, v[56:57] offset:200
.LBB50_316:
	s_or_b32 exec_lo, exec_lo, s0
	s_mov_b32 s0, exec_lo
	s_waitcnt lgkmcnt(0)
	s_waitcnt_vscnt null, 0x0
	s_barrier
	buffer_gl0_inv
	v_cmpx_lt_i32_e32 18, v67
	s_cbranch_execz .LBB50_318
; %bb.317:
	v_mul_f64 v[20:21], v[0:1], v[20:21]
	ds_read2_b64 v[68:71], v64 offset0:19 offset1:20
	ds_read2_b64 v[72:75], v64 offset0:21 offset1:22
	;; [unrolled: 1-line block ×3, first 2 shown]
	ds_read_b64 v[0:1], v64 offset:200
	s_waitcnt lgkmcnt(3)
	v_fma_f64 v[14:15], -v[20:21], v[68:69], v[14:15]
	v_fma_f64 v[16:17], -v[20:21], v[70:71], v[16:17]
	s_waitcnt lgkmcnt(2)
	v_fma_f64 v[8:9], -v[20:21], v[72:73], v[8:9]
	v_fma_f64 v[12:13], -v[20:21], v[74:75], v[12:13]
	;; [unrolled: 3-line block ×3, first 2 shown]
	s_waitcnt lgkmcnt(0)
	v_fma_f64 v[56:57], -v[20:21], v[0:1], v[56:57]
.LBB50_318:
	s_or_b32 exec_lo, exec_lo, s0
	v_lshl_add_u32 v0, v67, 3, v64
	s_barrier
	buffer_gl0_inv
	v_mov_b32_e32 v58, 19
	ds_write_b64 v0, v[14:15]
	s_waitcnt lgkmcnt(0)
	s_barrier
	buffer_gl0_inv
	ds_read_b64 v[0:1], v64 offset:152
	s_cmp_lt_i32 s2, 21
	s_cbranch_scc1 .LBB50_321
; %bb.319:
	v_add3_u32 v59, v65, 0, 0xa0
	v_mov_b32_e32 v58, 19
	s_mov_b32 s0, 20
.LBB50_320:                             ; =>This Inner Loop Header: Depth=1
	ds_read_b64 v[68:69], v59
	v_add_nc_u32_e32 v59, 8, v59
	s_waitcnt lgkmcnt(0)
	v_cmp_lt_f64_e64 vcc_lo, |v[0:1]|, |v[68:69]|
	v_cndmask_b32_e32 v1, v1, v69, vcc_lo
	v_cndmask_b32_e32 v0, v0, v68, vcc_lo
	v_cndmask_b32_e64 v58, v58, s0, vcc_lo
	s_add_i32 s0, s0, 1
	s_cmp_lg_u32 s2, s0
	s_cbranch_scc1 .LBB50_320
.LBB50_321:
	s_mov_b32 s0, exec_lo
	s_waitcnt lgkmcnt(0)
	v_cmpx_eq_f64_e32 0, v[0:1]
	s_xor_b32 s0, exec_lo, s0
; %bb.322:
	v_cmp_ne_u32_e32 vcc_lo, 0, v66
	v_cndmask_b32_e32 v66, 20, v66, vcc_lo
; %bb.323:
	s_andn2_saveexec_b32 s0, s0
	s_cbranch_execz .LBB50_325
; %bb.324:
	v_div_scale_f64 v[59:60], null, v[0:1], v[0:1], 1.0
	v_rcp_f64_e32 v[68:69], v[59:60]
	v_fma_f64 v[70:71], -v[59:60], v[68:69], 1.0
	v_fma_f64 v[68:69], v[68:69], v[70:71], v[68:69]
	v_fma_f64 v[70:71], -v[59:60], v[68:69], 1.0
	v_fma_f64 v[68:69], v[68:69], v[70:71], v[68:69]
	v_div_scale_f64 v[70:71], vcc_lo, 1.0, v[0:1], 1.0
	v_mul_f64 v[72:73], v[70:71], v[68:69]
	v_fma_f64 v[59:60], -v[59:60], v[72:73], v[70:71]
	v_div_fmas_f64 v[59:60], v[59:60], v[68:69], v[72:73]
	v_div_fixup_f64 v[0:1], v[59:60], v[0:1], 1.0
.LBB50_325:
	s_or_b32 exec_lo, exec_lo, s0
	s_mov_b32 s0, exec_lo
	v_cmpx_ne_u32_e64 v67, v58
	s_xor_b32 s0, exec_lo, s0
	s_cbranch_execz .LBB50_331
; %bb.326:
	s_mov_b32 s1, exec_lo
	v_cmpx_eq_u32_e32 19, v67
	s_cbranch_execz .LBB50_330
; %bb.327:
	v_cmp_ne_u32_e32 vcc_lo, 19, v58
	s_xor_b32 s3, s6, -1
	s_and_b32 s7, s3, vcc_lo
	s_and_saveexec_b32 s3, s7
	s_cbranch_execz .LBB50_329
; %bb.328:
	v_ashrrev_i32_e32 v59, 31, v58
	v_lshlrev_b64 v[59:60], 2, v[58:59]
	v_add_co_u32 v59, vcc_lo, v4, v59
	v_add_co_ci_u32_e64 v60, null, v5, v60, vcc_lo
	s_clause 0x1
	global_load_dword v61, v[59:60], off
	global_load_dword v67, v[4:5], off offset:76
	s_waitcnt vmcnt(1)
	global_store_dword v[4:5], v61, off offset:76
	s_waitcnt vmcnt(0)
	global_store_dword v[59:60], v67, off
.LBB50_329:
	s_or_b32 exec_lo, exec_lo, s3
	v_mov_b32_e32 v61, v58
	v_mov_b32_e32 v67, v58
.LBB50_330:
	s_or_b32 exec_lo, exec_lo, s1
.LBB50_331:
	s_andn2_saveexec_b32 s0, s0
	s_cbranch_execz .LBB50_333
; %bb.332:
	v_mov_b32_e32 v58, v16
	v_mov_b32_e32 v59, v17
	;; [unrolled: 1-line block ×11, first 2 shown]
	ds_write2_b64 v64, v[58:59], v[68:69] offset0:20 offset1:21
	ds_write2_b64 v64, v[70:71], v[72:73] offset0:22 offset1:23
	;; [unrolled: 1-line block ×3, first 2 shown]
.LBB50_333:
	s_or_b32 exec_lo, exec_lo, s0
	s_mov_b32 s0, exec_lo
	s_waitcnt lgkmcnt(0)
	s_waitcnt_vscnt null, 0x0
	s_barrier
	buffer_gl0_inv
	v_cmpx_lt_i32_e32 19, v67
	s_cbranch_execz .LBB50_335
; %bb.334:
	v_mul_f64 v[14:15], v[0:1], v[14:15]
	ds_read2_b64 v[68:71], v64 offset0:20 offset1:21
	ds_read2_b64 v[72:75], v64 offset0:22 offset1:23
	;; [unrolled: 1-line block ×3, first 2 shown]
	s_waitcnt lgkmcnt(2)
	v_fma_f64 v[16:17], -v[14:15], v[68:69], v[16:17]
	v_fma_f64 v[8:9], -v[14:15], v[70:71], v[8:9]
	s_waitcnt lgkmcnt(1)
	v_fma_f64 v[12:13], -v[14:15], v[72:73], v[12:13]
	v_fma_f64 v[6:7], -v[14:15], v[74:75], v[6:7]
	;; [unrolled: 3-line block ×3, first 2 shown]
.LBB50_335:
	s_or_b32 exec_lo, exec_lo, s0
	v_lshl_add_u32 v0, v67, 3, v64
	s_barrier
	buffer_gl0_inv
	v_mov_b32_e32 v58, 20
	ds_write_b64 v0, v[16:17]
	s_waitcnt lgkmcnt(0)
	s_barrier
	buffer_gl0_inv
	ds_read_b64 v[0:1], v64 offset:160
	s_cmp_lt_i32 s2, 22
	s_cbranch_scc1 .LBB50_338
; %bb.336:
	v_add3_u32 v59, v65, 0, 0xa8
	v_mov_b32_e32 v58, 20
	s_mov_b32 s0, 21
.LBB50_337:                             ; =>This Inner Loop Header: Depth=1
	ds_read_b64 v[68:69], v59
	v_add_nc_u32_e32 v59, 8, v59
	s_waitcnt lgkmcnt(0)
	v_cmp_lt_f64_e64 vcc_lo, |v[0:1]|, |v[68:69]|
	v_cndmask_b32_e32 v1, v1, v69, vcc_lo
	v_cndmask_b32_e32 v0, v0, v68, vcc_lo
	v_cndmask_b32_e64 v58, v58, s0, vcc_lo
	s_add_i32 s0, s0, 1
	s_cmp_lg_u32 s2, s0
	s_cbranch_scc1 .LBB50_337
.LBB50_338:
	s_mov_b32 s0, exec_lo
	s_waitcnt lgkmcnt(0)
	v_cmpx_eq_f64_e32 0, v[0:1]
	s_xor_b32 s0, exec_lo, s0
; %bb.339:
	v_cmp_ne_u32_e32 vcc_lo, 0, v66
	v_cndmask_b32_e32 v66, 21, v66, vcc_lo
; %bb.340:
	s_andn2_saveexec_b32 s0, s0
	s_cbranch_execz .LBB50_342
; %bb.341:
	v_div_scale_f64 v[59:60], null, v[0:1], v[0:1], 1.0
	v_rcp_f64_e32 v[68:69], v[59:60]
	v_fma_f64 v[70:71], -v[59:60], v[68:69], 1.0
	v_fma_f64 v[68:69], v[68:69], v[70:71], v[68:69]
	v_fma_f64 v[70:71], -v[59:60], v[68:69], 1.0
	v_fma_f64 v[68:69], v[68:69], v[70:71], v[68:69]
	v_div_scale_f64 v[70:71], vcc_lo, 1.0, v[0:1], 1.0
	v_mul_f64 v[72:73], v[70:71], v[68:69]
	v_fma_f64 v[59:60], -v[59:60], v[72:73], v[70:71]
	v_div_fmas_f64 v[59:60], v[59:60], v[68:69], v[72:73]
	v_div_fixup_f64 v[0:1], v[59:60], v[0:1], 1.0
.LBB50_342:
	s_or_b32 exec_lo, exec_lo, s0
	s_mov_b32 s0, exec_lo
	v_cmpx_ne_u32_e64 v67, v58
	s_xor_b32 s0, exec_lo, s0
	s_cbranch_execz .LBB50_348
; %bb.343:
	s_mov_b32 s1, exec_lo
	v_cmpx_eq_u32_e32 20, v67
	s_cbranch_execz .LBB50_347
; %bb.344:
	v_cmp_ne_u32_e32 vcc_lo, 20, v58
	s_xor_b32 s3, s6, -1
	s_and_b32 s7, s3, vcc_lo
	s_and_saveexec_b32 s3, s7
	s_cbranch_execz .LBB50_346
; %bb.345:
	v_ashrrev_i32_e32 v59, 31, v58
	v_lshlrev_b64 v[59:60], 2, v[58:59]
	v_add_co_u32 v59, vcc_lo, v4, v59
	v_add_co_ci_u32_e64 v60, null, v5, v60, vcc_lo
	s_clause 0x1
	global_load_dword v61, v[59:60], off
	global_load_dword v67, v[4:5], off offset:80
	s_waitcnt vmcnt(1)
	global_store_dword v[4:5], v61, off offset:80
	s_waitcnt vmcnt(0)
	global_store_dword v[59:60], v67, off
.LBB50_346:
	s_or_b32 exec_lo, exec_lo, s3
	v_mov_b32_e32 v61, v58
	v_mov_b32_e32 v67, v58
.LBB50_347:
	s_or_b32 exec_lo, exec_lo, s1
.LBB50_348:
	s_andn2_saveexec_b32 s0, s0
	s_cbranch_execz .LBB50_350
; %bb.349:
	v_mov_b32_e32 v67, 20
	ds_write2_b64 v64, v[8:9], v[12:13] offset0:21 offset1:22
	ds_write2_b64 v64, v[6:7], v[10:11] offset0:23 offset1:24
	ds_write_b64 v64, v[56:57] offset:200
.LBB50_350:
	s_or_b32 exec_lo, exec_lo, s0
	s_mov_b32 s0, exec_lo
	s_waitcnt lgkmcnt(0)
	s_waitcnt_vscnt null, 0x0
	s_barrier
	buffer_gl0_inv
	v_cmpx_lt_i32_e32 20, v67
	s_cbranch_execz .LBB50_352
; %bb.351:
	v_mul_f64 v[16:17], v[0:1], v[16:17]
	ds_read2_b64 v[68:71], v64 offset0:21 offset1:22
	ds_read2_b64 v[72:75], v64 offset0:23 offset1:24
	ds_read_b64 v[0:1], v64 offset:200
	s_waitcnt lgkmcnt(2)
	v_fma_f64 v[8:9], -v[16:17], v[68:69], v[8:9]
	v_fma_f64 v[12:13], -v[16:17], v[70:71], v[12:13]
	s_waitcnt lgkmcnt(1)
	v_fma_f64 v[6:7], -v[16:17], v[72:73], v[6:7]
	v_fma_f64 v[10:11], -v[16:17], v[74:75], v[10:11]
	s_waitcnt lgkmcnt(0)
	v_fma_f64 v[56:57], -v[16:17], v[0:1], v[56:57]
.LBB50_352:
	s_or_b32 exec_lo, exec_lo, s0
	v_lshl_add_u32 v0, v67, 3, v64
	s_barrier
	buffer_gl0_inv
	v_mov_b32_e32 v58, 21
	ds_write_b64 v0, v[8:9]
	s_waitcnt lgkmcnt(0)
	s_barrier
	buffer_gl0_inv
	ds_read_b64 v[0:1], v64 offset:168
	s_cmp_lt_i32 s2, 23
	s_cbranch_scc1 .LBB50_355
; %bb.353:
	v_add3_u32 v59, v65, 0, 0xb0
	v_mov_b32_e32 v58, 21
	s_mov_b32 s0, 22
.LBB50_354:                             ; =>This Inner Loop Header: Depth=1
	ds_read_b64 v[68:69], v59
	v_add_nc_u32_e32 v59, 8, v59
	s_waitcnt lgkmcnt(0)
	v_cmp_lt_f64_e64 vcc_lo, |v[0:1]|, |v[68:69]|
	v_cndmask_b32_e32 v1, v1, v69, vcc_lo
	v_cndmask_b32_e32 v0, v0, v68, vcc_lo
	v_cndmask_b32_e64 v58, v58, s0, vcc_lo
	s_add_i32 s0, s0, 1
	s_cmp_lg_u32 s2, s0
	s_cbranch_scc1 .LBB50_354
.LBB50_355:
	s_mov_b32 s0, exec_lo
	s_waitcnt lgkmcnt(0)
	v_cmpx_eq_f64_e32 0, v[0:1]
	s_xor_b32 s0, exec_lo, s0
; %bb.356:
	v_cmp_ne_u32_e32 vcc_lo, 0, v66
	v_cndmask_b32_e32 v66, 22, v66, vcc_lo
; %bb.357:
	s_andn2_saveexec_b32 s0, s0
	s_cbranch_execz .LBB50_359
; %bb.358:
	v_div_scale_f64 v[59:60], null, v[0:1], v[0:1], 1.0
	v_rcp_f64_e32 v[68:69], v[59:60]
	v_fma_f64 v[70:71], -v[59:60], v[68:69], 1.0
	v_fma_f64 v[68:69], v[68:69], v[70:71], v[68:69]
	v_fma_f64 v[70:71], -v[59:60], v[68:69], 1.0
	v_fma_f64 v[68:69], v[68:69], v[70:71], v[68:69]
	v_div_scale_f64 v[70:71], vcc_lo, 1.0, v[0:1], 1.0
	v_mul_f64 v[72:73], v[70:71], v[68:69]
	v_fma_f64 v[59:60], -v[59:60], v[72:73], v[70:71]
	v_div_fmas_f64 v[59:60], v[59:60], v[68:69], v[72:73]
	v_div_fixup_f64 v[0:1], v[59:60], v[0:1], 1.0
.LBB50_359:
	s_or_b32 exec_lo, exec_lo, s0
	s_mov_b32 s0, exec_lo
	v_cmpx_ne_u32_e64 v67, v58
	s_xor_b32 s0, exec_lo, s0
	s_cbranch_execz .LBB50_365
; %bb.360:
	s_mov_b32 s1, exec_lo
	v_cmpx_eq_u32_e32 21, v67
	s_cbranch_execz .LBB50_364
; %bb.361:
	v_cmp_ne_u32_e32 vcc_lo, 21, v58
	s_xor_b32 s3, s6, -1
	s_and_b32 s7, s3, vcc_lo
	s_and_saveexec_b32 s3, s7
	s_cbranch_execz .LBB50_363
; %bb.362:
	v_ashrrev_i32_e32 v59, 31, v58
	v_lshlrev_b64 v[59:60], 2, v[58:59]
	v_add_co_u32 v59, vcc_lo, v4, v59
	v_add_co_ci_u32_e64 v60, null, v5, v60, vcc_lo
	s_clause 0x1
	global_load_dword v61, v[59:60], off
	global_load_dword v67, v[4:5], off offset:84
	s_waitcnt vmcnt(1)
	global_store_dword v[4:5], v61, off offset:84
	s_waitcnt vmcnt(0)
	global_store_dword v[59:60], v67, off
.LBB50_363:
	s_or_b32 exec_lo, exec_lo, s3
	v_mov_b32_e32 v61, v58
	v_mov_b32_e32 v67, v58
.LBB50_364:
	s_or_b32 exec_lo, exec_lo, s1
.LBB50_365:
	s_andn2_saveexec_b32 s0, s0
	s_cbranch_execz .LBB50_367
; %bb.366:
	v_mov_b32_e32 v58, v12
	v_mov_b32_e32 v59, v13
	;; [unrolled: 1-line block ×7, first 2 shown]
	ds_write2_b64 v64, v[58:59], v[68:69] offset0:22 offset1:23
	ds_write2_b64 v64, v[70:71], v[56:57] offset0:24 offset1:25
.LBB50_367:
	s_or_b32 exec_lo, exec_lo, s0
	s_mov_b32 s0, exec_lo
	s_waitcnt lgkmcnt(0)
	s_waitcnt_vscnt null, 0x0
	s_barrier
	buffer_gl0_inv
	v_cmpx_lt_i32_e32 21, v67
	s_cbranch_execz .LBB50_369
; %bb.368:
	v_mul_f64 v[8:9], v[0:1], v[8:9]
	ds_read2_b64 v[68:71], v64 offset0:22 offset1:23
	ds_read2_b64 v[72:75], v64 offset0:24 offset1:25
	s_waitcnt lgkmcnt(1)
	v_fma_f64 v[12:13], -v[8:9], v[68:69], v[12:13]
	v_fma_f64 v[6:7], -v[8:9], v[70:71], v[6:7]
	s_waitcnt lgkmcnt(0)
	v_fma_f64 v[10:11], -v[8:9], v[72:73], v[10:11]
	v_fma_f64 v[56:57], -v[8:9], v[74:75], v[56:57]
.LBB50_369:
	s_or_b32 exec_lo, exec_lo, s0
	v_lshl_add_u32 v0, v67, 3, v64
	s_barrier
	buffer_gl0_inv
	v_mov_b32_e32 v58, 22
	ds_write_b64 v0, v[12:13]
	s_waitcnt lgkmcnt(0)
	s_barrier
	buffer_gl0_inv
	ds_read_b64 v[0:1], v64 offset:176
	s_cmp_lt_i32 s2, 24
	s_cbranch_scc1 .LBB50_372
; %bb.370:
	v_add3_u32 v59, v65, 0, 0xb8
	v_mov_b32_e32 v58, 22
	s_mov_b32 s0, 23
.LBB50_371:                             ; =>This Inner Loop Header: Depth=1
	ds_read_b64 v[68:69], v59
	v_add_nc_u32_e32 v59, 8, v59
	s_waitcnt lgkmcnt(0)
	v_cmp_lt_f64_e64 vcc_lo, |v[0:1]|, |v[68:69]|
	v_cndmask_b32_e32 v1, v1, v69, vcc_lo
	v_cndmask_b32_e32 v0, v0, v68, vcc_lo
	v_cndmask_b32_e64 v58, v58, s0, vcc_lo
	s_add_i32 s0, s0, 1
	s_cmp_lg_u32 s2, s0
	s_cbranch_scc1 .LBB50_371
.LBB50_372:
	s_mov_b32 s0, exec_lo
	s_waitcnt lgkmcnt(0)
	v_cmpx_eq_f64_e32 0, v[0:1]
	s_xor_b32 s0, exec_lo, s0
; %bb.373:
	v_cmp_ne_u32_e32 vcc_lo, 0, v66
	v_cndmask_b32_e32 v66, 23, v66, vcc_lo
; %bb.374:
	s_andn2_saveexec_b32 s0, s0
	s_cbranch_execz .LBB50_376
; %bb.375:
	v_div_scale_f64 v[59:60], null, v[0:1], v[0:1], 1.0
	v_rcp_f64_e32 v[68:69], v[59:60]
	v_fma_f64 v[70:71], -v[59:60], v[68:69], 1.0
	v_fma_f64 v[68:69], v[68:69], v[70:71], v[68:69]
	v_fma_f64 v[70:71], -v[59:60], v[68:69], 1.0
	v_fma_f64 v[68:69], v[68:69], v[70:71], v[68:69]
	v_div_scale_f64 v[70:71], vcc_lo, 1.0, v[0:1], 1.0
	v_mul_f64 v[72:73], v[70:71], v[68:69]
	v_fma_f64 v[59:60], -v[59:60], v[72:73], v[70:71]
	v_div_fmas_f64 v[59:60], v[59:60], v[68:69], v[72:73]
	v_div_fixup_f64 v[0:1], v[59:60], v[0:1], 1.0
.LBB50_376:
	s_or_b32 exec_lo, exec_lo, s0
	s_mov_b32 s0, exec_lo
	v_cmpx_ne_u32_e64 v67, v58
	s_xor_b32 s0, exec_lo, s0
	s_cbranch_execz .LBB50_382
; %bb.377:
	s_mov_b32 s1, exec_lo
	v_cmpx_eq_u32_e32 22, v67
	s_cbranch_execz .LBB50_381
; %bb.378:
	v_cmp_ne_u32_e32 vcc_lo, 22, v58
	s_xor_b32 s3, s6, -1
	s_and_b32 s7, s3, vcc_lo
	s_and_saveexec_b32 s3, s7
	s_cbranch_execz .LBB50_380
; %bb.379:
	v_ashrrev_i32_e32 v59, 31, v58
	v_lshlrev_b64 v[59:60], 2, v[58:59]
	v_add_co_u32 v59, vcc_lo, v4, v59
	v_add_co_ci_u32_e64 v60, null, v5, v60, vcc_lo
	s_clause 0x1
	global_load_dword v61, v[59:60], off
	global_load_dword v67, v[4:5], off offset:88
	s_waitcnt vmcnt(1)
	global_store_dword v[4:5], v61, off offset:88
	s_waitcnt vmcnt(0)
	global_store_dword v[59:60], v67, off
.LBB50_380:
	s_or_b32 exec_lo, exec_lo, s3
	v_mov_b32_e32 v61, v58
	v_mov_b32_e32 v67, v58
.LBB50_381:
	s_or_b32 exec_lo, exec_lo, s1
.LBB50_382:
	s_andn2_saveexec_b32 s0, s0
	s_cbranch_execz .LBB50_384
; %bb.383:
	v_mov_b32_e32 v67, 22
	ds_write2_b64 v64, v[6:7], v[10:11] offset0:23 offset1:24
	ds_write_b64 v64, v[56:57] offset:200
.LBB50_384:
	s_or_b32 exec_lo, exec_lo, s0
	s_mov_b32 s0, exec_lo
	s_waitcnt lgkmcnt(0)
	s_waitcnt_vscnt null, 0x0
	s_barrier
	buffer_gl0_inv
	v_cmpx_lt_i32_e32 22, v67
	s_cbranch_execz .LBB50_386
; %bb.385:
	v_mul_f64 v[12:13], v[0:1], v[12:13]
	ds_read2_b64 v[68:71], v64 offset0:23 offset1:24
	ds_read_b64 v[0:1], v64 offset:200
	s_waitcnt lgkmcnt(1)
	v_fma_f64 v[6:7], -v[12:13], v[68:69], v[6:7]
	v_fma_f64 v[10:11], -v[12:13], v[70:71], v[10:11]
	s_waitcnt lgkmcnt(0)
	v_fma_f64 v[56:57], -v[12:13], v[0:1], v[56:57]
.LBB50_386:
	s_or_b32 exec_lo, exec_lo, s0
	v_lshl_add_u32 v0, v67, 3, v64
	s_barrier
	buffer_gl0_inv
	v_mov_b32_e32 v58, 23
	ds_write_b64 v0, v[6:7]
	s_waitcnt lgkmcnt(0)
	s_barrier
	buffer_gl0_inv
	ds_read_b64 v[0:1], v64 offset:184
	s_cmp_lt_i32 s2, 25
	s_cbranch_scc1 .LBB50_389
; %bb.387:
	v_add3_u32 v59, v65, 0, 0xc0
	v_mov_b32_e32 v58, 23
	s_mov_b32 s0, 24
.LBB50_388:                             ; =>This Inner Loop Header: Depth=1
	ds_read_b64 v[68:69], v59
	v_add_nc_u32_e32 v59, 8, v59
	s_waitcnt lgkmcnt(0)
	v_cmp_lt_f64_e64 vcc_lo, |v[0:1]|, |v[68:69]|
	v_cndmask_b32_e32 v1, v1, v69, vcc_lo
	v_cndmask_b32_e32 v0, v0, v68, vcc_lo
	v_cndmask_b32_e64 v58, v58, s0, vcc_lo
	s_add_i32 s0, s0, 1
	s_cmp_lg_u32 s2, s0
	s_cbranch_scc1 .LBB50_388
.LBB50_389:
	s_mov_b32 s0, exec_lo
	s_waitcnt lgkmcnt(0)
	v_cmpx_eq_f64_e32 0, v[0:1]
	s_xor_b32 s0, exec_lo, s0
; %bb.390:
	v_cmp_ne_u32_e32 vcc_lo, 0, v66
	v_cndmask_b32_e32 v66, 24, v66, vcc_lo
; %bb.391:
	s_andn2_saveexec_b32 s0, s0
	s_cbranch_execz .LBB50_393
; %bb.392:
	v_div_scale_f64 v[59:60], null, v[0:1], v[0:1], 1.0
	v_rcp_f64_e32 v[68:69], v[59:60]
	v_fma_f64 v[70:71], -v[59:60], v[68:69], 1.0
	v_fma_f64 v[68:69], v[68:69], v[70:71], v[68:69]
	v_fma_f64 v[70:71], -v[59:60], v[68:69], 1.0
	v_fma_f64 v[68:69], v[68:69], v[70:71], v[68:69]
	v_div_scale_f64 v[70:71], vcc_lo, 1.0, v[0:1], 1.0
	v_mul_f64 v[72:73], v[70:71], v[68:69]
	v_fma_f64 v[59:60], -v[59:60], v[72:73], v[70:71]
	v_div_fmas_f64 v[59:60], v[59:60], v[68:69], v[72:73]
	v_div_fixup_f64 v[0:1], v[59:60], v[0:1], 1.0
.LBB50_393:
	s_or_b32 exec_lo, exec_lo, s0
	s_mov_b32 s0, exec_lo
	v_cmpx_ne_u32_e64 v67, v58
	s_xor_b32 s0, exec_lo, s0
	s_cbranch_execz .LBB50_399
; %bb.394:
	s_mov_b32 s1, exec_lo
	v_cmpx_eq_u32_e32 23, v67
	s_cbranch_execz .LBB50_398
; %bb.395:
	v_cmp_ne_u32_e32 vcc_lo, 23, v58
	s_xor_b32 s3, s6, -1
	s_and_b32 s7, s3, vcc_lo
	s_and_saveexec_b32 s3, s7
	s_cbranch_execz .LBB50_397
; %bb.396:
	v_ashrrev_i32_e32 v59, 31, v58
	v_lshlrev_b64 v[59:60], 2, v[58:59]
	v_add_co_u32 v59, vcc_lo, v4, v59
	v_add_co_ci_u32_e64 v60, null, v5, v60, vcc_lo
	s_clause 0x1
	global_load_dword v61, v[59:60], off
	global_load_dword v67, v[4:5], off offset:92
	s_waitcnt vmcnt(1)
	global_store_dword v[4:5], v61, off offset:92
	s_waitcnt vmcnt(0)
	global_store_dword v[59:60], v67, off
.LBB50_397:
	s_or_b32 exec_lo, exec_lo, s3
	v_mov_b32_e32 v61, v58
	v_mov_b32_e32 v67, v58
.LBB50_398:
	s_or_b32 exec_lo, exec_lo, s1
.LBB50_399:
	s_andn2_saveexec_b32 s0, s0
	s_cbranch_execz .LBB50_401
; %bb.400:
	v_mov_b32_e32 v58, v10
	v_mov_b32_e32 v59, v11
	;; [unrolled: 1-line block ×3, first 2 shown]
	ds_write2_b64 v64, v[58:59], v[56:57] offset0:24 offset1:25
.LBB50_401:
	s_or_b32 exec_lo, exec_lo, s0
	s_mov_b32 s0, exec_lo
	s_waitcnt lgkmcnt(0)
	s_waitcnt_vscnt null, 0x0
	s_barrier
	buffer_gl0_inv
	v_cmpx_lt_i32_e32 23, v67
	s_cbranch_execz .LBB50_403
; %bb.402:
	v_mul_f64 v[6:7], v[0:1], v[6:7]
	ds_read2_b64 v[68:71], v64 offset0:24 offset1:25
	s_waitcnt lgkmcnt(0)
	v_fma_f64 v[10:11], -v[6:7], v[68:69], v[10:11]
	v_fma_f64 v[56:57], -v[6:7], v[70:71], v[56:57]
.LBB50_403:
	s_or_b32 exec_lo, exec_lo, s0
	v_lshl_add_u32 v0, v67, 3, v64
	s_barrier
	buffer_gl0_inv
	v_mov_b32_e32 v58, 24
	ds_write_b64 v0, v[10:11]
	s_waitcnt lgkmcnt(0)
	s_barrier
	buffer_gl0_inv
	ds_read_b64 v[0:1], v64 offset:192
	s_cmp_lt_i32 s2, 26
	s_cbranch_scc1 .LBB50_406
; %bb.404:
	v_add3_u32 v59, v65, 0, 0xc8
	v_mov_b32_e32 v58, 24
	s_mov_b32 s0, 25
.LBB50_405:                             ; =>This Inner Loop Header: Depth=1
	ds_read_b64 v[68:69], v59
	v_add_nc_u32_e32 v59, 8, v59
	s_waitcnt lgkmcnt(0)
	v_cmp_lt_f64_e64 vcc_lo, |v[0:1]|, |v[68:69]|
	v_cndmask_b32_e32 v1, v1, v69, vcc_lo
	v_cndmask_b32_e32 v0, v0, v68, vcc_lo
	v_cndmask_b32_e64 v58, v58, s0, vcc_lo
	s_add_i32 s0, s0, 1
	s_cmp_lg_u32 s2, s0
	s_cbranch_scc1 .LBB50_405
.LBB50_406:
	s_mov_b32 s0, exec_lo
	s_waitcnt lgkmcnt(0)
	v_cmpx_eq_f64_e32 0, v[0:1]
	s_xor_b32 s0, exec_lo, s0
; %bb.407:
	v_cmp_ne_u32_e32 vcc_lo, 0, v66
	v_cndmask_b32_e32 v66, 25, v66, vcc_lo
; %bb.408:
	s_andn2_saveexec_b32 s0, s0
	s_cbranch_execz .LBB50_410
; %bb.409:
	v_div_scale_f64 v[59:60], null, v[0:1], v[0:1], 1.0
	v_rcp_f64_e32 v[68:69], v[59:60]
	v_fma_f64 v[70:71], -v[59:60], v[68:69], 1.0
	v_fma_f64 v[68:69], v[68:69], v[70:71], v[68:69]
	v_fma_f64 v[70:71], -v[59:60], v[68:69], 1.0
	v_fma_f64 v[68:69], v[68:69], v[70:71], v[68:69]
	v_div_scale_f64 v[70:71], vcc_lo, 1.0, v[0:1], 1.0
	v_mul_f64 v[72:73], v[70:71], v[68:69]
	v_fma_f64 v[59:60], -v[59:60], v[72:73], v[70:71]
	v_div_fmas_f64 v[59:60], v[59:60], v[68:69], v[72:73]
	v_div_fixup_f64 v[0:1], v[59:60], v[0:1], 1.0
.LBB50_410:
	s_or_b32 exec_lo, exec_lo, s0
	s_mov_b32 s0, exec_lo
	v_cmpx_ne_u32_e64 v67, v58
	s_xor_b32 s0, exec_lo, s0
	s_cbranch_execz .LBB50_416
; %bb.411:
	s_mov_b32 s1, exec_lo
	v_cmpx_eq_u32_e32 24, v67
	s_cbranch_execz .LBB50_415
; %bb.412:
	v_cmp_ne_u32_e32 vcc_lo, 24, v58
	s_xor_b32 s3, s6, -1
	s_and_b32 s7, s3, vcc_lo
	s_and_saveexec_b32 s3, s7
	s_cbranch_execz .LBB50_414
; %bb.413:
	v_ashrrev_i32_e32 v59, 31, v58
	v_lshlrev_b64 v[59:60], 2, v[58:59]
	v_add_co_u32 v59, vcc_lo, v4, v59
	v_add_co_ci_u32_e64 v60, null, v5, v60, vcc_lo
	s_clause 0x1
	global_load_dword v61, v[59:60], off
	global_load_dword v67, v[4:5], off offset:96
	s_waitcnt vmcnt(1)
	global_store_dword v[4:5], v61, off offset:96
	s_waitcnt vmcnt(0)
	global_store_dword v[59:60], v67, off
.LBB50_414:
	s_or_b32 exec_lo, exec_lo, s3
	v_mov_b32_e32 v61, v58
	v_mov_b32_e32 v67, v58
.LBB50_415:
	s_or_b32 exec_lo, exec_lo, s1
.LBB50_416:
	s_andn2_saveexec_b32 s0, s0
; %bb.417:
	v_mov_b32_e32 v67, 24
	ds_write_b64 v64, v[56:57] offset:200
; %bb.418:
	s_or_b32 exec_lo, exec_lo, s0
	s_mov_b32 s0, exec_lo
	s_waitcnt lgkmcnt(0)
	s_waitcnt_vscnt null, 0x0
	s_barrier
	buffer_gl0_inv
	v_cmpx_lt_i32_e32 24, v67
	s_cbranch_execz .LBB50_420
; %bb.419:
	v_mul_f64 v[10:11], v[0:1], v[10:11]
	ds_read_b64 v[0:1], v64 offset:200
	s_waitcnt lgkmcnt(0)
	v_fma_f64 v[56:57], -v[10:11], v[0:1], v[56:57]
.LBB50_420:
	s_or_b32 exec_lo, exec_lo, s0
	v_lshl_add_u32 v0, v67, 3, v64
	s_barrier
	buffer_gl0_inv
	v_mov_b32_e32 v58, 25
	ds_write_b64 v0, v[56:57]
	s_waitcnt lgkmcnt(0)
	s_barrier
	buffer_gl0_inv
	ds_read_b64 v[0:1], v64 offset:200
	s_cmp_lt_i32 s2, 27
	s_cbranch_scc1 .LBB50_423
; %bb.421:
	v_add3_u32 v59, v65, 0, 0xd0
	v_mov_b32_e32 v58, 25
	s_mov_b32 s0, 26
.LBB50_422:                             ; =>This Inner Loop Header: Depth=1
	ds_read_b64 v[64:65], v59
	v_add_nc_u32_e32 v59, 8, v59
	s_waitcnt lgkmcnt(0)
	v_cmp_lt_f64_e64 vcc_lo, |v[0:1]|, |v[64:65]|
	v_cndmask_b32_e32 v1, v1, v65, vcc_lo
	v_cndmask_b32_e32 v0, v0, v64, vcc_lo
	v_cndmask_b32_e64 v58, v58, s0, vcc_lo
	s_add_i32 s0, s0, 1
	s_cmp_lg_u32 s2, s0
	s_cbranch_scc1 .LBB50_422
.LBB50_423:
	s_mov_b32 s0, exec_lo
	s_waitcnt lgkmcnt(0)
	v_cmpx_eq_f64_e32 0, v[0:1]
	s_xor_b32 s0, exec_lo, s0
; %bb.424:
	v_cmp_ne_u32_e32 vcc_lo, 0, v66
	v_cndmask_b32_e32 v66, 26, v66, vcc_lo
; %bb.425:
	s_andn2_saveexec_b32 s0, s0
	s_cbranch_execz .LBB50_427
; %bb.426:
	v_div_scale_f64 v[59:60], null, v[0:1], v[0:1], 1.0
	v_rcp_f64_e32 v[64:65], v[59:60]
	v_fma_f64 v[68:69], -v[59:60], v[64:65], 1.0
	v_fma_f64 v[64:65], v[64:65], v[68:69], v[64:65]
	v_fma_f64 v[68:69], -v[59:60], v[64:65], 1.0
	v_fma_f64 v[64:65], v[64:65], v[68:69], v[64:65]
	v_div_scale_f64 v[68:69], vcc_lo, 1.0, v[0:1], 1.0
	v_mul_f64 v[70:71], v[68:69], v[64:65]
	v_fma_f64 v[59:60], -v[59:60], v[70:71], v[68:69]
	v_div_fmas_f64 v[59:60], v[59:60], v[64:65], v[70:71]
	v_div_fixup_f64 v[0:1], v[59:60], v[0:1], 1.0
.LBB50_427:
	s_or_b32 exec_lo, exec_lo, s0
	v_mov_b32_e32 v59, 25
	s_mov_b32 s0, exec_lo
	v_cmpx_ne_u32_e64 v67, v58
	s_cbranch_execz .LBB50_433
; %bb.428:
	s_mov_b32 s1, exec_lo
	v_cmpx_eq_u32_e32 25, v67
	s_cbranch_execz .LBB50_432
; %bb.429:
	v_cmp_ne_u32_e32 vcc_lo, 25, v58
	s_xor_b32 s2, s6, -1
	s_and_b32 s3, s2, vcc_lo
	s_and_saveexec_b32 s2, s3
	s_cbranch_execz .LBB50_431
; %bb.430:
	v_ashrrev_i32_e32 v59, 31, v58
	v_lshlrev_b64 v[59:60], 2, v[58:59]
	v_add_co_u32 v59, vcc_lo, v4, v59
	v_add_co_ci_u32_e64 v60, null, v5, v60, vcc_lo
	s_clause 0x1
	global_load_dword v61, v[59:60], off
	global_load_dword v64, v[4:5], off offset:100
	s_waitcnt vmcnt(1)
	global_store_dword v[4:5], v61, off offset:100
	s_waitcnt vmcnt(0)
	global_store_dword v[59:60], v64, off
.LBB50_431:
	s_or_b32 exec_lo, exec_lo, s2
	v_mov_b32_e32 v61, v58
	v_mov_b32_e32 v67, v58
.LBB50_432:
	s_or_b32 exec_lo, exec_lo, s1
	v_mov_b32_e32 v59, v67
.LBB50_433:
	s_or_b32 exec_lo, exec_lo, s0
	s_load_dwordx8 s[0:7], s[4:5], 0x28
	v_ashrrev_i32_e32 v60, 31, v59
	s_mov_b32 s9, exec_lo
	s_waitcnt lgkmcnt(0)
	s_waitcnt_vscnt null, 0x0
	s_barrier
	buffer_gl0_inv
	s_barrier
	buffer_gl0_inv
	v_cmpx_gt_i32_e32 26, v59
	s_cbranch_execz .LBB50_435
; %bb.434:
	v_mul_lo_u32 v58, s5, v2
	v_mul_lo_u32 v64, s4, v3
	v_mad_u64_u32 v[4:5], null, s4, v2, 0
	s_lshl_b64 s[2:3], s[2:3], 2
	v_add3_u32 v5, v5, v64, v58
	v_lshlrev_b64 v[4:5], 2, v[4:5]
	v_add_co_u32 v58, vcc_lo, s0, v4
	v_add_co_ci_u32_e64 v64, null, s1, v5, vcc_lo
	v_lshlrev_b64 v[4:5], 2, v[59:60]
	v_add_co_u32 v58, vcc_lo, v58, s2
	v_add_co_ci_u32_e64 v64, null, s3, v64, vcc_lo
	v_add_co_u32 v4, vcc_lo, v58, v4
	v_add_co_ci_u32_e64 v5, null, v64, v5, vcc_lo
	v_add3_u32 v58, v61, s13, 1
	global_store_dword v[4:5], v58, off
.LBB50_435:
	s_or_b32 exec_lo, exec_lo, s9
	s_mov_b32 s1, exec_lo
	v_cmpx_eq_u32_e32 0, v59
	s_cbranch_execz .LBB50_438
; %bb.436:
	v_lshlrev_b64 v[2:3], 2, v[2:3]
	v_cmp_ne_u32_e64 s0, 0, v66
	v_add_co_u32 v2, vcc_lo, s6, v2
	v_add_co_ci_u32_e64 v3, null, s7, v3, vcc_lo
	global_load_dword v4, v[2:3], off
	s_waitcnt vmcnt(0)
	v_cmp_eq_u32_e32 vcc_lo, 0, v4
	s_and_b32 s0, vcc_lo, s0
	s_and_b32 exec_lo, exec_lo, s0
	s_cbranch_execz .LBB50_438
; %bb.437:
	v_add_nc_u32_e32 v4, s13, v66
	global_store_dword v[2:3], v4, off
.LBB50_438:
	s_or_b32 exec_lo, exec_lo, s1
	v_mul_f64 v[0:1], v[0:1], v[56:57]
	v_add3_u32 v2, s8, s8, v59
	v_lshlrev_b64 v[4:5], 3, v[59:60]
	v_add_nc_u32_e32 v58, s8, v2
	v_ashrrev_i32_e32 v3, 31, v2
	v_add_co_u32 v4, vcc_lo, v62, v4
	v_add_co_ci_u32_e64 v5, null, v63, v5, vcc_lo
	v_cmp_lt_i32_e32 vcc_lo, 25, v59
	v_ashrrev_i32_e32 v59, 31, v58
	v_lshlrev_b64 v[2:3], 3, v[2:3]
	flat_store_dwordx2 v[4:5], v[54:55]
	v_add_nc_u32_e32 v60, s8, v58
	v_add_co_u32 v4, s0, v4, s10
	v_lshlrev_b64 v[54:55], 3, v[58:59]
	v_add_co_ci_u32_e64 v5, null, s11, v5, s0
	v_cndmask_b32_e32 v1, v57, v1, vcc_lo
	v_cndmask_b32_e32 v0, v56, v0, vcc_lo
	v_add_co_u32 v2, vcc_lo, v62, v2
	v_add_co_ci_u32_e64 v3, null, v63, v3, vcc_lo
	v_add_co_u32 v54, vcc_lo, v62, v54
	v_add_nc_u32_e32 v56, s8, v60
	v_add_co_ci_u32_e64 v55, null, v63, v55, vcc_lo
	v_ashrrev_i32_e32 v61, 31, v60
	flat_store_dwordx2 v[4:5], v[52:53]
	flat_store_dwordx2 v[2:3], v[50:51]
	;; [unrolled: 1-line block ×3, first 2 shown]
	v_add_nc_u32_e32 v48, s8, v56
	v_ashrrev_i32_e32 v57, 31, v56
	v_lshlrev_b64 v[4:5], 3, v[60:61]
	v_add_nc_u32_e32 v50, s8, v48
	v_lshlrev_b64 v[2:3], 3, v[56:57]
	v_ashrrev_i32_e32 v49, 31, v48
	v_add_co_u32 v4, vcc_lo, v62, v4
	v_add_nc_u32_e32 v52, s8, v50
	v_add_co_ci_u32_e64 v5, null, v63, v5, vcc_lo
	v_add_co_u32 v2, vcc_lo, v62, v2
	v_ashrrev_i32_e32 v51, 31, v50
	v_add_co_ci_u32_e64 v3, null, v63, v3, vcc_lo
	v_ashrrev_i32_e32 v53, 31, v52
	v_lshlrev_b64 v[48:49], 3, v[48:49]
	flat_store_dwordx2 v[4:5], v[46:47]
	flat_store_dwordx2 v[2:3], v[44:45]
	v_lshlrev_b64 v[2:3], 3, v[50:51]
	v_add_nc_u32_e32 v46, s8, v52
	v_lshlrev_b64 v[44:45], 3, v[52:53]
	v_add_co_u32 v4, vcc_lo, v62, v48
	v_add_co_ci_u32_e64 v5, null, v63, v49, vcc_lo
	v_add_co_u32 v2, vcc_lo, v62, v2
	v_add_co_ci_u32_e64 v3, null, v63, v3, vcc_lo
	v_add_co_u32 v44, vcc_lo, v62, v44
	v_add_nc_u32_e32 v48, s8, v46
	v_add_co_ci_u32_e64 v45, null, v63, v45, vcc_lo
	v_ashrrev_i32_e32 v47, 31, v46
	flat_store_dwordx2 v[4:5], v[40:41]
	v_ashrrev_i32_e32 v49, 31, v48
	flat_store_dwordx2 v[2:3], v[38:39]
	flat_store_dwordx2 v[44:45], v[42:43]
	v_add_nc_u32_e32 v38, s8, v48
	v_lshlrev_b64 v[4:5], 3, v[46:47]
	v_lshlrev_b64 v[2:3], 3, v[48:49]
	v_add_nc_u32_e32 v40, s8, v38
	v_ashrrev_i32_e32 v39, 31, v38
	v_add_co_u32 v4, vcc_lo, v62, v4
	v_add_co_ci_u32_e64 v5, null, v63, v5, vcc_lo
	v_add_nc_u32_e32 v42, s8, v40
	v_add_co_u32 v2, vcc_lo, v62, v2
	v_add_co_ci_u32_e64 v3, null, v63, v3, vcc_lo
	v_ashrrev_i32_e32 v41, 31, v40
	v_lshlrev_b64 v[38:39], 3, v[38:39]
	v_ashrrev_i32_e32 v43, 31, v42
	flat_store_dwordx2 v[4:5], v[34:35]
	flat_store_dwordx2 v[2:3], v[36:37]
	v_add_nc_u32_e32 v36, s8, v42
	v_lshlrev_b64 v[2:3], 3, v[40:41]
	v_add_co_u32 v4, vcc_lo, v62, v38
	v_lshlrev_b64 v[34:35], 3, v[42:43]
	v_add_co_ci_u32_e64 v5, null, v63, v39, vcc_lo
	v_add_nc_u32_e32 v38, s8, v36
	v_add_co_u32 v2, vcc_lo, v62, v2
	v_add_co_ci_u32_e64 v3, null, v63, v3, vcc_lo
	v_ashrrev_i32_e32 v37, 31, v36
	v_add_co_u32 v34, vcc_lo, v62, v34
	flat_store_dwordx2 v[4:5], v[28:29]
	v_add_nc_u32_e32 v28, s8, v38
	v_add_co_ci_u32_e64 v35, null, v63, v35, vcc_lo
	v_ashrrev_i32_e32 v39, 31, v38
	v_lshlrev_b64 v[4:5], 3, v[36:37]
	flat_store_dwordx2 v[2:3], v[32:33]
	flat_store_dwordx2 v[34:35], v[30:31]
	v_add_nc_u32_e32 v30, s8, v28
	v_ashrrev_i32_e32 v29, 31, v28
	v_lshlrev_b64 v[2:3], 3, v[38:39]
	v_add_co_u32 v4, vcc_lo, v62, v4
	v_add_nc_u32_e32 v32, s8, v30
	v_add_co_ci_u32_e64 v5, null, v63, v5, vcc_lo
	v_add_co_u32 v2, vcc_lo, v62, v2
	v_ashrrev_i32_e32 v31, 31, v30
	v_add_co_ci_u32_e64 v3, null, v63, v3, vcc_lo
	v_ashrrev_i32_e32 v33, 31, v32
	v_lshlrev_b64 v[28:29], 3, v[28:29]
	flat_store_dwordx2 v[4:5], v[26:27]
	flat_store_dwordx2 v[2:3], v[24:25]
	v_lshlrev_b64 v[2:3], 3, v[30:31]
	v_add_nc_u32_e32 v26, s8, v32
	v_lshlrev_b64 v[24:25], 3, v[32:33]
	v_add_co_u32 v4, vcc_lo, v62, v28
	v_add_co_ci_u32_e64 v5, null, v63, v29, vcc_lo
	v_add_co_u32 v2, vcc_lo, v62, v2
	v_add_co_ci_u32_e64 v3, null, v63, v3, vcc_lo
	v_add_co_u32 v24, vcc_lo, v62, v24
	v_add_nc_u32_e32 v28, s8, v26
	v_add_co_ci_u32_e64 v25, null, v63, v25, vcc_lo
	v_ashrrev_i32_e32 v27, 31, v26
	flat_store_dwordx2 v[4:5], v[22:23]
	flat_store_dwordx2 v[2:3], v[18:19]
	flat_store_dwordx2 v[24:25], v[20:21]
	v_add_nc_u32_e32 v18, s8, v28
	v_ashrrev_i32_e32 v29, 31, v28
	v_lshlrev_b64 v[4:5], 3, v[26:27]
	v_add_nc_u32_e32 v20, s8, v18
	v_lshlrev_b64 v[2:3], 3, v[28:29]
	v_ashrrev_i32_e32 v19, 31, v18
	v_add_co_u32 v4, vcc_lo, v62, v4
	v_add_co_ci_u32_e64 v5, null, v63, v5, vcc_lo
	v_add_nc_u32_e32 v22, s8, v20
	v_add_co_u32 v2, vcc_lo, v62, v2
	flat_store_dwordx2 v[4:5], v[14:15]
	v_add_co_ci_u32_e64 v3, null, v63, v3, vcc_lo
	v_add_nc_u32_e32 v14, s8, v22
	v_ashrrev_i32_e32 v21, 31, v20
	v_lshlrev_b64 v[4:5], 3, v[18:19]
	v_ashrrev_i32_e32 v23, 31, v22
	flat_store_dwordx2 v[2:3], v[16:17]
	v_add_nc_u32_e32 v18, s8, v14
	v_ashrrev_i32_e32 v15, 31, v14
	v_lshlrev_b64 v[2:3], 3, v[20:21]
	v_lshlrev_b64 v[16:17], 3, v[22:23]
	v_add_co_u32 v4, vcc_lo, v62, v4
	v_ashrrev_i32_e32 v19, 31, v18
	v_lshlrev_b64 v[14:15], 3, v[14:15]
	v_add_co_ci_u32_e64 v5, null, v63, v5, vcc_lo
	v_add_co_u32 v2, vcc_lo, v62, v2
	v_lshlrev_b64 v[18:19], 3, v[18:19]
	v_add_co_ci_u32_e64 v3, null, v63, v3, vcc_lo
	v_add_co_u32 v16, vcc_lo, v62, v16
	v_add_co_ci_u32_e64 v17, null, v63, v17, vcc_lo
	v_add_co_u32 v14, vcc_lo, v62, v14
	;; [unrolled: 2-line block ×3, first 2 shown]
	v_add_co_ci_u32_e64 v19, null, v63, v19, vcc_lo
	flat_store_dwordx2 v[4:5], v[8:9]
	flat_store_dwordx2 v[2:3], v[12:13]
	;; [unrolled: 1-line block ×5, first 2 shown]
.LBB50_439:
	s_endpgm
	.section	.rodata,"a",@progbits
	.p2align	6, 0x0
	.amdhsa_kernel _ZN9rocsolver6v33100L18getf2_small_kernelILi26EdiiPKPdEEvT1_T3_lS5_lPS5_llPT2_S5_S5_S7_l
		.amdhsa_group_segment_fixed_size 0
		.amdhsa_private_segment_fixed_size 0
		.amdhsa_kernarg_size 352
		.amdhsa_user_sgpr_count 6
		.amdhsa_user_sgpr_private_segment_buffer 1
		.amdhsa_user_sgpr_dispatch_ptr 0
		.amdhsa_user_sgpr_queue_ptr 0
		.amdhsa_user_sgpr_kernarg_segment_ptr 1
		.amdhsa_user_sgpr_dispatch_id 0
		.amdhsa_user_sgpr_flat_scratch_init 0
		.amdhsa_user_sgpr_private_segment_size 0
		.amdhsa_wavefront_size32 1
		.amdhsa_uses_dynamic_stack 0
		.amdhsa_system_sgpr_private_segment_wavefront_offset 0
		.amdhsa_system_sgpr_workgroup_id_x 1
		.amdhsa_system_sgpr_workgroup_id_y 1
		.amdhsa_system_sgpr_workgroup_id_z 0
		.amdhsa_system_sgpr_workgroup_info 0
		.amdhsa_system_vgpr_workitem_id 1
		.amdhsa_next_free_vgpr 116
		.amdhsa_next_free_sgpr 14
		.amdhsa_reserve_vcc 1
		.amdhsa_reserve_flat_scratch 1
		.amdhsa_float_round_mode_32 0
		.amdhsa_float_round_mode_16_64 0
		.amdhsa_float_denorm_mode_32 3
		.amdhsa_float_denorm_mode_16_64 3
		.amdhsa_dx10_clamp 1
		.amdhsa_ieee_mode 1
		.amdhsa_fp16_overflow 0
		.amdhsa_workgroup_processor_mode 1
		.amdhsa_memory_ordered 1
		.amdhsa_forward_progress 1
		.amdhsa_shared_vgpr_count 0
		.amdhsa_exception_fp_ieee_invalid_op 0
		.amdhsa_exception_fp_denorm_src 0
		.amdhsa_exception_fp_ieee_div_zero 0
		.amdhsa_exception_fp_ieee_overflow 0
		.amdhsa_exception_fp_ieee_underflow 0
		.amdhsa_exception_fp_ieee_inexact 0
		.amdhsa_exception_int_div_zero 0
	.end_amdhsa_kernel
	.section	.text._ZN9rocsolver6v33100L18getf2_small_kernelILi26EdiiPKPdEEvT1_T3_lS5_lPS5_llPT2_S5_S5_S7_l,"axG",@progbits,_ZN9rocsolver6v33100L18getf2_small_kernelILi26EdiiPKPdEEvT1_T3_lS5_lPS5_llPT2_S5_S5_S7_l,comdat
.Lfunc_end50:
	.size	_ZN9rocsolver6v33100L18getf2_small_kernelILi26EdiiPKPdEEvT1_T3_lS5_lPS5_llPT2_S5_S5_S7_l, .Lfunc_end50-_ZN9rocsolver6v33100L18getf2_small_kernelILi26EdiiPKPdEEvT1_T3_lS5_lPS5_llPT2_S5_S5_S7_l
                                        ; -- End function
	.set _ZN9rocsolver6v33100L18getf2_small_kernelILi26EdiiPKPdEEvT1_T3_lS5_lPS5_llPT2_S5_S5_S7_l.num_vgpr, 116
	.set _ZN9rocsolver6v33100L18getf2_small_kernelILi26EdiiPKPdEEvT1_T3_lS5_lPS5_llPT2_S5_S5_S7_l.num_agpr, 0
	.set _ZN9rocsolver6v33100L18getf2_small_kernelILi26EdiiPKPdEEvT1_T3_lS5_lPS5_llPT2_S5_S5_S7_l.numbered_sgpr, 14
	.set _ZN9rocsolver6v33100L18getf2_small_kernelILi26EdiiPKPdEEvT1_T3_lS5_lPS5_llPT2_S5_S5_S7_l.num_named_barrier, 0
	.set _ZN9rocsolver6v33100L18getf2_small_kernelILi26EdiiPKPdEEvT1_T3_lS5_lPS5_llPT2_S5_S5_S7_l.private_seg_size, 0
	.set _ZN9rocsolver6v33100L18getf2_small_kernelILi26EdiiPKPdEEvT1_T3_lS5_lPS5_llPT2_S5_S5_S7_l.uses_vcc, 1
	.set _ZN9rocsolver6v33100L18getf2_small_kernelILi26EdiiPKPdEEvT1_T3_lS5_lPS5_llPT2_S5_S5_S7_l.uses_flat_scratch, 1
	.set _ZN9rocsolver6v33100L18getf2_small_kernelILi26EdiiPKPdEEvT1_T3_lS5_lPS5_llPT2_S5_S5_S7_l.has_dyn_sized_stack, 0
	.set _ZN9rocsolver6v33100L18getf2_small_kernelILi26EdiiPKPdEEvT1_T3_lS5_lPS5_llPT2_S5_S5_S7_l.has_recursion, 0
	.set _ZN9rocsolver6v33100L18getf2_small_kernelILi26EdiiPKPdEEvT1_T3_lS5_lPS5_llPT2_S5_S5_S7_l.has_indirect_call, 0
	.section	.AMDGPU.csdata,"",@progbits
; Kernel info:
; codeLenInByte = 21516
; TotalNumSgprs: 16
; NumVgprs: 116
; ScratchSize: 0
; MemoryBound: 0
; FloatMode: 240
; IeeeMode: 1
; LDSByteSize: 0 bytes/workgroup (compile time only)
; SGPRBlocks: 0
; VGPRBlocks: 14
; NumSGPRsForWavesPerEU: 16
; NumVGPRsForWavesPerEU: 116
; Occupancy: 8
; WaveLimiterHint : 1
; COMPUTE_PGM_RSRC2:SCRATCH_EN: 0
; COMPUTE_PGM_RSRC2:USER_SGPR: 6
; COMPUTE_PGM_RSRC2:TRAP_HANDLER: 0
; COMPUTE_PGM_RSRC2:TGID_X_EN: 1
; COMPUTE_PGM_RSRC2:TGID_Y_EN: 1
; COMPUTE_PGM_RSRC2:TGID_Z_EN: 0
; COMPUTE_PGM_RSRC2:TIDIG_COMP_CNT: 1
	.section	.text._ZN9rocsolver6v33100L23getf2_npvt_small_kernelILi26EdiiPKPdEEvT1_T3_lS5_lPT2_S5_S5_,"axG",@progbits,_ZN9rocsolver6v33100L23getf2_npvt_small_kernelILi26EdiiPKPdEEvT1_T3_lS5_lPT2_S5_S5_,comdat
	.globl	_ZN9rocsolver6v33100L23getf2_npvt_small_kernelILi26EdiiPKPdEEvT1_T3_lS5_lPT2_S5_S5_ ; -- Begin function _ZN9rocsolver6v33100L23getf2_npvt_small_kernelILi26EdiiPKPdEEvT1_T3_lS5_lPT2_S5_S5_
	.p2align	8
	.type	_ZN9rocsolver6v33100L23getf2_npvt_small_kernelILi26EdiiPKPdEEvT1_T3_lS5_lPT2_S5_S5_,@function
_ZN9rocsolver6v33100L23getf2_npvt_small_kernelILi26EdiiPKPdEEvT1_T3_lS5_lPT2_S5_S5_: ; @_ZN9rocsolver6v33100L23getf2_npvt_small_kernelILi26EdiiPKPdEEvT1_T3_lS5_lPT2_S5_S5_
; %bb.0:
	s_clause 0x1
	s_load_dword s0, s[4:5], 0x44
	s_load_dwordx2 s[8:9], s[4:5], 0x30
	s_waitcnt lgkmcnt(0)
	s_lshr_b32 s10, s0, 16
	s_mov_b32 s0, exec_lo
	v_mad_u64_u32 v[2:3], null, s7, s10, v[1:2]
	v_cmpx_gt_i32_e64 s8, v2
	s_cbranch_execz .LBB51_133
; %bb.1:
	s_clause 0x1
	s_load_dwordx4 s[0:3], s[4:5], 0x8
	s_load_dword s6, s[4:5], 0x18
	v_ashrrev_i32_e32 v3, 31, v2
	v_lshlrev_b32_e32 v56, 3, v0
	v_lshlrev_b32_e32 v108, 3, v1
	s_mulk_i32 s10, 0xd0
	v_mad_u32_u24 v158, 0xd0, v1, 0
	v_lshlrev_b64 v[4:5], 3, v[2:3]
	v_add3_u32 v1, 0, s10, v108
	s_waitcnt lgkmcnt(0)
	v_add_co_u32 v4, vcc_lo, s0, v4
	v_add_co_ci_u32_e64 v5, null, s1, v5, vcc_lo
	v_add3_u32 v6, s6, s6, v0
	s_lshl_b64 s[2:3], s[2:3], 3
	s_ashr_i32 s7, s6, 31
	global_load_dwordx2 v[4:5], v[4:5], off
	s_lshl_b64 s[0:1], s[6:7], 3
	v_add_nc_u32_e32 v8, s6, v6
	v_ashrrev_i32_e32 v7, 31, v6
	v_add_nc_u32_e32 v10, s6, v8
	v_ashrrev_i32_e32 v9, 31, v8
	v_lshlrev_b64 v[6:7], 3, v[6:7]
	v_add_nc_u32_e32 v12, s6, v10
	v_ashrrev_i32_e32 v11, 31, v10
	v_lshlrev_b64 v[8:9], 3, v[8:9]
	;; [unrolled: 3-line block ×17, first 2 shown]
	v_add_nc_u32_e32 v44, s6, v42
	v_lshlrev_b64 v[50:51], 3, v[40:41]
	v_ashrrev_i32_e32 v43, 31, v42
	v_add_nc_u32_e32 v46, s6, v44
	v_ashrrev_i32_e32 v45, 31, v44
	v_lshlrev_b64 v[42:43], 3, v[42:43]
	v_add_nc_u32_e32 v48, s6, v46
	v_ashrrev_i32_e32 v47, 31, v46
	v_lshlrev_b64 v[44:45], 3, v[44:45]
	;; [unrolled: 3-line block ×3, first 2 shown]
	v_ashrrev_i32_e32 v41, 31, v40
	v_add_nc_u32_e32 v52, s6, v40
	v_lshlrev_b64 v[48:49], 3, v[48:49]
	v_lshlrev_b64 v[54:55], 3, v[40:41]
	v_ashrrev_i32_e32 v53, 31, v52
	v_lshlrev_b64 v[52:53], 3, v[52:53]
	s_waitcnt vmcnt(0)
	v_add_co_u32 v57, vcc_lo, v4, s2
	v_add_co_ci_u32_e64 v58, null, s3, v5, vcc_lo
	v_add_co_u32 v4, vcc_lo, v57, v56
	v_add_co_ci_u32_e64 v5, null, 0, v58, vcc_lo
	;; [unrolled: 2-line block ×27, first 2 shown]
	s_clause 0x19
	flat_load_dwordx2 v[92:93], v[10:11]
	flat_load_dwordx2 v[76:77], v[12:13]
	;; [unrolled: 1-line block ×26, first 2 shown]
	v_cmp_ne_u32_e64 s1, 0, v0
	v_cmp_eq_u32_e64 s0, 0, v0
	s_and_saveexec_b32 s2, s0
	s_cbranch_execz .LBB51_4
; %bb.2:
	s_waitcnt vmcnt(5) lgkmcnt(5)
	ds_write_b64 v1, v[100:101]
	s_waitcnt vmcnt(3) lgkmcnt(4)
	ds_write2_b64 v158, v[104:105], v[106:107] offset0:1 offset1:2
	s_waitcnt vmcnt(2) lgkmcnt(4)
	ds_write2_b64 v158, v[102:103], v[92:93] offset0:3 offset1:4
	ds_write2_b64 v158, v[76:77], v[90:91] offset0:5 offset1:6
	;; [unrolled: 1-line block ×10, first 2 shown]
	s_waitcnt vmcnt(1) lgkmcnt(13)
	ds_write2_b64 v158, v[54:55], v[96:97] offset0:23 offset1:24
	s_waitcnt vmcnt(0) lgkmcnt(13)
	ds_write_b64 v158, v[98:99] offset:200
	ds_read_b64 v[108:109], v1
	s_waitcnt lgkmcnt(0)
	v_cmp_neq_f64_e32 vcc_lo, 0, v[108:109]
	s_and_b32 exec_lo, exec_lo, vcc_lo
	s_cbranch_execz .LBB51_4
; %bb.3:
	v_div_scale_f64 v[110:111], null, v[108:109], v[108:109], 1.0
	v_rcp_f64_e32 v[112:113], v[110:111]
	v_fma_f64 v[114:115], -v[110:111], v[112:113], 1.0
	v_fma_f64 v[112:113], v[112:113], v[114:115], v[112:113]
	v_fma_f64 v[114:115], -v[110:111], v[112:113], 1.0
	v_fma_f64 v[112:113], v[112:113], v[114:115], v[112:113]
	v_div_scale_f64 v[114:115], vcc_lo, 1.0, v[108:109], 1.0
	v_mul_f64 v[116:117], v[114:115], v[112:113]
	v_fma_f64 v[110:111], -v[110:111], v[116:117], v[114:115]
	v_div_fmas_f64 v[110:111], v[110:111], v[112:113], v[116:117]
	v_div_fixup_f64 v[108:109], v[110:111], v[108:109], 1.0
	ds_write_b64 v1, v[108:109]
.LBB51_4:
	s_or_b32 exec_lo, exec_lo, s2
	s_waitcnt vmcnt(0) lgkmcnt(0)
	s_barrier
	buffer_gl0_inv
	ds_read_b64 v[108:109], v1
	s_and_saveexec_b32 s2, s1
	s_cbranch_execz .LBB51_6
; %bb.5:
	s_waitcnt lgkmcnt(0)
	v_mul_f64 v[100:101], v[108:109], v[100:101]
	ds_read2_b64 v[110:113], v158 offset0:1 offset1:2
	ds_read2_b64 v[114:117], v158 offset0:3 offset1:4
	;; [unrolled: 1-line block ×12, first 2 shown]
	ds_read_b64 v[159:160], v158 offset:200
	s_waitcnt lgkmcnt(12)
	v_fma_f64 v[104:105], -v[100:101], v[110:111], v[104:105]
	v_fma_f64 v[106:107], -v[100:101], v[112:113], v[106:107]
	s_waitcnt lgkmcnt(11)
	v_fma_f64 v[102:103], -v[100:101], v[114:115], v[102:103]
	v_fma_f64 v[92:93], -v[100:101], v[116:117], v[92:93]
	;; [unrolled: 3-line block ×12, first 2 shown]
	s_waitcnt lgkmcnt(0)
	v_fma_f64 v[98:99], -v[100:101], v[159:160], v[98:99]
.LBB51_6:
	s_or_b32 exec_lo, exec_lo, s2
	s_mov_b32 s1, exec_lo
	s_waitcnt lgkmcnt(0)
	s_barrier
	buffer_gl0_inv
	v_cmpx_eq_u32_e32 1, v0
	s_cbranch_execz .LBB51_9
; %bb.7:
	v_mov_b32_e32 v110, v106
	v_mov_b32_e32 v111, v107
	;; [unrolled: 1-line block ×8, first 2 shown]
	ds_write_b64 v1, v[104:105]
	ds_write2_b64 v158, v[110:111], v[112:113] offset0:2 offset1:3
	ds_write2_b64 v158, v[114:115], v[116:117] offset0:4 offset1:5
	v_mov_b32_e32 v110, v90
	v_mov_b32_e32 v111, v91
	;; [unrolled: 1-line block ×20, first 2 shown]
	ds_write2_b64 v158, v[110:111], v[112:113] offset0:6 offset1:7
	ds_write2_b64 v158, v[114:115], v[116:117] offset0:8 offset1:9
	;; [unrolled: 1-line block ×5, first 2 shown]
	v_mov_b32_e32 v110, v80
	v_mov_b32_e32 v111, v81
	;; [unrolled: 1-line block ×18, first 2 shown]
	ds_write2_b64 v158, v[110:111], v[112:113] offset0:16 offset1:17
	ds_write2_b64 v158, v[114:115], v[116:117] offset0:18 offset1:19
	;; [unrolled: 1-line block ×5, first 2 shown]
	ds_read_b64 v[110:111], v1
	s_waitcnt lgkmcnt(0)
	v_cmp_neq_f64_e32 vcc_lo, 0, v[110:111]
	s_and_b32 exec_lo, exec_lo, vcc_lo
	s_cbranch_execz .LBB51_9
; %bb.8:
	v_div_scale_f64 v[112:113], null, v[110:111], v[110:111], 1.0
	v_rcp_f64_e32 v[114:115], v[112:113]
	v_fma_f64 v[116:117], -v[112:113], v[114:115], 1.0
	v_fma_f64 v[114:115], v[114:115], v[116:117], v[114:115]
	v_fma_f64 v[116:117], -v[112:113], v[114:115], 1.0
	v_fma_f64 v[114:115], v[114:115], v[116:117], v[114:115]
	v_div_scale_f64 v[116:117], vcc_lo, 1.0, v[110:111], 1.0
	v_mul_f64 v[118:119], v[116:117], v[114:115]
	v_fma_f64 v[112:113], -v[112:113], v[118:119], v[116:117]
	v_div_fmas_f64 v[112:113], v[112:113], v[114:115], v[118:119]
	v_div_fixup_f64 v[110:111], v[112:113], v[110:111], 1.0
	ds_write_b64 v1, v[110:111]
.LBB51_9:
	s_or_b32 exec_lo, exec_lo, s1
	s_waitcnt lgkmcnt(0)
	s_barrier
	buffer_gl0_inv
	ds_read_b64 v[110:111], v1
	s_mov_b32 s1, exec_lo
	v_cmpx_lt_u32_e32 1, v0
	s_cbranch_execz .LBB51_11
; %bb.10:
	s_waitcnt lgkmcnt(0)
	v_mul_f64 v[104:105], v[110:111], v[104:105]
	ds_read2_b64 v[112:115], v158 offset0:2 offset1:3
	ds_read2_b64 v[116:119], v158 offset0:4 offset1:5
	;; [unrolled: 1-line block ×12, first 2 shown]
	s_waitcnt lgkmcnt(11)
	v_fma_f64 v[106:107], -v[104:105], v[112:113], v[106:107]
	v_fma_f64 v[102:103], -v[104:105], v[114:115], v[102:103]
	s_waitcnt lgkmcnt(10)
	v_fma_f64 v[92:93], -v[104:105], v[116:117], v[92:93]
	v_fma_f64 v[76:77], -v[104:105], v[118:119], v[76:77]
	;; [unrolled: 3-line block ×12, first 2 shown]
.LBB51_11:
	s_or_b32 exec_lo, exec_lo, s1
	s_mov_b32 s1, exec_lo
	s_waitcnt lgkmcnt(0)
	s_barrier
	buffer_gl0_inv
	v_cmpx_eq_u32_e32 2, v0
	s_cbranch_execz .LBB51_14
; %bb.12:
	ds_write_b64 v1, v[106:107]
	ds_write2_b64 v158, v[102:103], v[92:93] offset0:3 offset1:4
	ds_write2_b64 v158, v[76:77], v[90:91] offset0:5 offset1:6
	;; [unrolled: 1-line block ×11, first 2 shown]
	ds_write_b64 v158, v[98:99] offset:200
	ds_read_b64 v[112:113], v1
	s_waitcnt lgkmcnt(0)
	v_cmp_neq_f64_e32 vcc_lo, 0, v[112:113]
	s_and_b32 exec_lo, exec_lo, vcc_lo
	s_cbranch_execz .LBB51_14
; %bb.13:
	v_div_scale_f64 v[114:115], null, v[112:113], v[112:113], 1.0
	v_rcp_f64_e32 v[116:117], v[114:115]
	v_fma_f64 v[118:119], -v[114:115], v[116:117], 1.0
	v_fma_f64 v[116:117], v[116:117], v[118:119], v[116:117]
	v_fma_f64 v[118:119], -v[114:115], v[116:117], 1.0
	v_fma_f64 v[116:117], v[116:117], v[118:119], v[116:117]
	v_div_scale_f64 v[118:119], vcc_lo, 1.0, v[112:113], 1.0
	v_mul_f64 v[120:121], v[118:119], v[116:117]
	v_fma_f64 v[114:115], -v[114:115], v[120:121], v[118:119]
	v_div_fmas_f64 v[114:115], v[114:115], v[116:117], v[120:121]
	v_div_fixup_f64 v[112:113], v[114:115], v[112:113], 1.0
	ds_write_b64 v1, v[112:113]
.LBB51_14:
	s_or_b32 exec_lo, exec_lo, s1
	s_waitcnt lgkmcnt(0)
	s_barrier
	buffer_gl0_inv
	ds_read_b64 v[112:113], v1
	s_mov_b32 s1, exec_lo
	v_cmpx_lt_u32_e32 2, v0
	s_cbranch_execz .LBB51_16
; %bb.15:
	s_waitcnt lgkmcnt(0)
	v_mul_f64 v[106:107], v[112:113], v[106:107]
	ds_read2_b64 v[114:117], v158 offset0:3 offset1:4
	ds_read2_b64 v[118:121], v158 offset0:5 offset1:6
	;; [unrolled: 1-line block ×11, first 2 shown]
	ds_read_b64 v[159:160], v158 offset:200
	s_waitcnt lgkmcnt(11)
	v_fma_f64 v[102:103], -v[106:107], v[114:115], v[102:103]
	v_fma_f64 v[92:93], -v[106:107], v[116:117], v[92:93]
	s_waitcnt lgkmcnt(10)
	v_fma_f64 v[76:77], -v[106:107], v[118:119], v[76:77]
	v_fma_f64 v[90:91], -v[106:107], v[120:121], v[90:91]
	s_waitcnt lgkmcnt(9)
	v_fma_f64 v[74:75], -v[106:107], v[122:123], v[74:75]
	v_fma_f64 v[88:89], -v[106:107], v[124:125], v[88:89]
	s_waitcnt lgkmcnt(8)
	v_fma_f64 v[72:73], -v[106:107], v[126:127], v[72:73]
	v_fma_f64 v[86:87], -v[106:107], v[128:129], v[86:87]
	s_waitcnt lgkmcnt(7)
	v_fma_f64 v[70:71], -v[106:107], v[130:131], v[70:71]
	v_fma_f64 v[84:85], -v[106:107], v[132:133], v[84:85]
	s_waitcnt lgkmcnt(6)
	v_fma_f64 v[68:69], -v[106:107], v[134:135], v[68:69]
	v_fma_f64 v[82:83], -v[106:107], v[136:137], v[82:83]
	s_waitcnt lgkmcnt(5)
	v_fma_f64 v[66:67], -v[106:107], v[138:139], v[66:67]
	v_fma_f64 v[80:81], -v[106:107], v[140:141], v[80:81]
	s_waitcnt lgkmcnt(4)
	v_fma_f64 v[64:65], -v[106:107], v[142:143], v[64:65]
	v_fma_f64 v[78:79], -v[106:107], v[144:145], v[78:79]
	s_waitcnt lgkmcnt(3)
	v_fma_f64 v[58:59], -v[106:107], v[146:147], v[58:59]
	v_fma_f64 v[62:63], -v[106:107], v[148:149], v[62:63]
	s_waitcnt lgkmcnt(2)
	v_fma_f64 v[56:57], -v[106:107], v[150:151], v[56:57]
	v_fma_f64 v[60:61], -v[106:107], v[152:153], v[60:61]
	s_waitcnt lgkmcnt(1)
	v_fma_f64 v[54:55], -v[106:107], v[154:155], v[54:55]
	v_fma_f64 v[96:97], -v[106:107], v[156:157], v[96:97]
	s_waitcnt lgkmcnt(0)
	v_fma_f64 v[98:99], -v[106:107], v[159:160], v[98:99]
.LBB51_16:
	s_or_b32 exec_lo, exec_lo, s1
	s_mov_b32 s1, exec_lo
	s_waitcnt lgkmcnt(0)
	s_barrier
	buffer_gl0_inv
	v_cmpx_eq_u32_e32 3, v0
	s_cbranch_execz .LBB51_19
; %bb.17:
	v_mov_b32_e32 v114, v92
	v_mov_b32_e32 v115, v93
	;; [unrolled: 1-line block ×4, first 2 shown]
	ds_write_b64 v1, v[102:103]
	ds_write2_b64 v158, v[114:115], v[116:117] offset0:4 offset1:5
	v_mov_b32_e32 v114, v90
	v_mov_b32_e32 v115, v91
	;; [unrolled: 1-line block ×20, first 2 shown]
	ds_write2_b64 v158, v[114:115], v[116:117] offset0:6 offset1:7
	ds_write2_b64 v158, v[118:119], v[120:121] offset0:8 offset1:9
	;; [unrolled: 1-line block ×5, first 2 shown]
	v_mov_b32_e32 v114, v80
	v_mov_b32_e32 v115, v81
	;; [unrolled: 1-line block ×18, first 2 shown]
	ds_write2_b64 v158, v[114:115], v[116:117] offset0:16 offset1:17
	ds_write2_b64 v158, v[118:119], v[120:121] offset0:18 offset1:19
	;; [unrolled: 1-line block ×5, first 2 shown]
	ds_read_b64 v[114:115], v1
	s_waitcnt lgkmcnt(0)
	v_cmp_neq_f64_e32 vcc_lo, 0, v[114:115]
	s_and_b32 exec_lo, exec_lo, vcc_lo
	s_cbranch_execz .LBB51_19
; %bb.18:
	v_div_scale_f64 v[116:117], null, v[114:115], v[114:115], 1.0
	v_rcp_f64_e32 v[118:119], v[116:117]
	v_fma_f64 v[120:121], -v[116:117], v[118:119], 1.0
	v_fma_f64 v[118:119], v[118:119], v[120:121], v[118:119]
	v_fma_f64 v[120:121], -v[116:117], v[118:119], 1.0
	v_fma_f64 v[118:119], v[118:119], v[120:121], v[118:119]
	v_div_scale_f64 v[120:121], vcc_lo, 1.0, v[114:115], 1.0
	v_mul_f64 v[122:123], v[120:121], v[118:119]
	v_fma_f64 v[116:117], -v[116:117], v[122:123], v[120:121]
	v_div_fmas_f64 v[116:117], v[116:117], v[118:119], v[122:123]
	v_div_fixup_f64 v[114:115], v[116:117], v[114:115], 1.0
	ds_write_b64 v1, v[114:115]
.LBB51_19:
	s_or_b32 exec_lo, exec_lo, s1
	s_waitcnt lgkmcnt(0)
	s_barrier
	buffer_gl0_inv
	ds_read_b64 v[114:115], v1
	s_mov_b32 s1, exec_lo
	v_cmpx_lt_u32_e32 3, v0
	s_cbranch_execz .LBB51_21
; %bb.20:
	s_waitcnt lgkmcnt(0)
	v_mul_f64 v[102:103], v[114:115], v[102:103]
	ds_read2_b64 v[116:119], v158 offset0:4 offset1:5
	ds_read2_b64 v[120:123], v158 offset0:6 offset1:7
	;; [unrolled: 1-line block ×11, first 2 shown]
	s_waitcnt lgkmcnt(10)
	v_fma_f64 v[92:93], -v[102:103], v[116:117], v[92:93]
	v_fma_f64 v[76:77], -v[102:103], v[118:119], v[76:77]
	s_waitcnt lgkmcnt(9)
	v_fma_f64 v[90:91], -v[102:103], v[120:121], v[90:91]
	v_fma_f64 v[74:75], -v[102:103], v[122:123], v[74:75]
	s_waitcnt lgkmcnt(8)
	v_fma_f64 v[88:89], -v[102:103], v[124:125], v[88:89]
	v_fma_f64 v[72:73], -v[102:103], v[126:127], v[72:73]
	s_waitcnt lgkmcnt(7)
	v_fma_f64 v[86:87], -v[102:103], v[128:129], v[86:87]
	v_fma_f64 v[70:71], -v[102:103], v[130:131], v[70:71]
	s_waitcnt lgkmcnt(6)
	v_fma_f64 v[84:85], -v[102:103], v[132:133], v[84:85]
	v_fma_f64 v[68:69], -v[102:103], v[134:135], v[68:69]
	s_waitcnt lgkmcnt(5)
	v_fma_f64 v[82:83], -v[102:103], v[136:137], v[82:83]
	v_fma_f64 v[66:67], -v[102:103], v[138:139], v[66:67]
	s_waitcnt lgkmcnt(4)
	v_fma_f64 v[80:81], -v[102:103], v[140:141], v[80:81]
	v_fma_f64 v[64:65], -v[102:103], v[142:143], v[64:65]
	s_waitcnt lgkmcnt(3)
	v_fma_f64 v[78:79], -v[102:103], v[144:145], v[78:79]
	v_fma_f64 v[58:59], -v[102:103], v[146:147], v[58:59]
	s_waitcnt lgkmcnt(2)
	v_fma_f64 v[62:63], -v[102:103], v[148:149], v[62:63]
	v_fma_f64 v[56:57], -v[102:103], v[150:151], v[56:57]
	s_waitcnt lgkmcnt(1)
	v_fma_f64 v[60:61], -v[102:103], v[152:153], v[60:61]
	v_fma_f64 v[54:55], -v[102:103], v[154:155], v[54:55]
	s_waitcnt lgkmcnt(0)
	v_fma_f64 v[96:97], -v[102:103], v[159:160], v[96:97]
	v_fma_f64 v[98:99], -v[102:103], v[161:162], v[98:99]
.LBB51_21:
	s_or_b32 exec_lo, exec_lo, s1
	s_mov_b32 s1, exec_lo
	s_waitcnt lgkmcnt(0)
	s_barrier
	buffer_gl0_inv
	v_cmpx_eq_u32_e32 4, v0
	s_cbranch_execz .LBB51_24
; %bb.22:
	ds_write_b64 v1, v[92:93]
	ds_write2_b64 v158, v[76:77], v[90:91] offset0:5 offset1:6
	ds_write2_b64 v158, v[74:75], v[88:89] offset0:7 offset1:8
	;; [unrolled: 1-line block ×10, first 2 shown]
	ds_write_b64 v158, v[98:99] offset:200
	ds_read_b64 v[116:117], v1
	s_waitcnt lgkmcnt(0)
	v_cmp_neq_f64_e32 vcc_lo, 0, v[116:117]
	s_and_b32 exec_lo, exec_lo, vcc_lo
	s_cbranch_execz .LBB51_24
; %bb.23:
	v_div_scale_f64 v[118:119], null, v[116:117], v[116:117], 1.0
	v_rcp_f64_e32 v[120:121], v[118:119]
	v_fma_f64 v[122:123], -v[118:119], v[120:121], 1.0
	v_fma_f64 v[120:121], v[120:121], v[122:123], v[120:121]
	v_fma_f64 v[122:123], -v[118:119], v[120:121], 1.0
	v_fma_f64 v[120:121], v[120:121], v[122:123], v[120:121]
	v_div_scale_f64 v[122:123], vcc_lo, 1.0, v[116:117], 1.0
	v_mul_f64 v[124:125], v[122:123], v[120:121]
	v_fma_f64 v[118:119], -v[118:119], v[124:125], v[122:123]
	v_div_fmas_f64 v[118:119], v[118:119], v[120:121], v[124:125]
	v_div_fixup_f64 v[116:117], v[118:119], v[116:117], 1.0
	ds_write_b64 v1, v[116:117]
.LBB51_24:
	s_or_b32 exec_lo, exec_lo, s1
	s_waitcnt lgkmcnt(0)
	s_barrier
	buffer_gl0_inv
	ds_read_b64 v[116:117], v1
	s_mov_b32 s1, exec_lo
	v_cmpx_lt_u32_e32 4, v0
	s_cbranch_execz .LBB51_26
; %bb.25:
	s_waitcnt lgkmcnt(0)
	v_mul_f64 v[92:93], v[116:117], v[92:93]
	ds_read2_b64 v[118:121], v158 offset0:5 offset1:6
	ds_read2_b64 v[122:125], v158 offset0:7 offset1:8
	;; [unrolled: 1-line block ×10, first 2 shown]
	ds_read_b64 v[159:160], v158 offset:200
	s_waitcnt lgkmcnt(10)
	v_fma_f64 v[76:77], -v[92:93], v[118:119], v[76:77]
	v_fma_f64 v[90:91], -v[92:93], v[120:121], v[90:91]
	s_waitcnt lgkmcnt(9)
	v_fma_f64 v[74:75], -v[92:93], v[122:123], v[74:75]
	v_fma_f64 v[88:89], -v[92:93], v[124:125], v[88:89]
	;; [unrolled: 3-line block ×10, first 2 shown]
	s_waitcnt lgkmcnt(0)
	v_fma_f64 v[98:99], -v[92:93], v[159:160], v[98:99]
.LBB51_26:
	s_or_b32 exec_lo, exec_lo, s1
	s_mov_b32 s1, exec_lo
	s_waitcnt lgkmcnt(0)
	s_barrier
	buffer_gl0_inv
	v_cmpx_eq_u32_e32 5, v0
	s_cbranch_execz .LBB51_29
; %bb.27:
	v_mov_b32_e32 v118, v90
	v_mov_b32_e32 v119, v91
	;; [unrolled: 1-line block ×20, first 2 shown]
	ds_write_b64 v1, v[76:77]
	ds_write2_b64 v158, v[118:119], v[120:121] offset0:6 offset1:7
	ds_write2_b64 v158, v[122:123], v[124:125] offset0:8 offset1:9
	;; [unrolled: 1-line block ×5, first 2 shown]
	v_mov_b32_e32 v118, v80
	v_mov_b32_e32 v119, v81
	;; [unrolled: 1-line block ×18, first 2 shown]
	ds_write2_b64 v158, v[118:119], v[120:121] offset0:16 offset1:17
	ds_write2_b64 v158, v[122:123], v[124:125] offset0:18 offset1:19
	;; [unrolled: 1-line block ×5, first 2 shown]
	ds_read_b64 v[118:119], v1
	s_waitcnt lgkmcnt(0)
	v_cmp_neq_f64_e32 vcc_lo, 0, v[118:119]
	s_and_b32 exec_lo, exec_lo, vcc_lo
	s_cbranch_execz .LBB51_29
; %bb.28:
	v_div_scale_f64 v[120:121], null, v[118:119], v[118:119], 1.0
	v_rcp_f64_e32 v[122:123], v[120:121]
	v_fma_f64 v[124:125], -v[120:121], v[122:123], 1.0
	v_fma_f64 v[122:123], v[122:123], v[124:125], v[122:123]
	v_fma_f64 v[124:125], -v[120:121], v[122:123], 1.0
	v_fma_f64 v[122:123], v[122:123], v[124:125], v[122:123]
	v_div_scale_f64 v[124:125], vcc_lo, 1.0, v[118:119], 1.0
	v_mul_f64 v[126:127], v[124:125], v[122:123]
	v_fma_f64 v[120:121], -v[120:121], v[126:127], v[124:125]
	v_div_fmas_f64 v[120:121], v[120:121], v[122:123], v[126:127]
	v_div_fixup_f64 v[118:119], v[120:121], v[118:119], 1.0
	ds_write_b64 v1, v[118:119]
.LBB51_29:
	s_or_b32 exec_lo, exec_lo, s1
	s_waitcnt lgkmcnt(0)
	s_barrier
	buffer_gl0_inv
	ds_read_b64 v[118:119], v1
	s_mov_b32 s1, exec_lo
	v_cmpx_lt_u32_e32 5, v0
	s_cbranch_execz .LBB51_31
; %bb.30:
	s_waitcnt lgkmcnt(0)
	v_mul_f64 v[76:77], v[118:119], v[76:77]
	ds_read2_b64 v[120:123], v158 offset0:6 offset1:7
	ds_read2_b64 v[124:127], v158 offset0:8 offset1:9
	;; [unrolled: 1-line block ×10, first 2 shown]
	s_waitcnt lgkmcnt(9)
	v_fma_f64 v[90:91], -v[76:77], v[120:121], v[90:91]
	v_fma_f64 v[74:75], -v[76:77], v[122:123], v[74:75]
	s_waitcnt lgkmcnt(8)
	v_fma_f64 v[88:89], -v[76:77], v[124:125], v[88:89]
	v_fma_f64 v[72:73], -v[76:77], v[126:127], v[72:73]
	;; [unrolled: 3-line block ×10, first 2 shown]
.LBB51_31:
	s_or_b32 exec_lo, exec_lo, s1
	s_mov_b32 s1, exec_lo
	s_waitcnt lgkmcnt(0)
	s_barrier
	buffer_gl0_inv
	v_cmpx_eq_u32_e32 6, v0
	s_cbranch_execz .LBB51_34
; %bb.32:
	ds_write_b64 v1, v[90:91]
	ds_write2_b64 v158, v[74:75], v[88:89] offset0:7 offset1:8
	ds_write2_b64 v158, v[72:73], v[86:87] offset0:9 offset1:10
	;; [unrolled: 1-line block ×9, first 2 shown]
	ds_write_b64 v158, v[98:99] offset:200
	ds_read_b64 v[120:121], v1
	s_waitcnt lgkmcnt(0)
	v_cmp_neq_f64_e32 vcc_lo, 0, v[120:121]
	s_and_b32 exec_lo, exec_lo, vcc_lo
	s_cbranch_execz .LBB51_34
; %bb.33:
	v_div_scale_f64 v[122:123], null, v[120:121], v[120:121], 1.0
	v_rcp_f64_e32 v[124:125], v[122:123]
	v_fma_f64 v[126:127], -v[122:123], v[124:125], 1.0
	v_fma_f64 v[124:125], v[124:125], v[126:127], v[124:125]
	v_fma_f64 v[126:127], -v[122:123], v[124:125], 1.0
	v_fma_f64 v[124:125], v[124:125], v[126:127], v[124:125]
	v_div_scale_f64 v[126:127], vcc_lo, 1.0, v[120:121], 1.0
	v_mul_f64 v[128:129], v[126:127], v[124:125]
	v_fma_f64 v[122:123], -v[122:123], v[128:129], v[126:127]
	v_div_fmas_f64 v[122:123], v[122:123], v[124:125], v[128:129]
	v_div_fixup_f64 v[120:121], v[122:123], v[120:121], 1.0
	ds_write_b64 v1, v[120:121]
.LBB51_34:
	s_or_b32 exec_lo, exec_lo, s1
	s_waitcnt lgkmcnt(0)
	s_barrier
	buffer_gl0_inv
	ds_read_b64 v[120:121], v1
	s_mov_b32 s1, exec_lo
	v_cmpx_lt_u32_e32 6, v0
	s_cbranch_execz .LBB51_36
; %bb.35:
	s_waitcnt lgkmcnt(0)
	v_mul_f64 v[90:91], v[120:121], v[90:91]
	ds_read2_b64 v[122:125], v158 offset0:7 offset1:8
	ds_read2_b64 v[126:129], v158 offset0:9 offset1:10
	;; [unrolled: 1-line block ×9, first 2 shown]
	ds_read_b64 v[159:160], v158 offset:200
	s_waitcnt lgkmcnt(9)
	v_fma_f64 v[74:75], -v[90:91], v[122:123], v[74:75]
	v_fma_f64 v[88:89], -v[90:91], v[124:125], v[88:89]
	s_waitcnt lgkmcnt(8)
	v_fma_f64 v[72:73], -v[90:91], v[126:127], v[72:73]
	v_fma_f64 v[86:87], -v[90:91], v[128:129], v[86:87]
	;; [unrolled: 3-line block ×9, first 2 shown]
	s_waitcnt lgkmcnt(0)
	v_fma_f64 v[98:99], -v[90:91], v[159:160], v[98:99]
.LBB51_36:
	s_or_b32 exec_lo, exec_lo, s1
	s_mov_b32 s1, exec_lo
	s_waitcnt lgkmcnt(0)
	s_barrier
	buffer_gl0_inv
	v_cmpx_eq_u32_e32 7, v0
	s_cbranch_execz .LBB51_39
; %bb.37:
	v_mov_b32_e32 v122, v88
	v_mov_b32_e32 v123, v89
	;; [unrolled: 1-line block ×16, first 2 shown]
	ds_write_b64 v1, v[74:75]
	ds_write2_b64 v158, v[122:123], v[124:125] offset0:8 offset1:9
	ds_write2_b64 v158, v[126:127], v[128:129] offset0:10 offset1:11
	;; [unrolled: 1-line block ×4, first 2 shown]
	v_mov_b32_e32 v122, v80
	v_mov_b32_e32 v123, v81
	;; [unrolled: 1-line block ×18, first 2 shown]
	ds_write2_b64 v158, v[122:123], v[124:125] offset0:16 offset1:17
	ds_write2_b64 v158, v[126:127], v[128:129] offset0:18 offset1:19
	;; [unrolled: 1-line block ×5, first 2 shown]
	ds_read_b64 v[122:123], v1
	s_waitcnt lgkmcnt(0)
	v_cmp_neq_f64_e32 vcc_lo, 0, v[122:123]
	s_and_b32 exec_lo, exec_lo, vcc_lo
	s_cbranch_execz .LBB51_39
; %bb.38:
	v_div_scale_f64 v[124:125], null, v[122:123], v[122:123], 1.0
	v_rcp_f64_e32 v[126:127], v[124:125]
	v_fma_f64 v[128:129], -v[124:125], v[126:127], 1.0
	v_fma_f64 v[126:127], v[126:127], v[128:129], v[126:127]
	v_fma_f64 v[128:129], -v[124:125], v[126:127], 1.0
	v_fma_f64 v[126:127], v[126:127], v[128:129], v[126:127]
	v_div_scale_f64 v[128:129], vcc_lo, 1.0, v[122:123], 1.0
	v_mul_f64 v[130:131], v[128:129], v[126:127]
	v_fma_f64 v[124:125], -v[124:125], v[130:131], v[128:129]
	v_div_fmas_f64 v[124:125], v[124:125], v[126:127], v[130:131]
	v_div_fixup_f64 v[122:123], v[124:125], v[122:123], 1.0
	ds_write_b64 v1, v[122:123]
.LBB51_39:
	s_or_b32 exec_lo, exec_lo, s1
	s_waitcnt lgkmcnt(0)
	s_barrier
	buffer_gl0_inv
	ds_read_b64 v[122:123], v1
	s_mov_b32 s1, exec_lo
	v_cmpx_lt_u32_e32 7, v0
	s_cbranch_execz .LBB51_41
; %bb.40:
	s_waitcnt lgkmcnt(0)
	v_mul_f64 v[74:75], v[122:123], v[74:75]
	ds_read2_b64 v[124:127], v158 offset0:8 offset1:9
	ds_read2_b64 v[128:131], v158 offset0:10 offset1:11
	ds_read2_b64 v[132:135], v158 offset0:12 offset1:13
	ds_read2_b64 v[136:139], v158 offset0:14 offset1:15
	ds_read2_b64 v[140:143], v158 offset0:16 offset1:17
	ds_read2_b64 v[144:147], v158 offset0:18 offset1:19
	ds_read2_b64 v[148:151], v158 offset0:20 offset1:21
	ds_read2_b64 v[152:155], v158 offset0:22 offset1:23
	ds_read2_b64 v[159:162], v158 offset0:24 offset1:25
	s_waitcnt lgkmcnt(8)
	v_fma_f64 v[88:89], -v[74:75], v[124:125], v[88:89]
	v_fma_f64 v[72:73], -v[74:75], v[126:127], v[72:73]
	s_waitcnt lgkmcnt(7)
	v_fma_f64 v[86:87], -v[74:75], v[128:129], v[86:87]
	v_fma_f64 v[70:71], -v[74:75], v[130:131], v[70:71]
	;; [unrolled: 3-line block ×9, first 2 shown]
.LBB51_41:
	s_or_b32 exec_lo, exec_lo, s1
	s_mov_b32 s1, exec_lo
	s_waitcnt lgkmcnt(0)
	s_barrier
	buffer_gl0_inv
	v_cmpx_eq_u32_e32 8, v0
	s_cbranch_execz .LBB51_44
; %bb.42:
	ds_write_b64 v1, v[88:89]
	ds_write2_b64 v158, v[72:73], v[86:87] offset0:9 offset1:10
	ds_write2_b64 v158, v[70:71], v[84:85] offset0:11 offset1:12
	ds_write2_b64 v158, v[68:69], v[82:83] offset0:13 offset1:14
	ds_write2_b64 v158, v[66:67], v[80:81] offset0:15 offset1:16
	ds_write2_b64 v158, v[64:65], v[78:79] offset0:17 offset1:18
	ds_write2_b64 v158, v[58:59], v[62:63] offset0:19 offset1:20
	ds_write2_b64 v158, v[56:57], v[60:61] offset0:21 offset1:22
	ds_write2_b64 v158, v[54:55], v[96:97] offset0:23 offset1:24
	ds_write_b64 v158, v[98:99] offset:200
	ds_read_b64 v[124:125], v1
	s_waitcnt lgkmcnt(0)
	v_cmp_neq_f64_e32 vcc_lo, 0, v[124:125]
	s_and_b32 exec_lo, exec_lo, vcc_lo
	s_cbranch_execz .LBB51_44
; %bb.43:
	v_div_scale_f64 v[126:127], null, v[124:125], v[124:125], 1.0
	v_rcp_f64_e32 v[128:129], v[126:127]
	v_fma_f64 v[130:131], -v[126:127], v[128:129], 1.0
	v_fma_f64 v[128:129], v[128:129], v[130:131], v[128:129]
	v_fma_f64 v[130:131], -v[126:127], v[128:129], 1.0
	v_fma_f64 v[128:129], v[128:129], v[130:131], v[128:129]
	v_div_scale_f64 v[130:131], vcc_lo, 1.0, v[124:125], 1.0
	v_mul_f64 v[132:133], v[130:131], v[128:129]
	v_fma_f64 v[126:127], -v[126:127], v[132:133], v[130:131]
	v_div_fmas_f64 v[126:127], v[126:127], v[128:129], v[132:133]
	v_div_fixup_f64 v[124:125], v[126:127], v[124:125], 1.0
	ds_write_b64 v1, v[124:125]
.LBB51_44:
	s_or_b32 exec_lo, exec_lo, s1
	s_waitcnt lgkmcnt(0)
	s_barrier
	buffer_gl0_inv
	ds_read_b64 v[124:125], v1
	s_mov_b32 s1, exec_lo
	v_cmpx_lt_u32_e32 8, v0
	s_cbranch_execz .LBB51_46
; %bb.45:
	s_waitcnt lgkmcnt(0)
	v_mul_f64 v[88:89], v[124:125], v[88:89]
	ds_read2_b64 v[126:129], v158 offset0:9 offset1:10
	ds_read2_b64 v[130:133], v158 offset0:11 offset1:12
	;; [unrolled: 1-line block ×8, first 2 shown]
	ds_read_b64 v[159:160], v158 offset:200
	s_waitcnt lgkmcnt(8)
	v_fma_f64 v[72:73], -v[88:89], v[126:127], v[72:73]
	v_fma_f64 v[86:87], -v[88:89], v[128:129], v[86:87]
	s_waitcnt lgkmcnt(7)
	v_fma_f64 v[70:71], -v[88:89], v[130:131], v[70:71]
	v_fma_f64 v[84:85], -v[88:89], v[132:133], v[84:85]
	;; [unrolled: 3-line block ×8, first 2 shown]
	s_waitcnt lgkmcnt(0)
	v_fma_f64 v[98:99], -v[88:89], v[159:160], v[98:99]
.LBB51_46:
	s_or_b32 exec_lo, exec_lo, s1
	s_mov_b32 s1, exec_lo
	s_waitcnt lgkmcnt(0)
	s_barrier
	buffer_gl0_inv
	v_cmpx_eq_u32_e32 9, v0
	s_cbranch_execz .LBB51_49
; %bb.47:
	v_mov_b32_e32 v126, v86
	v_mov_b32_e32 v127, v87
	;; [unrolled: 1-line block ×12, first 2 shown]
	ds_write_b64 v1, v[72:73]
	ds_write2_b64 v158, v[126:127], v[128:129] offset0:10 offset1:11
	ds_write2_b64 v158, v[130:131], v[132:133] offset0:12 offset1:13
	;; [unrolled: 1-line block ×3, first 2 shown]
	v_mov_b32_e32 v126, v80
	v_mov_b32_e32 v127, v81
	v_mov_b32_e32 v128, v64
	v_mov_b32_e32 v129, v65
	v_mov_b32_e32 v130, v78
	v_mov_b32_e32 v131, v79
	v_mov_b32_e32 v132, v58
	v_mov_b32_e32 v133, v59
	v_mov_b32_e32 v134, v62
	v_mov_b32_e32 v135, v63
	v_mov_b32_e32 v136, v56
	v_mov_b32_e32 v137, v57
	v_mov_b32_e32 v138, v60
	v_mov_b32_e32 v139, v61
	v_mov_b32_e32 v140, v54
	v_mov_b32_e32 v141, v55
	v_mov_b32_e32 v142, v96
	v_mov_b32_e32 v143, v97
	ds_write2_b64 v158, v[126:127], v[128:129] offset0:16 offset1:17
	ds_write2_b64 v158, v[130:131], v[132:133] offset0:18 offset1:19
	;; [unrolled: 1-line block ×5, first 2 shown]
	ds_read_b64 v[126:127], v1
	s_waitcnt lgkmcnt(0)
	v_cmp_neq_f64_e32 vcc_lo, 0, v[126:127]
	s_and_b32 exec_lo, exec_lo, vcc_lo
	s_cbranch_execz .LBB51_49
; %bb.48:
	v_div_scale_f64 v[128:129], null, v[126:127], v[126:127], 1.0
	v_rcp_f64_e32 v[130:131], v[128:129]
	v_fma_f64 v[132:133], -v[128:129], v[130:131], 1.0
	v_fma_f64 v[130:131], v[130:131], v[132:133], v[130:131]
	v_fma_f64 v[132:133], -v[128:129], v[130:131], 1.0
	v_fma_f64 v[130:131], v[130:131], v[132:133], v[130:131]
	v_div_scale_f64 v[132:133], vcc_lo, 1.0, v[126:127], 1.0
	v_mul_f64 v[134:135], v[132:133], v[130:131]
	v_fma_f64 v[128:129], -v[128:129], v[134:135], v[132:133]
	v_div_fmas_f64 v[128:129], v[128:129], v[130:131], v[134:135]
	v_div_fixup_f64 v[126:127], v[128:129], v[126:127], 1.0
	ds_write_b64 v1, v[126:127]
.LBB51_49:
	s_or_b32 exec_lo, exec_lo, s1
	s_waitcnt lgkmcnt(0)
	s_barrier
	buffer_gl0_inv
	ds_read_b64 v[126:127], v1
	s_mov_b32 s1, exec_lo
	v_cmpx_lt_u32_e32 9, v0
	s_cbranch_execz .LBB51_51
; %bb.50:
	s_waitcnt lgkmcnt(0)
	v_mul_f64 v[72:73], v[126:127], v[72:73]
	ds_read2_b64 v[128:131], v158 offset0:10 offset1:11
	ds_read2_b64 v[132:135], v158 offset0:12 offset1:13
	;; [unrolled: 1-line block ×8, first 2 shown]
	s_waitcnt lgkmcnt(7)
	v_fma_f64 v[86:87], -v[72:73], v[128:129], v[86:87]
	v_fma_f64 v[70:71], -v[72:73], v[130:131], v[70:71]
	s_waitcnt lgkmcnt(6)
	v_fma_f64 v[84:85], -v[72:73], v[132:133], v[84:85]
	v_fma_f64 v[68:69], -v[72:73], v[134:135], v[68:69]
	;; [unrolled: 3-line block ×8, first 2 shown]
.LBB51_51:
	s_or_b32 exec_lo, exec_lo, s1
	s_mov_b32 s1, exec_lo
	s_waitcnt lgkmcnt(0)
	s_barrier
	buffer_gl0_inv
	v_cmpx_eq_u32_e32 10, v0
	s_cbranch_execz .LBB51_54
; %bb.52:
	ds_write_b64 v1, v[86:87]
	ds_write2_b64 v158, v[70:71], v[84:85] offset0:11 offset1:12
	ds_write2_b64 v158, v[68:69], v[82:83] offset0:13 offset1:14
	;; [unrolled: 1-line block ×7, first 2 shown]
	ds_write_b64 v158, v[98:99] offset:200
	ds_read_b64 v[128:129], v1
	s_waitcnt lgkmcnt(0)
	v_cmp_neq_f64_e32 vcc_lo, 0, v[128:129]
	s_and_b32 exec_lo, exec_lo, vcc_lo
	s_cbranch_execz .LBB51_54
; %bb.53:
	v_div_scale_f64 v[130:131], null, v[128:129], v[128:129], 1.0
	v_rcp_f64_e32 v[132:133], v[130:131]
	v_fma_f64 v[134:135], -v[130:131], v[132:133], 1.0
	v_fma_f64 v[132:133], v[132:133], v[134:135], v[132:133]
	v_fma_f64 v[134:135], -v[130:131], v[132:133], 1.0
	v_fma_f64 v[132:133], v[132:133], v[134:135], v[132:133]
	v_div_scale_f64 v[134:135], vcc_lo, 1.0, v[128:129], 1.0
	v_mul_f64 v[136:137], v[134:135], v[132:133]
	v_fma_f64 v[130:131], -v[130:131], v[136:137], v[134:135]
	v_div_fmas_f64 v[130:131], v[130:131], v[132:133], v[136:137]
	v_div_fixup_f64 v[128:129], v[130:131], v[128:129], 1.0
	ds_write_b64 v1, v[128:129]
.LBB51_54:
	s_or_b32 exec_lo, exec_lo, s1
	s_waitcnt lgkmcnt(0)
	s_barrier
	buffer_gl0_inv
	ds_read_b64 v[128:129], v1
	s_mov_b32 s1, exec_lo
	v_cmpx_lt_u32_e32 10, v0
	s_cbranch_execz .LBB51_56
; %bb.55:
	s_waitcnt lgkmcnt(0)
	v_mul_f64 v[86:87], v[128:129], v[86:87]
	ds_read2_b64 v[130:133], v158 offset0:11 offset1:12
	ds_read2_b64 v[134:137], v158 offset0:13 offset1:14
	ds_read2_b64 v[138:141], v158 offset0:15 offset1:16
	ds_read2_b64 v[142:145], v158 offset0:17 offset1:18
	ds_read2_b64 v[146:149], v158 offset0:19 offset1:20
	ds_read2_b64 v[150:153], v158 offset0:21 offset1:22
	ds_read2_b64 v[154:157], v158 offset0:23 offset1:24
	ds_read_b64 v[159:160], v158 offset:200
	s_waitcnt lgkmcnt(7)
	v_fma_f64 v[70:71], -v[86:87], v[130:131], v[70:71]
	v_fma_f64 v[84:85], -v[86:87], v[132:133], v[84:85]
	s_waitcnt lgkmcnt(6)
	v_fma_f64 v[68:69], -v[86:87], v[134:135], v[68:69]
	v_fma_f64 v[82:83], -v[86:87], v[136:137], v[82:83]
	;; [unrolled: 3-line block ×7, first 2 shown]
	s_waitcnt lgkmcnt(0)
	v_fma_f64 v[98:99], -v[86:87], v[159:160], v[98:99]
.LBB51_56:
	s_or_b32 exec_lo, exec_lo, s1
	s_mov_b32 s1, exec_lo
	s_waitcnt lgkmcnt(0)
	s_barrier
	buffer_gl0_inv
	v_cmpx_eq_u32_e32 11, v0
	s_cbranch_execz .LBB51_59
; %bb.57:
	v_mov_b32_e32 v130, v84
	v_mov_b32_e32 v131, v85
	;; [unrolled: 1-line block ×8, first 2 shown]
	ds_write_b64 v1, v[70:71]
	ds_write2_b64 v158, v[130:131], v[132:133] offset0:12 offset1:13
	ds_write2_b64 v158, v[134:135], v[136:137] offset0:14 offset1:15
	v_mov_b32_e32 v130, v80
	v_mov_b32_e32 v131, v81
	;; [unrolled: 1-line block ×18, first 2 shown]
	ds_write2_b64 v158, v[130:131], v[132:133] offset0:16 offset1:17
	ds_write2_b64 v158, v[134:135], v[136:137] offset0:18 offset1:19
	;; [unrolled: 1-line block ×5, first 2 shown]
	ds_read_b64 v[130:131], v1
	s_waitcnt lgkmcnt(0)
	v_cmp_neq_f64_e32 vcc_lo, 0, v[130:131]
	s_and_b32 exec_lo, exec_lo, vcc_lo
	s_cbranch_execz .LBB51_59
; %bb.58:
	v_div_scale_f64 v[132:133], null, v[130:131], v[130:131], 1.0
	v_rcp_f64_e32 v[134:135], v[132:133]
	v_fma_f64 v[136:137], -v[132:133], v[134:135], 1.0
	v_fma_f64 v[134:135], v[134:135], v[136:137], v[134:135]
	v_fma_f64 v[136:137], -v[132:133], v[134:135], 1.0
	v_fma_f64 v[134:135], v[134:135], v[136:137], v[134:135]
	v_div_scale_f64 v[136:137], vcc_lo, 1.0, v[130:131], 1.0
	v_mul_f64 v[138:139], v[136:137], v[134:135]
	v_fma_f64 v[132:133], -v[132:133], v[138:139], v[136:137]
	v_div_fmas_f64 v[132:133], v[132:133], v[134:135], v[138:139]
	v_div_fixup_f64 v[130:131], v[132:133], v[130:131], 1.0
	ds_write_b64 v1, v[130:131]
.LBB51_59:
	s_or_b32 exec_lo, exec_lo, s1
	s_waitcnt lgkmcnt(0)
	s_barrier
	buffer_gl0_inv
	ds_read_b64 v[130:131], v1
	s_mov_b32 s1, exec_lo
	v_cmpx_lt_u32_e32 11, v0
	s_cbranch_execz .LBB51_61
; %bb.60:
	s_waitcnt lgkmcnt(0)
	v_mul_f64 v[70:71], v[130:131], v[70:71]
	ds_read2_b64 v[132:135], v158 offset0:12 offset1:13
	ds_read2_b64 v[136:139], v158 offset0:14 offset1:15
	;; [unrolled: 1-line block ×7, first 2 shown]
	s_waitcnt lgkmcnt(6)
	v_fma_f64 v[84:85], -v[70:71], v[132:133], v[84:85]
	v_fma_f64 v[68:69], -v[70:71], v[134:135], v[68:69]
	s_waitcnt lgkmcnt(5)
	v_fma_f64 v[82:83], -v[70:71], v[136:137], v[82:83]
	v_fma_f64 v[66:67], -v[70:71], v[138:139], v[66:67]
	;; [unrolled: 3-line block ×7, first 2 shown]
.LBB51_61:
	s_or_b32 exec_lo, exec_lo, s1
	s_mov_b32 s1, exec_lo
	s_waitcnt lgkmcnt(0)
	s_barrier
	buffer_gl0_inv
	v_cmpx_eq_u32_e32 12, v0
	s_cbranch_execz .LBB51_64
; %bb.62:
	ds_write_b64 v1, v[84:85]
	ds_write2_b64 v158, v[68:69], v[82:83] offset0:13 offset1:14
	ds_write2_b64 v158, v[66:67], v[80:81] offset0:15 offset1:16
	;; [unrolled: 1-line block ×6, first 2 shown]
	ds_write_b64 v158, v[98:99] offset:200
	ds_read_b64 v[132:133], v1
	s_waitcnt lgkmcnt(0)
	v_cmp_neq_f64_e32 vcc_lo, 0, v[132:133]
	s_and_b32 exec_lo, exec_lo, vcc_lo
	s_cbranch_execz .LBB51_64
; %bb.63:
	v_div_scale_f64 v[134:135], null, v[132:133], v[132:133], 1.0
	v_rcp_f64_e32 v[136:137], v[134:135]
	v_fma_f64 v[138:139], -v[134:135], v[136:137], 1.0
	v_fma_f64 v[136:137], v[136:137], v[138:139], v[136:137]
	v_fma_f64 v[138:139], -v[134:135], v[136:137], 1.0
	v_fma_f64 v[136:137], v[136:137], v[138:139], v[136:137]
	v_div_scale_f64 v[138:139], vcc_lo, 1.0, v[132:133], 1.0
	v_mul_f64 v[140:141], v[138:139], v[136:137]
	v_fma_f64 v[134:135], -v[134:135], v[140:141], v[138:139]
	v_div_fmas_f64 v[134:135], v[134:135], v[136:137], v[140:141]
	v_div_fixup_f64 v[132:133], v[134:135], v[132:133], 1.0
	ds_write_b64 v1, v[132:133]
.LBB51_64:
	s_or_b32 exec_lo, exec_lo, s1
	s_waitcnt lgkmcnt(0)
	s_barrier
	buffer_gl0_inv
	ds_read_b64 v[132:133], v1
	s_mov_b32 s1, exec_lo
	v_cmpx_lt_u32_e32 12, v0
	s_cbranch_execz .LBB51_66
; %bb.65:
	s_waitcnt lgkmcnt(0)
	v_mul_f64 v[84:85], v[132:133], v[84:85]
	ds_read2_b64 v[134:137], v158 offset0:13 offset1:14
	ds_read2_b64 v[138:141], v158 offset0:15 offset1:16
	;; [unrolled: 1-line block ×6, first 2 shown]
	ds_read_b64 v[159:160], v158 offset:200
	s_waitcnt lgkmcnt(6)
	v_fma_f64 v[68:69], -v[84:85], v[134:135], v[68:69]
	v_fma_f64 v[82:83], -v[84:85], v[136:137], v[82:83]
	s_waitcnt lgkmcnt(5)
	v_fma_f64 v[66:67], -v[84:85], v[138:139], v[66:67]
	v_fma_f64 v[80:81], -v[84:85], v[140:141], v[80:81]
	;; [unrolled: 3-line block ×6, first 2 shown]
	s_waitcnt lgkmcnt(0)
	v_fma_f64 v[98:99], -v[84:85], v[159:160], v[98:99]
.LBB51_66:
	s_or_b32 exec_lo, exec_lo, s1
	s_mov_b32 s1, exec_lo
	s_waitcnt lgkmcnt(0)
	s_barrier
	buffer_gl0_inv
	v_cmpx_eq_u32_e32 13, v0
	s_cbranch_execz .LBB51_69
; %bb.67:
	v_mov_b32_e32 v134, v82
	v_mov_b32_e32 v135, v83
	;; [unrolled: 1-line block ×4, first 2 shown]
	ds_write_b64 v1, v[68:69]
	ds_write2_b64 v158, v[134:135], v[136:137] offset0:14 offset1:15
	v_mov_b32_e32 v134, v80
	v_mov_b32_e32 v135, v81
	;; [unrolled: 1-line block ×18, first 2 shown]
	ds_write2_b64 v158, v[134:135], v[136:137] offset0:16 offset1:17
	ds_write2_b64 v158, v[138:139], v[140:141] offset0:18 offset1:19
	;; [unrolled: 1-line block ×5, first 2 shown]
	ds_read_b64 v[134:135], v1
	s_waitcnt lgkmcnt(0)
	v_cmp_neq_f64_e32 vcc_lo, 0, v[134:135]
	s_and_b32 exec_lo, exec_lo, vcc_lo
	s_cbranch_execz .LBB51_69
; %bb.68:
	v_div_scale_f64 v[136:137], null, v[134:135], v[134:135], 1.0
	v_rcp_f64_e32 v[138:139], v[136:137]
	v_fma_f64 v[140:141], -v[136:137], v[138:139], 1.0
	v_fma_f64 v[138:139], v[138:139], v[140:141], v[138:139]
	v_fma_f64 v[140:141], -v[136:137], v[138:139], 1.0
	v_fma_f64 v[138:139], v[138:139], v[140:141], v[138:139]
	v_div_scale_f64 v[140:141], vcc_lo, 1.0, v[134:135], 1.0
	v_mul_f64 v[142:143], v[140:141], v[138:139]
	v_fma_f64 v[136:137], -v[136:137], v[142:143], v[140:141]
	v_div_fmas_f64 v[136:137], v[136:137], v[138:139], v[142:143]
	v_div_fixup_f64 v[134:135], v[136:137], v[134:135], 1.0
	ds_write_b64 v1, v[134:135]
.LBB51_69:
	s_or_b32 exec_lo, exec_lo, s1
	s_waitcnt lgkmcnt(0)
	s_barrier
	buffer_gl0_inv
	ds_read_b64 v[134:135], v1
	s_mov_b32 s1, exec_lo
	v_cmpx_lt_u32_e32 13, v0
	s_cbranch_execz .LBB51_71
; %bb.70:
	s_waitcnt lgkmcnt(0)
	v_mul_f64 v[68:69], v[134:135], v[68:69]
	ds_read2_b64 v[136:139], v158 offset0:14 offset1:15
	ds_read2_b64 v[140:143], v158 offset0:16 offset1:17
	;; [unrolled: 1-line block ×6, first 2 shown]
	s_waitcnt lgkmcnt(5)
	v_fma_f64 v[82:83], -v[68:69], v[136:137], v[82:83]
	v_fma_f64 v[66:67], -v[68:69], v[138:139], v[66:67]
	s_waitcnt lgkmcnt(4)
	v_fma_f64 v[80:81], -v[68:69], v[140:141], v[80:81]
	v_fma_f64 v[64:65], -v[68:69], v[142:143], v[64:65]
	;; [unrolled: 3-line block ×6, first 2 shown]
.LBB51_71:
	s_or_b32 exec_lo, exec_lo, s1
	s_mov_b32 s1, exec_lo
	s_waitcnt lgkmcnt(0)
	s_barrier
	buffer_gl0_inv
	v_cmpx_eq_u32_e32 14, v0
	s_cbranch_execz .LBB51_74
; %bb.72:
	ds_write_b64 v1, v[82:83]
	ds_write2_b64 v158, v[66:67], v[80:81] offset0:15 offset1:16
	ds_write2_b64 v158, v[64:65], v[78:79] offset0:17 offset1:18
	;; [unrolled: 1-line block ×5, first 2 shown]
	ds_write_b64 v158, v[98:99] offset:200
	ds_read_b64 v[136:137], v1
	s_waitcnt lgkmcnt(0)
	v_cmp_neq_f64_e32 vcc_lo, 0, v[136:137]
	s_and_b32 exec_lo, exec_lo, vcc_lo
	s_cbranch_execz .LBB51_74
; %bb.73:
	v_div_scale_f64 v[138:139], null, v[136:137], v[136:137], 1.0
	v_rcp_f64_e32 v[140:141], v[138:139]
	v_fma_f64 v[142:143], -v[138:139], v[140:141], 1.0
	v_fma_f64 v[140:141], v[140:141], v[142:143], v[140:141]
	v_fma_f64 v[142:143], -v[138:139], v[140:141], 1.0
	v_fma_f64 v[140:141], v[140:141], v[142:143], v[140:141]
	v_div_scale_f64 v[142:143], vcc_lo, 1.0, v[136:137], 1.0
	v_mul_f64 v[144:145], v[142:143], v[140:141]
	v_fma_f64 v[138:139], -v[138:139], v[144:145], v[142:143]
	v_div_fmas_f64 v[138:139], v[138:139], v[140:141], v[144:145]
	v_div_fixup_f64 v[136:137], v[138:139], v[136:137], 1.0
	ds_write_b64 v1, v[136:137]
.LBB51_74:
	s_or_b32 exec_lo, exec_lo, s1
	s_waitcnt lgkmcnt(0)
	s_barrier
	buffer_gl0_inv
	ds_read_b64 v[136:137], v1
	s_mov_b32 s1, exec_lo
	v_cmpx_lt_u32_e32 14, v0
	s_cbranch_execz .LBB51_76
; %bb.75:
	s_waitcnt lgkmcnt(0)
	v_mul_f64 v[82:83], v[136:137], v[82:83]
	ds_read2_b64 v[138:141], v158 offset0:15 offset1:16
	ds_read2_b64 v[142:145], v158 offset0:17 offset1:18
	;; [unrolled: 1-line block ×5, first 2 shown]
	ds_read_b64 v[159:160], v158 offset:200
	s_waitcnt lgkmcnt(5)
	v_fma_f64 v[66:67], -v[82:83], v[138:139], v[66:67]
	v_fma_f64 v[80:81], -v[82:83], v[140:141], v[80:81]
	s_waitcnt lgkmcnt(4)
	v_fma_f64 v[64:65], -v[82:83], v[142:143], v[64:65]
	v_fma_f64 v[78:79], -v[82:83], v[144:145], v[78:79]
	;; [unrolled: 3-line block ×5, first 2 shown]
	s_waitcnt lgkmcnt(0)
	v_fma_f64 v[98:99], -v[82:83], v[159:160], v[98:99]
.LBB51_76:
	s_or_b32 exec_lo, exec_lo, s1
	s_mov_b32 s1, exec_lo
	s_waitcnt lgkmcnt(0)
	s_barrier
	buffer_gl0_inv
	v_cmpx_eq_u32_e32 15, v0
	s_cbranch_execz .LBB51_79
; %bb.77:
	v_mov_b32_e32 v138, v80
	v_mov_b32_e32 v139, v81
	;; [unrolled: 1-line block ×18, first 2 shown]
	ds_write_b64 v1, v[66:67]
	ds_write2_b64 v158, v[138:139], v[140:141] offset0:16 offset1:17
	ds_write2_b64 v158, v[142:143], v[144:145] offset0:18 offset1:19
	;; [unrolled: 1-line block ×5, first 2 shown]
	ds_read_b64 v[138:139], v1
	s_waitcnt lgkmcnt(0)
	v_cmp_neq_f64_e32 vcc_lo, 0, v[138:139]
	s_and_b32 exec_lo, exec_lo, vcc_lo
	s_cbranch_execz .LBB51_79
; %bb.78:
	v_div_scale_f64 v[140:141], null, v[138:139], v[138:139], 1.0
	v_rcp_f64_e32 v[142:143], v[140:141]
	v_fma_f64 v[144:145], -v[140:141], v[142:143], 1.0
	v_fma_f64 v[142:143], v[142:143], v[144:145], v[142:143]
	v_fma_f64 v[144:145], -v[140:141], v[142:143], 1.0
	v_fma_f64 v[142:143], v[142:143], v[144:145], v[142:143]
	v_div_scale_f64 v[144:145], vcc_lo, 1.0, v[138:139], 1.0
	v_mul_f64 v[146:147], v[144:145], v[142:143]
	v_fma_f64 v[140:141], -v[140:141], v[146:147], v[144:145]
	v_div_fmas_f64 v[140:141], v[140:141], v[142:143], v[146:147]
	v_div_fixup_f64 v[138:139], v[140:141], v[138:139], 1.0
	ds_write_b64 v1, v[138:139]
.LBB51_79:
	s_or_b32 exec_lo, exec_lo, s1
	s_waitcnt lgkmcnt(0)
	s_barrier
	buffer_gl0_inv
	ds_read_b64 v[138:139], v1
	s_mov_b32 s1, exec_lo
	v_cmpx_lt_u32_e32 15, v0
	s_cbranch_execz .LBB51_81
; %bb.80:
	s_waitcnt lgkmcnt(0)
	v_mul_f64 v[66:67], v[138:139], v[66:67]
	ds_read2_b64 v[140:143], v158 offset0:16 offset1:17
	ds_read2_b64 v[144:147], v158 offset0:18 offset1:19
	;; [unrolled: 1-line block ×5, first 2 shown]
	s_waitcnt lgkmcnt(4)
	v_fma_f64 v[80:81], -v[66:67], v[140:141], v[80:81]
	v_fma_f64 v[64:65], -v[66:67], v[142:143], v[64:65]
	s_waitcnt lgkmcnt(3)
	v_fma_f64 v[78:79], -v[66:67], v[144:145], v[78:79]
	v_fma_f64 v[58:59], -v[66:67], v[146:147], v[58:59]
	;; [unrolled: 3-line block ×5, first 2 shown]
.LBB51_81:
	s_or_b32 exec_lo, exec_lo, s1
	s_mov_b32 s1, exec_lo
	s_waitcnt lgkmcnt(0)
	s_barrier
	buffer_gl0_inv
	v_cmpx_eq_u32_e32 16, v0
	s_cbranch_execz .LBB51_84
; %bb.82:
	ds_write_b64 v1, v[80:81]
	ds_write2_b64 v158, v[64:65], v[78:79] offset0:17 offset1:18
	ds_write2_b64 v158, v[58:59], v[62:63] offset0:19 offset1:20
	;; [unrolled: 1-line block ×4, first 2 shown]
	ds_write_b64 v158, v[98:99] offset:200
	ds_read_b64 v[140:141], v1
	s_waitcnt lgkmcnt(0)
	v_cmp_neq_f64_e32 vcc_lo, 0, v[140:141]
	s_and_b32 exec_lo, exec_lo, vcc_lo
	s_cbranch_execz .LBB51_84
; %bb.83:
	v_div_scale_f64 v[142:143], null, v[140:141], v[140:141], 1.0
	v_rcp_f64_e32 v[144:145], v[142:143]
	v_fma_f64 v[146:147], -v[142:143], v[144:145], 1.0
	v_fma_f64 v[144:145], v[144:145], v[146:147], v[144:145]
	v_fma_f64 v[146:147], -v[142:143], v[144:145], 1.0
	v_fma_f64 v[144:145], v[144:145], v[146:147], v[144:145]
	v_div_scale_f64 v[146:147], vcc_lo, 1.0, v[140:141], 1.0
	v_mul_f64 v[148:149], v[146:147], v[144:145]
	v_fma_f64 v[142:143], -v[142:143], v[148:149], v[146:147]
	v_div_fmas_f64 v[142:143], v[142:143], v[144:145], v[148:149]
	v_div_fixup_f64 v[140:141], v[142:143], v[140:141], 1.0
	ds_write_b64 v1, v[140:141]
.LBB51_84:
	s_or_b32 exec_lo, exec_lo, s1
	s_waitcnt lgkmcnt(0)
	s_barrier
	buffer_gl0_inv
	ds_read_b64 v[140:141], v1
	s_mov_b32 s1, exec_lo
	v_cmpx_lt_u32_e32 16, v0
	s_cbranch_execz .LBB51_86
; %bb.85:
	s_waitcnt lgkmcnt(0)
	v_mul_f64 v[80:81], v[140:141], v[80:81]
	ds_read2_b64 v[142:145], v158 offset0:17 offset1:18
	ds_read2_b64 v[146:149], v158 offset0:19 offset1:20
	;; [unrolled: 1-line block ×4, first 2 shown]
	ds_read_b64 v[159:160], v158 offset:200
	s_waitcnt lgkmcnt(4)
	v_fma_f64 v[64:65], -v[80:81], v[142:143], v[64:65]
	v_fma_f64 v[78:79], -v[80:81], v[144:145], v[78:79]
	s_waitcnt lgkmcnt(3)
	v_fma_f64 v[58:59], -v[80:81], v[146:147], v[58:59]
	v_fma_f64 v[62:63], -v[80:81], v[148:149], v[62:63]
	;; [unrolled: 3-line block ×4, first 2 shown]
	s_waitcnt lgkmcnt(0)
	v_fma_f64 v[98:99], -v[80:81], v[159:160], v[98:99]
.LBB51_86:
	s_or_b32 exec_lo, exec_lo, s1
	s_mov_b32 s1, exec_lo
	s_waitcnt lgkmcnt(0)
	s_barrier
	buffer_gl0_inv
	v_cmpx_eq_u32_e32 17, v0
	s_cbranch_execz .LBB51_89
; %bb.87:
	v_mov_b32_e32 v142, v78
	v_mov_b32_e32 v143, v79
	;; [unrolled: 1-line block ×14, first 2 shown]
	ds_write_b64 v1, v[64:65]
	ds_write2_b64 v158, v[142:143], v[144:145] offset0:18 offset1:19
	ds_write2_b64 v158, v[146:147], v[148:149] offset0:20 offset1:21
	;; [unrolled: 1-line block ×4, first 2 shown]
	ds_read_b64 v[142:143], v1
	s_waitcnt lgkmcnt(0)
	v_cmp_neq_f64_e32 vcc_lo, 0, v[142:143]
	s_and_b32 exec_lo, exec_lo, vcc_lo
	s_cbranch_execz .LBB51_89
; %bb.88:
	v_div_scale_f64 v[144:145], null, v[142:143], v[142:143], 1.0
	v_rcp_f64_e32 v[146:147], v[144:145]
	v_fma_f64 v[148:149], -v[144:145], v[146:147], 1.0
	v_fma_f64 v[146:147], v[146:147], v[148:149], v[146:147]
	v_fma_f64 v[148:149], -v[144:145], v[146:147], 1.0
	v_fma_f64 v[146:147], v[146:147], v[148:149], v[146:147]
	v_div_scale_f64 v[148:149], vcc_lo, 1.0, v[142:143], 1.0
	v_mul_f64 v[150:151], v[148:149], v[146:147]
	v_fma_f64 v[144:145], -v[144:145], v[150:151], v[148:149]
	v_div_fmas_f64 v[144:145], v[144:145], v[146:147], v[150:151]
	v_div_fixup_f64 v[142:143], v[144:145], v[142:143], 1.0
	ds_write_b64 v1, v[142:143]
.LBB51_89:
	s_or_b32 exec_lo, exec_lo, s1
	s_waitcnt lgkmcnt(0)
	s_barrier
	buffer_gl0_inv
	ds_read_b64 v[142:143], v1
	s_mov_b32 s1, exec_lo
	v_cmpx_lt_u32_e32 17, v0
	s_cbranch_execz .LBB51_91
; %bb.90:
	s_waitcnt lgkmcnt(0)
	v_mul_f64 v[64:65], v[142:143], v[64:65]
	ds_read2_b64 v[144:147], v158 offset0:18 offset1:19
	ds_read2_b64 v[148:151], v158 offset0:20 offset1:21
	;; [unrolled: 1-line block ×4, first 2 shown]
	s_waitcnt lgkmcnt(3)
	v_fma_f64 v[78:79], -v[64:65], v[144:145], v[78:79]
	v_fma_f64 v[58:59], -v[64:65], v[146:147], v[58:59]
	s_waitcnt lgkmcnt(2)
	v_fma_f64 v[62:63], -v[64:65], v[148:149], v[62:63]
	v_fma_f64 v[56:57], -v[64:65], v[150:151], v[56:57]
	;; [unrolled: 3-line block ×4, first 2 shown]
.LBB51_91:
	s_or_b32 exec_lo, exec_lo, s1
	s_mov_b32 s1, exec_lo
	s_waitcnt lgkmcnt(0)
	s_barrier
	buffer_gl0_inv
	v_cmpx_eq_u32_e32 18, v0
	s_cbranch_execz .LBB51_94
; %bb.92:
	ds_write_b64 v1, v[78:79]
	ds_write2_b64 v158, v[58:59], v[62:63] offset0:19 offset1:20
	ds_write2_b64 v158, v[56:57], v[60:61] offset0:21 offset1:22
	;; [unrolled: 1-line block ×3, first 2 shown]
	ds_write_b64 v158, v[98:99] offset:200
	ds_read_b64 v[144:145], v1
	s_waitcnt lgkmcnt(0)
	v_cmp_neq_f64_e32 vcc_lo, 0, v[144:145]
	s_and_b32 exec_lo, exec_lo, vcc_lo
	s_cbranch_execz .LBB51_94
; %bb.93:
	v_div_scale_f64 v[146:147], null, v[144:145], v[144:145], 1.0
	v_rcp_f64_e32 v[148:149], v[146:147]
	v_fma_f64 v[150:151], -v[146:147], v[148:149], 1.0
	v_fma_f64 v[148:149], v[148:149], v[150:151], v[148:149]
	v_fma_f64 v[150:151], -v[146:147], v[148:149], 1.0
	v_fma_f64 v[148:149], v[148:149], v[150:151], v[148:149]
	v_div_scale_f64 v[150:151], vcc_lo, 1.0, v[144:145], 1.0
	v_mul_f64 v[152:153], v[150:151], v[148:149]
	v_fma_f64 v[146:147], -v[146:147], v[152:153], v[150:151]
	v_div_fmas_f64 v[146:147], v[146:147], v[148:149], v[152:153]
	v_div_fixup_f64 v[144:145], v[146:147], v[144:145], 1.0
	ds_write_b64 v1, v[144:145]
.LBB51_94:
	s_or_b32 exec_lo, exec_lo, s1
	s_waitcnt lgkmcnt(0)
	s_barrier
	buffer_gl0_inv
	ds_read_b64 v[144:145], v1
	s_mov_b32 s1, exec_lo
	v_cmpx_lt_u32_e32 18, v0
	s_cbranch_execz .LBB51_96
; %bb.95:
	s_waitcnt lgkmcnt(0)
	v_mul_f64 v[78:79], v[144:145], v[78:79]
	ds_read2_b64 v[146:149], v158 offset0:19 offset1:20
	ds_read2_b64 v[150:153], v158 offset0:21 offset1:22
	;; [unrolled: 1-line block ×3, first 2 shown]
	ds_read_b64 v[159:160], v158 offset:200
	s_waitcnt lgkmcnt(3)
	v_fma_f64 v[58:59], -v[78:79], v[146:147], v[58:59]
	v_fma_f64 v[62:63], -v[78:79], v[148:149], v[62:63]
	s_waitcnt lgkmcnt(2)
	v_fma_f64 v[56:57], -v[78:79], v[150:151], v[56:57]
	v_fma_f64 v[60:61], -v[78:79], v[152:153], v[60:61]
	;; [unrolled: 3-line block ×3, first 2 shown]
	s_waitcnt lgkmcnt(0)
	v_fma_f64 v[98:99], -v[78:79], v[159:160], v[98:99]
.LBB51_96:
	s_or_b32 exec_lo, exec_lo, s1
	s_mov_b32 s1, exec_lo
	s_waitcnt lgkmcnt(0)
	s_barrier
	buffer_gl0_inv
	v_cmpx_eq_u32_e32 19, v0
	s_cbranch_execz .LBB51_99
; %bb.97:
	v_mov_b32_e32 v146, v62
	v_mov_b32_e32 v147, v63
	;; [unrolled: 1-line block ×10, first 2 shown]
	ds_write_b64 v1, v[58:59]
	ds_write2_b64 v158, v[146:147], v[148:149] offset0:20 offset1:21
	ds_write2_b64 v158, v[150:151], v[152:153] offset0:22 offset1:23
	;; [unrolled: 1-line block ×3, first 2 shown]
	ds_read_b64 v[146:147], v1
	s_waitcnt lgkmcnt(0)
	v_cmp_neq_f64_e32 vcc_lo, 0, v[146:147]
	s_and_b32 exec_lo, exec_lo, vcc_lo
	s_cbranch_execz .LBB51_99
; %bb.98:
	v_div_scale_f64 v[148:149], null, v[146:147], v[146:147], 1.0
	v_rcp_f64_e32 v[150:151], v[148:149]
	v_fma_f64 v[152:153], -v[148:149], v[150:151], 1.0
	v_fma_f64 v[150:151], v[150:151], v[152:153], v[150:151]
	v_fma_f64 v[152:153], -v[148:149], v[150:151], 1.0
	v_fma_f64 v[150:151], v[150:151], v[152:153], v[150:151]
	v_div_scale_f64 v[152:153], vcc_lo, 1.0, v[146:147], 1.0
	v_mul_f64 v[154:155], v[152:153], v[150:151]
	v_fma_f64 v[148:149], -v[148:149], v[154:155], v[152:153]
	v_div_fmas_f64 v[148:149], v[148:149], v[150:151], v[154:155]
	v_div_fixup_f64 v[146:147], v[148:149], v[146:147], 1.0
	ds_write_b64 v1, v[146:147]
.LBB51_99:
	s_or_b32 exec_lo, exec_lo, s1
	s_waitcnt lgkmcnt(0)
	s_barrier
	buffer_gl0_inv
	ds_read_b64 v[146:147], v1
	s_mov_b32 s1, exec_lo
	v_cmpx_lt_u32_e32 19, v0
	s_cbranch_execz .LBB51_101
; %bb.100:
	s_waitcnt lgkmcnt(0)
	v_mul_f64 v[58:59], v[146:147], v[58:59]
	ds_read2_b64 v[148:151], v158 offset0:20 offset1:21
	ds_read2_b64 v[152:155], v158 offset0:22 offset1:23
	ds_read2_b64 v[159:162], v158 offset0:24 offset1:25
	s_waitcnt lgkmcnt(2)
	v_fma_f64 v[62:63], -v[58:59], v[148:149], v[62:63]
	v_fma_f64 v[56:57], -v[58:59], v[150:151], v[56:57]
	s_waitcnt lgkmcnt(1)
	v_fma_f64 v[60:61], -v[58:59], v[152:153], v[60:61]
	v_fma_f64 v[54:55], -v[58:59], v[154:155], v[54:55]
	;; [unrolled: 3-line block ×3, first 2 shown]
.LBB51_101:
	s_or_b32 exec_lo, exec_lo, s1
	s_mov_b32 s1, exec_lo
	s_waitcnt lgkmcnt(0)
	s_barrier
	buffer_gl0_inv
	v_cmpx_eq_u32_e32 20, v0
	s_cbranch_execz .LBB51_104
; %bb.102:
	ds_write_b64 v1, v[62:63]
	ds_write2_b64 v158, v[56:57], v[60:61] offset0:21 offset1:22
	ds_write2_b64 v158, v[54:55], v[96:97] offset0:23 offset1:24
	ds_write_b64 v158, v[98:99] offset:200
	ds_read_b64 v[148:149], v1
	s_waitcnt lgkmcnt(0)
	v_cmp_neq_f64_e32 vcc_lo, 0, v[148:149]
	s_and_b32 exec_lo, exec_lo, vcc_lo
	s_cbranch_execz .LBB51_104
; %bb.103:
	v_div_scale_f64 v[150:151], null, v[148:149], v[148:149], 1.0
	v_rcp_f64_e32 v[152:153], v[150:151]
	v_fma_f64 v[154:155], -v[150:151], v[152:153], 1.0
	v_fma_f64 v[152:153], v[152:153], v[154:155], v[152:153]
	v_fma_f64 v[154:155], -v[150:151], v[152:153], 1.0
	v_fma_f64 v[152:153], v[152:153], v[154:155], v[152:153]
	v_div_scale_f64 v[154:155], vcc_lo, 1.0, v[148:149], 1.0
	v_mul_f64 v[156:157], v[154:155], v[152:153]
	v_fma_f64 v[150:151], -v[150:151], v[156:157], v[154:155]
	v_div_fmas_f64 v[150:151], v[150:151], v[152:153], v[156:157]
	v_div_fixup_f64 v[148:149], v[150:151], v[148:149], 1.0
	ds_write_b64 v1, v[148:149]
.LBB51_104:
	s_or_b32 exec_lo, exec_lo, s1
	s_waitcnt lgkmcnt(0)
	s_barrier
	buffer_gl0_inv
	ds_read_b64 v[148:149], v1
	s_mov_b32 s1, exec_lo
	v_cmpx_lt_u32_e32 20, v0
	s_cbranch_execz .LBB51_106
; %bb.105:
	s_waitcnt lgkmcnt(0)
	v_mul_f64 v[62:63], v[148:149], v[62:63]
	ds_read2_b64 v[150:153], v158 offset0:21 offset1:22
	ds_read2_b64 v[154:157], v158 offset0:23 offset1:24
	ds_read_b64 v[159:160], v158 offset:200
	s_waitcnt lgkmcnt(2)
	v_fma_f64 v[56:57], -v[62:63], v[150:151], v[56:57]
	v_fma_f64 v[60:61], -v[62:63], v[152:153], v[60:61]
	s_waitcnt lgkmcnt(1)
	v_fma_f64 v[54:55], -v[62:63], v[154:155], v[54:55]
	v_fma_f64 v[96:97], -v[62:63], v[156:157], v[96:97]
	s_waitcnt lgkmcnt(0)
	v_fma_f64 v[98:99], -v[62:63], v[159:160], v[98:99]
.LBB51_106:
	s_or_b32 exec_lo, exec_lo, s1
	s_mov_b32 s1, exec_lo
	s_waitcnt lgkmcnt(0)
	s_barrier
	buffer_gl0_inv
	v_cmpx_eq_u32_e32 21, v0
	s_cbranch_execz .LBB51_109
; %bb.107:
	v_mov_b32_e32 v150, v60
	v_mov_b32_e32 v151, v61
	;; [unrolled: 1-line block ×6, first 2 shown]
	ds_write_b64 v1, v[56:57]
	ds_write2_b64 v158, v[150:151], v[152:153] offset0:22 offset1:23
	ds_write2_b64 v158, v[154:155], v[98:99] offset0:24 offset1:25
	ds_read_b64 v[150:151], v1
	s_waitcnt lgkmcnt(0)
	v_cmp_neq_f64_e32 vcc_lo, 0, v[150:151]
	s_and_b32 exec_lo, exec_lo, vcc_lo
	s_cbranch_execz .LBB51_109
; %bb.108:
	v_div_scale_f64 v[152:153], null, v[150:151], v[150:151], 1.0
	v_rcp_f64_e32 v[154:155], v[152:153]
	v_fma_f64 v[156:157], -v[152:153], v[154:155], 1.0
	v_fma_f64 v[154:155], v[154:155], v[156:157], v[154:155]
	v_fma_f64 v[156:157], -v[152:153], v[154:155], 1.0
	v_fma_f64 v[154:155], v[154:155], v[156:157], v[154:155]
	v_div_scale_f64 v[156:157], vcc_lo, 1.0, v[150:151], 1.0
	v_mul_f64 v[159:160], v[156:157], v[154:155]
	v_fma_f64 v[152:153], -v[152:153], v[159:160], v[156:157]
	v_div_fmas_f64 v[152:153], v[152:153], v[154:155], v[159:160]
	v_div_fixup_f64 v[150:151], v[152:153], v[150:151], 1.0
	ds_write_b64 v1, v[150:151]
.LBB51_109:
	s_or_b32 exec_lo, exec_lo, s1
	s_waitcnt lgkmcnt(0)
	s_barrier
	buffer_gl0_inv
	ds_read_b64 v[150:151], v1
	s_mov_b32 s1, exec_lo
	v_cmpx_lt_u32_e32 21, v0
	s_cbranch_execz .LBB51_111
; %bb.110:
	s_waitcnt lgkmcnt(0)
	v_mul_f64 v[56:57], v[150:151], v[56:57]
	ds_read2_b64 v[152:155], v158 offset0:22 offset1:23
	ds_read2_b64 v[159:162], v158 offset0:24 offset1:25
	s_waitcnt lgkmcnt(1)
	v_fma_f64 v[60:61], -v[56:57], v[152:153], v[60:61]
	v_fma_f64 v[54:55], -v[56:57], v[154:155], v[54:55]
	s_waitcnt lgkmcnt(0)
	v_fma_f64 v[96:97], -v[56:57], v[159:160], v[96:97]
	v_fma_f64 v[98:99], -v[56:57], v[161:162], v[98:99]
.LBB51_111:
	s_or_b32 exec_lo, exec_lo, s1
	s_mov_b32 s1, exec_lo
	s_waitcnt lgkmcnt(0)
	s_barrier
	buffer_gl0_inv
	v_cmpx_eq_u32_e32 22, v0
	s_cbranch_execz .LBB51_114
; %bb.112:
	ds_write_b64 v1, v[60:61]
	ds_write2_b64 v158, v[54:55], v[96:97] offset0:23 offset1:24
	ds_write_b64 v158, v[98:99] offset:200
	ds_read_b64 v[152:153], v1
	s_waitcnt lgkmcnt(0)
	v_cmp_neq_f64_e32 vcc_lo, 0, v[152:153]
	s_and_b32 exec_lo, exec_lo, vcc_lo
	s_cbranch_execz .LBB51_114
; %bb.113:
	v_div_scale_f64 v[154:155], null, v[152:153], v[152:153], 1.0
	v_rcp_f64_e32 v[156:157], v[154:155]
	v_fma_f64 v[159:160], -v[154:155], v[156:157], 1.0
	v_fma_f64 v[156:157], v[156:157], v[159:160], v[156:157]
	v_fma_f64 v[159:160], -v[154:155], v[156:157], 1.0
	v_fma_f64 v[156:157], v[156:157], v[159:160], v[156:157]
	v_div_scale_f64 v[159:160], vcc_lo, 1.0, v[152:153], 1.0
	v_mul_f64 v[161:162], v[159:160], v[156:157]
	v_fma_f64 v[154:155], -v[154:155], v[161:162], v[159:160]
	v_div_fmas_f64 v[154:155], v[154:155], v[156:157], v[161:162]
	v_div_fixup_f64 v[152:153], v[154:155], v[152:153], 1.0
	ds_write_b64 v1, v[152:153]
.LBB51_114:
	s_or_b32 exec_lo, exec_lo, s1
	s_waitcnt lgkmcnt(0)
	s_barrier
	buffer_gl0_inv
	ds_read_b64 v[152:153], v1
	s_mov_b32 s1, exec_lo
	v_cmpx_lt_u32_e32 22, v0
	s_cbranch_execz .LBB51_116
; %bb.115:
	s_waitcnt lgkmcnt(0)
	v_mul_f64 v[60:61], v[152:153], v[60:61]
	ds_read2_b64 v[154:157], v158 offset0:23 offset1:24
	ds_read_b64 v[159:160], v158 offset:200
	s_waitcnt lgkmcnt(1)
	v_fma_f64 v[54:55], -v[60:61], v[154:155], v[54:55]
	v_fma_f64 v[96:97], -v[60:61], v[156:157], v[96:97]
	s_waitcnt lgkmcnt(0)
	v_fma_f64 v[98:99], -v[60:61], v[159:160], v[98:99]
.LBB51_116:
	s_or_b32 exec_lo, exec_lo, s1
	s_mov_b32 s1, exec_lo
	s_waitcnt lgkmcnt(0)
	s_barrier
	buffer_gl0_inv
	v_cmpx_eq_u32_e32 23, v0
	s_cbranch_execz .LBB51_119
; %bb.117:
	v_mov_b32_e32 v154, v96
	v_mov_b32_e32 v155, v97
	ds_write_b64 v1, v[54:55]
	ds_write2_b64 v158, v[154:155], v[98:99] offset0:24 offset1:25
	ds_read_b64 v[154:155], v1
	s_waitcnt lgkmcnt(0)
	v_cmp_neq_f64_e32 vcc_lo, 0, v[154:155]
	s_and_b32 exec_lo, exec_lo, vcc_lo
	s_cbranch_execz .LBB51_119
; %bb.118:
	v_div_scale_f64 v[156:157], null, v[154:155], v[154:155], 1.0
	v_rcp_f64_e32 v[159:160], v[156:157]
	v_fma_f64 v[161:162], -v[156:157], v[159:160], 1.0
	v_fma_f64 v[159:160], v[159:160], v[161:162], v[159:160]
	v_fma_f64 v[161:162], -v[156:157], v[159:160], 1.0
	v_fma_f64 v[159:160], v[159:160], v[161:162], v[159:160]
	v_div_scale_f64 v[161:162], vcc_lo, 1.0, v[154:155], 1.0
	v_mul_f64 v[163:164], v[161:162], v[159:160]
	v_fma_f64 v[156:157], -v[156:157], v[163:164], v[161:162]
	v_div_fmas_f64 v[156:157], v[156:157], v[159:160], v[163:164]
	v_div_fixup_f64 v[154:155], v[156:157], v[154:155], 1.0
	ds_write_b64 v1, v[154:155]
.LBB51_119:
	s_or_b32 exec_lo, exec_lo, s1
	s_waitcnt lgkmcnt(0)
	s_barrier
	buffer_gl0_inv
	ds_read_b64 v[154:155], v1
	s_mov_b32 s1, exec_lo
	v_cmpx_lt_u32_e32 23, v0
	s_cbranch_execz .LBB51_121
; %bb.120:
	s_waitcnt lgkmcnt(0)
	v_mul_f64 v[54:55], v[154:155], v[54:55]
	ds_read2_b64 v[159:162], v158 offset0:24 offset1:25
	s_waitcnt lgkmcnt(0)
	v_fma_f64 v[96:97], -v[54:55], v[159:160], v[96:97]
	v_fma_f64 v[98:99], -v[54:55], v[161:162], v[98:99]
.LBB51_121:
	s_or_b32 exec_lo, exec_lo, s1
	s_mov_b32 s1, exec_lo
	s_waitcnt lgkmcnt(0)
	s_barrier
	buffer_gl0_inv
	v_cmpx_eq_u32_e32 24, v0
	s_cbranch_execz .LBB51_124
; %bb.122:
	ds_write_b64 v1, v[96:97]
	ds_write_b64 v158, v[98:99] offset:200
	ds_read_b64 v[156:157], v1
	s_waitcnt lgkmcnt(0)
	v_cmp_neq_f64_e32 vcc_lo, 0, v[156:157]
	s_and_b32 exec_lo, exec_lo, vcc_lo
	s_cbranch_execz .LBB51_124
; %bb.123:
	v_div_scale_f64 v[159:160], null, v[156:157], v[156:157], 1.0
	v_rcp_f64_e32 v[161:162], v[159:160]
	v_fma_f64 v[163:164], -v[159:160], v[161:162], 1.0
	v_fma_f64 v[161:162], v[161:162], v[163:164], v[161:162]
	v_fma_f64 v[163:164], -v[159:160], v[161:162], 1.0
	v_fma_f64 v[161:162], v[161:162], v[163:164], v[161:162]
	v_div_scale_f64 v[163:164], vcc_lo, 1.0, v[156:157], 1.0
	v_mul_f64 v[165:166], v[163:164], v[161:162]
	v_fma_f64 v[159:160], -v[159:160], v[165:166], v[163:164]
	v_div_fmas_f64 v[159:160], v[159:160], v[161:162], v[165:166]
	v_div_fixup_f64 v[156:157], v[159:160], v[156:157], 1.0
	ds_write_b64 v1, v[156:157]
.LBB51_124:
	s_or_b32 exec_lo, exec_lo, s1
	s_waitcnt lgkmcnt(0)
	s_barrier
	buffer_gl0_inv
	ds_read_b64 v[156:157], v1
	s_mov_b32 s1, exec_lo
	v_cmpx_lt_u32_e32 24, v0
	s_cbranch_execz .LBB51_126
; %bb.125:
	s_waitcnt lgkmcnt(0)
	v_mul_f64 v[96:97], v[156:157], v[96:97]
	ds_read_b64 v[158:159], v158 offset:200
	s_waitcnt lgkmcnt(0)
	v_fma_f64 v[98:99], -v[96:97], v[158:159], v[98:99]
.LBB51_126:
	s_or_b32 exec_lo, exec_lo, s1
	s_mov_b32 s1, exec_lo
	s_waitcnt lgkmcnt(0)
	s_barrier
	buffer_gl0_inv
	v_cmpx_eq_u32_e32 25, v0
	s_cbranch_execz .LBB51_129
; %bb.127:
	v_cmp_neq_f64_e32 vcc_lo, 0, v[98:99]
	ds_write_b64 v1, v[98:99]
	s_and_b32 exec_lo, exec_lo, vcc_lo
	s_cbranch_execz .LBB51_129
; %bb.128:
	v_div_scale_f64 v[158:159], null, v[98:99], v[98:99], 1.0
	v_rcp_f64_e32 v[160:161], v[158:159]
	v_fma_f64 v[162:163], -v[158:159], v[160:161], 1.0
	v_fma_f64 v[160:161], v[160:161], v[162:163], v[160:161]
	v_fma_f64 v[162:163], -v[158:159], v[160:161], 1.0
	v_fma_f64 v[160:161], v[160:161], v[162:163], v[160:161]
	v_div_scale_f64 v[162:163], vcc_lo, 1.0, v[98:99], 1.0
	v_mul_f64 v[164:165], v[162:163], v[160:161]
	v_fma_f64 v[158:159], -v[158:159], v[164:165], v[162:163]
	v_div_fmas_f64 v[158:159], v[158:159], v[160:161], v[164:165]
	v_div_fixup_f64 v[158:159], v[158:159], v[98:99], 1.0
	ds_write_b64 v1, v[158:159]
.LBB51_129:
	s_or_b32 exec_lo, exec_lo, s1
	s_waitcnt lgkmcnt(0)
	s_barrier
	buffer_gl0_inv
	ds_read_b64 v[158:159], v1
	s_waitcnt lgkmcnt(0)
	s_barrier
	buffer_gl0_inv
	s_and_saveexec_b32 s3, s0
	s_cbranch_execz .LBB51_132
; %bb.130:
	s_load_dwordx2 s[0:1], s[4:5], 0x28
	v_lshlrev_b64 v[1:2], 2, v[2:3]
	v_cmp_eq_f64_e64 s2, 0, v[114:115]
	s_waitcnt lgkmcnt(0)
	v_add_co_u32 v1, vcc_lo, s0, v1
	v_add_co_ci_u32_e64 v2, null, s1, v2, vcc_lo
	v_cmp_eq_f64_e32 vcc_lo, 0, v[108:109]
	v_cmp_neq_f64_e64 s0, 0, v[110:111]
	v_cmp_eq_f64_e64 s1, 0, v[112:113]
	global_load_dword v160, v[1:2], off
	v_cndmask_b32_e64 v3, 0, 1, vcc_lo
	s_or_b32 vcc_lo, s0, vcc_lo
	v_cmp_eq_f64_e64 s0, 0, v[116:117]
	v_cndmask_b32_e32 v3, 2, v3, vcc_lo
	v_cmp_eq_u32_e32 vcc_lo, 0, v3
	s_and_b32 s1, s1, vcc_lo
	v_cndmask_b32_e64 v3, v3, 3, s1
	v_cmp_eq_f64_e64 s1, 0, v[118:119]
	v_cmp_eq_u32_e32 vcc_lo, 0, v3
	s_and_b32 s2, s2, vcc_lo
	v_cndmask_b32_e64 v3, v3, 4, s2
	v_cmp_eq_f64_e64 s2, 0, v[120:121]
	;; [unrolled: 4-line block ×21, first 2 shown]
	v_cmp_eq_u32_e32 vcc_lo, 0, v3
	s_and_b32 s1, s1, vcc_lo
	v_cndmask_b32_e64 v3, v3, 24, s1
	v_cmp_eq_u32_e32 vcc_lo, 0, v3
	s_and_b32 s1, s2, vcc_lo
	v_cndmask_b32_e64 v3, v3, 25, s1
	;; [unrolled: 3-line block ×3, first 2 shown]
	v_cmp_ne_u32_e64 s0, 0, v3
	s_waitcnt vmcnt(0)
	v_cmp_eq_u32_e32 vcc_lo, 0, v160
	s_and_b32 s0, vcc_lo, s0
	s_and_b32 exec_lo, exec_lo, s0
	s_cbranch_execz .LBB51_132
; %bb.131:
	v_add_nc_u32_e32 v3, s9, v3
	global_store_dword v[1:2], v3, off
.LBB51_132:
	s_or_b32 exec_lo, exec_lo, s3
	v_mul_f64 v[1:2], v[158:159], v[98:99]
	v_cmp_lt_u32_e32 vcc_lo, 25, v0
	flat_store_dwordx2 v[4:5], v[100:101]
	flat_store_dwordx2 v[94:95], v[104:105]
	;; [unrolled: 1-line block ×19, first 2 shown]
	v_cndmask_b32_e32 v2, v99, v2, vcc_lo
	v_cndmask_b32_e32 v1, v98, v1, vcc_lo
	flat_store_dwordx2 v[38:39], v[58:59]
	flat_store_dwordx2 v[42:43], v[62:63]
	;; [unrolled: 1-line block ×7, first 2 shown]
.LBB51_133:
	s_endpgm
	.section	.rodata,"a",@progbits
	.p2align	6, 0x0
	.amdhsa_kernel _ZN9rocsolver6v33100L23getf2_npvt_small_kernelILi26EdiiPKPdEEvT1_T3_lS5_lPT2_S5_S5_
		.amdhsa_group_segment_fixed_size 0
		.amdhsa_private_segment_fixed_size 0
		.amdhsa_kernarg_size 312
		.amdhsa_user_sgpr_count 6
		.amdhsa_user_sgpr_private_segment_buffer 1
		.amdhsa_user_sgpr_dispatch_ptr 0
		.amdhsa_user_sgpr_queue_ptr 0
		.amdhsa_user_sgpr_kernarg_segment_ptr 1
		.amdhsa_user_sgpr_dispatch_id 0
		.amdhsa_user_sgpr_flat_scratch_init 0
		.amdhsa_user_sgpr_private_segment_size 0
		.amdhsa_wavefront_size32 1
		.amdhsa_uses_dynamic_stack 0
		.amdhsa_system_sgpr_private_segment_wavefront_offset 0
		.amdhsa_system_sgpr_workgroup_id_x 1
		.amdhsa_system_sgpr_workgroup_id_y 1
		.amdhsa_system_sgpr_workgroup_id_z 0
		.amdhsa_system_sgpr_workgroup_info 0
		.amdhsa_system_vgpr_workitem_id 1
		.amdhsa_next_free_vgpr 167
		.amdhsa_next_free_sgpr 11
		.amdhsa_reserve_vcc 1
		.amdhsa_reserve_flat_scratch 1
		.amdhsa_float_round_mode_32 0
		.amdhsa_float_round_mode_16_64 0
		.amdhsa_float_denorm_mode_32 3
		.amdhsa_float_denorm_mode_16_64 3
		.amdhsa_dx10_clamp 1
		.amdhsa_ieee_mode 1
		.amdhsa_fp16_overflow 0
		.amdhsa_workgroup_processor_mode 1
		.amdhsa_memory_ordered 1
		.amdhsa_forward_progress 1
		.amdhsa_shared_vgpr_count 0
		.amdhsa_exception_fp_ieee_invalid_op 0
		.amdhsa_exception_fp_denorm_src 0
		.amdhsa_exception_fp_ieee_div_zero 0
		.amdhsa_exception_fp_ieee_overflow 0
		.amdhsa_exception_fp_ieee_underflow 0
		.amdhsa_exception_fp_ieee_inexact 0
		.amdhsa_exception_int_div_zero 0
	.end_amdhsa_kernel
	.section	.text._ZN9rocsolver6v33100L23getf2_npvt_small_kernelILi26EdiiPKPdEEvT1_T3_lS5_lPT2_S5_S5_,"axG",@progbits,_ZN9rocsolver6v33100L23getf2_npvt_small_kernelILi26EdiiPKPdEEvT1_T3_lS5_lPT2_S5_S5_,comdat
.Lfunc_end51:
	.size	_ZN9rocsolver6v33100L23getf2_npvt_small_kernelILi26EdiiPKPdEEvT1_T3_lS5_lPT2_S5_S5_, .Lfunc_end51-_ZN9rocsolver6v33100L23getf2_npvt_small_kernelILi26EdiiPKPdEEvT1_T3_lS5_lPT2_S5_S5_
                                        ; -- End function
	.set _ZN9rocsolver6v33100L23getf2_npvt_small_kernelILi26EdiiPKPdEEvT1_T3_lS5_lPT2_S5_S5_.num_vgpr, 167
	.set _ZN9rocsolver6v33100L23getf2_npvt_small_kernelILi26EdiiPKPdEEvT1_T3_lS5_lPT2_S5_S5_.num_agpr, 0
	.set _ZN9rocsolver6v33100L23getf2_npvt_small_kernelILi26EdiiPKPdEEvT1_T3_lS5_lPT2_S5_S5_.numbered_sgpr, 11
	.set _ZN9rocsolver6v33100L23getf2_npvt_small_kernelILi26EdiiPKPdEEvT1_T3_lS5_lPT2_S5_S5_.num_named_barrier, 0
	.set _ZN9rocsolver6v33100L23getf2_npvt_small_kernelILi26EdiiPKPdEEvT1_T3_lS5_lPT2_S5_S5_.private_seg_size, 0
	.set _ZN9rocsolver6v33100L23getf2_npvt_small_kernelILi26EdiiPKPdEEvT1_T3_lS5_lPT2_S5_S5_.uses_vcc, 1
	.set _ZN9rocsolver6v33100L23getf2_npvt_small_kernelILi26EdiiPKPdEEvT1_T3_lS5_lPT2_S5_S5_.uses_flat_scratch, 1
	.set _ZN9rocsolver6v33100L23getf2_npvt_small_kernelILi26EdiiPKPdEEvT1_T3_lS5_lPT2_S5_S5_.has_dyn_sized_stack, 0
	.set _ZN9rocsolver6v33100L23getf2_npvt_small_kernelILi26EdiiPKPdEEvT1_T3_lS5_lPT2_S5_S5_.has_recursion, 0
	.set _ZN9rocsolver6v33100L23getf2_npvt_small_kernelILi26EdiiPKPdEEvT1_T3_lS5_lPT2_S5_S5_.has_indirect_call, 0
	.section	.AMDGPU.csdata,"",@progbits
; Kernel info:
; codeLenInByte = 14652
; TotalNumSgprs: 13
; NumVgprs: 167
; ScratchSize: 0
; MemoryBound: 0
; FloatMode: 240
; IeeeMode: 1
; LDSByteSize: 0 bytes/workgroup (compile time only)
; SGPRBlocks: 0
; VGPRBlocks: 20
; NumSGPRsForWavesPerEU: 13
; NumVGPRsForWavesPerEU: 167
; Occupancy: 5
; WaveLimiterHint : 1
; COMPUTE_PGM_RSRC2:SCRATCH_EN: 0
; COMPUTE_PGM_RSRC2:USER_SGPR: 6
; COMPUTE_PGM_RSRC2:TRAP_HANDLER: 0
; COMPUTE_PGM_RSRC2:TGID_X_EN: 1
; COMPUTE_PGM_RSRC2:TGID_Y_EN: 1
; COMPUTE_PGM_RSRC2:TGID_Z_EN: 0
; COMPUTE_PGM_RSRC2:TIDIG_COMP_CNT: 1
	.section	.text._ZN9rocsolver6v33100L18getf2_small_kernelILi27EdiiPKPdEEvT1_T3_lS5_lPS5_llPT2_S5_S5_S7_l,"axG",@progbits,_ZN9rocsolver6v33100L18getf2_small_kernelILi27EdiiPKPdEEvT1_T3_lS5_lPS5_llPT2_S5_S5_S7_l,comdat
	.globl	_ZN9rocsolver6v33100L18getf2_small_kernelILi27EdiiPKPdEEvT1_T3_lS5_lPS5_llPT2_S5_S5_S7_l ; -- Begin function _ZN9rocsolver6v33100L18getf2_small_kernelILi27EdiiPKPdEEvT1_T3_lS5_lPS5_llPT2_S5_S5_S7_l
	.p2align	8
	.type	_ZN9rocsolver6v33100L18getf2_small_kernelILi27EdiiPKPdEEvT1_T3_lS5_lPS5_llPT2_S5_S5_S7_l,@function
_ZN9rocsolver6v33100L18getf2_small_kernelILi27EdiiPKPdEEvT1_T3_lS5_lPS5_llPT2_S5_S5_S7_l: ; @_ZN9rocsolver6v33100L18getf2_small_kernelILi27EdiiPKPdEEvT1_T3_lS5_lPS5_llPT2_S5_S5_S7_l
; %bb.0:
	s_clause 0x1
	s_load_dword s0, s[4:5], 0x6c
	s_load_dwordx2 s[12:13], s[4:5], 0x48
	s_waitcnt lgkmcnt(0)
	s_lshr_b32 s0, s0, 16
	v_mad_u64_u32 v[2:3], null, s7, s0, v[1:2]
	s_mov_b32 s0, exec_lo
	v_cmpx_gt_i32_e64 s12, v2
	s_cbranch_execz .LBB52_456
; %bb.1:
	s_clause 0x1
	s_load_dwordx4 s[0:3], s[4:5], 0x8
	s_load_dwordx4 s[8:11], s[4:5], 0x50
	v_ashrrev_i32_e32 v3, 31, v2
	v_lshlrev_b64 v[4:5], 3, v[2:3]
	s_waitcnt lgkmcnt(0)
	v_add_co_u32 v4, vcc_lo, s0, v4
	v_add_co_ci_u32_e64 v5, null, s1, v5, vcc_lo
	s_cmp_eq_u64 s[8:9], 0
	s_cselect_b32 s6, -1, 0
	global_load_dwordx2 v[6:7], v[4:5], off
	v_mov_b32_e32 v4, 0
	v_mov_b32_e32 v5, 0
	s_and_b32 vcc_lo, exec_lo, s6
	s_cbranch_vccnz .LBB52_3
; %bb.2:
	v_mul_lo_u32 v8, s11, v2
	v_mul_lo_u32 v9, s10, v3
	v_mad_u64_u32 v[4:5], null, s10, v2, 0
	v_add3_u32 v5, v5, v9, v8
	v_lshlrev_b64 v[4:5], 2, v[4:5]
	v_add_co_u32 v4, vcc_lo, s8, v4
	v_add_co_ci_u32_e64 v5, null, s9, v5, vcc_lo
.LBB52_3:
	s_load_dword s8, s[4:5], 0x18
	s_lshl_b64 s[0:1], s[2:3], 3
	s_load_dword s2, s[4:5], 0x0
	s_waitcnt vmcnt(0)
	v_add_co_u32 v64, vcc_lo, v6, s0
	v_add_co_ci_u32_e64 v65, null, s1, v7, vcc_lo
	v_lshlrev_b32_e32 v60, 3, v0
	v_add_co_u32 v10, vcc_lo, v64, v60
	v_add_co_ci_u32_e64 v11, null, 0, v65, vcc_lo
	s_waitcnt lgkmcnt(0)
	v_add3_u32 v8, s8, s8, v0
	s_ashr_i32 s9, s8, 31
	s_max_i32 s0, s2, 27
	s_lshl_b64 s[10:11], s[8:9], 3
	v_mul_lo_u32 v1, s0, v1
	v_add_nc_u32_e32 v6, s8, v8
	v_ashrrev_i32_e32 v9, 31, v8
	s_cmp_lt_i32 s2, 2
	v_add_nc_u32_e32 v12, s8, v6
	v_ashrrev_i32_e32 v7, 31, v6
	v_lshlrev_b64 v[8:9], 3, v[8:9]
	v_add_nc_u32_e32 v14, s8, v12
	v_ashrrev_i32_e32 v13, 31, v12
	v_lshlrev_b64 v[6:7], 3, v[6:7]
	v_add_co_u32 v8, vcc_lo, v64, v8
	v_add_nc_u32_e32 v16, s8, v14
	v_ashrrev_i32_e32 v15, 31, v14
	v_lshlrev_b64 v[12:13], 3, v[12:13]
	v_add_co_ci_u32_e64 v9, null, v65, v9, vcc_lo
	v_add_nc_u32_e32 v18, s8, v16
	v_ashrrev_i32_e32 v17, 31, v16
	v_lshlrev_b64 v[14:15], 3, v[14:15]
	v_add_co_u32 v6, vcc_lo, v64, v6
	v_add_nc_u32_e32 v20, s8, v18
	v_ashrrev_i32_e32 v19, 31, v18
	v_lshlrev_b64 v[16:17], 3, v[16:17]
	v_add_co_ci_u32_e64 v7, null, v65, v7, vcc_lo
	v_add_nc_u32_e32 v22, s8, v20
	v_ashrrev_i32_e32 v21, 31, v20
	v_add_co_u32 v12, vcc_lo, v64, v12
	v_lshlrev_b64 v[18:19], 3, v[18:19]
	v_add_nc_u32_e32 v24, s8, v22
	v_ashrrev_i32_e32 v23, 31, v22
	v_add_co_ci_u32_e64 v13, null, v65, v13, vcc_lo
	v_add_co_u32 v14, vcc_lo, v64, v14
	v_add_nc_u32_e32 v26, s8, v24
	v_ashrrev_i32_e32 v25, 31, v24
	v_lshlrev_b64 v[20:21], 3, v[20:21]
	v_add_co_ci_u32_e64 v15, null, v65, v15, vcc_lo
	v_add_nc_u32_e32 v28, s8, v26
	v_ashrrev_i32_e32 v27, 31, v26
	v_add_co_u32 v16, vcc_lo, v64, v16
	v_lshlrev_b64 v[22:23], 3, v[22:23]
	v_add_nc_u32_e32 v30, s8, v28
	v_ashrrev_i32_e32 v29, 31, v28
	v_add_co_ci_u32_e64 v17, null, v65, v17, vcc_lo
	v_add_co_u32 v18, vcc_lo, v64, v18
	v_add_nc_u32_e32 v32, s8, v30
	v_lshlrev_b64 v[24:25], 3, v[24:25]
	v_ashrrev_i32_e32 v31, 31, v30
	v_add_co_ci_u32_e64 v19, null, v65, v19, vcc_lo
	v_add_nc_u32_e32 v34, s8, v32
	v_add_co_u32 v20, vcc_lo, v64, v20
	v_lshlrev_b64 v[26:27], 3, v[26:27]
	v_ashrrev_i32_e32 v33, 31, v32
	v_add_co_ci_u32_e64 v21, null, v65, v21, vcc_lo
	v_add_co_u32 v22, vcc_lo, v64, v22
	v_lshlrev_b64 v[28:29], 3, v[28:29]
	v_add_co_ci_u32_e64 v23, null, v65, v23, vcc_lo
	v_add_co_u32 v24, vcc_lo, v64, v24
	v_lshlrev_b64 v[30:31], 3, v[30:31]
	v_add_nc_u32_e32 v36, s8, v34
	v_add_co_ci_u32_e64 v25, null, v65, v25, vcc_lo
	v_add_co_u32 v26, vcc_lo, v64, v26
	v_lshlrev_b64 v[32:33], 3, v[32:33]
	v_ashrrev_i32_e32 v35, 31, v34
	v_add_co_ci_u32_e64 v27, null, v65, v27, vcc_lo
	v_add_co_u32 v28, vcc_lo, v64, v28
	v_ashrrev_i32_e32 v37, 31, v36
	v_add_nc_u32_e32 v38, s8, v36
	v_add_co_ci_u32_e64 v29, null, v65, v29, vcc_lo
	v_add_co_u32 v30, vcc_lo, v64, v30
	v_lshlrev_b64 v[34:35], 3, v[34:35]
	v_add_co_ci_u32_e64 v31, null, v65, v31, vcc_lo
	v_add_co_u32 v58, vcc_lo, v64, v32
	v_add_co_ci_u32_e64 v59, null, v65, v33, vcc_lo
	v_lshlrev_b64 v[32:33], 3, v[36:37]
	v_ashrrev_i32_e32 v39, 31, v38
	v_add_nc_u32_e32 v36, s8, v38
	v_add_co_u32 v61, vcc_lo, v64, v34
	v_add_co_ci_u32_e64 v62, null, v65, v35, vcc_lo
	v_lshlrev_b64 v[34:35], 3, v[38:39]
	v_ashrrev_i32_e32 v37, 31, v36
	v_add_nc_u32_e32 v38, s8, v36
	;; [unrolled: 5-line block ×7, first 2 shown]
	v_add_co_u32 v76, vcc_lo, v64, v34
	v_add_co_ci_u32_e64 v77, null, v65, v35, vcc_lo
	v_lshlrev_b64 v[34:35], 3, v[38:39]
	v_add_nc_u32_e32 v38, s8, v36
	v_ashrrev_i32_e32 v37, 31, v36
	v_add_co_u32 v78, vcc_lo, v64, v32
	v_add_co_ci_u32_e64 v79, null, v65, v33, vcc_lo
	v_ashrrev_i32_e32 v39, 31, v38
	v_lshlrev_b64 v[32:33], 3, v[36:37]
	v_add_nc_u32_e32 v36, s8, v38
	v_add_co_u32 v80, vcc_lo, v64, v34
	v_add_co_ci_u32_e64 v81, null, v65, v35, vcc_lo
	v_lshlrev_b64 v[34:35], 3, v[38:39]
	v_ashrrev_i32_e32 v37, 31, v36
	v_add_co_u32 v82, vcc_lo, v64, v32
	v_add_co_ci_u32_e64 v83, null, v65, v33, vcc_lo
	v_lshlrev_b64 v[32:33], 3, v[36:37]
	v_add_co_u32 v84, vcc_lo, v64, v34
	v_add_co_ci_u32_e64 v85, null, v65, v35, vcc_lo
	v_add_co_u32 v34, vcc_lo, v10, s10
	v_add_co_ci_u32_e64 v35, null, s11, v11, vcc_lo
	;; [unrolled: 2-line block ×3, first 2 shown]
	s_clause 0x1a
	flat_load_dwordx2 v[56:57], v[10:11]
	flat_load_dwordx2 v[54:55], v[34:35]
	;; [unrolled: 1-line block ×27, first 2 shown]
	v_lshl_add_u32 v66, v1, 3, 0
	v_lshlrev_b32_e32 v67, 3, v1
	v_mov_b32_e32 v62, 0
	v_add_nc_u32_e32 v60, v66, v60
	s_waitcnt vmcnt(26) lgkmcnt(26)
	ds_write_b64 v60, v[56:57]
	s_waitcnt vmcnt(0) lgkmcnt(0)
	s_barrier
	buffer_gl0_inv
	ds_read_b64 v[60:61], v66
	s_cbranch_scc1 .LBB52_6
; %bb.4:
	v_add3_u32 v1, v67, 0, 8
	v_mov_b32_e32 v62, 0
	s_mov_b32 s0, 1
.LBB52_5:                               ; =>This Inner Loop Header: Depth=1
	ds_read_b64 v[68:69], v1
	v_add_nc_u32_e32 v1, 8, v1
	s_waitcnt lgkmcnt(0)
	v_cmp_lt_f64_e64 vcc_lo, |v[60:61]|, |v[68:69]|
	v_cndmask_b32_e32 v61, v61, v69, vcc_lo
	v_cndmask_b32_e32 v60, v60, v68, vcc_lo
	v_cndmask_b32_e64 v62, v62, s0, vcc_lo
	s_add_i32 s0, s0, 1
	s_cmp_eq_u32 s2, s0
	s_cbranch_scc0 .LBB52_5
.LBB52_6:
	s_mov_b32 s0, exec_lo
                                        ; implicit-def: $vgpr69
	v_cmpx_ne_u32_e64 v0, v62
	s_xor_b32 s0, exec_lo, s0
	s_cbranch_execz .LBB52_12
; %bb.7:
	s_mov_b32 s1, exec_lo
	v_cmpx_eq_u32_e32 0, v0
	s_cbranch_execz .LBB52_11
; %bb.8:
	v_cmp_ne_u32_e32 vcc_lo, 0, v62
	s_xor_b32 s3, s6, -1
	s_and_b32 s7, s3, vcc_lo
	s_and_saveexec_b32 s3, s7
	s_cbranch_execz .LBB52_10
; %bb.9:
	v_ashrrev_i32_e32 v63, 31, v62
	v_lshlrev_b64 v[0:1], 2, v[62:63]
	v_add_co_u32 v0, vcc_lo, v4, v0
	v_add_co_ci_u32_e64 v1, null, v5, v1, vcc_lo
	s_clause 0x1
	global_load_dword v63, v[0:1], off
	global_load_dword v68, v[4:5], off
	s_waitcnt vmcnt(1)
	global_store_dword v[4:5], v63, off
	s_waitcnt vmcnt(0)
	global_store_dword v[0:1], v68, off
.LBB52_10:
	s_or_b32 exec_lo, exec_lo, s3
	v_mov_b32_e32 v0, v62
.LBB52_11:
	s_or_b32 exec_lo, exec_lo, s1
	v_mov_b32_e32 v69, v0
                                        ; implicit-def: $vgpr0
.LBB52_12:
	s_or_saveexec_b32 s0, s0
	v_mov_b32_e32 v63, v69
	s_xor_b32 exec_lo, exec_lo, s0
	s_cbranch_execz .LBB52_14
; %bb.13:
	v_mov_b32_e32 v69, 0
	v_mov_b32_e32 v63, v0
	ds_write2_b64 v66, v[54:55], v[52:53] offset0:1 offset1:2
	ds_write2_b64 v66, v[48:49], v[50:51] offset0:3 offset1:4
	;; [unrolled: 1-line block ×13, first 2 shown]
.LBB52_14:
	s_or_b32 exec_lo, exec_lo, s0
	s_waitcnt lgkmcnt(0)
	v_cmp_eq_f64_e64 s0, 0, v[60:61]
	s_mov_b32 s1, exec_lo
	s_waitcnt_vscnt null, 0x0
	s_barrier
	buffer_gl0_inv
	v_cmpx_lt_i32_e32 0, v69
	s_cbranch_execz .LBB52_16
; %bb.15:
	v_div_scale_f64 v[0:1], null, v[60:61], v[60:61], 1.0
	v_div_scale_f64 v[74:75], vcc_lo, 1.0, v[60:61], 1.0
	v_rcp_f64_e32 v[70:71], v[0:1]
	v_fma_f64 v[72:73], -v[0:1], v[70:71], 1.0
	v_fma_f64 v[70:71], v[70:71], v[72:73], v[70:71]
	v_fma_f64 v[72:73], -v[0:1], v[70:71], 1.0
	v_fma_f64 v[70:71], v[70:71], v[72:73], v[70:71]
	v_mul_f64 v[72:73], v[74:75], v[70:71]
	v_fma_f64 v[0:1], -v[0:1], v[72:73], v[74:75]
	v_div_fmas_f64 v[0:1], v[0:1], v[70:71], v[72:73]
	ds_read2_b64 v[70:73], v66 offset0:1 offset1:2
	ds_read2_b64 v[74:77], v66 offset0:3 offset1:4
	;; [unrolled: 1-line block ×13, first 2 shown]
	v_div_fixup_f64 v[0:1], v[0:1], v[60:61], 1.0
	v_cndmask_b32_e64 v1, v1, v61, s0
	v_cndmask_b32_e64 v0, v0, v60, s0
	v_mul_f64 v[56:57], v[0:1], v[56:57]
	s_waitcnt lgkmcnt(12)
	v_fma_f64 v[54:55], -v[56:57], v[70:71], v[54:55]
	v_fma_f64 v[52:53], -v[56:57], v[72:73], v[52:53]
	s_waitcnt lgkmcnt(11)
	v_fma_f64 v[48:49], -v[56:57], v[74:75], v[48:49]
	v_fma_f64 v[50:51], -v[56:57], v[76:77], v[50:51]
	;; [unrolled: 3-line block ×13, first 2 shown]
.LBB52_16:
	s_or_b32 exec_lo, exec_lo, s1
	v_lshl_add_u32 v0, v69, 3, v66
	s_barrier
	buffer_gl0_inv
	v_mov_b32_e32 v60, 1
	ds_write_b64 v0, v[54:55]
	s_waitcnt lgkmcnt(0)
	s_barrier
	buffer_gl0_inv
	ds_read_b64 v[0:1], v66 offset:8
	s_cmp_lt_i32 s2, 3
	s_cbranch_scc1 .LBB52_19
; %bb.17:
	v_add3_u32 v61, v67, 0, 16
	v_mov_b32_e32 v60, 1
	s_mov_b32 s1, 2
.LBB52_18:                              ; =>This Inner Loop Header: Depth=1
	ds_read_b64 v[70:71], v61
	v_add_nc_u32_e32 v61, 8, v61
	s_waitcnt lgkmcnt(0)
	v_cmp_lt_f64_e64 vcc_lo, |v[0:1]|, |v[70:71]|
	v_cndmask_b32_e32 v1, v1, v71, vcc_lo
	v_cndmask_b32_e32 v0, v0, v70, vcc_lo
	v_cndmask_b32_e64 v60, v60, s1, vcc_lo
	s_add_i32 s1, s1, 1
	s_cmp_lg_u32 s2, s1
	s_cbranch_scc1 .LBB52_18
.LBB52_19:
	s_mov_b32 s1, exec_lo
	v_cmpx_ne_u32_e64 v69, v60
	s_xor_b32 s1, exec_lo, s1
	s_cbranch_execz .LBB52_25
; %bb.20:
	s_mov_b32 s3, exec_lo
	v_cmpx_eq_u32_e32 1, v69
	s_cbranch_execz .LBB52_24
; %bb.21:
	v_cmp_ne_u32_e32 vcc_lo, 1, v60
	s_xor_b32 s7, s6, -1
	s_and_b32 s9, s7, vcc_lo
	s_and_saveexec_b32 s7, s9
	s_cbranch_execz .LBB52_23
; %bb.22:
	v_ashrrev_i32_e32 v61, 31, v60
	v_lshlrev_b64 v[61:62], 2, v[60:61]
	v_add_co_u32 v61, vcc_lo, v4, v61
	v_add_co_ci_u32_e64 v62, null, v5, v62, vcc_lo
	s_clause 0x1
	global_load_dword v63, v[61:62], off
	global_load_dword v68, v[4:5], off offset:4
	s_waitcnt vmcnt(1)
	global_store_dword v[4:5], v63, off offset:4
	s_waitcnt vmcnt(0)
	global_store_dword v[61:62], v68, off
.LBB52_23:
	s_or_b32 exec_lo, exec_lo, s7
	v_mov_b32_e32 v63, v60
	v_mov_b32_e32 v69, v60
.LBB52_24:
	s_or_b32 exec_lo, exec_lo, s3
.LBB52_25:
	s_andn2_saveexec_b32 s1, s1
	s_cbranch_execz .LBB52_27
; %bb.26:
	v_mov_b32_e32 v60, v52
	v_mov_b32_e32 v61, v53
	;; [unrolled: 1-line block ×12, first 2 shown]
	ds_write2_b64 v66, v[60:61], v[68:69] offset0:2 offset1:3
	ds_write2_b64 v66, v[70:71], v[72:73] offset0:4 offset1:5
	;; [unrolled: 1-line block ×3, first 2 shown]
	v_mov_b32_e32 v60, v40
	v_mov_b32_e32 v61, v41
	;; [unrolled: 1-line block ×20, first 2 shown]
	ds_write2_b64 v66, v[60:61], v[68:69] offset0:8 offset1:9
	ds_write2_b64 v66, v[70:71], v[72:73] offset0:10 offset1:11
	;; [unrolled: 1-line block ×5, first 2 shown]
	v_mov_b32_e32 v60, v20
	v_mov_b32_e32 v61, v21
	;; [unrolled: 1-line block ×8, first 2 shown]
	ds_write2_b64 v66, v[60:61], v[68:69] offset0:18 offset1:19
	v_mov_b32_e32 v69, 1
	v_mov_b32_e32 v74, v12
	;; [unrolled: 1-line block ×9, first 2 shown]
	ds_write2_b64 v66, v[70:71], v[72:73] offset0:20 offset1:21
	ds_write2_b64 v66, v[74:75], v[76:77] offset0:22 offset1:23
	;; [unrolled: 1-line block ×3, first 2 shown]
	ds_write_b64 v66, v[58:59] offset:208
.LBB52_27:
	s_or_b32 exec_lo, exec_lo, s1
	s_waitcnt lgkmcnt(0)
	v_cmp_neq_f64_e64 s1, 0, v[0:1]
	s_mov_b32 s3, exec_lo
	s_waitcnt_vscnt null, 0x0
	s_barrier
	buffer_gl0_inv
	v_cmpx_lt_i32_e32 1, v69
	s_cbranch_execz .LBB52_29
; %bb.28:
	v_div_scale_f64 v[60:61], null, v[0:1], v[0:1], 1.0
	v_div_scale_f64 v[74:75], vcc_lo, 1.0, v[0:1], 1.0
	v_rcp_f64_e32 v[70:71], v[60:61]
	v_fma_f64 v[72:73], -v[60:61], v[70:71], 1.0
	v_fma_f64 v[70:71], v[70:71], v[72:73], v[70:71]
	v_fma_f64 v[72:73], -v[60:61], v[70:71], 1.0
	v_fma_f64 v[70:71], v[70:71], v[72:73], v[70:71]
	v_mul_f64 v[72:73], v[74:75], v[70:71]
	v_fma_f64 v[60:61], -v[60:61], v[72:73], v[74:75]
	v_div_fmas_f64 v[60:61], v[60:61], v[70:71], v[72:73]
	v_div_fixup_f64 v[60:61], v[60:61], v[0:1], 1.0
	v_cndmask_b32_e64 v1, v1, v61, s1
	v_cndmask_b32_e64 v0, v0, v60, s1
	v_mul_f64 v[54:55], v[0:1], v[54:55]
	ds_read2_b64 v[70:73], v66 offset0:2 offset1:3
	ds_read2_b64 v[74:77], v66 offset0:4 offset1:5
	;; [unrolled: 1-line block ×12, first 2 shown]
	ds_read_b64 v[0:1], v66 offset:208
	s_waitcnt lgkmcnt(12)
	v_fma_f64 v[52:53], -v[54:55], v[70:71], v[52:53]
	v_fma_f64 v[48:49], -v[54:55], v[72:73], v[48:49]
	s_waitcnt lgkmcnt(11)
	v_fma_f64 v[50:51], -v[54:55], v[74:75], v[50:51]
	v_fma_f64 v[44:45], -v[54:55], v[76:77], v[44:45]
	;; [unrolled: 3-line block ×12, first 2 shown]
	s_waitcnt lgkmcnt(0)
	v_fma_f64 v[58:59], -v[54:55], v[0:1], v[58:59]
.LBB52_29:
	s_or_b32 exec_lo, exec_lo, s3
	v_lshl_add_u32 v0, v69, 3, v66
	s_barrier
	buffer_gl0_inv
	v_mov_b32_e32 v60, 2
	ds_write_b64 v0, v[52:53]
	s_waitcnt lgkmcnt(0)
	s_barrier
	buffer_gl0_inv
	ds_read_b64 v[0:1], v66 offset:16
	s_cmp_lt_i32 s2, 4
	s_mov_b32 s3, 3
	s_cbranch_scc1 .LBB52_32
; %bb.30:
	v_add3_u32 v61, v67, 0, 24
	v_mov_b32_e32 v60, 2
.LBB52_31:                              ; =>This Inner Loop Header: Depth=1
	ds_read_b64 v[70:71], v61
	v_add_nc_u32_e32 v61, 8, v61
	s_waitcnt lgkmcnt(0)
	v_cmp_lt_f64_e64 vcc_lo, |v[0:1]|, |v[70:71]|
	v_cndmask_b32_e32 v1, v1, v71, vcc_lo
	v_cndmask_b32_e32 v0, v0, v70, vcc_lo
	v_cndmask_b32_e64 v60, v60, s3, vcc_lo
	s_add_i32 s3, s3, 1
	s_cmp_lg_u32 s2, s3
	s_cbranch_scc1 .LBB52_31
.LBB52_32:
	v_cndmask_b32_e64 v61, 2, 1, s0
	v_cndmask_b32_e64 v62, 0, 1, s0
	s_mov_b32 s0, exec_lo
	v_cndmask_b32_e64 v68, v61, v62, s1
	s_waitcnt lgkmcnt(0)
	v_cmpx_eq_f64_e32 0, v[0:1]
	s_xor_b32 s0, exec_lo, s0
; %bb.33:
	v_cmp_ne_u32_e32 vcc_lo, 0, v68
	v_cndmask_b32_e32 v68, 3, v68, vcc_lo
; %bb.34:
	s_andn2_saveexec_b32 s0, s0
	s_cbranch_execz .LBB52_36
; %bb.35:
	v_div_scale_f64 v[61:62], null, v[0:1], v[0:1], 1.0
	v_rcp_f64_e32 v[70:71], v[61:62]
	v_fma_f64 v[72:73], -v[61:62], v[70:71], 1.0
	v_fma_f64 v[70:71], v[70:71], v[72:73], v[70:71]
	v_fma_f64 v[72:73], -v[61:62], v[70:71], 1.0
	v_fma_f64 v[70:71], v[70:71], v[72:73], v[70:71]
	v_div_scale_f64 v[72:73], vcc_lo, 1.0, v[0:1], 1.0
	v_mul_f64 v[74:75], v[72:73], v[70:71]
	v_fma_f64 v[61:62], -v[61:62], v[74:75], v[72:73]
	v_div_fmas_f64 v[61:62], v[61:62], v[70:71], v[74:75]
	v_div_fixup_f64 v[0:1], v[61:62], v[0:1], 1.0
.LBB52_36:
	s_or_b32 exec_lo, exec_lo, s0
	s_mov_b32 s0, exec_lo
	v_cmpx_ne_u32_e64 v69, v60
	s_xor_b32 s0, exec_lo, s0
	s_cbranch_execz .LBB52_42
; %bb.37:
	s_mov_b32 s1, exec_lo
	v_cmpx_eq_u32_e32 2, v69
	s_cbranch_execz .LBB52_41
; %bb.38:
	v_cmp_ne_u32_e32 vcc_lo, 2, v60
	s_xor_b32 s3, s6, -1
	s_and_b32 s7, s3, vcc_lo
	s_and_saveexec_b32 s3, s7
	s_cbranch_execz .LBB52_40
; %bb.39:
	v_ashrrev_i32_e32 v61, 31, v60
	v_lshlrev_b64 v[61:62], 2, v[60:61]
	v_add_co_u32 v61, vcc_lo, v4, v61
	v_add_co_ci_u32_e64 v62, null, v5, v62, vcc_lo
	s_clause 0x1
	global_load_dword v63, v[61:62], off
	global_load_dword v69, v[4:5], off offset:8
	s_waitcnt vmcnt(1)
	global_store_dword v[4:5], v63, off offset:8
	s_waitcnt vmcnt(0)
	global_store_dword v[61:62], v69, off
.LBB52_40:
	s_or_b32 exec_lo, exec_lo, s3
	v_mov_b32_e32 v63, v60
	v_mov_b32_e32 v69, v60
.LBB52_41:
	s_or_b32 exec_lo, exec_lo, s1
.LBB52_42:
	s_andn2_saveexec_b32 s0, s0
	s_cbranch_execz .LBB52_44
; %bb.43:
	v_mov_b32_e32 v69, 2
	ds_write2_b64 v66, v[48:49], v[50:51] offset0:3 offset1:4
	ds_write2_b64 v66, v[44:45], v[46:47] offset0:5 offset1:6
	;; [unrolled: 1-line block ×12, first 2 shown]
.LBB52_44:
	s_or_b32 exec_lo, exec_lo, s0
	s_mov_b32 s0, exec_lo
	s_waitcnt lgkmcnt(0)
	s_waitcnt_vscnt null, 0x0
	s_barrier
	buffer_gl0_inv
	v_cmpx_lt_i32_e32 2, v69
	s_cbranch_execz .LBB52_46
; %bb.45:
	v_mul_f64 v[52:53], v[0:1], v[52:53]
	ds_read2_b64 v[70:73], v66 offset0:3 offset1:4
	ds_read2_b64 v[74:77], v66 offset0:5 offset1:6
	;; [unrolled: 1-line block ×12, first 2 shown]
	s_waitcnt lgkmcnt(11)
	v_fma_f64 v[48:49], -v[52:53], v[70:71], v[48:49]
	v_fma_f64 v[50:51], -v[52:53], v[72:73], v[50:51]
	s_waitcnt lgkmcnt(10)
	v_fma_f64 v[44:45], -v[52:53], v[74:75], v[44:45]
	v_fma_f64 v[46:47], -v[52:53], v[76:77], v[46:47]
	;; [unrolled: 3-line block ×12, first 2 shown]
.LBB52_46:
	s_or_b32 exec_lo, exec_lo, s0
	v_lshl_add_u32 v0, v69, 3, v66
	s_barrier
	buffer_gl0_inv
	v_mov_b32_e32 v60, 3
	ds_write_b64 v0, v[48:49]
	s_waitcnt lgkmcnt(0)
	s_barrier
	buffer_gl0_inv
	ds_read_b64 v[0:1], v66 offset:24
	s_cmp_lt_i32 s2, 5
	s_cbranch_scc1 .LBB52_49
; %bb.47:
	v_mov_b32_e32 v60, 3
	v_add3_u32 v61, v67, 0, 32
	s_mov_b32 s0, 4
.LBB52_48:                              ; =>This Inner Loop Header: Depth=1
	ds_read_b64 v[70:71], v61
	v_add_nc_u32_e32 v61, 8, v61
	s_waitcnt lgkmcnt(0)
	v_cmp_lt_f64_e64 vcc_lo, |v[0:1]|, |v[70:71]|
	v_cndmask_b32_e32 v1, v1, v71, vcc_lo
	v_cndmask_b32_e32 v0, v0, v70, vcc_lo
	v_cndmask_b32_e64 v60, v60, s0, vcc_lo
	s_add_i32 s0, s0, 1
	s_cmp_lg_u32 s2, s0
	s_cbranch_scc1 .LBB52_48
.LBB52_49:
	s_mov_b32 s0, exec_lo
	s_waitcnt lgkmcnt(0)
	v_cmpx_eq_f64_e32 0, v[0:1]
	s_xor_b32 s0, exec_lo, s0
; %bb.50:
	v_cmp_ne_u32_e32 vcc_lo, 0, v68
	v_cndmask_b32_e32 v68, 4, v68, vcc_lo
; %bb.51:
	s_andn2_saveexec_b32 s0, s0
	s_cbranch_execz .LBB52_53
; %bb.52:
	v_div_scale_f64 v[61:62], null, v[0:1], v[0:1], 1.0
	v_rcp_f64_e32 v[70:71], v[61:62]
	v_fma_f64 v[72:73], -v[61:62], v[70:71], 1.0
	v_fma_f64 v[70:71], v[70:71], v[72:73], v[70:71]
	v_fma_f64 v[72:73], -v[61:62], v[70:71], 1.0
	v_fma_f64 v[70:71], v[70:71], v[72:73], v[70:71]
	v_div_scale_f64 v[72:73], vcc_lo, 1.0, v[0:1], 1.0
	v_mul_f64 v[74:75], v[72:73], v[70:71]
	v_fma_f64 v[61:62], -v[61:62], v[74:75], v[72:73]
	v_div_fmas_f64 v[61:62], v[61:62], v[70:71], v[74:75]
	v_div_fixup_f64 v[0:1], v[61:62], v[0:1], 1.0
.LBB52_53:
	s_or_b32 exec_lo, exec_lo, s0
	s_mov_b32 s0, exec_lo
	v_cmpx_ne_u32_e64 v69, v60
	s_xor_b32 s0, exec_lo, s0
	s_cbranch_execz .LBB52_59
; %bb.54:
	s_mov_b32 s1, exec_lo
	v_cmpx_eq_u32_e32 3, v69
	s_cbranch_execz .LBB52_58
; %bb.55:
	v_cmp_ne_u32_e32 vcc_lo, 3, v60
	s_xor_b32 s3, s6, -1
	s_and_b32 s7, s3, vcc_lo
	s_and_saveexec_b32 s3, s7
	s_cbranch_execz .LBB52_57
; %bb.56:
	v_ashrrev_i32_e32 v61, 31, v60
	v_lshlrev_b64 v[61:62], 2, v[60:61]
	v_add_co_u32 v61, vcc_lo, v4, v61
	v_add_co_ci_u32_e64 v62, null, v5, v62, vcc_lo
	s_clause 0x1
	global_load_dword v63, v[61:62], off
	global_load_dword v69, v[4:5], off offset:12
	s_waitcnt vmcnt(1)
	global_store_dword v[4:5], v63, off offset:12
	s_waitcnt vmcnt(0)
	global_store_dword v[61:62], v69, off
.LBB52_57:
	s_or_b32 exec_lo, exec_lo, s3
	v_mov_b32_e32 v63, v60
	v_mov_b32_e32 v69, v60
.LBB52_58:
	s_or_b32 exec_lo, exec_lo, s1
.LBB52_59:
	s_andn2_saveexec_b32 s0, s0
	s_cbranch_execz .LBB52_61
; %bb.60:
	v_mov_b32_e32 v60, v50
	v_mov_b32_e32 v61, v51
	;; [unrolled: 1-line block ×8, first 2 shown]
	ds_write2_b64 v66, v[60:61], v[69:70] offset0:4 offset1:5
	ds_write2_b64 v66, v[71:72], v[73:74] offset0:6 offset1:7
	v_mov_b32_e32 v60, v40
	v_mov_b32_e32 v61, v41
	;; [unrolled: 1-line block ×20, first 2 shown]
	ds_write2_b64 v66, v[60:61], v[69:70] offset0:8 offset1:9
	ds_write2_b64 v66, v[71:72], v[73:74] offset0:10 offset1:11
	;; [unrolled: 1-line block ×5, first 2 shown]
	v_mov_b32_e32 v60, v20
	v_mov_b32_e32 v61, v21
	v_mov_b32_e32 v69, v18
	v_mov_b32_e32 v70, v19
	v_mov_b32_e32 v71, v16
	v_mov_b32_e32 v72, v17
	v_mov_b32_e32 v73, v14
	v_mov_b32_e32 v74, v15
	ds_write2_b64 v66, v[60:61], v[69:70] offset0:18 offset1:19
	v_mov_b32_e32 v69, 3
	v_mov_b32_e32 v75, v12
	;; [unrolled: 1-line block ×9, first 2 shown]
	ds_write2_b64 v66, v[71:72], v[73:74] offset0:20 offset1:21
	ds_write2_b64 v66, v[75:76], v[77:78] offset0:22 offset1:23
	;; [unrolled: 1-line block ×3, first 2 shown]
	ds_write_b64 v66, v[58:59] offset:208
.LBB52_61:
	s_or_b32 exec_lo, exec_lo, s0
	s_mov_b32 s0, exec_lo
	s_waitcnt lgkmcnt(0)
	s_waitcnt_vscnt null, 0x0
	s_barrier
	buffer_gl0_inv
	v_cmpx_lt_i32_e32 3, v69
	s_cbranch_execz .LBB52_63
; %bb.62:
	v_mul_f64 v[48:49], v[0:1], v[48:49]
	ds_read2_b64 v[70:73], v66 offset0:4 offset1:5
	ds_read2_b64 v[74:77], v66 offset0:6 offset1:7
	;; [unrolled: 1-line block ×11, first 2 shown]
	ds_read_b64 v[0:1], v66 offset:208
	s_waitcnt lgkmcnt(11)
	v_fma_f64 v[50:51], -v[48:49], v[70:71], v[50:51]
	v_fma_f64 v[44:45], -v[48:49], v[72:73], v[44:45]
	s_waitcnt lgkmcnt(10)
	v_fma_f64 v[46:47], -v[48:49], v[74:75], v[46:47]
	v_fma_f64 v[42:43], -v[48:49], v[76:77], v[42:43]
	;; [unrolled: 3-line block ×11, first 2 shown]
	s_waitcnt lgkmcnt(0)
	v_fma_f64 v[58:59], -v[48:49], v[0:1], v[58:59]
.LBB52_63:
	s_or_b32 exec_lo, exec_lo, s0
	v_lshl_add_u32 v0, v69, 3, v66
	s_barrier
	buffer_gl0_inv
	v_mov_b32_e32 v60, 4
	ds_write_b64 v0, v[50:51]
	s_waitcnt lgkmcnt(0)
	s_barrier
	buffer_gl0_inv
	ds_read_b64 v[0:1], v66 offset:32
	s_cmp_lt_i32 s2, 6
	s_cbranch_scc1 .LBB52_66
; %bb.64:
	v_add3_u32 v61, v67, 0, 40
	v_mov_b32_e32 v60, 4
	s_mov_b32 s0, 5
.LBB52_65:                              ; =>This Inner Loop Header: Depth=1
	ds_read_b64 v[70:71], v61
	v_add_nc_u32_e32 v61, 8, v61
	s_waitcnt lgkmcnt(0)
	v_cmp_lt_f64_e64 vcc_lo, |v[0:1]|, |v[70:71]|
	v_cndmask_b32_e32 v1, v1, v71, vcc_lo
	v_cndmask_b32_e32 v0, v0, v70, vcc_lo
	v_cndmask_b32_e64 v60, v60, s0, vcc_lo
	s_add_i32 s0, s0, 1
	s_cmp_lg_u32 s2, s0
	s_cbranch_scc1 .LBB52_65
.LBB52_66:
	s_mov_b32 s0, exec_lo
	s_waitcnt lgkmcnt(0)
	v_cmpx_eq_f64_e32 0, v[0:1]
	s_xor_b32 s0, exec_lo, s0
; %bb.67:
	v_cmp_ne_u32_e32 vcc_lo, 0, v68
	v_cndmask_b32_e32 v68, 5, v68, vcc_lo
; %bb.68:
	s_andn2_saveexec_b32 s0, s0
	s_cbranch_execz .LBB52_70
; %bb.69:
	v_div_scale_f64 v[61:62], null, v[0:1], v[0:1], 1.0
	v_rcp_f64_e32 v[70:71], v[61:62]
	v_fma_f64 v[72:73], -v[61:62], v[70:71], 1.0
	v_fma_f64 v[70:71], v[70:71], v[72:73], v[70:71]
	v_fma_f64 v[72:73], -v[61:62], v[70:71], 1.0
	v_fma_f64 v[70:71], v[70:71], v[72:73], v[70:71]
	v_div_scale_f64 v[72:73], vcc_lo, 1.0, v[0:1], 1.0
	v_mul_f64 v[74:75], v[72:73], v[70:71]
	v_fma_f64 v[61:62], -v[61:62], v[74:75], v[72:73]
	v_div_fmas_f64 v[61:62], v[61:62], v[70:71], v[74:75]
	v_div_fixup_f64 v[0:1], v[61:62], v[0:1], 1.0
.LBB52_70:
	s_or_b32 exec_lo, exec_lo, s0
	s_mov_b32 s0, exec_lo
	v_cmpx_ne_u32_e64 v69, v60
	s_xor_b32 s0, exec_lo, s0
	s_cbranch_execz .LBB52_76
; %bb.71:
	s_mov_b32 s1, exec_lo
	v_cmpx_eq_u32_e32 4, v69
	s_cbranch_execz .LBB52_75
; %bb.72:
	v_cmp_ne_u32_e32 vcc_lo, 4, v60
	s_xor_b32 s3, s6, -1
	s_and_b32 s7, s3, vcc_lo
	s_and_saveexec_b32 s3, s7
	s_cbranch_execz .LBB52_74
; %bb.73:
	v_ashrrev_i32_e32 v61, 31, v60
	v_lshlrev_b64 v[61:62], 2, v[60:61]
	v_add_co_u32 v61, vcc_lo, v4, v61
	v_add_co_ci_u32_e64 v62, null, v5, v62, vcc_lo
	s_clause 0x1
	global_load_dword v63, v[61:62], off
	global_load_dword v69, v[4:5], off offset:16
	s_waitcnt vmcnt(1)
	global_store_dword v[4:5], v63, off offset:16
	s_waitcnt vmcnt(0)
	global_store_dword v[61:62], v69, off
.LBB52_74:
	s_or_b32 exec_lo, exec_lo, s3
	v_mov_b32_e32 v63, v60
	v_mov_b32_e32 v69, v60
.LBB52_75:
	s_or_b32 exec_lo, exec_lo, s1
.LBB52_76:
	s_andn2_saveexec_b32 s0, s0
	s_cbranch_execz .LBB52_78
; %bb.77:
	v_mov_b32_e32 v69, 4
	ds_write2_b64 v66, v[44:45], v[46:47] offset0:5 offset1:6
	ds_write2_b64 v66, v[42:43], v[40:41] offset0:7 offset1:8
	;; [unrolled: 1-line block ×11, first 2 shown]
.LBB52_78:
	s_or_b32 exec_lo, exec_lo, s0
	s_mov_b32 s0, exec_lo
	s_waitcnt lgkmcnt(0)
	s_waitcnt_vscnt null, 0x0
	s_barrier
	buffer_gl0_inv
	v_cmpx_lt_i32_e32 4, v69
	s_cbranch_execz .LBB52_80
; %bb.79:
	v_mul_f64 v[50:51], v[0:1], v[50:51]
	ds_read2_b64 v[70:73], v66 offset0:5 offset1:6
	ds_read2_b64 v[74:77], v66 offset0:7 offset1:8
	;; [unrolled: 1-line block ×11, first 2 shown]
	s_waitcnt lgkmcnt(10)
	v_fma_f64 v[44:45], -v[50:51], v[70:71], v[44:45]
	v_fma_f64 v[46:47], -v[50:51], v[72:73], v[46:47]
	s_waitcnt lgkmcnt(9)
	v_fma_f64 v[42:43], -v[50:51], v[74:75], v[42:43]
	v_fma_f64 v[40:41], -v[50:51], v[76:77], v[40:41]
	s_waitcnt lgkmcnt(8)
	v_fma_f64 v[38:39], -v[50:51], v[78:79], v[38:39]
	v_fma_f64 v[36:37], -v[50:51], v[80:81], v[36:37]
	s_waitcnt lgkmcnt(7)
	v_fma_f64 v[34:35], -v[50:51], v[82:83], v[34:35]
	v_fma_f64 v[32:33], -v[50:51], v[84:85], v[32:33]
	s_waitcnt lgkmcnt(6)
	v_fma_f64 v[28:29], -v[50:51], v[86:87], v[28:29]
	v_fma_f64 v[30:31], -v[50:51], v[88:89], v[30:31]
	s_waitcnt lgkmcnt(5)
	v_fma_f64 v[24:25], -v[50:51], v[90:91], v[24:25]
	v_fma_f64 v[26:27], -v[50:51], v[92:93], v[26:27]
	s_waitcnt lgkmcnt(4)
	v_fma_f64 v[22:23], -v[50:51], v[94:95], v[22:23]
	v_fma_f64 v[20:21], -v[50:51], v[96:97], v[20:21]
	s_waitcnt lgkmcnt(3)
	v_fma_f64 v[18:19], -v[50:51], v[98:99], v[18:19]
	v_fma_f64 v[16:17], -v[50:51], v[100:101], v[16:17]
	s_waitcnt lgkmcnt(2)
	v_fma_f64 v[14:15], -v[50:51], v[102:103], v[14:15]
	v_fma_f64 v[12:13], -v[50:51], v[104:105], v[12:13]
	s_waitcnt lgkmcnt(1)
	v_fma_f64 v[8:9], -v[50:51], v[106:107], v[8:9]
	v_fma_f64 v[10:11], -v[50:51], v[108:109], v[10:11]
	s_waitcnt lgkmcnt(0)
	v_fma_f64 v[6:7], -v[50:51], v[110:111], v[6:7]
	v_fma_f64 v[58:59], -v[50:51], v[112:113], v[58:59]
.LBB52_80:
	s_or_b32 exec_lo, exec_lo, s0
	v_lshl_add_u32 v0, v69, 3, v66
	s_barrier
	buffer_gl0_inv
	v_mov_b32_e32 v60, 5
	ds_write_b64 v0, v[44:45]
	s_waitcnt lgkmcnt(0)
	s_barrier
	buffer_gl0_inv
	ds_read_b64 v[0:1], v66 offset:40
	s_cmp_lt_i32 s2, 7
	s_cbranch_scc1 .LBB52_83
; %bb.81:
	v_add3_u32 v61, v67, 0, 48
	v_mov_b32_e32 v60, 5
	s_mov_b32 s0, 6
.LBB52_82:                              ; =>This Inner Loop Header: Depth=1
	ds_read_b64 v[70:71], v61
	v_add_nc_u32_e32 v61, 8, v61
	s_waitcnt lgkmcnt(0)
	v_cmp_lt_f64_e64 vcc_lo, |v[0:1]|, |v[70:71]|
	v_cndmask_b32_e32 v1, v1, v71, vcc_lo
	v_cndmask_b32_e32 v0, v0, v70, vcc_lo
	v_cndmask_b32_e64 v60, v60, s0, vcc_lo
	s_add_i32 s0, s0, 1
	s_cmp_lg_u32 s2, s0
	s_cbranch_scc1 .LBB52_82
.LBB52_83:
	s_mov_b32 s0, exec_lo
	s_waitcnt lgkmcnt(0)
	v_cmpx_eq_f64_e32 0, v[0:1]
	s_xor_b32 s0, exec_lo, s0
; %bb.84:
	v_cmp_ne_u32_e32 vcc_lo, 0, v68
	v_cndmask_b32_e32 v68, 6, v68, vcc_lo
; %bb.85:
	s_andn2_saveexec_b32 s0, s0
	s_cbranch_execz .LBB52_87
; %bb.86:
	v_div_scale_f64 v[61:62], null, v[0:1], v[0:1], 1.0
	v_rcp_f64_e32 v[70:71], v[61:62]
	v_fma_f64 v[72:73], -v[61:62], v[70:71], 1.0
	v_fma_f64 v[70:71], v[70:71], v[72:73], v[70:71]
	v_fma_f64 v[72:73], -v[61:62], v[70:71], 1.0
	v_fma_f64 v[70:71], v[70:71], v[72:73], v[70:71]
	v_div_scale_f64 v[72:73], vcc_lo, 1.0, v[0:1], 1.0
	v_mul_f64 v[74:75], v[72:73], v[70:71]
	v_fma_f64 v[61:62], -v[61:62], v[74:75], v[72:73]
	v_div_fmas_f64 v[61:62], v[61:62], v[70:71], v[74:75]
	v_div_fixup_f64 v[0:1], v[61:62], v[0:1], 1.0
.LBB52_87:
	s_or_b32 exec_lo, exec_lo, s0
	s_mov_b32 s0, exec_lo
	v_cmpx_ne_u32_e64 v69, v60
	s_xor_b32 s0, exec_lo, s0
	s_cbranch_execz .LBB52_93
; %bb.88:
	s_mov_b32 s1, exec_lo
	v_cmpx_eq_u32_e32 5, v69
	s_cbranch_execz .LBB52_92
; %bb.89:
	v_cmp_ne_u32_e32 vcc_lo, 5, v60
	s_xor_b32 s3, s6, -1
	s_and_b32 s7, s3, vcc_lo
	s_and_saveexec_b32 s3, s7
	s_cbranch_execz .LBB52_91
; %bb.90:
	v_ashrrev_i32_e32 v61, 31, v60
	v_lshlrev_b64 v[61:62], 2, v[60:61]
	v_add_co_u32 v61, vcc_lo, v4, v61
	v_add_co_ci_u32_e64 v62, null, v5, v62, vcc_lo
	s_clause 0x1
	global_load_dword v63, v[61:62], off
	global_load_dword v69, v[4:5], off offset:20
	s_waitcnt vmcnt(1)
	global_store_dword v[4:5], v63, off offset:20
	s_waitcnt vmcnt(0)
	global_store_dword v[61:62], v69, off
.LBB52_91:
	s_or_b32 exec_lo, exec_lo, s3
	v_mov_b32_e32 v63, v60
	v_mov_b32_e32 v69, v60
.LBB52_92:
	s_or_b32 exec_lo, exec_lo, s1
.LBB52_93:
	s_andn2_saveexec_b32 s0, s0
	s_cbranch_execz .LBB52_95
; %bb.94:
	v_mov_b32_e32 v60, v46
	v_mov_b32_e32 v61, v47
	;; [unrolled: 1-line block ×8, first 2 shown]
	ds_write2_b64 v66, v[60:61], v[69:70] offset0:6 offset1:7
	v_mov_b32_e32 v60, v38
	v_mov_b32_e32 v61, v39
	;; [unrolled: 1-line block ×16, first 2 shown]
	ds_write2_b64 v66, v[71:72], v[60:61] offset0:8 offset1:9
	ds_write2_b64 v66, v[69:70], v[73:74] offset0:10 offset1:11
	;; [unrolled: 1-line block ×5, first 2 shown]
	v_mov_b32_e32 v60, v20
	v_mov_b32_e32 v61, v21
	;; [unrolled: 1-line block ×8, first 2 shown]
	ds_write2_b64 v66, v[60:61], v[69:70] offset0:18 offset1:19
	v_mov_b32_e32 v69, 5
	v_mov_b32_e32 v75, v12
	;; [unrolled: 1-line block ×9, first 2 shown]
	ds_write2_b64 v66, v[71:72], v[73:74] offset0:20 offset1:21
	ds_write2_b64 v66, v[75:76], v[77:78] offset0:22 offset1:23
	;; [unrolled: 1-line block ×3, first 2 shown]
	ds_write_b64 v66, v[58:59] offset:208
.LBB52_95:
	s_or_b32 exec_lo, exec_lo, s0
	s_mov_b32 s0, exec_lo
	s_waitcnt lgkmcnt(0)
	s_waitcnt_vscnt null, 0x0
	s_barrier
	buffer_gl0_inv
	v_cmpx_lt_i32_e32 5, v69
	s_cbranch_execz .LBB52_97
; %bb.96:
	v_mul_f64 v[44:45], v[0:1], v[44:45]
	ds_read2_b64 v[70:73], v66 offset0:6 offset1:7
	ds_read2_b64 v[74:77], v66 offset0:8 offset1:9
	;; [unrolled: 1-line block ×10, first 2 shown]
	ds_read_b64 v[0:1], v66 offset:208
	s_waitcnt lgkmcnt(10)
	v_fma_f64 v[46:47], -v[44:45], v[70:71], v[46:47]
	v_fma_f64 v[42:43], -v[44:45], v[72:73], v[42:43]
	s_waitcnt lgkmcnt(9)
	v_fma_f64 v[40:41], -v[44:45], v[74:75], v[40:41]
	v_fma_f64 v[38:39], -v[44:45], v[76:77], v[38:39]
	;; [unrolled: 3-line block ×10, first 2 shown]
	s_waitcnt lgkmcnt(0)
	v_fma_f64 v[58:59], -v[44:45], v[0:1], v[58:59]
.LBB52_97:
	s_or_b32 exec_lo, exec_lo, s0
	v_lshl_add_u32 v0, v69, 3, v66
	s_barrier
	buffer_gl0_inv
	v_mov_b32_e32 v60, 6
	ds_write_b64 v0, v[46:47]
	s_waitcnt lgkmcnt(0)
	s_barrier
	buffer_gl0_inv
	ds_read_b64 v[0:1], v66 offset:48
	s_cmp_lt_i32 s2, 8
	s_cbranch_scc1 .LBB52_100
; %bb.98:
	v_add3_u32 v61, v67, 0, 56
	v_mov_b32_e32 v60, 6
	s_mov_b32 s0, 7
.LBB52_99:                              ; =>This Inner Loop Header: Depth=1
	ds_read_b64 v[70:71], v61
	v_add_nc_u32_e32 v61, 8, v61
	s_waitcnt lgkmcnt(0)
	v_cmp_lt_f64_e64 vcc_lo, |v[0:1]|, |v[70:71]|
	v_cndmask_b32_e32 v1, v1, v71, vcc_lo
	v_cndmask_b32_e32 v0, v0, v70, vcc_lo
	v_cndmask_b32_e64 v60, v60, s0, vcc_lo
	s_add_i32 s0, s0, 1
	s_cmp_lg_u32 s2, s0
	s_cbranch_scc1 .LBB52_99
.LBB52_100:
	s_mov_b32 s0, exec_lo
	s_waitcnt lgkmcnt(0)
	v_cmpx_eq_f64_e32 0, v[0:1]
	s_xor_b32 s0, exec_lo, s0
; %bb.101:
	v_cmp_ne_u32_e32 vcc_lo, 0, v68
	v_cndmask_b32_e32 v68, 7, v68, vcc_lo
; %bb.102:
	s_andn2_saveexec_b32 s0, s0
	s_cbranch_execz .LBB52_104
; %bb.103:
	v_div_scale_f64 v[61:62], null, v[0:1], v[0:1], 1.0
	v_rcp_f64_e32 v[70:71], v[61:62]
	v_fma_f64 v[72:73], -v[61:62], v[70:71], 1.0
	v_fma_f64 v[70:71], v[70:71], v[72:73], v[70:71]
	v_fma_f64 v[72:73], -v[61:62], v[70:71], 1.0
	v_fma_f64 v[70:71], v[70:71], v[72:73], v[70:71]
	v_div_scale_f64 v[72:73], vcc_lo, 1.0, v[0:1], 1.0
	v_mul_f64 v[74:75], v[72:73], v[70:71]
	v_fma_f64 v[61:62], -v[61:62], v[74:75], v[72:73]
	v_div_fmas_f64 v[61:62], v[61:62], v[70:71], v[74:75]
	v_div_fixup_f64 v[0:1], v[61:62], v[0:1], 1.0
.LBB52_104:
	s_or_b32 exec_lo, exec_lo, s0
	s_mov_b32 s0, exec_lo
	v_cmpx_ne_u32_e64 v69, v60
	s_xor_b32 s0, exec_lo, s0
	s_cbranch_execz .LBB52_110
; %bb.105:
	s_mov_b32 s1, exec_lo
	v_cmpx_eq_u32_e32 6, v69
	s_cbranch_execz .LBB52_109
; %bb.106:
	v_cmp_ne_u32_e32 vcc_lo, 6, v60
	s_xor_b32 s3, s6, -1
	s_and_b32 s7, s3, vcc_lo
	s_and_saveexec_b32 s3, s7
	s_cbranch_execz .LBB52_108
; %bb.107:
	v_ashrrev_i32_e32 v61, 31, v60
	v_lshlrev_b64 v[61:62], 2, v[60:61]
	v_add_co_u32 v61, vcc_lo, v4, v61
	v_add_co_ci_u32_e64 v62, null, v5, v62, vcc_lo
	s_clause 0x1
	global_load_dword v63, v[61:62], off
	global_load_dword v69, v[4:5], off offset:24
	s_waitcnt vmcnt(1)
	global_store_dword v[4:5], v63, off offset:24
	s_waitcnt vmcnt(0)
	global_store_dword v[61:62], v69, off
.LBB52_108:
	s_or_b32 exec_lo, exec_lo, s3
	v_mov_b32_e32 v63, v60
	v_mov_b32_e32 v69, v60
.LBB52_109:
	s_or_b32 exec_lo, exec_lo, s1
.LBB52_110:
	s_andn2_saveexec_b32 s0, s0
	s_cbranch_execz .LBB52_112
; %bb.111:
	v_mov_b32_e32 v69, 6
	ds_write2_b64 v66, v[42:43], v[40:41] offset0:7 offset1:8
	ds_write2_b64 v66, v[38:39], v[36:37] offset0:9 offset1:10
	;; [unrolled: 1-line block ×10, first 2 shown]
.LBB52_112:
	s_or_b32 exec_lo, exec_lo, s0
	s_mov_b32 s0, exec_lo
	s_waitcnt lgkmcnt(0)
	s_waitcnt_vscnt null, 0x0
	s_barrier
	buffer_gl0_inv
	v_cmpx_lt_i32_e32 6, v69
	s_cbranch_execz .LBB52_114
; %bb.113:
	v_mul_f64 v[46:47], v[0:1], v[46:47]
	ds_read2_b64 v[70:73], v66 offset0:7 offset1:8
	ds_read2_b64 v[74:77], v66 offset0:9 offset1:10
	;; [unrolled: 1-line block ×10, first 2 shown]
	s_waitcnt lgkmcnt(9)
	v_fma_f64 v[42:43], -v[46:47], v[70:71], v[42:43]
	v_fma_f64 v[40:41], -v[46:47], v[72:73], v[40:41]
	s_waitcnt lgkmcnt(8)
	v_fma_f64 v[38:39], -v[46:47], v[74:75], v[38:39]
	v_fma_f64 v[36:37], -v[46:47], v[76:77], v[36:37]
	;; [unrolled: 3-line block ×10, first 2 shown]
.LBB52_114:
	s_or_b32 exec_lo, exec_lo, s0
	v_lshl_add_u32 v0, v69, 3, v66
	s_barrier
	buffer_gl0_inv
	v_mov_b32_e32 v60, 7
	ds_write_b64 v0, v[42:43]
	s_waitcnt lgkmcnt(0)
	s_barrier
	buffer_gl0_inv
	ds_read_b64 v[0:1], v66 offset:56
	s_cmp_lt_i32 s2, 9
	s_cbranch_scc1 .LBB52_117
; %bb.115:
	v_add3_u32 v61, v67, 0, 64
	v_mov_b32_e32 v60, 7
	s_mov_b32 s0, 8
.LBB52_116:                             ; =>This Inner Loop Header: Depth=1
	ds_read_b64 v[70:71], v61
	v_add_nc_u32_e32 v61, 8, v61
	s_waitcnt lgkmcnt(0)
	v_cmp_lt_f64_e64 vcc_lo, |v[0:1]|, |v[70:71]|
	v_cndmask_b32_e32 v1, v1, v71, vcc_lo
	v_cndmask_b32_e32 v0, v0, v70, vcc_lo
	v_cndmask_b32_e64 v60, v60, s0, vcc_lo
	s_add_i32 s0, s0, 1
	s_cmp_lg_u32 s2, s0
	s_cbranch_scc1 .LBB52_116
.LBB52_117:
	s_mov_b32 s0, exec_lo
	s_waitcnt lgkmcnt(0)
	v_cmpx_eq_f64_e32 0, v[0:1]
	s_xor_b32 s0, exec_lo, s0
; %bb.118:
	v_cmp_ne_u32_e32 vcc_lo, 0, v68
	v_cndmask_b32_e32 v68, 8, v68, vcc_lo
; %bb.119:
	s_andn2_saveexec_b32 s0, s0
	s_cbranch_execz .LBB52_121
; %bb.120:
	v_div_scale_f64 v[61:62], null, v[0:1], v[0:1], 1.0
	v_rcp_f64_e32 v[70:71], v[61:62]
	v_fma_f64 v[72:73], -v[61:62], v[70:71], 1.0
	v_fma_f64 v[70:71], v[70:71], v[72:73], v[70:71]
	v_fma_f64 v[72:73], -v[61:62], v[70:71], 1.0
	v_fma_f64 v[70:71], v[70:71], v[72:73], v[70:71]
	v_div_scale_f64 v[72:73], vcc_lo, 1.0, v[0:1], 1.0
	v_mul_f64 v[74:75], v[72:73], v[70:71]
	v_fma_f64 v[61:62], -v[61:62], v[74:75], v[72:73]
	v_div_fmas_f64 v[61:62], v[61:62], v[70:71], v[74:75]
	v_div_fixup_f64 v[0:1], v[61:62], v[0:1], 1.0
.LBB52_121:
	s_or_b32 exec_lo, exec_lo, s0
	s_mov_b32 s0, exec_lo
	v_cmpx_ne_u32_e64 v69, v60
	s_xor_b32 s0, exec_lo, s0
	s_cbranch_execz .LBB52_127
; %bb.122:
	s_mov_b32 s1, exec_lo
	v_cmpx_eq_u32_e32 7, v69
	s_cbranch_execz .LBB52_126
; %bb.123:
	v_cmp_ne_u32_e32 vcc_lo, 7, v60
	s_xor_b32 s3, s6, -1
	s_and_b32 s7, s3, vcc_lo
	s_and_saveexec_b32 s3, s7
	s_cbranch_execz .LBB52_125
; %bb.124:
	v_ashrrev_i32_e32 v61, 31, v60
	v_lshlrev_b64 v[61:62], 2, v[60:61]
	v_add_co_u32 v61, vcc_lo, v4, v61
	v_add_co_ci_u32_e64 v62, null, v5, v62, vcc_lo
	s_clause 0x1
	global_load_dword v63, v[61:62], off
	global_load_dword v69, v[4:5], off offset:28
	s_waitcnt vmcnt(1)
	global_store_dword v[4:5], v63, off offset:28
	s_waitcnt vmcnt(0)
	global_store_dword v[61:62], v69, off
.LBB52_125:
	s_or_b32 exec_lo, exec_lo, s3
	v_mov_b32_e32 v63, v60
	v_mov_b32_e32 v69, v60
.LBB52_126:
	s_or_b32 exec_lo, exec_lo, s1
.LBB52_127:
	s_andn2_saveexec_b32 s0, s0
	s_cbranch_execz .LBB52_129
; %bb.128:
	v_mov_b32_e32 v60, v40
	v_mov_b32_e32 v61, v41
	;; [unrolled: 1-line block ×20, first 2 shown]
	ds_write2_b64 v66, v[60:61], v[69:70] offset0:8 offset1:9
	ds_write2_b64 v66, v[71:72], v[73:74] offset0:10 offset1:11
	;; [unrolled: 1-line block ×5, first 2 shown]
	v_mov_b32_e32 v60, v20
	v_mov_b32_e32 v61, v21
	;; [unrolled: 1-line block ×8, first 2 shown]
	ds_write2_b64 v66, v[60:61], v[69:70] offset0:18 offset1:19
	v_mov_b32_e32 v69, 7
	v_mov_b32_e32 v75, v12
	;; [unrolled: 1-line block ×9, first 2 shown]
	ds_write2_b64 v66, v[71:72], v[73:74] offset0:20 offset1:21
	ds_write2_b64 v66, v[75:76], v[77:78] offset0:22 offset1:23
	;; [unrolled: 1-line block ×3, first 2 shown]
	ds_write_b64 v66, v[58:59] offset:208
.LBB52_129:
	s_or_b32 exec_lo, exec_lo, s0
	s_mov_b32 s0, exec_lo
	s_waitcnt lgkmcnt(0)
	s_waitcnt_vscnt null, 0x0
	s_barrier
	buffer_gl0_inv
	v_cmpx_lt_i32_e32 7, v69
	s_cbranch_execz .LBB52_131
; %bb.130:
	v_mul_f64 v[42:43], v[0:1], v[42:43]
	ds_read2_b64 v[70:73], v66 offset0:8 offset1:9
	ds_read2_b64 v[74:77], v66 offset0:10 offset1:11
	;; [unrolled: 1-line block ×9, first 2 shown]
	ds_read_b64 v[0:1], v66 offset:208
	s_waitcnt lgkmcnt(9)
	v_fma_f64 v[40:41], -v[42:43], v[70:71], v[40:41]
	v_fma_f64 v[38:39], -v[42:43], v[72:73], v[38:39]
	s_waitcnt lgkmcnt(8)
	v_fma_f64 v[36:37], -v[42:43], v[74:75], v[36:37]
	v_fma_f64 v[34:35], -v[42:43], v[76:77], v[34:35]
	;; [unrolled: 3-line block ×9, first 2 shown]
	s_waitcnt lgkmcnt(0)
	v_fma_f64 v[58:59], -v[42:43], v[0:1], v[58:59]
.LBB52_131:
	s_or_b32 exec_lo, exec_lo, s0
	v_lshl_add_u32 v0, v69, 3, v66
	s_barrier
	buffer_gl0_inv
	v_mov_b32_e32 v60, 8
	ds_write_b64 v0, v[40:41]
	s_waitcnt lgkmcnt(0)
	s_barrier
	buffer_gl0_inv
	ds_read_b64 v[0:1], v66 offset:64
	s_cmp_lt_i32 s2, 10
	s_cbranch_scc1 .LBB52_134
; %bb.132:
	v_add3_u32 v61, v67, 0, 0x48
	v_mov_b32_e32 v60, 8
	s_mov_b32 s0, 9
.LBB52_133:                             ; =>This Inner Loop Header: Depth=1
	ds_read_b64 v[70:71], v61
	v_add_nc_u32_e32 v61, 8, v61
	s_waitcnt lgkmcnt(0)
	v_cmp_lt_f64_e64 vcc_lo, |v[0:1]|, |v[70:71]|
	v_cndmask_b32_e32 v1, v1, v71, vcc_lo
	v_cndmask_b32_e32 v0, v0, v70, vcc_lo
	v_cndmask_b32_e64 v60, v60, s0, vcc_lo
	s_add_i32 s0, s0, 1
	s_cmp_lg_u32 s2, s0
	s_cbranch_scc1 .LBB52_133
.LBB52_134:
	s_mov_b32 s0, exec_lo
	s_waitcnt lgkmcnt(0)
	v_cmpx_eq_f64_e32 0, v[0:1]
	s_xor_b32 s0, exec_lo, s0
; %bb.135:
	v_cmp_ne_u32_e32 vcc_lo, 0, v68
	v_cndmask_b32_e32 v68, 9, v68, vcc_lo
; %bb.136:
	s_andn2_saveexec_b32 s0, s0
	s_cbranch_execz .LBB52_138
; %bb.137:
	v_div_scale_f64 v[61:62], null, v[0:1], v[0:1], 1.0
	v_rcp_f64_e32 v[70:71], v[61:62]
	v_fma_f64 v[72:73], -v[61:62], v[70:71], 1.0
	v_fma_f64 v[70:71], v[70:71], v[72:73], v[70:71]
	v_fma_f64 v[72:73], -v[61:62], v[70:71], 1.0
	v_fma_f64 v[70:71], v[70:71], v[72:73], v[70:71]
	v_div_scale_f64 v[72:73], vcc_lo, 1.0, v[0:1], 1.0
	v_mul_f64 v[74:75], v[72:73], v[70:71]
	v_fma_f64 v[61:62], -v[61:62], v[74:75], v[72:73]
	v_div_fmas_f64 v[61:62], v[61:62], v[70:71], v[74:75]
	v_div_fixup_f64 v[0:1], v[61:62], v[0:1], 1.0
.LBB52_138:
	s_or_b32 exec_lo, exec_lo, s0
	s_mov_b32 s0, exec_lo
	v_cmpx_ne_u32_e64 v69, v60
	s_xor_b32 s0, exec_lo, s0
	s_cbranch_execz .LBB52_144
; %bb.139:
	s_mov_b32 s1, exec_lo
	v_cmpx_eq_u32_e32 8, v69
	s_cbranch_execz .LBB52_143
; %bb.140:
	v_cmp_ne_u32_e32 vcc_lo, 8, v60
	s_xor_b32 s3, s6, -1
	s_and_b32 s7, s3, vcc_lo
	s_and_saveexec_b32 s3, s7
	s_cbranch_execz .LBB52_142
; %bb.141:
	v_ashrrev_i32_e32 v61, 31, v60
	v_lshlrev_b64 v[61:62], 2, v[60:61]
	v_add_co_u32 v61, vcc_lo, v4, v61
	v_add_co_ci_u32_e64 v62, null, v5, v62, vcc_lo
	s_clause 0x1
	global_load_dword v63, v[61:62], off
	global_load_dword v69, v[4:5], off offset:32
	s_waitcnt vmcnt(1)
	global_store_dword v[4:5], v63, off offset:32
	s_waitcnt vmcnt(0)
	global_store_dword v[61:62], v69, off
.LBB52_142:
	s_or_b32 exec_lo, exec_lo, s3
	v_mov_b32_e32 v63, v60
	v_mov_b32_e32 v69, v60
.LBB52_143:
	s_or_b32 exec_lo, exec_lo, s1
.LBB52_144:
	s_andn2_saveexec_b32 s0, s0
	s_cbranch_execz .LBB52_146
; %bb.145:
	v_mov_b32_e32 v69, 8
	ds_write2_b64 v66, v[38:39], v[36:37] offset0:9 offset1:10
	ds_write2_b64 v66, v[34:35], v[32:33] offset0:11 offset1:12
	ds_write2_b64 v66, v[28:29], v[30:31] offset0:13 offset1:14
	ds_write2_b64 v66, v[24:25], v[26:27] offset0:15 offset1:16
	ds_write2_b64 v66, v[22:23], v[20:21] offset0:17 offset1:18
	ds_write2_b64 v66, v[18:19], v[16:17] offset0:19 offset1:20
	ds_write2_b64 v66, v[14:15], v[12:13] offset0:21 offset1:22
	ds_write2_b64 v66, v[8:9], v[10:11] offset0:23 offset1:24
	ds_write2_b64 v66, v[6:7], v[58:59] offset0:25 offset1:26
.LBB52_146:
	s_or_b32 exec_lo, exec_lo, s0
	s_mov_b32 s0, exec_lo
	s_waitcnt lgkmcnt(0)
	s_waitcnt_vscnt null, 0x0
	s_barrier
	buffer_gl0_inv
	v_cmpx_lt_i32_e32 8, v69
	s_cbranch_execz .LBB52_148
; %bb.147:
	v_mul_f64 v[40:41], v[0:1], v[40:41]
	ds_read2_b64 v[70:73], v66 offset0:9 offset1:10
	ds_read2_b64 v[74:77], v66 offset0:11 offset1:12
	;; [unrolled: 1-line block ×9, first 2 shown]
	s_waitcnt lgkmcnt(8)
	v_fma_f64 v[38:39], -v[40:41], v[70:71], v[38:39]
	v_fma_f64 v[36:37], -v[40:41], v[72:73], v[36:37]
	s_waitcnt lgkmcnt(7)
	v_fma_f64 v[34:35], -v[40:41], v[74:75], v[34:35]
	v_fma_f64 v[32:33], -v[40:41], v[76:77], v[32:33]
	;; [unrolled: 3-line block ×9, first 2 shown]
.LBB52_148:
	s_or_b32 exec_lo, exec_lo, s0
	v_lshl_add_u32 v0, v69, 3, v66
	s_barrier
	buffer_gl0_inv
	v_mov_b32_e32 v60, 9
	ds_write_b64 v0, v[38:39]
	s_waitcnt lgkmcnt(0)
	s_barrier
	buffer_gl0_inv
	ds_read_b64 v[0:1], v66 offset:72
	s_cmp_lt_i32 s2, 11
	s_cbranch_scc1 .LBB52_151
; %bb.149:
	v_add3_u32 v61, v67, 0, 0x50
	v_mov_b32_e32 v60, 9
	s_mov_b32 s0, 10
.LBB52_150:                             ; =>This Inner Loop Header: Depth=1
	ds_read_b64 v[70:71], v61
	v_add_nc_u32_e32 v61, 8, v61
	s_waitcnt lgkmcnt(0)
	v_cmp_lt_f64_e64 vcc_lo, |v[0:1]|, |v[70:71]|
	v_cndmask_b32_e32 v1, v1, v71, vcc_lo
	v_cndmask_b32_e32 v0, v0, v70, vcc_lo
	v_cndmask_b32_e64 v60, v60, s0, vcc_lo
	s_add_i32 s0, s0, 1
	s_cmp_lg_u32 s2, s0
	s_cbranch_scc1 .LBB52_150
.LBB52_151:
	s_mov_b32 s0, exec_lo
	s_waitcnt lgkmcnt(0)
	v_cmpx_eq_f64_e32 0, v[0:1]
	s_xor_b32 s0, exec_lo, s0
; %bb.152:
	v_cmp_ne_u32_e32 vcc_lo, 0, v68
	v_cndmask_b32_e32 v68, 10, v68, vcc_lo
; %bb.153:
	s_andn2_saveexec_b32 s0, s0
	s_cbranch_execz .LBB52_155
; %bb.154:
	v_div_scale_f64 v[61:62], null, v[0:1], v[0:1], 1.0
	v_rcp_f64_e32 v[70:71], v[61:62]
	v_fma_f64 v[72:73], -v[61:62], v[70:71], 1.0
	v_fma_f64 v[70:71], v[70:71], v[72:73], v[70:71]
	v_fma_f64 v[72:73], -v[61:62], v[70:71], 1.0
	v_fma_f64 v[70:71], v[70:71], v[72:73], v[70:71]
	v_div_scale_f64 v[72:73], vcc_lo, 1.0, v[0:1], 1.0
	v_mul_f64 v[74:75], v[72:73], v[70:71]
	v_fma_f64 v[61:62], -v[61:62], v[74:75], v[72:73]
	v_div_fmas_f64 v[61:62], v[61:62], v[70:71], v[74:75]
	v_div_fixup_f64 v[0:1], v[61:62], v[0:1], 1.0
.LBB52_155:
	s_or_b32 exec_lo, exec_lo, s0
	s_mov_b32 s0, exec_lo
	v_cmpx_ne_u32_e64 v69, v60
	s_xor_b32 s0, exec_lo, s0
	s_cbranch_execz .LBB52_161
; %bb.156:
	s_mov_b32 s1, exec_lo
	v_cmpx_eq_u32_e32 9, v69
	s_cbranch_execz .LBB52_160
; %bb.157:
	v_cmp_ne_u32_e32 vcc_lo, 9, v60
	s_xor_b32 s3, s6, -1
	s_and_b32 s7, s3, vcc_lo
	s_and_saveexec_b32 s3, s7
	s_cbranch_execz .LBB52_159
; %bb.158:
	v_ashrrev_i32_e32 v61, 31, v60
	v_lshlrev_b64 v[61:62], 2, v[60:61]
	v_add_co_u32 v61, vcc_lo, v4, v61
	v_add_co_ci_u32_e64 v62, null, v5, v62, vcc_lo
	s_clause 0x1
	global_load_dword v63, v[61:62], off
	global_load_dword v69, v[4:5], off offset:36
	s_waitcnt vmcnt(1)
	global_store_dword v[4:5], v63, off offset:36
	s_waitcnt vmcnt(0)
	global_store_dword v[61:62], v69, off
.LBB52_159:
	s_or_b32 exec_lo, exec_lo, s3
	v_mov_b32_e32 v63, v60
	v_mov_b32_e32 v69, v60
.LBB52_160:
	s_or_b32 exec_lo, exec_lo, s1
.LBB52_161:
	s_andn2_saveexec_b32 s0, s0
	s_cbranch_execz .LBB52_163
; %bb.162:
	v_mov_b32_e32 v60, v36
	v_mov_b32_e32 v61, v37
	v_mov_b32_e32 v69, v34
	v_mov_b32_e32 v70, v35
	v_mov_b32_e32 v71, v32
	v_mov_b32_e32 v72, v33
	v_mov_b32_e32 v73, v28
	v_mov_b32_e32 v74, v29
	v_mov_b32_e32 v75, v30
	v_mov_b32_e32 v76, v31
	v_mov_b32_e32 v77, v24
	v_mov_b32_e32 v78, v25
	v_mov_b32_e32 v79, v26
	v_mov_b32_e32 v80, v27
	v_mov_b32_e32 v81, v22
	v_mov_b32_e32 v82, v23
	ds_write2_b64 v66, v[60:61], v[69:70] offset0:10 offset1:11
	ds_write2_b64 v66, v[71:72], v[73:74] offset0:12 offset1:13
	;; [unrolled: 1-line block ×4, first 2 shown]
	v_mov_b32_e32 v60, v20
	v_mov_b32_e32 v61, v21
	;; [unrolled: 1-line block ×8, first 2 shown]
	ds_write2_b64 v66, v[60:61], v[69:70] offset0:18 offset1:19
	v_mov_b32_e32 v69, 9
	v_mov_b32_e32 v75, v12
	v_mov_b32_e32 v76, v13
	v_mov_b32_e32 v77, v8
	v_mov_b32_e32 v78, v9
	v_mov_b32_e32 v79, v10
	v_mov_b32_e32 v80, v11
	v_mov_b32_e32 v81, v6
	v_mov_b32_e32 v82, v7
	ds_write2_b64 v66, v[71:72], v[73:74] offset0:20 offset1:21
	ds_write2_b64 v66, v[75:76], v[77:78] offset0:22 offset1:23
	ds_write2_b64 v66, v[79:80], v[81:82] offset0:24 offset1:25
	ds_write_b64 v66, v[58:59] offset:208
.LBB52_163:
	s_or_b32 exec_lo, exec_lo, s0
	s_mov_b32 s0, exec_lo
	s_waitcnt lgkmcnt(0)
	s_waitcnt_vscnt null, 0x0
	s_barrier
	buffer_gl0_inv
	v_cmpx_lt_i32_e32 9, v69
	s_cbranch_execz .LBB52_165
; %bb.164:
	v_mul_f64 v[38:39], v[0:1], v[38:39]
	ds_read2_b64 v[70:73], v66 offset0:10 offset1:11
	ds_read2_b64 v[74:77], v66 offset0:12 offset1:13
	;; [unrolled: 1-line block ×8, first 2 shown]
	ds_read_b64 v[0:1], v66 offset:208
	s_waitcnt lgkmcnt(8)
	v_fma_f64 v[36:37], -v[38:39], v[70:71], v[36:37]
	v_fma_f64 v[34:35], -v[38:39], v[72:73], v[34:35]
	s_waitcnt lgkmcnt(7)
	v_fma_f64 v[32:33], -v[38:39], v[74:75], v[32:33]
	v_fma_f64 v[28:29], -v[38:39], v[76:77], v[28:29]
	;; [unrolled: 3-line block ×8, first 2 shown]
	s_waitcnt lgkmcnt(0)
	v_fma_f64 v[58:59], -v[38:39], v[0:1], v[58:59]
.LBB52_165:
	s_or_b32 exec_lo, exec_lo, s0
	v_lshl_add_u32 v0, v69, 3, v66
	s_barrier
	buffer_gl0_inv
	v_mov_b32_e32 v60, 10
	ds_write_b64 v0, v[36:37]
	s_waitcnt lgkmcnt(0)
	s_barrier
	buffer_gl0_inv
	ds_read_b64 v[0:1], v66 offset:80
	s_cmp_lt_i32 s2, 12
	s_cbranch_scc1 .LBB52_168
; %bb.166:
	v_add3_u32 v61, v67, 0, 0x58
	v_mov_b32_e32 v60, 10
	s_mov_b32 s0, 11
.LBB52_167:                             ; =>This Inner Loop Header: Depth=1
	ds_read_b64 v[70:71], v61
	v_add_nc_u32_e32 v61, 8, v61
	s_waitcnt lgkmcnt(0)
	v_cmp_lt_f64_e64 vcc_lo, |v[0:1]|, |v[70:71]|
	v_cndmask_b32_e32 v1, v1, v71, vcc_lo
	v_cndmask_b32_e32 v0, v0, v70, vcc_lo
	v_cndmask_b32_e64 v60, v60, s0, vcc_lo
	s_add_i32 s0, s0, 1
	s_cmp_lg_u32 s2, s0
	s_cbranch_scc1 .LBB52_167
.LBB52_168:
	s_mov_b32 s0, exec_lo
	s_waitcnt lgkmcnt(0)
	v_cmpx_eq_f64_e32 0, v[0:1]
	s_xor_b32 s0, exec_lo, s0
; %bb.169:
	v_cmp_ne_u32_e32 vcc_lo, 0, v68
	v_cndmask_b32_e32 v68, 11, v68, vcc_lo
; %bb.170:
	s_andn2_saveexec_b32 s0, s0
	s_cbranch_execz .LBB52_172
; %bb.171:
	v_div_scale_f64 v[61:62], null, v[0:1], v[0:1], 1.0
	v_rcp_f64_e32 v[70:71], v[61:62]
	v_fma_f64 v[72:73], -v[61:62], v[70:71], 1.0
	v_fma_f64 v[70:71], v[70:71], v[72:73], v[70:71]
	v_fma_f64 v[72:73], -v[61:62], v[70:71], 1.0
	v_fma_f64 v[70:71], v[70:71], v[72:73], v[70:71]
	v_div_scale_f64 v[72:73], vcc_lo, 1.0, v[0:1], 1.0
	v_mul_f64 v[74:75], v[72:73], v[70:71]
	v_fma_f64 v[61:62], -v[61:62], v[74:75], v[72:73]
	v_div_fmas_f64 v[61:62], v[61:62], v[70:71], v[74:75]
	v_div_fixup_f64 v[0:1], v[61:62], v[0:1], 1.0
.LBB52_172:
	s_or_b32 exec_lo, exec_lo, s0
	s_mov_b32 s0, exec_lo
	v_cmpx_ne_u32_e64 v69, v60
	s_xor_b32 s0, exec_lo, s0
	s_cbranch_execz .LBB52_178
; %bb.173:
	s_mov_b32 s1, exec_lo
	v_cmpx_eq_u32_e32 10, v69
	s_cbranch_execz .LBB52_177
; %bb.174:
	v_cmp_ne_u32_e32 vcc_lo, 10, v60
	s_xor_b32 s3, s6, -1
	s_and_b32 s7, s3, vcc_lo
	s_and_saveexec_b32 s3, s7
	s_cbranch_execz .LBB52_176
; %bb.175:
	v_ashrrev_i32_e32 v61, 31, v60
	v_lshlrev_b64 v[61:62], 2, v[60:61]
	v_add_co_u32 v61, vcc_lo, v4, v61
	v_add_co_ci_u32_e64 v62, null, v5, v62, vcc_lo
	s_clause 0x1
	global_load_dword v63, v[61:62], off
	global_load_dword v69, v[4:5], off offset:40
	s_waitcnt vmcnt(1)
	global_store_dword v[4:5], v63, off offset:40
	s_waitcnt vmcnt(0)
	global_store_dword v[61:62], v69, off
.LBB52_176:
	s_or_b32 exec_lo, exec_lo, s3
	v_mov_b32_e32 v63, v60
	v_mov_b32_e32 v69, v60
.LBB52_177:
	s_or_b32 exec_lo, exec_lo, s1
.LBB52_178:
	s_andn2_saveexec_b32 s0, s0
	s_cbranch_execz .LBB52_180
; %bb.179:
	v_mov_b32_e32 v69, 10
	ds_write2_b64 v66, v[34:35], v[32:33] offset0:11 offset1:12
	ds_write2_b64 v66, v[28:29], v[30:31] offset0:13 offset1:14
	;; [unrolled: 1-line block ×8, first 2 shown]
.LBB52_180:
	s_or_b32 exec_lo, exec_lo, s0
	s_mov_b32 s0, exec_lo
	s_waitcnt lgkmcnt(0)
	s_waitcnt_vscnt null, 0x0
	s_barrier
	buffer_gl0_inv
	v_cmpx_lt_i32_e32 10, v69
	s_cbranch_execz .LBB52_182
; %bb.181:
	v_mul_f64 v[36:37], v[0:1], v[36:37]
	ds_read2_b64 v[70:73], v66 offset0:11 offset1:12
	ds_read2_b64 v[74:77], v66 offset0:13 offset1:14
	;; [unrolled: 1-line block ×8, first 2 shown]
	s_waitcnt lgkmcnt(7)
	v_fma_f64 v[34:35], -v[36:37], v[70:71], v[34:35]
	v_fma_f64 v[32:33], -v[36:37], v[72:73], v[32:33]
	s_waitcnt lgkmcnt(6)
	v_fma_f64 v[28:29], -v[36:37], v[74:75], v[28:29]
	v_fma_f64 v[30:31], -v[36:37], v[76:77], v[30:31]
	s_waitcnt lgkmcnt(5)
	v_fma_f64 v[24:25], -v[36:37], v[78:79], v[24:25]
	v_fma_f64 v[26:27], -v[36:37], v[80:81], v[26:27]
	s_waitcnt lgkmcnt(4)
	v_fma_f64 v[22:23], -v[36:37], v[82:83], v[22:23]
	v_fma_f64 v[20:21], -v[36:37], v[84:85], v[20:21]
	s_waitcnt lgkmcnt(3)
	v_fma_f64 v[18:19], -v[36:37], v[86:87], v[18:19]
	v_fma_f64 v[16:17], -v[36:37], v[88:89], v[16:17]
	s_waitcnt lgkmcnt(2)
	v_fma_f64 v[14:15], -v[36:37], v[90:91], v[14:15]
	v_fma_f64 v[12:13], -v[36:37], v[92:93], v[12:13]
	s_waitcnt lgkmcnt(1)
	v_fma_f64 v[8:9], -v[36:37], v[94:95], v[8:9]
	v_fma_f64 v[10:11], -v[36:37], v[96:97], v[10:11]
	s_waitcnt lgkmcnt(0)
	v_fma_f64 v[6:7], -v[36:37], v[98:99], v[6:7]
	v_fma_f64 v[58:59], -v[36:37], v[100:101], v[58:59]
.LBB52_182:
	s_or_b32 exec_lo, exec_lo, s0
	v_lshl_add_u32 v0, v69, 3, v66
	s_barrier
	buffer_gl0_inv
	v_mov_b32_e32 v60, 11
	ds_write_b64 v0, v[34:35]
	s_waitcnt lgkmcnt(0)
	s_barrier
	buffer_gl0_inv
	ds_read_b64 v[0:1], v66 offset:88
	s_cmp_lt_i32 s2, 13
	s_cbranch_scc1 .LBB52_185
; %bb.183:
	v_add3_u32 v61, v67, 0, 0x60
	v_mov_b32_e32 v60, 11
	s_mov_b32 s0, 12
.LBB52_184:                             ; =>This Inner Loop Header: Depth=1
	ds_read_b64 v[70:71], v61
	v_add_nc_u32_e32 v61, 8, v61
	s_waitcnt lgkmcnt(0)
	v_cmp_lt_f64_e64 vcc_lo, |v[0:1]|, |v[70:71]|
	v_cndmask_b32_e32 v1, v1, v71, vcc_lo
	v_cndmask_b32_e32 v0, v0, v70, vcc_lo
	v_cndmask_b32_e64 v60, v60, s0, vcc_lo
	s_add_i32 s0, s0, 1
	s_cmp_lg_u32 s2, s0
	s_cbranch_scc1 .LBB52_184
.LBB52_185:
	s_mov_b32 s0, exec_lo
	s_waitcnt lgkmcnt(0)
	v_cmpx_eq_f64_e32 0, v[0:1]
	s_xor_b32 s0, exec_lo, s0
; %bb.186:
	v_cmp_ne_u32_e32 vcc_lo, 0, v68
	v_cndmask_b32_e32 v68, 12, v68, vcc_lo
; %bb.187:
	s_andn2_saveexec_b32 s0, s0
	s_cbranch_execz .LBB52_189
; %bb.188:
	v_div_scale_f64 v[61:62], null, v[0:1], v[0:1], 1.0
	v_rcp_f64_e32 v[70:71], v[61:62]
	v_fma_f64 v[72:73], -v[61:62], v[70:71], 1.0
	v_fma_f64 v[70:71], v[70:71], v[72:73], v[70:71]
	v_fma_f64 v[72:73], -v[61:62], v[70:71], 1.0
	v_fma_f64 v[70:71], v[70:71], v[72:73], v[70:71]
	v_div_scale_f64 v[72:73], vcc_lo, 1.0, v[0:1], 1.0
	v_mul_f64 v[74:75], v[72:73], v[70:71]
	v_fma_f64 v[61:62], -v[61:62], v[74:75], v[72:73]
	v_div_fmas_f64 v[61:62], v[61:62], v[70:71], v[74:75]
	v_div_fixup_f64 v[0:1], v[61:62], v[0:1], 1.0
.LBB52_189:
	s_or_b32 exec_lo, exec_lo, s0
	s_mov_b32 s0, exec_lo
	v_cmpx_ne_u32_e64 v69, v60
	s_xor_b32 s0, exec_lo, s0
	s_cbranch_execz .LBB52_195
; %bb.190:
	s_mov_b32 s1, exec_lo
	v_cmpx_eq_u32_e32 11, v69
	s_cbranch_execz .LBB52_194
; %bb.191:
	v_cmp_ne_u32_e32 vcc_lo, 11, v60
	s_xor_b32 s3, s6, -1
	s_and_b32 s7, s3, vcc_lo
	s_and_saveexec_b32 s3, s7
	s_cbranch_execz .LBB52_193
; %bb.192:
	v_ashrrev_i32_e32 v61, 31, v60
	v_lshlrev_b64 v[61:62], 2, v[60:61]
	v_add_co_u32 v61, vcc_lo, v4, v61
	v_add_co_ci_u32_e64 v62, null, v5, v62, vcc_lo
	s_clause 0x1
	global_load_dword v63, v[61:62], off
	global_load_dword v69, v[4:5], off offset:44
	s_waitcnt vmcnt(1)
	global_store_dword v[4:5], v63, off offset:44
	s_waitcnt vmcnt(0)
	global_store_dword v[61:62], v69, off
.LBB52_193:
	s_or_b32 exec_lo, exec_lo, s3
	v_mov_b32_e32 v63, v60
	v_mov_b32_e32 v69, v60
.LBB52_194:
	s_or_b32 exec_lo, exec_lo, s1
.LBB52_195:
	s_andn2_saveexec_b32 s0, s0
	s_cbranch_execz .LBB52_197
; %bb.196:
	v_mov_b32_e32 v60, v32
	v_mov_b32_e32 v61, v33
	;; [unrolled: 1-line block ×12, first 2 shown]
	ds_write2_b64 v66, v[60:61], v[69:70] offset0:12 offset1:13
	ds_write2_b64 v66, v[71:72], v[73:74] offset0:14 offset1:15
	ds_write2_b64 v66, v[75:76], v[77:78] offset0:16 offset1:17
	v_mov_b32_e32 v60, v20
	v_mov_b32_e32 v61, v21
	;; [unrolled: 1-line block ×8, first 2 shown]
	ds_write2_b64 v66, v[60:61], v[69:70] offset0:18 offset1:19
	v_mov_b32_e32 v69, 11
	v_mov_b32_e32 v75, v12
	;; [unrolled: 1-line block ×9, first 2 shown]
	ds_write2_b64 v66, v[71:72], v[73:74] offset0:20 offset1:21
	ds_write2_b64 v66, v[75:76], v[77:78] offset0:22 offset1:23
	;; [unrolled: 1-line block ×3, first 2 shown]
	ds_write_b64 v66, v[58:59] offset:208
.LBB52_197:
	s_or_b32 exec_lo, exec_lo, s0
	s_mov_b32 s0, exec_lo
	s_waitcnt lgkmcnt(0)
	s_waitcnt_vscnt null, 0x0
	s_barrier
	buffer_gl0_inv
	v_cmpx_lt_i32_e32 11, v69
	s_cbranch_execz .LBB52_199
; %bb.198:
	v_mul_f64 v[34:35], v[0:1], v[34:35]
	ds_read2_b64 v[70:73], v66 offset0:12 offset1:13
	ds_read2_b64 v[74:77], v66 offset0:14 offset1:15
	;; [unrolled: 1-line block ×7, first 2 shown]
	ds_read_b64 v[0:1], v66 offset:208
	s_waitcnt lgkmcnt(7)
	v_fma_f64 v[32:33], -v[34:35], v[70:71], v[32:33]
	v_fma_f64 v[28:29], -v[34:35], v[72:73], v[28:29]
	s_waitcnt lgkmcnt(6)
	v_fma_f64 v[30:31], -v[34:35], v[74:75], v[30:31]
	v_fma_f64 v[24:25], -v[34:35], v[76:77], v[24:25]
	s_waitcnt lgkmcnt(5)
	v_fma_f64 v[26:27], -v[34:35], v[78:79], v[26:27]
	v_fma_f64 v[22:23], -v[34:35], v[80:81], v[22:23]
	s_waitcnt lgkmcnt(4)
	v_fma_f64 v[20:21], -v[34:35], v[82:83], v[20:21]
	v_fma_f64 v[18:19], -v[34:35], v[84:85], v[18:19]
	s_waitcnt lgkmcnt(3)
	v_fma_f64 v[16:17], -v[34:35], v[86:87], v[16:17]
	v_fma_f64 v[14:15], -v[34:35], v[88:89], v[14:15]
	s_waitcnt lgkmcnt(2)
	v_fma_f64 v[12:13], -v[34:35], v[90:91], v[12:13]
	v_fma_f64 v[8:9], -v[34:35], v[92:93], v[8:9]
	s_waitcnt lgkmcnt(1)
	v_fma_f64 v[10:11], -v[34:35], v[94:95], v[10:11]
	v_fma_f64 v[6:7], -v[34:35], v[96:97], v[6:7]
	s_waitcnt lgkmcnt(0)
	v_fma_f64 v[58:59], -v[34:35], v[0:1], v[58:59]
.LBB52_199:
	s_or_b32 exec_lo, exec_lo, s0
	v_lshl_add_u32 v0, v69, 3, v66
	s_barrier
	buffer_gl0_inv
	v_mov_b32_e32 v60, 12
	ds_write_b64 v0, v[32:33]
	s_waitcnt lgkmcnt(0)
	s_barrier
	buffer_gl0_inv
	ds_read_b64 v[0:1], v66 offset:96
	s_cmp_lt_i32 s2, 14
	s_cbranch_scc1 .LBB52_202
; %bb.200:
	v_add3_u32 v61, v67, 0, 0x68
	v_mov_b32_e32 v60, 12
	s_mov_b32 s0, 13
.LBB52_201:                             ; =>This Inner Loop Header: Depth=1
	ds_read_b64 v[70:71], v61
	v_add_nc_u32_e32 v61, 8, v61
	s_waitcnt lgkmcnt(0)
	v_cmp_lt_f64_e64 vcc_lo, |v[0:1]|, |v[70:71]|
	v_cndmask_b32_e32 v1, v1, v71, vcc_lo
	v_cndmask_b32_e32 v0, v0, v70, vcc_lo
	v_cndmask_b32_e64 v60, v60, s0, vcc_lo
	s_add_i32 s0, s0, 1
	s_cmp_lg_u32 s2, s0
	s_cbranch_scc1 .LBB52_201
.LBB52_202:
	s_mov_b32 s0, exec_lo
	s_waitcnt lgkmcnt(0)
	v_cmpx_eq_f64_e32 0, v[0:1]
	s_xor_b32 s0, exec_lo, s0
; %bb.203:
	v_cmp_ne_u32_e32 vcc_lo, 0, v68
	v_cndmask_b32_e32 v68, 13, v68, vcc_lo
; %bb.204:
	s_andn2_saveexec_b32 s0, s0
	s_cbranch_execz .LBB52_206
; %bb.205:
	v_div_scale_f64 v[61:62], null, v[0:1], v[0:1], 1.0
	v_rcp_f64_e32 v[70:71], v[61:62]
	v_fma_f64 v[72:73], -v[61:62], v[70:71], 1.0
	v_fma_f64 v[70:71], v[70:71], v[72:73], v[70:71]
	v_fma_f64 v[72:73], -v[61:62], v[70:71], 1.0
	v_fma_f64 v[70:71], v[70:71], v[72:73], v[70:71]
	v_div_scale_f64 v[72:73], vcc_lo, 1.0, v[0:1], 1.0
	v_mul_f64 v[74:75], v[72:73], v[70:71]
	v_fma_f64 v[61:62], -v[61:62], v[74:75], v[72:73]
	v_div_fmas_f64 v[61:62], v[61:62], v[70:71], v[74:75]
	v_div_fixup_f64 v[0:1], v[61:62], v[0:1], 1.0
.LBB52_206:
	s_or_b32 exec_lo, exec_lo, s0
	s_mov_b32 s0, exec_lo
	v_cmpx_ne_u32_e64 v69, v60
	s_xor_b32 s0, exec_lo, s0
	s_cbranch_execz .LBB52_212
; %bb.207:
	s_mov_b32 s1, exec_lo
	v_cmpx_eq_u32_e32 12, v69
	s_cbranch_execz .LBB52_211
; %bb.208:
	v_cmp_ne_u32_e32 vcc_lo, 12, v60
	s_xor_b32 s3, s6, -1
	s_and_b32 s7, s3, vcc_lo
	s_and_saveexec_b32 s3, s7
	s_cbranch_execz .LBB52_210
; %bb.209:
	v_ashrrev_i32_e32 v61, 31, v60
	v_lshlrev_b64 v[61:62], 2, v[60:61]
	v_add_co_u32 v61, vcc_lo, v4, v61
	v_add_co_ci_u32_e64 v62, null, v5, v62, vcc_lo
	s_clause 0x1
	global_load_dword v63, v[61:62], off
	global_load_dword v69, v[4:5], off offset:48
	s_waitcnt vmcnt(1)
	global_store_dword v[4:5], v63, off offset:48
	s_waitcnt vmcnt(0)
	global_store_dword v[61:62], v69, off
.LBB52_210:
	s_or_b32 exec_lo, exec_lo, s3
	v_mov_b32_e32 v63, v60
	v_mov_b32_e32 v69, v60
.LBB52_211:
	s_or_b32 exec_lo, exec_lo, s1
.LBB52_212:
	s_andn2_saveexec_b32 s0, s0
	s_cbranch_execz .LBB52_214
; %bb.213:
	v_mov_b32_e32 v69, 12
	ds_write2_b64 v66, v[28:29], v[30:31] offset0:13 offset1:14
	ds_write2_b64 v66, v[24:25], v[26:27] offset0:15 offset1:16
	;; [unrolled: 1-line block ×7, first 2 shown]
.LBB52_214:
	s_or_b32 exec_lo, exec_lo, s0
	s_mov_b32 s0, exec_lo
	s_waitcnt lgkmcnt(0)
	s_waitcnt_vscnt null, 0x0
	s_barrier
	buffer_gl0_inv
	v_cmpx_lt_i32_e32 12, v69
	s_cbranch_execz .LBB52_216
; %bb.215:
	v_mul_f64 v[32:33], v[0:1], v[32:33]
	ds_read2_b64 v[70:73], v66 offset0:13 offset1:14
	ds_read2_b64 v[74:77], v66 offset0:15 offset1:16
	;; [unrolled: 1-line block ×7, first 2 shown]
	s_waitcnt lgkmcnt(6)
	v_fma_f64 v[28:29], -v[32:33], v[70:71], v[28:29]
	v_fma_f64 v[30:31], -v[32:33], v[72:73], v[30:31]
	s_waitcnt lgkmcnt(5)
	v_fma_f64 v[24:25], -v[32:33], v[74:75], v[24:25]
	v_fma_f64 v[26:27], -v[32:33], v[76:77], v[26:27]
	;; [unrolled: 3-line block ×7, first 2 shown]
.LBB52_216:
	s_or_b32 exec_lo, exec_lo, s0
	v_lshl_add_u32 v0, v69, 3, v66
	s_barrier
	buffer_gl0_inv
	v_mov_b32_e32 v60, 13
	ds_write_b64 v0, v[28:29]
	s_waitcnt lgkmcnt(0)
	s_barrier
	buffer_gl0_inv
	ds_read_b64 v[0:1], v66 offset:104
	s_cmp_lt_i32 s2, 15
	s_cbranch_scc1 .LBB52_219
; %bb.217:
	v_add3_u32 v61, v67, 0, 0x70
	v_mov_b32_e32 v60, 13
	s_mov_b32 s0, 14
.LBB52_218:                             ; =>This Inner Loop Header: Depth=1
	ds_read_b64 v[70:71], v61
	v_add_nc_u32_e32 v61, 8, v61
	s_waitcnt lgkmcnt(0)
	v_cmp_lt_f64_e64 vcc_lo, |v[0:1]|, |v[70:71]|
	v_cndmask_b32_e32 v1, v1, v71, vcc_lo
	v_cndmask_b32_e32 v0, v0, v70, vcc_lo
	v_cndmask_b32_e64 v60, v60, s0, vcc_lo
	s_add_i32 s0, s0, 1
	s_cmp_lg_u32 s2, s0
	s_cbranch_scc1 .LBB52_218
.LBB52_219:
	s_mov_b32 s0, exec_lo
	s_waitcnt lgkmcnt(0)
	v_cmpx_eq_f64_e32 0, v[0:1]
	s_xor_b32 s0, exec_lo, s0
; %bb.220:
	v_cmp_ne_u32_e32 vcc_lo, 0, v68
	v_cndmask_b32_e32 v68, 14, v68, vcc_lo
; %bb.221:
	s_andn2_saveexec_b32 s0, s0
	s_cbranch_execz .LBB52_223
; %bb.222:
	v_div_scale_f64 v[61:62], null, v[0:1], v[0:1], 1.0
	v_rcp_f64_e32 v[70:71], v[61:62]
	v_fma_f64 v[72:73], -v[61:62], v[70:71], 1.0
	v_fma_f64 v[70:71], v[70:71], v[72:73], v[70:71]
	v_fma_f64 v[72:73], -v[61:62], v[70:71], 1.0
	v_fma_f64 v[70:71], v[70:71], v[72:73], v[70:71]
	v_div_scale_f64 v[72:73], vcc_lo, 1.0, v[0:1], 1.0
	v_mul_f64 v[74:75], v[72:73], v[70:71]
	v_fma_f64 v[61:62], -v[61:62], v[74:75], v[72:73]
	v_div_fmas_f64 v[61:62], v[61:62], v[70:71], v[74:75]
	v_div_fixup_f64 v[0:1], v[61:62], v[0:1], 1.0
.LBB52_223:
	s_or_b32 exec_lo, exec_lo, s0
	s_mov_b32 s0, exec_lo
	v_cmpx_ne_u32_e64 v69, v60
	s_xor_b32 s0, exec_lo, s0
	s_cbranch_execz .LBB52_229
; %bb.224:
	s_mov_b32 s1, exec_lo
	v_cmpx_eq_u32_e32 13, v69
	s_cbranch_execz .LBB52_228
; %bb.225:
	v_cmp_ne_u32_e32 vcc_lo, 13, v60
	s_xor_b32 s3, s6, -1
	s_and_b32 s7, s3, vcc_lo
	s_and_saveexec_b32 s3, s7
	s_cbranch_execz .LBB52_227
; %bb.226:
	v_ashrrev_i32_e32 v61, 31, v60
	v_lshlrev_b64 v[61:62], 2, v[60:61]
	v_add_co_u32 v61, vcc_lo, v4, v61
	v_add_co_ci_u32_e64 v62, null, v5, v62, vcc_lo
	s_clause 0x1
	global_load_dword v63, v[61:62], off
	global_load_dword v69, v[4:5], off offset:52
	s_waitcnt vmcnt(1)
	global_store_dword v[4:5], v63, off offset:52
	s_waitcnt vmcnt(0)
	global_store_dword v[61:62], v69, off
.LBB52_227:
	s_or_b32 exec_lo, exec_lo, s3
	v_mov_b32_e32 v63, v60
	v_mov_b32_e32 v69, v60
.LBB52_228:
	s_or_b32 exec_lo, exec_lo, s1
.LBB52_229:
	s_andn2_saveexec_b32 s0, s0
	s_cbranch_execz .LBB52_231
; %bb.230:
	v_mov_b32_e32 v60, v30
	v_mov_b32_e32 v61, v31
	;; [unrolled: 1-line block ×8, first 2 shown]
	ds_write2_b64 v66, v[60:61], v[69:70] offset0:14 offset1:15
	ds_write2_b64 v66, v[71:72], v[73:74] offset0:16 offset1:17
	v_mov_b32_e32 v60, v20
	v_mov_b32_e32 v61, v21
	;; [unrolled: 1-line block ×8, first 2 shown]
	ds_write2_b64 v66, v[60:61], v[69:70] offset0:18 offset1:19
	v_mov_b32_e32 v69, 13
	v_mov_b32_e32 v75, v12
	;; [unrolled: 1-line block ×9, first 2 shown]
	ds_write2_b64 v66, v[71:72], v[73:74] offset0:20 offset1:21
	ds_write2_b64 v66, v[75:76], v[77:78] offset0:22 offset1:23
	;; [unrolled: 1-line block ×3, first 2 shown]
	ds_write_b64 v66, v[58:59] offset:208
.LBB52_231:
	s_or_b32 exec_lo, exec_lo, s0
	s_mov_b32 s0, exec_lo
	s_waitcnt lgkmcnt(0)
	s_waitcnt_vscnt null, 0x0
	s_barrier
	buffer_gl0_inv
	v_cmpx_lt_i32_e32 13, v69
	s_cbranch_execz .LBB52_233
; %bb.232:
	v_mul_f64 v[28:29], v[0:1], v[28:29]
	ds_read2_b64 v[70:73], v66 offset0:14 offset1:15
	ds_read2_b64 v[74:77], v66 offset0:16 offset1:17
	;; [unrolled: 1-line block ×6, first 2 shown]
	ds_read_b64 v[0:1], v66 offset:208
	s_waitcnt lgkmcnt(6)
	v_fma_f64 v[30:31], -v[28:29], v[70:71], v[30:31]
	v_fma_f64 v[24:25], -v[28:29], v[72:73], v[24:25]
	s_waitcnt lgkmcnt(5)
	v_fma_f64 v[26:27], -v[28:29], v[74:75], v[26:27]
	v_fma_f64 v[22:23], -v[28:29], v[76:77], v[22:23]
	;; [unrolled: 3-line block ×6, first 2 shown]
	s_waitcnt lgkmcnt(0)
	v_fma_f64 v[58:59], -v[28:29], v[0:1], v[58:59]
.LBB52_233:
	s_or_b32 exec_lo, exec_lo, s0
	v_lshl_add_u32 v0, v69, 3, v66
	s_barrier
	buffer_gl0_inv
	v_mov_b32_e32 v60, 14
	ds_write_b64 v0, v[30:31]
	s_waitcnt lgkmcnt(0)
	s_barrier
	buffer_gl0_inv
	ds_read_b64 v[0:1], v66 offset:112
	s_cmp_lt_i32 s2, 16
	s_cbranch_scc1 .LBB52_236
; %bb.234:
	v_add3_u32 v61, v67, 0, 0x78
	v_mov_b32_e32 v60, 14
	s_mov_b32 s0, 15
.LBB52_235:                             ; =>This Inner Loop Header: Depth=1
	ds_read_b64 v[70:71], v61
	v_add_nc_u32_e32 v61, 8, v61
	s_waitcnt lgkmcnt(0)
	v_cmp_lt_f64_e64 vcc_lo, |v[0:1]|, |v[70:71]|
	v_cndmask_b32_e32 v1, v1, v71, vcc_lo
	v_cndmask_b32_e32 v0, v0, v70, vcc_lo
	v_cndmask_b32_e64 v60, v60, s0, vcc_lo
	s_add_i32 s0, s0, 1
	s_cmp_lg_u32 s2, s0
	s_cbranch_scc1 .LBB52_235
.LBB52_236:
	s_mov_b32 s0, exec_lo
	s_waitcnt lgkmcnt(0)
	v_cmpx_eq_f64_e32 0, v[0:1]
	s_xor_b32 s0, exec_lo, s0
; %bb.237:
	v_cmp_ne_u32_e32 vcc_lo, 0, v68
	v_cndmask_b32_e32 v68, 15, v68, vcc_lo
; %bb.238:
	s_andn2_saveexec_b32 s0, s0
	s_cbranch_execz .LBB52_240
; %bb.239:
	v_div_scale_f64 v[61:62], null, v[0:1], v[0:1], 1.0
	v_rcp_f64_e32 v[70:71], v[61:62]
	v_fma_f64 v[72:73], -v[61:62], v[70:71], 1.0
	v_fma_f64 v[70:71], v[70:71], v[72:73], v[70:71]
	v_fma_f64 v[72:73], -v[61:62], v[70:71], 1.0
	v_fma_f64 v[70:71], v[70:71], v[72:73], v[70:71]
	v_div_scale_f64 v[72:73], vcc_lo, 1.0, v[0:1], 1.0
	v_mul_f64 v[74:75], v[72:73], v[70:71]
	v_fma_f64 v[61:62], -v[61:62], v[74:75], v[72:73]
	v_div_fmas_f64 v[61:62], v[61:62], v[70:71], v[74:75]
	v_div_fixup_f64 v[0:1], v[61:62], v[0:1], 1.0
.LBB52_240:
	s_or_b32 exec_lo, exec_lo, s0
	s_mov_b32 s0, exec_lo
	v_cmpx_ne_u32_e64 v69, v60
	s_xor_b32 s0, exec_lo, s0
	s_cbranch_execz .LBB52_246
; %bb.241:
	s_mov_b32 s1, exec_lo
	v_cmpx_eq_u32_e32 14, v69
	s_cbranch_execz .LBB52_245
; %bb.242:
	v_cmp_ne_u32_e32 vcc_lo, 14, v60
	s_xor_b32 s3, s6, -1
	s_and_b32 s7, s3, vcc_lo
	s_and_saveexec_b32 s3, s7
	s_cbranch_execz .LBB52_244
; %bb.243:
	v_ashrrev_i32_e32 v61, 31, v60
	v_lshlrev_b64 v[61:62], 2, v[60:61]
	v_add_co_u32 v61, vcc_lo, v4, v61
	v_add_co_ci_u32_e64 v62, null, v5, v62, vcc_lo
	s_clause 0x1
	global_load_dword v63, v[61:62], off
	global_load_dword v69, v[4:5], off offset:56
	s_waitcnt vmcnt(1)
	global_store_dword v[4:5], v63, off offset:56
	s_waitcnt vmcnt(0)
	global_store_dword v[61:62], v69, off
.LBB52_244:
	s_or_b32 exec_lo, exec_lo, s3
	v_mov_b32_e32 v63, v60
	v_mov_b32_e32 v69, v60
.LBB52_245:
	s_or_b32 exec_lo, exec_lo, s1
.LBB52_246:
	s_andn2_saveexec_b32 s0, s0
	s_cbranch_execz .LBB52_248
; %bb.247:
	v_mov_b32_e32 v69, 14
	ds_write2_b64 v66, v[24:25], v[26:27] offset0:15 offset1:16
	ds_write2_b64 v66, v[22:23], v[20:21] offset0:17 offset1:18
	;; [unrolled: 1-line block ×6, first 2 shown]
.LBB52_248:
	s_or_b32 exec_lo, exec_lo, s0
	s_mov_b32 s0, exec_lo
	s_waitcnt lgkmcnt(0)
	s_waitcnt_vscnt null, 0x0
	s_barrier
	buffer_gl0_inv
	v_cmpx_lt_i32_e32 14, v69
	s_cbranch_execz .LBB52_250
; %bb.249:
	v_mul_f64 v[30:31], v[0:1], v[30:31]
	ds_read2_b64 v[70:73], v66 offset0:15 offset1:16
	ds_read2_b64 v[74:77], v66 offset0:17 offset1:18
	;; [unrolled: 1-line block ×6, first 2 shown]
	s_waitcnt lgkmcnt(5)
	v_fma_f64 v[24:25], -v[30:31], v[70:71], v[24:25]
	v_fma_f64 v[26:27], -v[30:31], v[72:73], v[26:27]
	s_waitcnt lgkmcnt(4)
	v_fma_f64 v[22:23], -v[30:31], v[74:75], v[22:23]
	v_fma_f64 v[20:21], -v[30:31], v[76:77], v[20:21]
	;; [unrolled: 3-line block ×6, first 2 shown]
.LBB52_250:
	s_or_b32 exec_lo, exec_lo, s0
	v_lshl_add_u32 v0, v69, 3, v66
	s_barrier
	buffer_gl0_inv
	v_mov_b32_e32 v60, 15
	ds_write_b64 v0, v[24:25]
	s_waitcnt lgkmcnt(0)
	s_barrier
	buffer_gl0_inv
	ds_read_b64 v[0:1], v66 offset:120
	s_cmp_lt_i32 s2, 17
	s_cbranch_scc1 .LBB52_253
; %bb.251:
	v_add3_u32 v61, v67, 0, 0x80
	v_mov_b32_e32 v60, 15
	s_mov_b32 s0, 16
.LBB52_252:                             ; =>This Inner Loop Header: Depth=1
	ds_read_b64 v[70:71], v61
	v_add_nc_u32_e32 v61, 8, v61
	s_waitcnt lgkmcnt(0)
	v_cmp_lt_f64_e64 vcc_lo, |v[0:1]|, |v[70:71]|
	v_cndmask_b32_e32 v1, v1, v71, vcc_lo
	v_cndmask_b32_e32 v0, v0, v70, vcc_lo
	v_cndmask_b32_e64 v60, v60, s0, vcc_lo
	s_add_i32 s0, s0, 1
	s_cmp_lg_u32 s2, s0
	s_cbranch_scc1 .LBB52_252
.LBB52_253:
	s_mov_b32 s0, exec_lo
	s_waitcnt lgkmcnt(0)
	v_cmpx_eq_f64_e32 0, v[0:1]
	s_xor_b32 s0, exec_lo, s0
; %bb.254:
	v_cmp_ne_u32_e32 vcc_lo, 0, v68
	v_cndmask_b32_e32 v68, 16, v68, vcc_lo
; %bb.255:
	s_andn2_saveexec_b32 s0, s0
	s_cbranch_execz .LBB52_257
; %bb.256:
	v_div_scale_f64 v[61:62], null, v[0:1], v[0:1], 1.0
	v_rcp_f64_e32 v[70:71], v[61:62]
	v_fma_f64 v[72:73], -v[61:62], v[70:71], 1.0
	v_fma_f64 v[70:71], v[70:71], v[72:73], v[70:71]
	v_fma_f64 v[72:73], -v[61:62], v[70:71], 1.0
	v_fma_f64 v[70:71], v[70:71], v[72:73], v[70:71]
	v_div_scale_f64 v[72:73], vcc_lo, 1.0, v[0:1], 1.0
	v_mul_f64 v[74:75], v[72:73], v[70:71]
	v_fma_f64 v[61:62], -v[61:62], v[74:75], v[72:73]
	v_div_fmas_f64 v[61:62], v[61:62], v[70:71], v[74:75]
	v_div_fixup_f64 v[0:1], v[61:62], v[0:1], 1.0
.LBB52_257:
	s_or_b32 exec_lo, exec_lo, s0
	s_mov_b32 s0, exec_lo
	v_cmpx_ne_u32_e64 v69, v60
	s_xor_b32 s0, exec_lo, s0
	s_cbranch_execz .LBB52_263
; %bb.258:
	s_mov_b32 s1, exec_lo
	v_cmpx_eq_u32_e32 15, v69
	s_cbranch_execz .LBB52_262
; %bb.259:
	v_cmp_ne_u32_e32 vcc_lo, 15, v60
	s_xor_b32 s3, s6, -1
	s_and_b32 s7, s3, vcc_lo
	s_and_saveexec_b32 s3, s7
	s_cbranch_execz .LBB52_261
; %bb.260:
	v_ashrrev_i32_e32 v61, 31, v60
	v_lshlrev_b64 v[61:62], 2, v[60:61]
	v_add_co_u32 v61, vcc_lo, v4, v61
	v_add_co_ci_u32_e64 v62, null, v5, v62, vcc_lo
	s_clause 0x1
	global_load_dword v63, v[61:62], off
	global_load_dword v69, v[4:5], off offset:60
	s_waitcnt vmcnt(1)
	global_store_dword v[4:5], v63, off offset:60
	s_waitcnt vmcnt(0)
	global_store_dword v[61:62], v69, off
.LBB52_261:
	s_or_b32 exec_lo, exec_lo, s3
	v_mov_b32_e32 v63, v60
	v_mov_b32_e32 v69, v60
.LBB52_262:
	s_or_b32 exec_lo, exec_lo, s1
.LBB52_263:
	s_andn2_saveexec_b32 s0, s0
	s_cbranch_execz .LBB52_265
; %bb.264:
	v_mov_b32_e32 v60, v26
	v_mov_b32_e32 v61, v27
	;; [unrolled: 1-line block ×8, first 2 shown]
	ds_write2_b64 v66, v[60:61], v[69:70] offset0:16 offset1:17
	v_mov_b32_e32 v60, v18
	v_mov_b32_e32 v61, v19
	;; [unrolled: 1-line block ×13, first 2 shown]
	ds_write2_b64 v66, v[71:72], v[60:61] offset0:18 offset1:19
	ds_write2_b64 v66, v[73:74], v[75:76] offset0:20 offset1:21
	;; [unrolled: 1-line block ×4, first 2 shown]
	ds_write_b64 v66, v[58:59] offset:208
.LBB52_265:
	s_or_b32 exec_lo, exec_lo, s0
	s_mov_b32 s0, exec_lo
	s_waitcnt lgkmcnt(0)
	s_waitcnt_vscnt null, 0x0
	s_barrier
	buffer_gl0_inv
	v_cmpx_lt_i32_e32 15, v69
	s_cbranch_execz .LBB52_267
; %bb.266:
	v_mul_f64 v[24:25], v[0:1], v[24:25]
	ds_read2_b64 v[70:73], v66 offset0:16 offset1:17
	ds_read2_b64 v[74:77], v66 offset0:18 offset1:19
	;; [unrolled: 1-line block ×5, first 2 shown]
	ds_read_b64 v[0:1], v66 offset:208
	s_waitcnt lgkmcnt(5)
	v_fma_f64 v[26:27], -v[24:25], v[70:71], v[26:27]
	v_fma_f64 v[22:23], -v[24:25], v[72:73], v[22:23]
	s_waitcnt lgkmcnt(4)
	v_fma_f64 v[20:21], -v[24:25], v[74:75], v[20:21]
	v_fma_f64 v[18:19], -v[24:25], v[76:77], v[18:19]
	;; [unrolled: 3-line block ×5, first 2 shown]
	s_waitcnt lgkmcnt(0)
	v_fma_f64 v[58:59], -v[24:25], v[0:1], v[58:59]
.LBB52_267:
	s_or_b32 exec_lo, exec_lo, s0
	v_lshl_add_u32 v0, v69, 3, v66
	s_barrier
	buffer_gl0_inv
	v_mov_b32_e32 v60, 16
	ds_write_b64 v0, v[26:27]
	s_waitcnt lgkmcnt(0)
	s_barrier
	buffer_gl0_inv
	ds_read_b64 v[0:1], v66 offset:128
	s_cmp_lt_i32 s2, 18
	s_cbranch_scc1 .LBB52_270
; %bb.268:
	v_add3_u32 v61, v67, 0, 0x88
	v_mov_b32_e32 v60, 16
	s_mov_b32 s0, 17
.LBB52_269:                             ; =>This Inner Loop Header: Depth=1
	ds_read_b64 v[70:71], v61
	v_add_nc_u32_e32 v61, 8, v61
	s_waitcnt lgkmcnt(0)
	v_cmp_lt_f64_e64 vcc_lo, |v[0:1]|, |v[70:71]|
	v_cndmask_b32_e32 v1, v1, v71, vcc_lo
	v_cndmask_b32_e32 v0, v0, v70, vcc_lo
	v_cndmask_b32_e64 v60, v60, s0, vcc_lo
	s_add_i32 s0, s0, 1
	s_cmp_lg_u32 s2, s0
	s_cbranch_scc1 .LBB52_269
.LBB52_270:
	s_mov_b32 s0, exec_lo
	s_waitcnt lgkmcnt(0)
	v_cmpx_eq_f64_e32 0, v[0:1]
	s_xor_b32 s0, exec_lo, s0
; %bb.271:
	v_cmp_ne_u32_e32 vcc_lo, 0, v68
	v_cndmask_b32_e32 v68, 17, v68, vcc_lo
; %bb.272:
	s_andn2_saveexec_b32 s0, s0
	s_cbranch_execz .LBB52_274
; %bb.273:
	v_div_scale_f64 v[61:62], null, v[0:1], v[0:1], 1.0
	v_rcp_f64_e32 v[70:71], v[61:62]
	v_fma_f64 v[72:73], -v[61:62], v[70:71], 1.0
	v_fma_f64 v[70:71], v[70:71], v[72:73], v[70:71]
	v_fma_f64 v[72:73], -v[61:62], v[70:71], 1.0
	v_fma_f64 v[70:71], v[70:71], v[72:73], v[70:71]
	v_div_scale_f64 v[72:73], vcc_lo, 1.0, v[0:1], 1.0
	v_mul_f64 v[74:75], v[72:73], v[70:71]
	v_fma_f64 v[61:62], -v[61:62], v[74:75], v[72:73]
	v_div_fmas_f64 v[61:62], v[61:62], v[70:71], v[74:75]
	v_div_fixup_f64 v[0:1], v[61:62], v[0:1], 1.0
.LBB52_274:
	s_or_b32 exec_lo, exec_lo, s0
	s_mov_b32 s0, exec_lo
	v_cmpx_ne_u32_e64 v69, v60
	s_xor_b32 s0, exec_lo, s0
	s_cbranch_execz .LBB52_280
; %bb.275:
	s_mov_b32 s1, exec_lo
	v_cmpx_eq_u32_e32 16, v69
	s_cbranch_execz .LBB52_279
; %bb.276:
	v_cmp_ne_u32_e32 vcc_lo, 16, v60
	s_xor_b32 s3, s6, -1
	s_and_b32 s7, s3, vcc_lo
	s_and_saveexec_b32 s3, s7
	s_cbranch_execz .LBB52_278
; %bb.277:
	v_ashrrev_i32_e32 v61, 31, v60
	v_lshlrev_b64 v[61:62], 2, v[60:61]
	v_add_co_u32 v61, vcc_lo, v4, v61
	v_add_co_ci_u32_e64 v62, null, v5, v62, vcc_lo
	s_clause 0x1
	global_load_dword v63, v[61:62], off
	global_load_dword v69, v[4:5], off offset:64
	s_waitcnt vmcnt(1)
	global_store_dword v[4:5], v63, off offset:64
	s_waitcnt vmcnt(0)
	global_store_dword v[61:62], v69, off
.LBB52_278:
	s_or_b32 exec_lo, exec_lo, s3
	v_mov_b32_e32 v63, v60
	v_mov_b32_e32 v69, v60
.LBB52_279:
	s_or_b32 exec_lo, exec_lo, s1
.LBB52_280:
	s_andn2_saveexec_b32 s0, s0
	s_cbranch_execz .LBB52_282
; %bb.281:
	v_mov_b32_e32 v69, 16
	ds_write2_b64 v66, v[22:23], v[20:21] offset0:17 offset1:18
	ds_write2_b64 v66, v[18:19], v[16:17] offset0:19 offset1:20
	;; [unrolled: 1-line block ×5, first 2 shown]
.LBB52_282:
	s_or_b32 exec_lo, exec_lo, s0
	s_mov_b32 s0, exec_lo
	s_waitcnt lgkmcnt(0)
	s_waitcnt_vscnt null, 0x0
	s_barrier
	buffer_gl0_inv
	v_cmpx_lt_i32_e32 16, v69
	s_cbranch_execz .LBB52_284
; %bb.283:
	v_mul_f64 v[26:27], v[0:1], v[26:27]
	ds_read2_b64 v[70:73], v66 offset0:17 offset1:18
	ds_read2_b64 v[74:77], v66 offset0:19 offset1:20
	;; [unrolled: 1-line block ×5, first 2 shown]
	s_waitcnt lgkmcnt(4)
	v_fma_f64 v[22:23], -v[26:27], v[70:71], v[22:23]
	v_fma_f64 v[20:21], -v[26:27], v[72:73], v[20:21]
	s_waitcnt lgkmcnt(3)
	v_fma_f64 v[18:19], -v[26:27], v[74:75], v[18:19]
	v_fma_f64 v[16:17], -v[26:27], v[76:77], v[16:17]
	;; [unrolled: 3-line block ×5, first 2 shown]
.LBB52_284:
	s_or_b32 exec_lo, exec_lo, s0
	v_lshl_add_u32 v0, v69, 3, v66
	s_barrier
	buffer_gl0_inv
	v_mov_b32_e32 v60, 17
	ds_write_b64 v0, v[22:23]
	s_waitcnt lgkmcnt(0)
	s_barrier
	buffer_gl0_inv
	ds_read_b64 v[0:1], v66 offset:136
	s_cmp_lt_i32 s2, 19
	s_cbranch_scc1 .LBB52_287
; %bb.285:
	v_add3_u32 v61, v67, 0, 0x90
	v_mov_b32_e32 v60, 17
	s_mov_b32 s0, 18
.LBB52_286:                             ; =>This Inner Loop Header: Depth=1
	ds_read_b64 v[70:71], v61
	v_add_nc_u32_e32 v61, 8, v61
	s_waitcnt lgkmcnt(0)
	v_cmp_lt_f64_e64 vcc_lo, |v[0:1]|, |v[70:71]|
	v_cndmask_b32_e32 v1, v1, v71, vcc_lo
	v_cndmask_b32_e32 v0, v0, v70, vcc_lo
	v_cndmask_b32_e64 v60, v60, s0, vcc_lo
	s_add_i32 s0, s0, 1
	s_cmp_lg_u32 s2, s0
	s_cbranch_scc1 .LBB52_286
.LBB52_287:
	s_mov_b32 s0, exec_lo
	s_waitcnt lgkmcnt(0)
	v_cmpx_eq_f64_e32 0, v[0:1]
	s_xor_b32 s0, exec_lo, s0
; %bb.288:
	v_cmp_ne_u32_e32 vcc_lo, 0, v68
	v_cndmask_b32_e32 v68, 18, v68, vcc_lo
; %bb.289:
	s_andn2_saveexec_b32 s0, s0
	s_cbranch_execz .LBB52_291
; %bb.290:
	v_div_scale_f64 v[61:62], null, v[0:1], v[0:1], 1.0
	v_rcp_f64_e32 v[70:71], v[61:62]
	v_fma_f64 v[72:73], -v[61:62], v[70:71], 1.0
	v_fma_f64 v[70:71], v[70:71], v[72:73], v[70:71]
	v_fma_f64 v[72:73], -v[61:62], v[70:71], 1.0
	v_fma_f64 v[70:71], v[70:71], v[72:73], v[70:71]
	v_div_scale_f64 v[72:73], vcc_lo, 1.0, v[0:1], 1.0
	v_mul_f64 v[74:75], v[72:73], v[70:71]
	v_fma_f64 v[61:62], -v[61:62], v[74:75], v[72:73]
	v_div_fmas_f64 v[61:62], v[61:62], v[70:71], v[74:75]
	v_div_fixup_f64 v[0:1], v[61:62], v[0:1], 1.0
.LBB52_291:
	s_or_b32 exec_lo, exec_lo, s0
	s_mov_b32 s0, exec_lo
	v_cmpx_ne_u32_e64 v69, v60
	s_xor_b32 s0, exec_lo, s0
	s_cbranch_execz .LBB52_297
; %bb.292:
	s_mov_b32 s1, exec_lo
	v_cmpx_eq_u32_e32 17, v69
	s_cbranch_execz .LBB52_296
; %bb.293:
	v_cmp_ne_u32_e32 vcc_lo, 17, v60
	s_xor_b32 s3, s6, -1
	s_and_b32 s7, s3, vcc_lo
	s_and_saveexec_b32 s3, s7
	s_cbranch_execz .LBB52_295
; %bb.294:
	v_ashrrev_i32_e32 v61, 31, v60
	v_lshlrev_b64 v[61:62], 2, v[60:61]
	v_add_co_u32 v61, vcc_lo, v4, v61
	v_add_co_ci_u32_e64 v62, null, v5, v62, vcc_lo
	s_clause 0x1
	global_load_dword v63, v[61:62], off
	global_load_dword v69, v[4:5], off offset:68
	s_waitcnt vmcnt(1)
	global_store_dword v[4:5], v63, off offset:68
	s_waitcnt vmcnt(0)
	global_store_dword v[61:62], v69, off
.LBB52_295:
	s_or_b32 exec_lo, exec_lo, s3
	v_mov_b32_e32 v63, v60
	v_mov_b32_e32 v69, v60
.LBB52_296:
	s_or_b32 exec_lo, exec_lo, s1
.LBB52_297:
	s_andn2_saveexec_b32 s0, s0
	s_cbranch_execz .LBB52_299
; %bb.298:
	v_mov_b32_e32 v60, v20
	v_mov_b32_e32 v61, v21
	;; [unrolled: 1-line block ×8, first 2 shown]
	ds_write2_b64 v66, v[60:61], v[69:70] offset0:18 offset1:19
	v_mov_b32_e32 v69, 17
	v_mov_b32_e32 v75, v12
	;; [unrolled: 1-line block ×9, first 2 shown]
	ds_write2_b64 v66, v[71:72], v[73:74] offset0:20 offset1:21
	ds_write2_b64 v66, v[75:76], v[77:78] offset0:22 offset1:23
	;; [unrolled: 1-line block ×3, first 2 shown]
	ds_write_b64 v66, v[58:59] offset:208
.LBB52_299:
	s_or_b32 exec_lo, exec_lo, s0
	s_mov_b32 s0, exec_lo
	s_waitcnt lgkmcnt(0)
	s_waitcnt_vscnt null, 0x0
	s_barrier
	buffer_gl0_inv
	v_cmpx_lt_i32_e32 17, v69
	s_cbranch_execz .LBB52_301
; %bb.300:
	v_mul_f64 v[22:23], v[0:1], v[22:23]
	ds_read2_b64 v[70:73], v66 offset0:18 offset1:19
	ds_read2_b64 v[74:77], v66 offset0:20 offset1:21
	;; [unrolled: 1-line block ×4, first 2 shown]
	ds_read_b64 v[0:1], v66 offset:208
	s_waitcnt lgkmcnt(4)
	v_fma_f64 v[20:21], -v[22:23], v[70:71], v[20:21]
	v_fma_f64 v[18:19], -v[22:23], v[72:73], v[18:19]
	s_waitcnt lgkmcnt(3)
	v_fma_f64 v[16:17], -v[22:23], v[74:75], v[16:17]
	v_fma_f64 v[14:15], -v[22:23], v[76:77], v[14:15]
	;; [unrolled: 3-line block ×4, first 2 shown]
	s_waitcnt lgkmcnt(0)
	v_fma_f64 v[58:59], -v[22:23], v[0:1], v[58:59]
.LBB52_301:
	s_or_b32 exec_lo, exec_lo, s0
	v_lshl_add_u32 v0, v69, 3, v66
	s_barrier
	buffer_gl0_inv
	v_mov_b32_e32 v60, 18
	ds_write_b64 v0, v[20:21]
	s_waitcnt lgkmcnt(0)
	s_barrier
	buffer_gl0_inv
	ds_read_b64 v[0:1], v66 offset:144
	s_cmp_lt_i32 s2, 20
	s_cbranch_scc1 .LBB52_304
; %bb.302:
	v_add3_u32 v61, v67, 0, 0x98
	v_mov_b32_e32 v60, 18
	s_mov_b32 s0, 19
.LBB52_303:                             ; =>This Inner Loop Header: Depth=1
	ds_read_b64 v[70:71], v61
	v_add_nc_u32_e32 v61, 8, v61
	s_waitcnt lgkmcnt(0)
	v_cmp_lt_f64_e64 vcc_lo, |v[0:1]|, |v[70:71]|
	v_cndmask_b32_e32 v1, v1, v71, vcc_lo
	v_cndmask_b32_e32 v0, v0, v70, vcc_lo
	v_cndmask_b32_e64 v60, v60, s0, vcc_lo
	s_add_i32 s0, s0, 1
	s_cmp_lg_u32 s2, s0
	s_cbranch_scc1 .LBB52_303
.LBB52_304:
	s_mov_b32 s0, exec_lo
	s_waitcnt lgkmcnt(0)
	v_cmpx_eq_f64_e32 0, v[0:1]
	s_xor_b32 s0, exec_lo, s0
; %bb.305:
	v_cmp_ne_u32_e32 vcc_lo, 0, v68
	v_cndmask_b32_e32 v68, 19, v68, vcc_lo
; %bb.306:
	s_andn2_saveexec_b32 s0, s0
	s_cbranch_execz .LBB52_308
; %bb.307:
	v_div_scale_f64 v[61:62], null, v[0:1], v[0:1], 1.0
	v_rcp_f64_e32 v[70:71], v[61:62]
	v_fma_f64 v[72:73], -v[61:62], v[70:71], 1.0
	v_fma_f64 v[70:71], v[70:71], v[72:73], v[70:71]
	v_fma_f64 v[72:73], -v[61:62], v[70:71], 1.0
	v_fma_f64 v[70:71], v[70:71], v[72:73], v[70:71]
	v_div_scale_f64 v[72:73], vcc_lo, 1.0, v[0:1], 1.0
	v_mul_f64 v[74:75], v[72:73], v[70:71]
	v_fma_f64 v[61:62], -v[61:62], v[74:75], v[72:73]
	v_div_fmas_f64 v[61:62], v[61:62], v[70:71], v[74:75]
	v_div_fixup_f64 v[0:1], v[61:62], v[0:1], 1.0
.LBB52_308:
	s_or_b32 exec_lo, exec_lo, s0
	s_mov_b32 s0, exec_lo
	v_cmpx_ne_u32_e64 v69, v60
	s_xor_b32 s0, exec_lo, s0
	s_cbranch_execz .LBB52_314
; %bb.309:
	s_mov_b32 s1, exec_lo
	v_cmpx_eq_u32_e32 18, v69
	s_cbranch_execz .LBB52_313
; %bb.310:
	v_cmp_ne_u32_e32 vcc_lo, 18, v60
	s_xor_b32 s3, s6, -1
	s_and_b32 s7, s3, vcc_lo
	s_and_saveexec_b32 s3, s7
	s_cbranch_execz .LBB52_312
; %bb.311:
	v_ashrrev_i32_e32 v61, 31, v60
	v_lshlrev_b64 v[61:62], 2, v[60:61]
	v_add_co_u32 v61, vcc_lo, v4, v61
	v_add_co_ci_u32_e64 v62, null, v5, v62, vcc_lo
	s_clause 0x1
	global_load_dword v63, v[61:62], off
	global_load_dword v69, v[4:5], off offset:72
	s_waitcnt vmcnt(1)
	global_store_dword v[4:5], v63, off offset:72
	s_waitcnt vmcnt(0)
	global_store_dword v[61:62], v69, off
.LBB52_312:
	s_or_b32 exec_lo, exec_lo, s3
	v_mov_b32_e32 v63, v60
	v_mov_b32_e32 v69, v60
.LBB52_313:
	s_or_b32 exec_lo, exec_lo, s1
.LBB52_314:
	s_andn2_saveexec_b32 s0, s0
	s_cbranch_execz .LBB52_316
; %bb.315:
	v_mov_b32_e32 v69, 18
	ds_write2_b64 v66, v[18:19], v[16:17] offset0:19 offset1:20
	ds_write2_b64 v66, v[14:15], v[12:13] offset0:21 offset1:22
	;; [unrolled: 1-line block ×4, first 2 shown]
.LBB52_316:
	s_or_b32 exec_lo, exec_lo, s0
	s_mov_b32 s0, exec_lo
	s_waitcnt lgkmcnt(0)
	s_waitcnt_vscnt null, 0x0
	s_barrier
	buffer_gl0_inv
	v_cmpx_lt_i32_e32 18, v69
	s_cbranch_execz .LBB52_318
; %bb.317:
	v_mul_f64 v[20:21], v[0:1], v[20:21]
	ds_read2_b64 v[70:73], v66 offset0:19 offset1:20
	ds_read2_b64 v[74:77], v66 offset0:21 offset1:22
	;; [unrolled: 1-line block ×4, first 2 shown]
	s_waitcnt lgkmcnt(3)
	v_fma_f64 v[18:19], -v[20:21], v[70:71], v[18:19]
	v_fma_f64 v[16:17], -v[20:21], v[72:73], v[16:17]
	s_waitcnt lgkmcnt(2)
	v_fma_f64 v[14:15], -v[20:21], v[74:75], v[14:15]
	v_fma_f64 v[12:13], -v[20:21], v[76:77], v[12:13]
	;; [unrolled: 3-line block ×4, first 2 shown]
.LBB52_318:
	s_or_b32 exec_lo, exec_lo, s0
	v_lshl_add_u32 v0, v69, 3, v66
	s_barrier
	buffer_gl0_inv
	v_mov_b32_e32 v60, 19
	ds_write_b64 v0, v[18:19]
	s_waitcnt lgkmcnt(0)
	s_barrier
	buffer_gl0_inv
	ds_read_b64 v[0:1], v66 offset:152
	s_cmp_lt_i32 s2, 21
	s_cbranch_scc1 .LBB52_321
; %bb.319:
	v_add3_u32 v61, v67, 0, 0xa0
	v_mov_b32_e32 v60, 19
	s_mov_b32 s0, 20
.LBB52_320:                             ; =>This Inner Loop Header: Depth=1
	ds_read_b64 v[70:71], v61
	v_add_nc_u32_e32 v61, 8, v61
	s_waitcnt lgkmcnt(0)
	v_cmp_lt_f64_e64 vcc_lo, |v[0:1]|, |v[70:71]|
	v_cndmask_b32_e32 v1, v1, v71, vcc_lo
	v_cndmask_b32_e32 v0, v0, v70, vcc_lo
	v_cndmask_b32_e64 v60, v60, s0, vcc_lo
	s_add_i32 s0, s0, 1
	s_cmp_lg_u32 s2, s0
	s_cbranch_scc1 .LBB52_320
.LBB52_321:
	s_mov_b32 s0, exec_lo
	s_waitcnt lgkmcnt(0)
	v_cmpx_eq_f64_e32 0, v[0:1]
	s_xor_b32 s0, exec_lo, s0
; %bb.322:
	v_cmp_ne_u32_e32 vcc_lo, 0, v68
	v_cndmask_b32_e32 v68, 20, v68, vcc_lo
; %bb.323:
	s_andn2_saveexec_b32 s0, s0
	s_cbranch_execz .LBB52_325
; %bb.324:
	v_div_scale_f64 v[61:62], null, v[0:1], v[0:1], 1.0
	v_rcp_f64_e32 v[70:71], v[61:62]
	v_fma_f64 v[72:73], -v[61:62], v[70:71], 1.0
	v_fma_f64 v[70:71], v[70:71], v[72:73], v[70:71]
	v_fma_f64 v[72:73], -v[61:62], v[70:71], 1.0
	v_fma_f64 v[70:71], v[70:71], v[72:73], v[70:71]
	v_div_scale_f64 v[72:73], vcc_lo, 1.0, v[0:1], 1.0
	v_mul_f64 v[74:75], v[72:73], v[70:71]
	v_fma_f64 v[61:62], -v[61:62], v[74:75], v[72:73]
	v_div_fmas_f64 v[61:62], v[61:62], v[70:71], v[74:75]
	v_div_fixup_f64 v[0:1], v[61:62], v[0:1], 1.0
.LBB52_325:
	s_or_b32 exec_lo, exec_lo, s0
	s_mov_b32 s0, exec_lo
	v_cmpx_ne_u32_e64 v69, v60
	s_xor_b32 s0, exec_lo, s0
	s_cbranch_execz .LBB52_331
; %bb.326:
	s_mov_b32 s1, exec_lo
	v_cmpx_eq_u32_e32 19, v69
	s_cbranch_execz .LBB52_330
; %bb.327:
	v_cmp_ne_u32_e32 vcc_lo, 19, v60
	s_xor_b32 s3, s6, -1
	s_and_b32 s7, s3, vcc_lo
	s_and_saveexec_b32 s3, s7
	s_cbranch_execz .LBB52_329
; %bb.328:
	v_ashrrev_i32_e32 v61, 31, v60
	v_lshlrev_b64 v[61:62], 2, v[60:61]
	v_add_co_u32 v61, vcc_lo, v4, v61
	v_add_co_ci_u32_e64 v62, null, v5, v62, vcc_lo
	s_clause 0x1
	global_load_dword v63, v[61:62], off
	global_load_dword v69, v[4:5], off offset:76
	s_waitcnt vmcnt(1)
	global_store_dword v[4:5], v63, off offset:76
	s_waitcnt vmcnt(0)
	global_store_dword v[61:62], v69, off
.LBB52_329:
	s_or_b32 exec_lo, exec_lo, s3
	v_mov_b32_e32 v63, v60
	v_mov_b32_e32 v69, v60
.LBB52_330:
	s_or_b32 exec_lo, exec_lo, s1
.LBB52_331:
	s_andn2_saveexec_b32 s0, s0
	s_cbranch_execz .LBB52_333
; %bb.332:
	v_mov_b32_e32 v60, v16
	v_mov_b32_e32 v61, v17
	;; [unrolled: 1-line block ×13, first 2 shown]
	ds_write2_b64 v66, v[60:61], v[70:71] offset0:20 offset1:21
	ds_write2_b64 v66, v[72:73], v[74:75] offset0:22 offset1:23
	;; [unrolled: 1-line block ×3, first 2 shown]
	ds_write_b64 v66, v[58:59] offset:208
.LBB52_333:
	s_or_b32 exec_lo, exec_lo, s0
	s_mov_b32 s0, exec_lo
	s_waitcnt lgkmcnt(0)
	s_waitcnt_vscnt null, 0x0
	s_barrier
	buffer_gl0_inv
	v_cmpx_lt_i32_e32 19, v69
	s_cbranch_execz .LBB52_335
; %bb.334:
	v_mul_f64 v[18:19], v[0:1], v[18:19]
	ds_read2_b64 v[70:73], v66 offset0:20 offset1:21
	ds_read2_b64 v[74:77], v66 offset0:22 offset1:23
	;; [unrolled: 1-line block ×3, first 2 shown]
	ds_read_b64 v[0:1], v66 offset:208
	s_waitcnt lgkmcnt(3)
	v_fma_f64 v[16:17], -v[18:19], v[70:71], v[16:17]
	v_fma_f64 v[14:15], -v[18:19], v[72:73], v[14:15]
	s_waitcnt lgkmcnt(2)
	v_fma_f64 v[12:13], -v[18:19], v[74:75], v[12:13]
	v_fma_f64 v[8:9], -v[18:19], v[76:77], v[8:9]
	;; [unrolled: 3-line block ×3, first 2 shown]
	s_waitcnt lgkmcnt(0)
	v_fma_f64 v[58:59], -v[18:19], v[0:1], v[58:59]
.LBB52_335:
	s_or_b32 exec_lo, exec_lo, s0
	v_lshl_add_u32 v0, v69, 3, v66
	s_barrier
	buffer_gl0_inv
	v_mov_b32_e32 v60, 20
	ds_write_b64 v0, v[16:17]
	s_waitcnt lgkmcnt(0)
	s_barrier
	buffer_gl0_inv
	ds_read_b64 v[0:1], v66 offset:160
	s_cmp_lt_i32 s2, 22
	s_cbranch_scc1 .LBB52_338
; %bb.336:
	v_add3_u32 v61, v67, 0, 0xa8
	v_mov_b32_e32 v60, 20
	s_mov_b32 s0, 21
.LBB52_337:                             ; =>This Inner Loop Header: Depth=1
	ds_read_b64 v[70:71], v61
	v_add_nc_u32_e32 v61, 8, v61
	s_waitcnt lgkmcnt(0)
	v_cmp_lt_f64_e64 vcc_lo, |v[0:1]|, |v[70:71]|
	v_cndmask_b32_e32 v1, v1, v71, vcc_lo
	v_cndmask_b32_e32 v0, v0, v70, vcc_lo
	v_cndmask_b32_e64 v60, v60, s0, vcc_lo
	s_add_i32 s0, s0, 1
	s_cmp_lg_u32 s2, s0
	s_cbranch_scc1 .LBB52_337
.LBB52_338:
	s_mov_b32 s0, exec_lo
	s_waitcnt lgkmcnt(0)
	v_cmpx_eq_f64_e32 0, v[0:1]
	s_xor_b32 s0, exec_lo, s0
; %bb.339:
	v_cmp_ne_u32_e32 vcc_lo, 0, v68
	v_cndmask_b32_e32 v68, 21, v68, vcc_lo
; %bb.340:
	s_andn2_saveexec_b32 s0, s0
	s_cbranch_execz .LBB52_342
; %bb.341:
	v_div_scale_f64 v[61:62], null, v[0:1], v[0:1], 1.0
	v_rcp_f64_e32 v[70:71], v[61:62]
	v_fma_f64 v[72:73], -v[61:62], v[70:71], 1.0
	v_fma_f64 v[70:71], v[70:71], v[72:73], v[70:71]
	v_fma_f64 v[72:73], -v[61:62], v[70:71], 1.0
	v_fma_f64 v[70:71], v[70:71], v[72:73], v[70:71]
	v_div_scale_f64 v[72:73], vcc_lo, 1.0, v[0:1], 1.0
	v_mul_f64 v[74:75], v[72:73], v[70:71]
	v_fma_f64 v[61:62], -v[61:62], v[74:75], v[72:73]
	v_div_fmas_f64 v[61:62], v[61:62], v[70:71], v[74:75]
	v_div_fixup_f64 v[0:1], v[61:62], v[0:1], 1.0
.LBB52_342:
	s_or_b32 exec_lo, exec_lo, s0
	s_mov_b32 s0, exec_lo
	v_cmpx_ne_u32_e64 v69, v60
	s_xor_b32 s0, exec_lo, s0
	s_cbranch_execz .LBB52_348
; %bb.343:
	s_mov_b32 s1, exec_lo
	v_cmpx_eq_u32_e32 20, v69
	s_cbranch_execz .LBB52_347
; %bb.344:
	v_cmp_ne_u32_e32 vcc_lo, 20, v60
	s_xor_b32 s3, s6, -1
	s_and_b32 s7, s3, vcc_lo
	s_and_saveexec_b32 s3, s7
	s_cbranch_execz .LBB52_346
; %bb.345:
	v_ashrrev_i32_e32 v61, 31, v60
	v_lshlrev_b64 v[61:62], 2, v[60:61]
	v_add_co_u32 v61, vcc_lo, v4, v61
	v_add_co_ci_u32_e64 v62, null, v5, v62, vcc_lo
	s_clause 0x1
	global_load_dword v63, v[61:62], off
	global_load_dword v69, v[4:5], off offset:80
	s_waitcnt vmcnt(1)
	global_store_dword v[4:5], v63, off offset:80
	s_waitcnt vmcnt(0)
	global_store_dword v[61:62], v69, off
.LBB52_346:
	s_or_b32 exec_lo, exec_lo, s3
	v_mov_b32_e32 v63, v60
	v_mov_b32_e32 v69, v60
.LBB52_347:
	s_or_b32 exec_lo, exec_lo, s1
.LBB52_348:
	s_andn2_saveexec_b32 s0, s0
	s_cbranch_execz .LBB52_350
; %bb.349:
	v_mov_b32_e32 v69, 20
	ds_write2_b64 v66, v[14:15], v[12:13] offset0:21 offset1:22
	ds_write2_b64 v66, v[8:9], v[10:11] offset0:23 offset1:24
	;; [unrolled: 1-line block ×3, first 2 shown]
.LBB52_350:
	s_or_b32 exec_lo, exec_lo, s0
	s_mov_b32 s0, exec_lo
	s_waitcnt lgkmcnt(0)
	s_waitcnt_vscnt null, 0x0
	s_barrier
	buffer_gl0_inv
	v_cmpx_lt_i32_e32 20, v69
	s_cbranch_execz .LBB52_352
; %bb.351:
	v_mul_f64 v[16:17], v[0:1], v[16:17]
	ds_read2_b64 v[70:73], v66 offset0:21 offset1:22
	ds_read2_b64 v[74:77], v66 offset0:23 offset1:24
	;; [unrolled: 1-line block ×3, first 2 shown]
	s_waitcnt lgkmcnt(2)
	v_fma_f64 v[14:15], -v[16:17], v[70:71], v[14:15]
	v_fma_f64 v[12:13], -v[16:17], v[72:73], v[12:13]
	s_waitcnt lgkmcnt(1)
	v_fma_f64 v[8:9], -v[16:17], v[74:75], v[8:9]
	v_fma_f64 v[10:11], -v[16:17], v[76:77], v[10:11]
	;; [unrolled: 3-line block ×3, first 2 shown]
.LBB52_352:
	s_or_b32 exec_lo, exec_lo, s0
	v_lshl_add_u32 v0, v69, 3, v66
	s_barrier
	buffer_gl0_inv
	v_mov_b32_e32 v60, 21
	ds_write_b64 v0, v[14:15]
	s_waitcnt lgkmcnt(0)
	s_barrier
	buffer_gl0_inv
	ds_read_b64 v[0:1], v66 offset:168
	s_cmp_lt_i32 s2, 23
	s_cbranch_scc1 .LBB52_355
; %bb.353:
	v_add3_u32 v61, v67, 0, 0xb0
	v_mov_b32_e32 v60, 21
	s_mov_b32 s0, 22
.LBB52_354:                             ; =>This Inner Loop Header: Depth=1
	ds_read_b64 v[70:71], v61
	v_add_nc_u32_e32 v61, 8, v61
	s_waitcnt lgkmcnt(0)
	v_cmp_lt_f64_e64 vcc_lo, |v[0:1]|, |v[70:71]|
	v_cndmask_b32_e32 v1, v1, v71, vcc_lo
	v_cndmask_b32_e32 v0, v0, v70, vcc_lo
	v_cndmask_b32_e64 v60, v60, s0, vcc_lo
	s_add_i32 s0, s0, 1
	s_cmp_lg_u32 s2, s0
	s_cbranch_scc1 .LBB52_354
.LBB52_355:
	s_mov_b32 s0, exec_lo
	s_waitcnt lgkmcnt(0)
	v_cmpx_eq_f64_e32 0, v[0:1]
	s_xor_b32 s0, exec_lo, s0
; %bb.356:
	v_cmp_ne_u32_e32 vcc_lo, 0, v68
	v_cndmask_b32_e32 v68, 22, v68, vcc_lo
; %bb.357:
	s_andn2_saveexec_b32 s0, s0
	s_cbranch_execz .LBB52_359
; %bb.358:
	v_div_scale_f64 v[61:62], null, v[0:1], v[0:1], 1.0
	v_rcp_f64_e32 v[70:71], v[61:62]
	v_fma_f64 v[72:73], -v[61:62], v[70:71], 1.0
	v_fma_f64 v[70:71], v[70:71], v[72:73], v[70:71]
	v_fma_f64 v[72:73], -v[61:62], v[70:71], 1.0
	v_fma_f64 v[70:71], v[70:71], v[72:73], v[70:71]
	v_div_scale_f64 v[72:73], vcc_lo, 1.0, v[0:1], 1.0
	v_mul_f64 v[74:75], v[72:73], v[70:71]
	v_fma_f64 v[61:62], -v[61:62], v[74:75], v[72:73]
	v_div_fmas_f64 v[61:62], v[61:62], v[70:71], v[74:75]
	v_div_fixup_f64 v[0:1], v[61:62], v[0:1], 1.0
.LBB52_359:
	s_or_b32 exec_lo, exec_lo, s0
	s_mov_b32 s0, exec_lo
	v_cmpx_ne_u32_e64 v69, v60
	s_xor_b32 s0, exec_lo, s0
	s_cbranch_execz .LBB52_365
; %bb.360:
	s_mov_b32 s1, exec_lo
	v_cmpx_eq_u32_e32 21, v69
	s_cbranch_execz .LBB52_364
; %bb.361:
	v_cmp_ne_u32_e32 vcc_lo, 21, v60
	s_xor_b32 s3, s6, -1
	s_and_b32 s7, s3, vcc_lo
	s_and_saveexec_b32 s3, s7
	s_cbranch_execz .LBB52_363
; %bb.362:
	v_ashrrev_i32_e32 v61, 31, v60
	v_lshlrev_b64 v[61:62], 2, v[60:61]
	v_add_co_u32 v61, vcc_lo, v4, v61
	v_add_co_ci_u32_e64 v62, null, v5, v62, vcc_lo
	s_clause 0x1
	global_load_dword v63, v[61:62], off
	global_load_dword v69, v[4:5], off offset:84
	s_waitcnt vmcnt(1)
	global_store_dword v[4:5], v63, off offset:84
	s_waitcnt vmcnt(0)
	global_store_dword v[61:62], v69, off
.LBB52_363:
	s_or_b32 exec_lo, exec_lo, s3
	v_mov_b32_e32 v63, v60
	v_mov_b32_e32 v69, v60
.LBB52_364:
	s_or_b32 exec_lo, exec_lo, s1
.LBB52_365:
	s_andn2_saveexec_b32 s0, s0
	s_cbranch_execz .LBB52_367
; %bb.366:
	v_mov_b32_e32 v60, v12
	v_mov_b32_e32 v61, v13
	;; [unrolled: 1-line block ×9, first 2 shown]
	ds_write2_b64 v66, v[60:61], v[70:71] offset0:22 offset1:23
	ds_write2_b64 v66, v[72:73], v[74:75] offset0:24 offset1:25
	ds_write_b64 v66, v[58:59] offset:208
.LBB52_367:
	s_or_b32 exec_lo, exec_lo, s0
	s_mov_b32 s0, exec_lo
	s_waitcnt lgkmcnt(0)
	s_waitcnt_vscnt null, 0x0
	s_barrier
	buffer_gl0_inv
	v_cmpx_lt_i32_e32 21, v69
	s_cbranch_execz .LBB52_369
; %bb.368:
	v_mul_f64 v[14:15], v[0:1], v[14:15]
	ds_read2_b64 v[70:73], v66 offset0:22 offset1:23
	ds_read2_b64 v[74:77], v66 offset0:24 offset1:25
	ds_read_b64 v[0:1], v66 offset:208
	s_waitcnt lgkmcnt(2)
	v_fma_f64 v[12:13], -v[14:15], v[70:71], v[12:13]
	v_fma_f64 v[8:9], -v[14:15], v[72:73], v[8:9]
	s_waitcnt lgkmcnt(1)
	v_fma_f64 v[10:11], -v[14:15], v[74:75], v[10:11]
	v_fma_f64 v[6:7], -v[14:15], v[76:77], v[6:7]
	s_waitcnt lgkmcnt(0)
	v_fma_f64 v[58:59], -v[14:15], v[0:1], v[58:59]
.LBB52_369:
	s_or_b32 exec_lo, exec_lo, s0
	v_lshl_add_u32 v0, v69, 3, v66
	s_barrier
	buffer_gl0_inv
	v_mov_b32_e32 v60, 22
	ds_write_b64 v0, v[12:13]
	s_waitcnt lgkmcnt(0)
	s_barrier
	buffer_gl0_inv
	ds_read_b64 v[0:1], v66 offset:176
	s_cmp_lt_i32 s2, 24
	s_cbranch_scc1 .LBB52_372
; %bb.370:
	v_add3_u32 v61, v67, 0, 0xb8
	v_mov_b32_e32 v60, 22
	s_mov_b32 s0, 23
.LBB52_371:                             ; =>This Inner Loop Header: Depth=1
	ds_read_b64 v[70:71], v61
	v_add_nc_u32_e32 v61, 8, v61
	s_waitcnt lgkmcnt(0)
	v_cmp_lt_f64_e64 vcc_lo, |v[0:1]|, |v[70:71]|
	v_cndmask_b32_e32 v1, v1, v71, vcc_lo
	v_cndmask_b32_e32 v0, v0, v70, vcc_lo
	v_cndmask_b32_e64 v60, v60, s0, vcc_lo
	s_add_i32 s0, s0, 1
	s_cmp_lg_u32 s2, s0
	s_cbranch_scc1 .LBB52_371
.LBB52_372:
	s_mov_b32 s0, exec_lo
	s_waitcnt lgkmcnt(0)
	v_cmpx_eq_f64_e32 0, v[0:1]
	s_xor_b32 s0, exec_lo, s0
; %bb.373:
	v_cmp_ne_u32_e32 vcc_lo, 0, v68
	v_cndmask_b32_e32 v68, 23, v68, vcc_lo
; %bb.374:
	s_andn2_saveexec_b32 s0, s0
	s_cbranch_execz .LBB52_376
; %bb.375:
	v_div_scale_f64 v[61:62], null, v[0:1], v[0:1], 1.0
	v_rcp_f64_e32 v[70:71], v[61:62]
	v_fma_f64 v[72:73], -v[61:62], v[70:71], 1.0
	v_fma_f64 v[70:71], v[70:71], v[72:73], v[70:71]
	v_fma_f64 v[72:73], -v[61:62], v[70:71], 1.0
	v_fma_f64 v[70:71], v[70:71], v[72:73], v[70:71]
	v_div_scale_f64 v[72:73], vcc_lo, 1.0, v[0:1], 1.0
	v_mul_f64 v[74:75], v[72:73], v[70:71]
	v_fma_f64 v[61:62], -v[61:62], v[74:75], v[72:73]
	v_div_fmas_f64 v[61:62], v[61:62], v[70:71], v[74:75]
	v_div_fixup_f64 v[0:1], v[61:62], v[0:1], 1.0
.LBB52_376:
	s_or_b32 exec_lo, exec_lo, s0
	s_mov_b32 s0, exec_lo
	v_cmpx_ne_u32_e64 v69, v60
	s_xor_b32 s0, exec_lo, s0
	s_cbranch_execz .LBB52_382
; %bb.377:
	s_mov_b32 s1, exec_lo
	v_cmpx_eq_u32_e32 22, v69
	s_cbranch_execz .LBB52_381
; %bb.378:
	v_cmp_ne_u32_e32 vcc_lo, 22, v60
	s_xor_b32 s3, s6, -1
	s_and_b32 s7, s3, vcc_lo
	s_and_saveexec_b32 s3, s7
	s_cbranch_execz .LBB52_380
; %bb.379:
	v_ashrrev_i32_e32 v61, 31, v60
	v_lshlrev_b64 v[61:62], 2, v[60:61]
	v_add_co_u32 v61, vcc_lo, v4, v61
	v_add_co_ci_u32_e64 v62, null, v5, v62, vcc_lo
	s_clause 0x1
	global_load_dword v63, v[61:62], off
	global_load_dword v69, v[4:5], off offset:88
	s_waitcnt vmcnt(1)
	global_store_dword v[4:5], v63, off offset:88
	s_waitcnt vmcnt(0)
	global_store_dword v[61:62], v69, off
.LBB52_380:
	s_or_b32 exec_lo, exec_lo, s3
	v_mov_b32_e32 v63, v60
	v_mov_b32_e32 v69, v60
.LBB52_381:
	s_or_b32 exec_lo, exec_lo, s1
.LBB52_382:
	s_andn2_saveexec_b32 s0, s0
	s_cbranch_execz .LBB52_384
; %bb.383:
	v_mov_b32_e32 v69, 22
	ds_write2_b64 v66, v[8:9], v[10:11] offset0:23 offset1:24
	ds_write2_b64 v66, v[6:7], v[58:59] offset0:25 offset1:26
.LBB52_384:
	s_or_b32 exec_lo, exec_lo, s0
	s_mov_b32 s0, exec_lo
	s_waitcnt lgkmcnt(0)
	s_waitcnt_vscnt null, 0x0
	s_barrier
	buffer_gl0_inv
	v_cmpx_lt_i32_e32 22, v69
	s_cbranch_execz .LBB52_386
; %bb.385:
	v_mul_f64 v[12:13], v[0:1], v[12:13]
	ds_read2_b64 v[70:73], v66 offset0:23 offset1:24
	ds_read2_b64 v[74:77], v66 offset0:25 offset1:26
	s_waitcnt lgkmcnt(1)
	v_fma_f64 v[8:9], -v[12:13], v[70:71], v[8:9]
	v_fma_f64 v[10:11], -v[12:13], v[72:73], v[10:11]
	s_waitcnt lgkmcnt(0)
	v_fma_f64 v[6:7], -v[12:13], v[74:75], v[6:7]
	v_fma_f64 v[58:59], -v[12:13], v[76:77], v[58:59]
.LBB52_386:
	s_or_b32 exec_lo, exec_lo, s0
	v_lshl_add_u32 v0, v69, 3, v66
	s_barrier
	buffer_gl0_inv
	v_mov_b32_e32 v60, 23
	ds_write_b64 v0, v[8:9]
	s_waitcnt lgkmcnt(0)
	s_barrier
	buffer_gl0_inv
	ds_read_b64 v[0:1], v66 offset:184
	s_cmp_lt_i32 s2, 25
	s_cbranch_scc1 .LBB52_389
; %bb.387:
	v_add3_u32 v61, v67, 0, 0xc0
	v_mov_b32_e32 v60, 23
	s_mov_b32 s0, 24
.LBB52_388:                             ; =>This Inner Loop Header: Depth=1
	ds_read_b64 v[70:71], v61
	v_add_nc_u32_e32 v61, 8, v61
	s_waitcnt lgkmcnt(0)
	v_cmp_lt_f64_e64 vcc_lo, |v[0:1]|, |v[70:71]|
	v_cndmask_b32_e32 v1, v1, v71, vcc_lo
	v_cndmask_b32_e32 v0, v0, v70, vcc_lo
	v_cndmask_b32_e64 v60, v60, s0, vcc_lo
	s_add_i32 s0, s0, 1
	s_cmp_lg_u32 s2, s0
	s_cbranch_scc1 .LBB52_388
.LBB52_389:
	s_mov_b32 s0, exec_lo
	s_waitcnt lgkmcnt(0)
	v_cmpx_eq_f64_e32 0, v[0:1]
	s_xor_b32 s0, exec_lo, s0
; %bb.390:
	v_cmp_ne_u32_e32 vcc_lo, 0, v68
	v_cndmask_b32_e32 v68, 24, v68, vcc_lo
; %bb.391:
	s_andn2_saveexec_b32 s0, s0
	s_cbranch_execz .LBB52_393
; %bb.392:
	v_div_scale_f64 v[61:62], null, v[0:1], v[0:1], 1.0
	v_rcp_f64_e32 v[70:71], v[61:62]
	v_fma_f64 v[72:73], -v[61:62], v[70:71], 1.0
	v_fma_f64 v[70:71], v[70:71], v[72:73], v[70:71]
	v_fma_f64 v[72:73], -v[61:62], v[70:71], 1.0
	v_fma_f64 v[70:71], v[70:71], v[72:73], v[70:71]
	v_div_scale_f64 v[72:73], vcc_lo, 1.0, v[0:1], 1.0
	v_mul_f64 v[74:75], v[72:73], v[70:71]
	v_fma_f64 v[61:62], -v[61:62], v[74:75], v[72:73]
	v_div_fmas_f64 v[61:62], v[61:62], v[70:71], v[74:75]
	v_div_fixup_f64 v[0:1], v[61:62], v[0:1], 1.0
.LBB52_393:
	s_or_b32 exec_lo, exec_lo, s0
	s_mov_b32 s0, exec_lo
	v_cmpx_ne_u32_e64 v69, v60
	s_xor_b32 s0, exec_lo, s0
	s_cbranch_execz .LBB52_399
; %bb.394:
	s_mov_b32 s1, exec_lo
	v_cmpx_eq_u32_e32 23, v69
	s_cbranch_execz .LBB52_398
; %bb.395:
	v_cmp_ne_u32_e32 vcc_lo, 23, v60
	s_xor_b32 s3, s6, -1
	s_and_b32 s7, s3, vcc_lo
	s_and_saveexec_b32 s3, s7
	s_cbranch_execz .LBB52_397
; %bb.396:
	v_ashrrev_i32_e32 v61, 31, v60
	v_lshlrev_b64 v[61:62], 2, v[60:61]
	v_add_co_u32 v61, vcc_lo, v4, v61
	v_add_co_ci_u32_e64 v62, null, v5, v62, vcc_lo
	s_clause 0x1
	global_load_dword v63, v[61:62], off
	global_load_dword v69, v[4:5], off offset:92
	s_waitcnt vmcnt(1)
	global_store_dword v[4:5], v63, off offset:92
	s_waitcnt vmcnt(0)
	global_store_dword v[61:62], v69, off
.LBB52_397:
	s_or_b32 exec_lo, exec_lo, s3
	v_mov_b32_e32 v63, v60
	v_mov_b32_e32 v69, v60
.LBB52_398:
	s_or_b32 exec_lo, exec_lo, s1
.LBB52_399:
	s_andn2_saveexec_b32 s0, s0
	s_cbranch_execz .LBB52_401
; %bb.400:
	v_mov_b32_e32 v60, v10
	v_mov_b32_e32 v61, v11
	;; [unrolled: 1-line block ×5, first 2 shown]
	ds_write2_b64 v66, v[60:61], v[70:71] offset0:24 offset1:25
	ds_write_b64 v66, v[58:59] offset:208
.LBB52_401:
	s_or_b32 exec_lo, exec_lo, s0
	s_mov_b32 s0, exec_lo
	s_waitcnt lgkmcnt(0)
	s_waitcnt_vscnt null, 0x0
	s_barrier
	buffer_gl0_inv
	v_cmpx_lt_i32_e32 23, v69
	s_cbranch_execz .LBB52_403
; %bb.402:
	v_mul_f64 v[8:9], v[0:1], v[8:9]
	ds_read2_b64 v[70:73], v66 offset0:24 offset1:25
	ds_read_b64 v[0:1], v66 offset:208
	s_waitcnt lgkmcnt(1)
	v_fma_f64 v[10:11], -v[8:9], v[70:71], v[10:11]
	v_fma_f64 v[6:7], -v[8:9], v[72:73], v[6:7]
	s_waitcnt lgkmcnt(0)
	v_fma_f64 v[58:59], -v[8:9], v[0:1], v[58:59]
.LBB52_403:
	s_or_b32 exec_lo, exec_lo, s0
	v_lshl_add_u32 v0, v69, 3, v66
	s_barrier
	buffer_gl0_inv
	v_mov_b32_e32 v60, 24
	ds_write_b64 v0, v[10:11]
	s_waitcnt lgkmcnt(0)
	s_barrier
	buffer_gl0_inv
	ds_read_b64 v[0:1], v66 offset:192
	s_cmp_lt_i32 s2, 26
	s_cbranch_scc1 .LBB52_406
; %bb.404:
	v_add3_u32 v61, v67, 0, 0xc8
	v_mov_b32_e32 v60, 24
	s_mov_b32 s0, 25
.LBB52_405:                             ; =>This Inner Loop Header: Depth=1
	ds_read_b64 v[70:71], v61
	v_add_nc_u32_e32 v61, 8, v61
	s_waitcnt lgkmcnt(0)
	v_cmp_lt_f64_e64 vcc_lo, |v[0:1]|, |v[70:71]|
	v_cndmask_b32_e32 v1, v1, v71, vcc_lo
	v_cndmask_b32_e32 v0, v0, v70, vcc_lo
	v_cndmask_b32_e64 v60, v60, s0, vcc_lo
	s_add_i32 s0, s0, 1
	s_cmp_lg_u32 s2, s0
	s_cbranch_scc1 .LBB52_405
.LBB52_406:
	s_mov_b32 s0, exec_lo
	s_waitcnt lgkmcnt(0)
	v_cmpx_eq_f64_e32 0, v[0:1]
	s_xor_b32 s0, exec_lo, s0
; %bb.407:
	v_cmp_ne_u32_e32 vcc_lo, 0, v68
	v_cndmask_b32_e32 v68, 25, v68, vcc_lo
; %bb.408:
	s_andn2_saveexec_b32 s0, s0
	s_cbranch_execz .LBB52_410
; %bb.409:
	v_div_scale_f64 v[61:62], null, v[0:1], v[0:1], 1.0
	v_rcp_f64_e32 v[70:71], v[61:62]
	v_fma_f64 v[72:73], -v[61:62], v[70:71], 1.0
	v_fma_f64 v[70:71], v[70:71], v[72:73], v[70:71]
	v_fma_f64 v[72:73], -v[61:62], v[70:71], 1.0
	v_fma_f64 v[70:71], v[70:71], v[72:73], v[70:71]
	v_div_scale_f64 v[72:73], vcc_lo, 1.0, v[0:1], 1.0
	v_mul_f64 v[74:75], v[72:73], v[70:71]
	v_fma_f64 v[61:62], -v[61:62], v[74:75], v[72:73]
	v_div_fmas_f64 v[61:62], v[61:62], v[70:71], v[74:75]
	v_div_fixup_f64 v[0:1], v[61:62], v[0:1], 1.0
.LBB52_410:
	s_or_b32 exec_lo, exec_lo, s0
	s_mov_b32 s0, exec_lo
	v_cmpx_ne_u32_e64 v69, v60
	s_xor_b32 s0, exec_lo, s0
	s_cbranch_execz .LBB52_416
; %bb.411:
	s_mov_b32 s1, exec_lo
	v_cmpx_eq_u32_e32 24, v69
	s_cbranch_execz .LBB52_415
; %bb.412:
	v_cmp_ne_u32_e32 vcc_lo, 24, v60
	s_xor_b32 s3, s6, -1
	s_and_b32 s7, s3, vcc_lo
	s_and_saveexec_b32 s3, s7
	s_cbranch_execz .LBB52_414
; %bb.413:
	v_ashrrev_i32_e32 v61, 31, v60
	v_lshlrev_b64 v[61:62], 2, v[60:61]
	v_add_co_u32 v61, vcc_lo, v4, v61
	v_add_co_ci_u32_e64 v62, null, v5, v62, vcc_lo
	s_clause 0x1
	global_load_dword v63, v[61:62], off
	global_load_dword v69, v[4:5], off offset:96
	s_waitcnt vmcnt(1)
	global_store_dword v[4:5], v63, off offset:96
	s_waitcnt vmcnt(0)
	global_store_dword v[61:62], v69, off
.LBB52_414:
	s_or_b32 exec_lo, exec_lo, s3
	v_mov_b32_e32 v63, v60
	v_mov_b32_e32 v69, v60
.LBB52_415:
	s_or_b32 exec_lo, exec_lo, s1
.LBB52_416:
	s_andn2_saveexec_b32 s0, s0
; %bb.417:
	v_mov_b32_e32 v69, 24
	ds_write2_b64 v66, v[6:7], v[58:59] offset0:25 offset1:26
; %bb.418:
	s_or_b32 exec_lo, exec_lo, s0
	s_mov_b32 s0, exec_lo
	s_waitcnt lgkmcnt(0)
	s_waitcnt_vscnt null, 0x0
	s_barrier
	buffer_gl0_inv
	v_cmpx_lt_i32_e32 24, v69
	s_cbranch_execz .LBB52_420
; %bb.419:
	v_mul_f64 v[10:11], v[0:1], v[10:11]
	ds_read2_b64 v[70:73], v66 offset0:25 offset1:26
	s_waitcnt lgkmcnt(0)
	v_fma_f64 v[6:7], -v[10:11], v[70:71], v[6:7]
	v_fma_f64 v[58:59], -v[10:11], v[72:73], v[58:59]
.LBB52_420:
	s_or_b32 exec_lo, exec_lo, s0
	v_lshl_add_u32 v0, v69, 3, v66
	s_barrier
	buffer_gl0_inv
	v_mov_b32_e32 v60, 25
	ds_write_b64 v0, v[6:7]
	s_waitcnt lgkmcnt(0)
	s_barrier
	buffer_gl0_inv
	ds_read_b64 v[0:1], v66 offset:200
	s_cmp_lt_i32 s2, 27
	s_cbranch_scc1 .LBB52_423
; %bb.421:
	v_add3_u32 v61, v67, 0, 0xd0
	v_mov_b32_e32 v60, 25
	s_mov_b32 s0, 26
.LBB52_422:                             ; =>This Inner Loop Header: Depth=1
	ds_read_b64 v[70:71], v61
	v_add_nc_u32_e32 v61, 8, v61
	s_waitcnt lgkmcnt(0)
	v_cmp_lt_f64_e64 vcc_lo, |v[0:1]|, |v[70:71]|
	v_cndmask_b32_e32 v1, v1, v71, vcc_lo
	v_cndmask_b32_e32 v0, v0, v70, vcc_lo
	v_cndmask_b32_e64 v60, v60, s0, vcc_lo
	s_add_i32 s0, s0, 1
	s_cmp_lg_u32 s2, s0
	s_cbranch_scc1 .LBB52_422
.LBB52_423:
	s_mov_b32 s0, exec_lo
	s_waitcnt lgkmcnt(0)
	v_cmpx_eq_f64_e32 0, v[0:1]
	s_xor_b32 s0, exec_lo, s0
; %bb.424:
	v_cmp_ne_u32_e32 vcc_lo, 0, v68
	v_cndmask_b32_e32 v68, 26, v68, vcc_lo
; %bb.425:
	s_andn2_saveexec_b32 s0, s0
	s_cbranch_execz .LBB52_427
; %bb.426:
	v_div_scale_f64 v[61:62], null, v[0:1], v[0:1], 1.0
	v_rcp_f64_e32 v[70:71], v[61:62]
	v_fma_f64 v[72:73], -v[61:62], v[70:71], 1.0
	v_fma_f64 v[70:71], v[70:71], v[72:73], v[70:71]
	v_fma_f64 v[72:73], -v[61:62], v[70:71], 1.0
	v_fma_f64 v[70:71], v[70:71], v[72:73], v[70:71]
	v_div_scale_f64 v[72:73], vcc_lo, 1.0, v[0:1], 1.0
	v_mul_f64 v[74:75], v[72:73], v[70:71]
	v_fma_f64 v[61:62], -v[61:62], v[74:75], v[72:73]
	v_div_fmas_f64 v[61:62], v[61:62], v[70:71], v[74:75]
	v_div_fixup_f64 v[0:1], v[61:62], v[0:1], 1.0
.LBB52_427:
	s_or_b32 exec_lo, exec_lo, s0
	s_mov_b32 s0, exec_lo
	v_cmpx_ne_u32_e64 v69, v60
	s_xor_b32 s0, exec_lo, s0
	s_cbranch_execz .LBB52_433
; %bb.428:
	s_mov_b32 s1, exec_lo
	v_cmpx_eq_u32_e32 25, v69
	s_cbranch_execz .LBB52_432
; %bb.429:
	v_cmp_ne_u32_e32 vcc_lo, 25, v60
	s_xor_b32 s3, s6, -1
	s_and_b32 s7, s3, vcc_lo
	s_and_saveexec_b32 s3, s7
	s_cbranch_execz .LBB52_431
; %bb.430:
	v_ashrrev_i32_e32 v61, 31, v60
	v_lshlrev_b64 v[61:62], 2, v[60:61]
	v_add_co_u32 v61, vcc_lo, v4, v61
	v_add_co_ci_u32_e64 v62, null, v5, v62, vcc_lo
	s_clause 0x1
	global_load_dword v63, v[61:62], off
	global_load_dword v69, v[4:5], off offset:100
	s_waitcnt vmcnt(1)
	global_store_dword v[4:5], v63, off offset:100
	s_waitcnt vmcnt(0)
	global_store_dword v[61:62], v69, off
.LBB52_431:
	s_or_b32 exec_lo, exec_lo, s3
	v_mov_b32_e32 v63, v60
	v_mov_b32_e32 v69, v60
.LBB52_432:
	s_or_b32 exec_lo, exec_lo, s1
.LBB52_433:
	s_andn2_saveexec_b32 s0, s0
; %bb.434:
	v_mov_b32_e32 v69, 25
	ds_write_b64 v66, v[58:59] offset:208
; %bb.435:
	s_or_b32 exec_lo, exec_lo, s0
	s_mov_b32 s0, exec_lo
	s_waitcnt lgkmcnt(0)
	s_waitcnt_vscnt null, 0x0
	s_barrier
	buffer_gl0_inv
	v_cmpx_lt_i32_e32 25, v69
	s_cbranch_execz .LBB52_437
; %bb.436:
	v_mul_f64 v[6:7], v[0:1], v[6:7]
	ds_read_b64 v[0:1], v66 offset:208
	s_waitcnt lgkmcnt(0)
	v_fma_f64 v[58:59], -v[6:7], v[0:1], v[58:59]
.LBB52_437:
	s_or_b32 exec_lo, exec_lo, s0
	v_lshl_add_u32 v0, v69, 3, v66
	s_barrier
	buffer_gl0_inv
	v_mov_b32_e32 v60, 26
	ds_write_b64 v0, v[58:59]
	s_waitcnt lgkmcnt(0)
	s_barrier
	buffer_gl0_inv
	ds_read_b64 v[0:1], v66 offset:208
	s_cmp_lt_i32 s2, 28
	s_cbranch_scc1 .LBB52_440
; %bb.438:
	v_add3_u32 v61, v67, 0, 0xd8
	v_mov_b32_e32 v60, 26
	s_mov_b32 s0, 27
.LBB52_439:                             ; =>This Inner Loop Header: Depth=1
	ds_read_b64 v[66:67], v61
	v_add_nc_u32_e32 v61, 8, v61
	s_waitcnt lgkmcnt(0)
	v_cmp_lt_f64_e64 vcc_lo, |v[0:1]|, |v[66:67]|
	v_cndmask_b32_e32 v1, v1, v67, vcc_lo
	v_cndmask_b32_e32 v0, v0, v66, vcc_lo
	v_cndmask_b32_e64 v60, v60, s0, vcc_lo
	s_add_i32 s0, s0, 1
	s_cmp_lg_u32 s2, s0
	s_cbranch_scc1 .LBB52_439
.LBB52_440:
	s_mov_b32 s0, exec_lo
	s_waitcnt lgkmcnt(0)
	v_cmpx_eq_f64_e32 0, v[0:1]
	s_xor_b32 s0, exec_lo, s0
; %bb.441:
	v_cmp_ne_u32_e32 vcc_lo, 0, v68
	v_cndmask_b32_e32 v68, 27, v68, vcc_lo
; %bb.442:
	s_andn2_saveexec_b32 s0, s0
	s_cbranch_execz .LBB52_444
; %bb.443:
	v_div_scale_f64 v[61:62], null, v[0:1], v[0:1], 1.0
	v_rcp_f64_e32 v[66:67], v[61:62]
	v_fma_f64 v[70:71], -v[61:62], v[66:67], 1.0
	v_fma_f64 v[66:67], v[66:67], v[70:71], v[66:67]
	v_fma_f64 v[70:71], -v[61:62], v[66:67], 1.0
	v_fma_f64 v[66:67], v[66:67], v[70:71], v[66:67]
	v_div_scale_f64 v[70:71], vcc_lo, 1.0, v[0:1], 1.0
	v_mul_f64 v[72:73], v[70:71], v[66:67]
	v_fma_f64 v[61:62], -v[61:62], v[72:73], v[70:71]
	v_div_fmas_f64 v[61:62], v[61:62], v[66:67], v[72:73]
	v_div_fixup_f64 v[0:1], v[61:62], v[0:1], 1.0
.LBB52_444:
	s_or_b32 exec_lo, exec_lo, s0
	v_mov_b32_e32 v61, 26
	s_mov_b32 s0, exec_lo
	v_cmpx_ne_u32_e64 v69, v60
	s_cbranch_execz .LBB52_450
; %bb.445:
	s_mov_b32 s1, exec_lo
	v_cmpx_eq_u32_e32 26, v69
	s_cbranch_execz .LBB52_449
; %bb.446:
	v_cmp_ne_u32_e32 vcc_lo, 26, v60
	s_xor_b32 s2, s6, -1
	s_and_b32 s3, s2, vcc_lo
	s_and_saveexec_b32 s2, s3
	s_cbranch_execz .LBB52_448
; %bb.447:
	v_ashrrev_i32_e32 v61, 31, v60
	v_lshlrev_b64 v[61:62], 2, v[60:61]
	v_add_co_u32 v61, vcc_lo, v4, v61
	v_add_co_ci_u32_e64 v62, null, v5, v62, vcc_lo
	s_clause 0x1
	global_load_dword v63, v[61:62], off
	global_load_dword v66, v[4:5], off offset:104
	s_waitcnt vmcnt(1)
	global_store_dword v[4:5], v63, off offset:104
	s_waitcnt vmcnt(0)
	global_store_dword v[61:62], v66, off
.LBB52_448:
	s_or_b32 exec_lo, exec_lo, s2
	v_mov_b32_e32 v63, v60
	v_mov_b32_e32 v69, v60
.LBB52_449:
	s_or_b32 exec_lo, exec_lo, s1
	v_mov_b32_e32 v61, v69
.LBB52_450:
	s_or_b32 exec_lo, exec_lo, s0
	s_load_dwordx8 s[0:7], s[4:5], 0x28
	v_ashrrev_i32_e32 v62, 31, v61
	s_mov_b32 s9, exec_lo
	s_waitcnt lgkmcnt(0)
	s_waitcnt_vscnt null, 0x0
	s_barrier
	buffer_gl0_inv
	s_barrier
	buffer_gl0_inv
	v_cmpx_gt_i32_e32 27, v61
	s_cbranch_execz .LBB52_452
; %bb.451:
	v_mul_lo_u32 v60, s5, v2
	v_mul_lo_u32 v66, s4, v3
	v_mad_u64_u32 v[4:5], null, s4, v2, 0
	s_lshl_b64 s[2:3], s[2:3], 2
	v_add3_u32 v5, v5, v66, v60
	v_lshlrev_b64 v[4:5], 2, v[4:5]
	v_add_co_u32 v60, vcc_lo, s0, v4
	v_add_co_ci_u32_e64 v66, null, s1, v5, vcc_lo
	v_lshlrev_b64 v[4:5], 2, v[61:62]
	v_add_co_u32 v60, vcc_lo, v60, s2
	v_add_co_ci_u32_e64 v66, null, s3, v66, vcc_lo
	v_add_co_u32 v4, vcc_lo, v60, v4
	v_add_co_ci_u32_e64 v5, null, v66, v5, vcc_lo
	v_add3_u32 v60, v63, s13, 1
	global_store_dword v[4:5], v60, off
.LBB52_452:
	s_or_b32 exec_lo, exec_lo, s9
	s_mov_b32 s1, exec_lo
	v_cmpx_eq_u32_e32 0, v61
	s_cbranch_execz .LBB52_455
; %bb.453:
	v_lshlrev_b64 v[2:3], 2, v[2:3]
	v_cmp_ne_u32_e64 s0, 0, v68
	v_add_co_u32 v2, vcc_lo, s6, v2
	v_add_co_ci_u32_e64 v3, null, s7, v3, vcc_lo
	global_load_dword v4, v[2:3], off
	s_waitcnt vmcnt(0)
	v_cmp_eq_u32_e32 vcc_lo, 0, v4
	s_and_b32 s0, vcc_lo, s0
	s_and_b32 exec_lo, exec_lo, s0
	s_cbranch_execz .LBB52_455
; %bb.454:
	v_add_nc_u32_e32 v4, s13, v68
	global_store_dword v[2:3], v4, off
.LBB52_455:
	s_or_b32 exec_lo, exec_lo, s1
	v_mul_f64 v[0:1], v[0:1], v[58:59]
	v_add3_u32 v2, s8, s8, v61
	v_lshlrev_b64 v[4:5], 3, v[61:62]
	v_cmp_lt_i32_e32 vcc_lo, 26, v61
	v_add_nc_u32_e32 v60, s8, v2
	v_ashrrev_i32_e32 v3, 31, v2
	v_add_co_u32 v4, s0, v64, v4
	v_add_co_ci_u32_e64 v5, null, v65, v5, s0
	v_add_nc_u32_e32 v62, s8, v60
	v_ashrrev_i32_e32 v61, 31, v60
	v_add_co_u32 v66, s0, v4, s10
	v_add_co_ci_u32_e64 v67, null, s11, v5, s0
	v_ashrrev_i32_e32 v63, 31, v62
	v_lshlrev_b64 v[2:3], 3, v[2:3]
	flat_store_dwordx2 v[4:5], v[56:57]
	v_lshlrev_b64 v[4:5], 3, v[60:61]
	flat_store_dwordx2 v[66:67], v[54:55]
	v_lshlrev_b64 v[54:55], 3, v[62:63]
	v_cndmask_b32_e32 v1, v59, v1, vcc_lo
	v_cndmask_b32_e32 v0, v58, v0, vcc_lo
	v_add_co_u32 v2, vcc_lo, v64, v2
	v_add_nc_u32_e32 v56, s8, v62
	v_add_co_ci_u32_e64 v3, null, v65, v3, vcc_lo
	v_add_co_u32 v4, vcc_lo, v64, v4
	v_add_co_ci_u32_e64 v5, null, v65, v5, vcc_lo
	v_add_co_u32 v54, vcc_lo, v64, v54
	v_add_nc_u32_e32 v58, s8, v56
	v_add_co_ci_u32_e64 v55, null, v65, v55, vcc_lo
	v_ashrrev_i32_e32 v57, 31, v56
	flat_store_dwordx2 v[2:3], v[52:53]
	flat_store_dwordx2 v[4:5], v[48:49]
	flat_store_dwordx2 v[54:55], v[50:51]
	v_add_nc_u32_e32 v48, s8, v58
	v_ashrrev_i32_e32 v59, 31, v58
	v_lshlrev_b64 v[2:3], 3, v[56:57]
	v_add_nc_u32_e32 v50, s8, v48
	v_lshlrev_b64 v[4:5], 3, v[58:59]
	v_ashrrev_i32_e32 v49, 31, v48
	v_add_co_u32 v2, vcc_lo, v64, v2
	v_add_nc_u32_e32 v52, s8, v50
	v_add_co_ci_u32_e64 v3, null, v65, v3, vcc_lo
	v_add_co_u32 v4, vcc_lo, v64, v4
	v_ashrrev_i32_e32 v51, 31, v50
	v_add_co_ci_u32_e64 v5, null, v65, v5, vcc_lo
	v_ashrrev_i32_e32 v53, 31, v52
	v_lshlrev_b64 v[48:49], 3, v[48:49]
	flat_store_dwordx2 v[2:3], v[44:45]
	flat_store_dwordx2 v[4:5], v[46:47]
	v_lshlrev_b64 v[2:3], 3, v[50:51]
	v_add_nc_u32_e32 v46, s8, v52
	v_lshlrev_b64 v[44:45], 3, v[52:53]
	v_add_co_u32 v4, vcc_lo, v64, v48
	v_add_co_ci_u32_e64 v5, null, v65, v49, vcc_lo
	v_add_co_u32 v2, vcc_lo, v64, v2
	v_add_co_ci_u32_e64 v3, null, v65, v3, vcc_lo
	v_add_co_u32 v44, vcc_lo, v64, v44
	v_add_nc_u32_e32 v48, s8, v46
	v_add_co_ci_u32_e64 v45, null, v65, v45, vcc_lo
	v_ashrrev_i32_e32 v47, 31, v46
	flat_store_dwordx2 v[4:5], v[42:43]
	flat_store_dwordx2 v[2:3], v[40:41]
	flat_store_dwordx2 v[44:45], v[38:39]
	v_add_nc_u32_e32 v38, s8, v48
	v_ashrrev_i32_e32 v49, 31, v48
	v_lshlrev_b64 v[4:5], 3, v[46:47]
	v_add_nc_u32_e32 v40, s8, v38
	v_lshlrev_b64 v[2:3], 3, v[48:49]
	v_ashrrev_i32_e32 v39, 31, v38
	v_add_co_u32 v4, vcc_lo, v64, v4
	v_add_nc_u32_e32 v42, s8, v40
	v_add_co_ci_u32_e64 v5, null, v65, v5, vcc_lo
	v_add_co_u32 v2, vcc_lo, v64, v2
	v_ashrrev_i32_e32 v41, 31, v40
	v_add_co_ci_u32_e64 v3, null, v65, v3, vcc_lo
	v_ashrrev_i32_e32 v43, 31, v42
	v_lshlrev_b64 v[38:39], 3, v[38:39]
	flat_store_dwordx2 v[4:5], v[36:37]
	flat_store_dwordx2 v[2:3], v[34:35]
	v_lshlrev_b64 v[2:3], 3, v[40:41]
	v_add_nc_u32_e32 v36, s8, v42
	v_lshlrev_b64 v[34:35], 3, v[42:43]
	v_add_co_u32 v4, vcc_lo, v64, v38
	;; [unrolled: 30-line block ×3, first 2 shown]
	v_add_co_ci_u32_e64 v5, null, v65, v29, vcc_lo
	v_add_co_u32 v2, vcc_lo, v64, v2
	v_add_nc_u32_e32 v28, s8, v26
	v_add_co_ci_u32_e64 v3, null, v65, v3, vcc_lo
	v_add_co_u32 v24, vcc_lo, v64, v24
	v_ashrrev_i32_e32 v27, 31, v26
	v_add_co_ci_u32_e64 v25, null, v65, v25, vcc_lo
	v_ashrrev_i32_e32 v29, 31, v28
	flat_store_dwordx2 v[4:5], v[22:23]
	v_lshlrev_b64 v[4:5], 3, v[26:27]
	flat_store_dwordx2 v[2:3], v[20:21]
	flat_store_dwordx2 v[24:25], v[18:19]
	v_add_nc_u32_e32 v18, s8, v28
	v_lshlrev_b64 v[2:3], 3, v[28:29]
	v_add_co_u32 v4, vcc_lo, v64, v4
	v_add_nc_u32_e32 v20, s8, v18
	v_add_co_ci_u32_e64 v5, null, v65, v5, vcc_lo
	v_add_co_u32 v2, vcc_lo, v64, v2
	v_add_co_ci_u32_e64 v3, null, v65, v3, vcc_lo
	v_add_nc_u32_e32 v22, s8, v20
	v_ashrrev_i32_e32 v19, 31, v18
	flat_store_dwordx2 v[4:5], v[16:17]
	flat_store_dwordx2 v[2:3], v[14:15]
	v_ashrrev_i32_e32 v21, 31, v20
	v_add_nc_u32_e32 v14, s8, v22
	v_lshlrev_b64 v[4:5], 3, v[18:19]
	v_ashrrev_i32_e32 v23, 31, v22
	v_lshlrev_b64 v[2:3], 3, v[20:21]
	v_add_nc_u32_e32 v18, s8, v14
	v_ashrrev_i32_e32 v15, 31, v14
	v_lshlrev_b64 v[16:17], 3, v[22:23]
	v_add_co_u32 v4, vcc_lo, v64, v4
	v_ashrrev_i32_e32 v19, 31, v18
	v_lshlrev_b64 v[14:15], 3, v[14:15]
	v_add_co_ci_u32_e64 v5, null, v65, v5, vcc_lo
	v_add_co_u32 v2, vcc_lo, v64, v2
	v_lshlrev_b64 v[18:19], 3, v[18:19]
	v_add_co_ci_u32_e64 v3, null, v65, v3, vcc_lo
	v_add_co_u32 v16, vcc_lo, v64, v16
	v_add_co_ci_u32_e64 v17, null, v65, v17, vcc_lo
	v_add_co_u32 v14, vcc_lo, v64, v14
	;; [unrolled: 2-line block ×3, first 2 shown]
	v_add_co_ci_u32_e64 v19, null, v65, v19, vcc_lo
	flat_store_dwordx2 v[4:5], v[12:13]
	flat_store_dwordx2 v[2:3], v[8:9]
	;; [unrolled: 1-line block ×5, first 2 shown]
.LBB52_456:
	s_endpgm
	.section	.rodata,"a",@progbits
	.p2align	6, 0x0
	.amdhsa_kernel _ZN9rocsolver6v33100L18getf2_small_kernelILi27EdiiPKPdEEvT1_T3_lS5_lPS5_llPT2_S5_S5_S7_l
		.amdhsa_group_segment_fixed_size 0
		.amdhsa_private_segment_fixed_size 0
		.amdhsa_kernarg_size 352
		.amdhsa_user_sgpr_count 6
		.amdhsa_user_sgpr_private_segment_buffer 1
		.amdhsa_user_sgpr_dispatch_ptr 0
		.amdhsa_user_sgpr_queue_ptr 0
		.amdhsa_user_sgpr_kernarg_segment_ptr 1
		.amdhsa_user_sgpr_dispatch_id 0
		.amdhsa_user_sgpr_flat_scratch_init 0
		.amdhsa_user_sgpr_private_segment_size 0
		.amdhsa_wavefront_size32 1
		.amdhsa_uses_dynamic_stack 0
		.amdhsa_system_sgpr_private_segment_wavefront_offset 0
		.amdhsa_system_sgpr_workgroup_id_x 1
		.amdhsa_system_sgpr_workgroup_id_y 1
		.amdhsa_system_sgpr_workgroup_id_z 0
		.amdhsa_system_sgpr_workgroup_info 0
		.amdhsa_system_vgpr_workitem_id 1
		.amdhsa_next_free_vgpr 122
		.amdhsa_next_free_sgpr 14
		.amdhsa_reserve_vcc 1
		.amdhsa_reserve_flat_scratch 1
		.amdhsa_float_round_mode_32 0
		.amdhsa_float_round_mode_16_64 0
		.amdhsa_float_denorm_mode_32 3
		.amdhsa_float_denorm_mode_16_64 3
		.amdhsa_dx10_clamp 1
		.amdhsa_ieee_mode 1
		.amdhsa_fp16_overflow 0
		.amdhsa_workgroup_processor_mode 1
		.amdhsa_memory_ordered 1
		.amdhsa_forward_progress 1
		.amdhsa_shared_vgpr_count 0
		.amdhsa_exception_fp_ieee_invalid_op 0
		.amdhsa_exception_fp_denorm_src 0
		.amdhsa_exception_fp_ieee_div_zero 0
		.amdhsa_exception_fp_ieee_overflow 0
		.amdhsa_exception_fp_ieee_underflow 0
		.amdhsa_exception_fp_ieee_inexact 0
		.amdhsa_exception_int_div_zero 0
	.end_amdhsa_kernel
	.section	.text._ZN9rocsolver6v33100L18getf2_small_kernelILi27EdiiPKPdEEvT1_T3_lS5_lPS5_llPT2_S5_S5_S7_l,"axG",@progbits,_ZN9rocsolver6v33100L18getf2_small_kernelILi27EdiiPKPdEEvT1_T3_lS5_lPS5_llPT2_S5_S5_S7_l,comdat
.Lfunc_end52:
	.size	_ZN9rocsolver6v33100L18getf2_small_kernelILi27EdiiPKPdEEvT1_T3_lS5_lPS5_llPT2_S5_S5_S7_l, .Lfunc_end52-_ZN9rocsolver6v33100L18getf2_small_kernelILi27EdiiPKPdEEvT1_T3_lS5_lPS5_llPT2_S5_S5_S7_l
                                        ; -- End function
	.set _ZN9rocsolver6v33100L18getf2_small_kernelILi27EdiiPKPdEEvT1_T3_lS5_lPS5_llPT2_S5_S5_S7_l.num_vgpr, 122
	.set _ZN9rocsolver6v33100L18getf2_small_kernelILi27EdiiPKPdEEvT1_T3_lS5_lPS5_llPT2_S5_S5_S7_l.num_agpr, 0
	.set _ZN9rocsolver6v33100L18getf2_small_kernelILi27EdiiPKPdEEvT1_T3_lS5_lPS5_llPT2_S5_S5_S7_l.numbered_sgpr, 14
	.set _ZN9rocsolver6v33100L18getf2_small_kernelILi27EdiiPKPdEEvT1_T3_lS5_lPS5_llPT2_S5_S5_S7_l.num_named_barrier, 0
	.set _ZN9rocsolver6v33100L18getf2_small_kernelILi27EdiiPKPdEEvT1_T3_lS5_lPS5_llPT2_S5_S5_S7_l.private_seg_size, 0
	.set _ZN9rocsolver6v33100L18getf2_small_kernelILi27EdiiPKPdEEvT1_T3_lS5_lPS5_llPT2_S5_S5_S7_l.uses_vcc, 1
	.set _ZN9rocsolver6v33100L18getf2_small_kernelILi27EdiiPKPdEEvT1_T3_lS5_lPS5_llPT2_S5_S5_S7_l.uses_flat_scratch, 1
	.set _ZN9rocsolver6v33100L18getf2_small_kernelILi27EdiiPKPdEEvT1_T3_lS5_lPS5_llPT2_S5_S5_S7_l.has_dyn_sized_stack, 0
	.set _ZN9rocsolver6v33100L18getf2_small_kernelILi27EdiiPKPdEEvT1_T3_lS5_lPS5_llPT2_S5_S5_S7_l.has_recursion, 0
	.set _ZN9rocsolver6v33100L18getf2_small_kernelILi27EdiiPKPdEEvT1_T3_lS5_lPS5_llPT2_S5_S5_S7_l.has_indirect_call, 0
	.section	.AMDGPU.csdata,"",@progbits
; Kernel info:
; codeLenInByte = 22592
; TotalNumSgprs: 16
; NumVgprs: 122
; ScratchSize: 0
; MemoryBound: 0
; FloatMode: 240
; IeeeMode: 1
; LDSByteSize: 0 bytes/workgroup (compile time only)
; SGPRBlocks: 0
; VGPRBlocks: 15
; NumSGPRsForWavesPerEU: 16
; NumVGPRsForWavesPerEU: 122
; Occupancy: 8
; WaveLimiterHint : 1
; COMPUTE_PGM_RSRC2:SCRATCH_EN: 0
; COMPUTE_PGM_RSRC2:USER_SGPR: 6
; COMPUTE_PGM_RSRC2:TRAP_HANDLER: 0
; COMPUTE_PGM_RSRC2:TGID_X_EN: 1
; COMPUTE_PGM_RSRC2:TGID_Y_EN: 1
; COMPUTE_PGM_RSRC2:TGID_Z_EN: 0
; COMPUTE_PGM_RSRC2:TIDIG_COMP_CNT: 1
	.section	.text._ZN9rocsolver6v33100L23getf2_npvt_small_kernelILi27EdiiPKPdEEvT1_T3_lS5_lPT2_S5_S5_,"axG",@progbits,_ZN9rocsolver6v33100L23getf2_npvt_small_kernelILi27EdiiPKPdEEvT1_T3_lS5_lPT2_S5_S5_,comdat
	.globl	_ZN9rocsolver6v33100L23getf2_npvt_small_kernelILi27EdiiPKPdEEvT1_T3_lS5_lPT2_S5_S5_ ; -- Begin function _ZN9rocsolver6v33100L23getf2_npvt_small_kernelILi27EdiiPKPdEEvT1_T3_lS5_lPT2_S5_S5_
	.p2align	8
	.type	_ZN9rocsolver6v33100L23getf2_npvt_small_kernelILi27EdiiPKPdEEvT1_T3_lS5_lPT2_S5_S5_,@function
_ZN9rocsolver6v33100L23getf2_npvt_small_kernelILi27EdiiPKPdEEvT1_T3_lS5_lPT2_S5_S5_: ; @_ZN9rocsolver6v33100L23getf2_npvt_small_kernelILi27EdiiPKPdEEvT1_T3_lS5_lPT2_S5_S5_
; %bb.0:
	s_clause 0x1
	s_load_dword s0, s[4:5], 0x44
	s_load_dwordx2 s[8:9], s[4:5], 0x30
	s_waitcnt lgkmcnt(0)
	s_lshr_b32 s10, s0, 16
	s_mov_b32 s0, exec_lo
	v_mad_u64_u32 v[2:3], null, s7, s10, v[1:2]
	v_cmpx_gt_i32_e64 s8, v2
	s_cbranch_execz .LBB53_138
; %bb.1:
	s_clause 0x1
	s_load_dwordx4 s[0:3], s[4:5], 0x8
	s_load_dword s6, s[4:5], 0x18
	v_ashrrev_i32_e32 v3, 31, v2
	v_lshlrev_b32_e32 v58, 3, v0
	v_lshlrev_b32_e32 v112, 3, v1
	s_mulk_i32 s10, 0xd8
	v_mad_u32_u24 v164, 0xd8, v1, 0
	v_lshlrev_b64 v[4:5], 3, v[2:3]
	v_add3_u32 v1, 0, s10, v112
	s_waitcnt lgkmcnt(0)
	v_add_co_u32 v4, vcc_lo, s0, v4
	v_add_co_ci_u32_e64 v5, null, s1, v5, vcc_lo
	v_add3_u32 v6, s6, s6, v0
	s_lshl_b64 s[2:3], s[2:3], 3
	s_ashr_i32 s7, s6, 31
	global_load_dwordx2 v[4:5], v[4:5], off
	s_lshl_b64 s[0:1], s[6:7], 3
	v_add_nc_u32_e32 v8, s6, v6
	v_ashrrev_i32_e32 v7, 31, v6
	v_add_nc_u32_e32 v10, s6, v8
	v_ashrrev_i32_e32 v9, 31, v8
	v_lshlrev_b64 v[6:7], 3, v[6:7]
	v_add_nc_u32_e32 v12, s6, v10
	v_ashrrev_i32_e32 v11, 31, v10
	v_lshlrev_b64 v[8:9], 3, v[8:9]
	;; [unrolled: 3-line block ×22, first 2 shown]
	v_ashrrev_i32_e32 v53, 31, v52
	v_add_nc_u32_e32 v54, s6, v52
	v_lshlrev_b64 v[50:51], 3, v[50:51]
	v_lshlrev_b64 v[52:53], 3, v[52:53]
	v_ashrrev_i32_e32 v55, 31, v54
	v_lshlrev_b64 v[56:57], 3, v[54:55]
	s_waitcnt vmcnt(0)
	v_add_co_u32 v59, vcc_lo, v4, s2
	v_add_co_ci_u32_e64 v60, null, s3, v5, vcc_lo
	v_add_co_u32 v4, vcc_lo, v59, v6
	v_add_co_ci_u32_e64 v5, null, v60, v7, vcc_lo
	;; [unrolled: 2-line block ×28, first 2 shown]
	s_clause 0x1a
	flat_load_dwordx2 v[94:95], v[8:9]
	flat_load_dwordx2 v[78:79], v[10:11]
	;; [unrolled: 1-line block ×27, first 2 shown]
	v_cmp_ne_u32_e64 s1, 0, v0
	v_cmp_eq_u32_e64 s0, 0, v0
	s_and_saveexec_b32 s2, s0
	s_cbranch_execz .LBB53_4
; %bb.2:
	s_waitcnt vmcnt(6) lgkmcnt(6)
	ds_write_b64 v1, v[104:105]
	s_waitcnt vmcnt(4) lgkmcnt(5)
	ds_write2_b64 v164, v[108:109], v[110:111] offset0:1 offset1:2
	s_waitcnt vmcnt(3) lgkmcnt(5)
	ds_write2_b64 v164, v[106:107], v[94:95] offset0:3 offset1:4
	ds_write2_b64 v164, v[78:79], v[92:93] offset0:5 offset1:6
	;; [unrolled: 1-line block ×10, first 2 shown]
	s_waitcnt vmcnt(2) lgkmcnt(14)
	ds_write2_b64 v164, v[56:57], v[100:101] offset0:23 offset1:24
	s_waitcnt vmcnt(0) lgkmcnt(13)
	ds_write2_b64 v164, v[98:99], v[102:103] offset0:25 offset1:26
	ds_read_b64 v[112:113], v1
	s_waitcnt lgkmcnt(0)
	v_cmp_neq_f64_e32 vcc_lo, 0, v[112:113]
	s_and_b32 exec_lo, exec_lo, vcc_lo
	s_cbranch_execz .LBB53_4
; %bb.3:
	v_div_scale_f64 v[114:115], null, v[112:113], v[112:113], 1.0
	v_rcp_f64_e32 v[116:117], v[114:115]
	v_fma_f64 v[118:119], -v[114:115], v[116:117], 1.0
	v_fma_f64 v[116:117], v[116:117], v[118:119], v[116:117]
	v_fma_f64 v[118:119], -v[114:115], v[116:117], 1.0
	v_fma_f64 v[116:117], v[116:117], v[118:119], v[116:117]
	v_div_scale_f64 v[118:119], vcc_lo, 1.0, v[112:113], 1.0
	v_mul_f64 v[120:121], v[118:119], v[116:117]
	v_fma_f64 v[114:115], -v[114:115], v[120:121], v[118:119]
	v_div_fmas_f64 v[114:115], v[114:115], v[116:117], v[120:121]
	v_div_fixup_f64 v[112:113], v[114:115], v[112:113], 1.0
	ds_write_b64 v1, v[112:113]
.LBB53_4:
	s_or_b32 exec_lo, exec_lo, s2
	s_waitcnt vmcnt(0) lgkmcnt(0)
	s_barrier
	buffer_gl0_inv
	ds_read_b64 v[112:113], v1
	s_and_saveexec_b32 s2, s1
	s_cbranch_execz .LBB53_6
; %bb.5:
	s_waitcnt lgkmcnt(0)
	v_mul_f64 v[104:105], v[112:113], v[104:105]
	ds_read2_b64 v[114:117], v164 offset0:1 offset1:2
	ds_read2_b64 v[118:121], v164 offset0:3 offset1:4
	;; [unrolled: 1-line block ×13, first 2 shown]
	s_waitcnt lgkmcnt(12)
	v_fma_f64 v[108:109], -v[104:105], v[114:115], v[108:109]
	v_fma_f64 v[110:111], -v[104:105], v[116:117], v[110:111]
	s_waitcnt lgkmcnt(11)
	v_fma_f64 v[106:107], -v[104:105], v[118:119], v[106:107]
	v_fma_f64 v[94:95], -v[104:105], v[120:121], v[94:95]
	;; [unrolled: 3-line block ×13, first 2 shown]
.LBB53_6:
	s_or_b32 exec_lo, exec_lo, s2
	s_mov_b32 s1, exec_lo
	s_waitcnt lgkmcnt(0)
	s_barrier
	buffer_gl0_inv
	v_cmpx_eq_u32_e32 1, v0
	s_cbranch_execz .LBB53_9
; %bb.7:
	v_mov_b32_e32 v114, v110
	v_mov_b32_e32 v115, v111
	;; [unrolled: 1-line block ×8, first 2 shown]
	ds_write_b64 v1, v[108:109]
	ds_write2_b64 v164, v[114:115], v[116:117] offset0:2 offset1:3
	ds_write2_b64 v164, v[118:119], v[120:121] offset0:4 offset1:5
	v_mov_b32_e32 v114, v92
	v_mov_b32_e32 v115, v93
	;; [unrolled: 1-line block ×20, first 2 shown]
	ds_write2_b64 v164, v[114:115], v[116:117] offset0:6 offset1:7
	ds_write2_b64 v164, v[118:119], v[120:121] offset0:8 offset1:9
	;; [unrolled: 1-line block ×5, first 2 shown]
	v_mov_b32_e32 v114, v82
	v_mov_b32_e32 v115, v83
	;; [unrolled: 1-line block ×20, first 2 shown]
	ds_write2_b64 v164, v[114:115], v[116:117] offset0:16 offset1:17
	ds_write2_b64 v164, v[118:119], v[120:121] offset0:18 offset1:19
	;; [unrolled: 1-line block ×5, first 2 shown]
	ds_write_b64 v164, v[102:103] offset:208
	ds_read_b64 v[114:115], v1
	s_waitcnt lgkmcnt(0)
	v_cmp_neq_f64_e32 vcc_lo, 0, v[114:115]
	s_and_b32 exec_lo, exec_lo, vcc_lo
	s_cbranch_execz .LBB53_9
; %bb.8:
	v_div_scale_f64 v[116:117], null, v[114:115], v[114:115], 1.0
	v_rcp_f64_e32 v[118:119], v[116:117]
	v_fma_f64 v[120:121], -v[116:117], v[118:119], 1.0
	v_fma_f64 v[118:119], v[118:119], v[120:121], v[118:119]
	v_fma_f64 v[120:121], -v[116:117], v[118:119], 1.0
	v_fma_f64 v[118:119], v[118:119], v[120:121], v[118:119]
	v_div_scale_f64 v[120:121], vcc_lo, 1.0, v[114:115], 1.0
	v_mul_f64 v[122:123], v[120:121], v[118:119]
	v_fma_f64 v[116:117], -v[116:117], v[122:123], v[120:121]
	v_div_fmas_f64 v[116:117], v[116:117], v[118:119], v[122:123]
	v_div_fixup_f64 v[114:115], v[116:117], v[114:115], 1.0
	ds_write_b64 v1, v[114:115]
.LBB53_9:
	s_or_b32 exec_lo, exec_lo, s1
	s_waitcnt lgkmcnt(0)
	s_barrier
	buffer_gl0_inv
	ds_read_b64 v[114:115], v1
	s_mov_b32 s1, exec_lo
	v_cmpx_lt_u32_e32 1, v0
	s_cbranch_execz .LBB53_11
; %bb.10:
	s_waitcnt lgkmcnt(0)
	v_mul_f64 v[108:109], v[114:115], v[108:109]
	ds_read2_b64 v[116:119], v164 offset0:2 offset1:3
	ds_read2_b64 v[120:123], v164 offset0:4 offset1:5
	;; [unrolled: 1-line block ×12, first 2 shown]
	ds_read_b64 v[165:166], v164 offset:208
	s_waitcnt lgkmcnt(12)
	v_fma_f64 v[110:111], -v[108:109], v[116:117], v[110:111]
	v_fma_f64 v[106:107], -v[108:109], v[118:119], v[106:107]
	s_waitcnt lgkmcnt(11)
	v_fma_f64 v[94:95], -v[108:109], v[120:121], v[94:95]
	v_fma_f64 v[78:79], -v[108:109], v[122:123], v[78:79]
	;; [unrolled: 3-line block ×12, first 2 shown]
	s_waitcnt lgkmcnt(0)
	v_fma_f64 v[102:103], -v[108:109], v[165:166], v[102:103]
.LBB53_11:
	s_or_b32 exec_lo, exec_lo, s1
	s_mov_b32 s1, exec_lo
	s_waitcnt lgkmcnt(0)
	s_barrier
	buffer_gl0_inv
	v_cmpx_eq_u32_e32 2, v0
	s_cbranch_execz .LBB53_14
; %bb.12:
	ds_write_b64 v1, v[110:111]
	ds_write2_b64 v164, v[106:107], v[94:95] offset0:3 offset1:4
	ds_write2_b64 v164, v[78:79], v[92:93] offset0:5 offset1:6
	;; [unrolled: 1-line block ×12, first 2 shown]
	ds_read_b64 v[116:117], v1
	s_waitcnt lgkmcnt(0)
	v_cmp_neq_f64_e32 vcc_lo, 0, v[116:117]
	s_and_b32 exec_lo, exec_lo, vcc_lo
	s_cbranch_execz .LBB53_14
; %bb.13:
	v_div_scale_f64 v[118:119], null, v[116:117], v[116:117], 1.0
	v_rcp_f64_e32 v[120:121], v[118:119]
	v_fma_f64 v[122:123], -v[118:119], v[120:121], 1.0
	v_fma_f64 v[120:121], v[120:121], v[122:123], v[120:121]
	v_fma_f64 v[122:123], -v[118:119], v[120:121], 1.0
	v_fma_f64 v[120:121], v[120:121], v[122:123], v[120:121]
	v_div_scale_f64 v[122:123], vcc_lo, 1.0, v[116:117], 1.0
	v_mul_f64 v[124:125], v[122:123], v[120:121]
	v_fma_f64 v[118:119], -v[118:119], v[124:125], v[122:123]
	v_div_fmas_f64 v[118:119], v[118:119], v[120:121], v[124:125]
	v_div_fixup_f64 v[116:117], v[118:119], v[116:117], 1.0
	ds_write_b64 v1, v[116:117]
.LBB53_14:
	s_or_b32 exec_lo, exec_lo, s1
	s_waitcnt lgkmcnt(0)
	s_barrier
	buffer_gl0_inv
	ds_read_b64 v[116:117], v1
	s_mov_b32 s1, exec_lo
	v_cmpx_lt_u32_e32 2, v0
	s_cbranch_execz .LBB53_16
; %bb.15:
	s_waitcnt lgkmcnt(0)
	v_mul_f64 v[110:111], v[116:117], v[110:111]
	ds_read2_b64 v[118:121], v164 offset0:3 offset1:4
	ds_read2_b64 v[122:125], v164 offset0:5 offset1:6
	;; [unrolled: 1-line block ×12, first 2 shown]
	s_waitcnt lgkmcnt(11)
	v_fma_f64 v[106:107], -v[110:111], v[118:119], v[106:107]
	v_fma_f64 v[94:95], -v[110:111], v[120:121], v[94:95]
	s_waitcnt lgkmcnt(10)
	v_fma_f64 v[78:79], -v[110:111], v[122:123], v[78:79]
	v_fma_f64 v[92:93], -v[110:111], v[124:125], v[92:93]
	;; [unrolled: 3-line block ×12, first 2 shown]
.LBB53_16:
	s_or_b32 exec_lo, exec_lo, s1
	s_mov_b32 s1, exec_lo
	s_waitcnt lgkmcnt(0)
	s_barrier
	buffer_gl0_inv
	v_cmpx_eq_u32_e32 3, v0
	s_cbranch_execz .LBB53_19
; %bb.17:
	v_mov_b32_e32 v118, v94
	v_mov_b32_e32 v119, v95
	;; [unrolled: 1-line block ×4, first 2 shown]
	ds_write_b64 v1, v[106:107]
	ds_write2_b64 v164, v[118:119], v[120:121] offset0:4 offset1:5
	v_mov_b32_e32 v118, v92
	v_mov_b32_e32 v119, v93
	;; [unrolled: 1-line block ×20, first 2 shown]
	ds_write2_b64 v164, v[118:119], v[120:121] offset0:6 offset1:7
	ds_write2_b64 v164, v[122:123], v[124:125] offset0:8 offset1:9
	;; [unrolled: 1-line block ×5, first 2 shown]
	v_mov_b32_e32 v118, v82
	v_mov_b32_e32 v119, v83
	;; [unrolled: 1-line block ×20, first 2 shown]
	ds_write2_b64 v164, v[118:119], v[120:121] offset0:16 offset1:17
	ds_write2_b64 v164, v[122:123], v[124:125] offset0:18 offset1:19
	;; [unrolled: 1-line block ×5, first 2 shown]
	ds_write_b64 v164, v[102:103] offset:208
	ds_read_b64 v[118:119], v1
	s_waitcnt lgkmcnt(0)
	v_cmp_neq_f64_e32 vcc_lo, 0, v[118:119]
	s_and_b32 exec_lo, exec_lo, vcc_lo
	s_cbranch_execz .LBB53_19
; %bb.18:
	v_div_scale_f64 v[120:121], null, v[118:119], v[118:119], 1.0
	v_rcp_f64_e32 v[122:123], v[120:121]
	v_fma_f64 v[124:125], -v[120:121], v[122:123], 1.0
	v_fma_f64 v[122:123], v[122:123], v[124:125], v[122:123]
	v_fma_f64 v[124:125], -v[120:121], v[122:123], 1.0
	v_fma_f64 v[122:123], v[122:123], v[124:125], v[122:123]
	v_div_scale_f64 v[124:125], vcc_lo, 1.0, v[118:119], 1.0
	v_mul_f64 v[126:127], v[124:125], v[122:123]
	v_fma_f64 v[120:121], -v[120:121], v[126:127], v[124:125]
	v_div_fmas_f64 v[120:121], v[120:121], v[122:123], v[126:127]
	v_div_fixup_f64 v[118:119], v[120:121], v[118:119], 1.0
	ds_write_b64 v1, v[118:119]
.LBB53_19:
	s_or_b32 exec_lo, exec_lo, s1
	s_waitcnt lgkmcnt(0)
	s_barrier
	buffer_gl0_inv
	ds_read_b64 v[118:119], v1
	s_mov_b32 s1, exec_lo
	v_cmpx_lt_u32_e32 3, v0
	s_cbranch_execz .LBB53_21
; %bb.20:
	s_waitcnt lgkmcnt(0)
	v_mul_f64 v[106:107], v[118:119], v[106:107]
	ds_read2_b64 v[120:123], v164 offset0:4 offset1:5
	ds_read2_b64 v[124:127], v164 offset0:6 offset1:7
	;; [unrolled: 1-line block ×11, first 2 shown]
	ds_read_b64 v[165:166], v164 offset:208
	s_waitcnt lgkmcnt(11)
	v_fma_f64 v[94:95], -v[106:107], v[120:121], v[94:95]
	v_fma_f64 v[78:79], -v[106:107], v[122:123], v[78:79]
	s_waitcnt lgkmcnt(10)
	v_fma_f64 v[92:93], -v[106:107], v[124:125], v[92:93]
	v_fma_f64 v[76:77], -v[106:107], v[126:127], v[76:77]
	;; [unrolled: 3-line block ×11, first 2 shown]
	s_waitcnt lgkmcnt(0)
	v_fma_f64 v[102:103], -v[106:107], v[165:166], v[102:103]
.LBB53_21:
	s_or_b32 exec_lo, exec_lo, s1
	s_mov_b32 s1, exec_lo
	s_waitcnt lgkmcnt(0)
	s_barrier
	buffer_gl0_inv
	v_cmpx_eq_u32_e32 4, v0
	s_cbranch_execz .LBB53_24
; %bb.22:
	ds_write_b64 v1, v[94:95]
	ds_write2_b64 v164, v[78:79], v[92:93] offset0:5 offset1:6
	ds_write2_b64 v164, v[76:77], v[90:91] offset0:7 offset1:8
	;; [unrolled: 1-line block ×11, first 2 shown]
	ds_read_b64 v[120:121], v1
	s_waitcnt lgkmcnt(0)
	v_cmp_neq_f64_e32 vcc_lo, 0, v[120:121]
	s_and_b32 exec_lo, exec_lo, vcc_lo
	s_cbranch_execz .LBB53_24
; %bb.23:
	v_div_scale_f64 v[122:123], null, v[120:121], v[120:121], 1.0
	v_rcp_f64_e32 v[124:125], v[122:123]
	v_fma_f64 v[126:127], -v[122:123], v[124:125], 1.0
	v_fma_f64 v[124:125], v[124:125], v[126:127], v[124:125]
	v_fma_f64 v[126:127], -v[122:123], v[124:125], 1.0
	v_fma_f64 v[124:125], v[124:125], v[126:127], v[124:125]
	v_div_scale_f64 v[126:127], vcc_lo, 1.0, v[120:121], 1.0
	v_mul_f64 v[128:129], v[126:127], v[124:125]
	v_fma_f64 v[122:123], -v[122:123], v[128:129], v[126:127]
	v_div_fmas_f64 v[122:123], v[122:123], v[124:125], v[128:129]
	v_div_fixup_f64 v[120:121], v[122:123], v[120:121], 1.0
	ds_write_b64 v1, v[120:121]
.LBB53_24:
	s_or_b32 exec_lo, exec_lo, s1
	s_waitcnt lgkmcnt(0)
	s_barrier
	buffer_gl0_inv
	ds_read_b64 v[120:121], v1
	s_mov_b32 s1, exec_lo
	v_cmpx_lt_u32_e32 4, v0
	s_cbranch_execz .LBB53_26
; %bb.25:
	s_waitcnt lgkmcnt(0)
	v_mul_f64 v[94:95], v[120:121], v[94:95]
	ds_read2_b64 v[122:125], v164 offset0:5 offset1:6
	ds_read2_b64 v[126:129], v164 offset0:7 offset1:8
	;; [unrolled: 1-line block ×11, first 2 shown]
	s_waitcnt lgkmcnt(10)
	v_fma_f64 v[78:79], -v[94:95], v[122:123], v[78:79]
	v_fma_f64 v[92:93], -v[94:95], v[124:125], v[92:93]
	s_waitcnt lgkmcnt(9)
	v_fma_f64 v[76:77], -v[94:95], v[126:127], v[76:77]
	v_fma_f64 v[90:91], -v[94:95], v[128:129], v[90:91]
	;; [unrolled: 3-line block ×11, first 2 shown]
.LBB53_26:
	s_or_b32 exec_lo, exec_lo, s1
	s_mov_b32 s1, exec_lo
	s_waitcnt lgkmcnt(0)
	s_barrier
	buffer_gl0_inv
	v_cmpx_eq_u32_e32 5, v0
	s_cbranch_execz .LBB53_29
; %bb.27:
	v_mov_b32_e32 v122, v92
	v_mov_b32_e32 v123, v93
	;; [unrolled: 1-line block ×20, first 2 shown]
	ds_write_b64 v1, v[78:79]
	ds_write2_b64 v164, v[122:123], v[124:125] offset0:6 offset1:7
	ds_write2_b64 v164, v[126:127], v[128:129] offset0:8 offset1:9
	;; [unrolled: 1-line block ×5, first 2 shown]
	v_mov_b32_e32 v122, v82
	v_mov_b32_e32 v123, v83
	;; [unrolled: 1-line block ×20, first 2 shown]
	ds_write2_b64 v164, v[122:123], v[124:125] offset0:16 offset1:17
	ds_write2_b64 v164, v[126:127], v[128:129] offset0:18 offset1:19
	ds_write2_b64 v164, v[130:131], v[132:133] offset0:20 offset1:21
	ds_write2_b64 v164, v[134:135], v[136:137] offset0:22 offset1:23
	ds_write2_b64 v164, v[138:139], v[140:141] offset0:24 offset1:25
	ds_write_b64 v164, v[102:103] offset:208
	ds_read_b64 v[122:123], v1
	s_waitcnt lgkmcnt(0)
	v_cmp_neq_f64_e32 vcc_lo, 0, v[122:123]
	s_and_b32 exec_lo, exec_lo, vcc_lo
	s_cbranch_execz .LBB53_29
; %bb.28:
	v_div_scale_f64 v[124:125], null, v[122:123], v[122:123], 1.0
	v_rcp_f64_e32 v[126:127], v[124:125]
	v_fma_f64 v[128:129], -v[124:125], v[126:127], 1.0
	v_fma_f64 v[126:127], v[126:127], v[128:129], v[126:127]
	v_fma_f64 v[128:129], -v[124:125], v[126:127], 1.0
	v_fma_f64 v[126:127], v[126:127], v[128:129], v[126:127]
	v_div_scale_f64 v[128:129], vcc_lo, 1.0, v[122:123], 1.0
	v_mul_f64 v[130:131], v[128:129], v[126:127]
	v_fma_f64 v[124:125], -v[124:125], v[130:131], v[128:129]
	v_div_fmas_f64 v[124:125], v[124:125], v[126:127], v[130:131]
	v_div_fixup_f64 v[122:123], v[124:125], v[122:123], 1.0
	ds_write_b64 v1, v[122:123]
.LBB53_29:
	s_or_b32 exec_lo, exec_lo, s1
	s_waitcnt lgkmcnt(0)
	s_barrier
	buffer_gl0_inv
	ds_read_b64 v[122:123], v1
	s_mov_b32 s1, exec_lo
	v_cmpx_lt_u32_e32 5, v0
	s_cbranch_execz .LBB53_31
; %bb.30:
	s_waitcnt lgkmcnt(0)
	v_mul_f64 v[78:79], v[122:123], v[78:79]
	ds_read2_b64 v[124:127], v164 offset0:6 offset1:7
	ds_read2_b64 v[128:131], v164 offset0:8 offset1:9
	ds_read2_b64 v[132:135], v164 offset0:10 offset1:11
	ds_read2_b64 v[136:139], v164 offset0:12 offset1:13
	ds_read2_b64 v[140:143], v164 offset0:14 offset1:15
	ds_read2_b64 v[144:147], v164 offset0:16 offset1:17
	ds_read2_b64 v[148:151], v164 offset0:18 offset1:19
	ds_read2_b64 v[152:155], v164 offset0:20 offset1:21
	ds_read2_b64 v[156:159], v164 offset0:22 offset1:23
	ds_read2_b64 v[160:163], v164 offset0:24 offset1:25
	ds_read_b64 v[165:166], v164 offset:208
	s_waitcnt lgkmcnt(10)
	v_fma_f64 v[92:93], -v[78:79], v[124:125], v[92:93]
	v_fma_f64 v[76:77], -v[78:79], v[126:127], v[76:77]
	s_waitcnt lgkmcnt(9)
	v_fma_f64 v[90:91], -v[78:79], v[128:129], v[90:91]
	v_fma_f64 v[74:75], -v[78:79], v[130:131], v[74:75]
	;; [unrolled: 3-line block ×10, first 2 shown]
	s_waitcnt lgkmcnt(0)
	v_fma_f64 v[102:103], -v[78:79], v[165:166], v[102:103]
.LBB53_31:
	s_or_b32 exec_lo, exec_lo, s1
	s_mov_b32 s1, exec_lo
	s_waitcnt lgkmcnt(0)
	s_barrier
	buffer_gl0_inv
	v_cmpx_eq_u32_e32 6, v0
	s_cbranch_execz .LBB53_34
; %bb.32:
	ds_write_b64 v1, v[92:93]
	ds_write2_b64 v164, v[76:77], v[90:91] offset0:7 offset1:8
	ds_write2_b64 v164, v[74:75], v[88:89] offset0:9 offset1:10
	;; [unrolled: 1-line block ×10, first 2 shown]
	ds_read_b64 v[124:125], v1
	s_waitcnt lgkmcnt(0)
	v_cmp_neq_f64_e32 vcc_lo, 0, v[124:125]
	s_and_b32 exec_lo, exec_lo, vcc_lo
	s_cbranch_execz .LBB53_34
; %bb.33:
	v_div_scale_f64 v[126:127], null, v[124:125], v[124:125], 1.0
	v_rcp_f64_e32 v[128:129], v[126:127]
	v_fma_f64 v[130:131], -v[126:127], v[128:129], 1.0
	v_fma_f64 v[128:129], v[128:129], v[130:131], v[128:129]
	v_fma_f64 v[130:131], -v[126:127], v[128:129], 1.0
	v_fma_f64 v[128:129], v[128:129], v[130:131], v[128:129]
	v_div_scale_f64 v[130:131], vcc_lo, 1.0, v[124:125], 1.0
	v_mul_f64 v[132:133], v[130:131], v[128:129]
	v_fma_f64 v[126:127], -v[126:127], v[132:133], v[130:131]
	v_div_fmas_f64 v[126:127], v[126:127], v[128:129], v[132:133]
	v_div_fixup_f64 v[124:125], v[126:127], v[124:125], 1.0
	ds_write_b64 v1, v[124:125]
.LBB53_34:
	s_or_b32 exec_lo, exec_lo, s1
	s_waitcnt lgkmcnt(0)
	s_barrier
	buffer_gl0_inv
	ds_read_b64 v[124:125], v1
	s_mov_b32 s1, exec_lo
	v_cmpx_lt_u32_e32 6, v0
	s_cbranch_execz .LBB53_36
; %bb.35:
	s_waitcnt lgkmcnt(0)
	v_mul_f64 v[92:93], v[124:125], v[92:93]
	ds_read2_b64 v[126:129], v164 offset0:7 offset1:8
	ds_read2_b64 v[130:133], v164 offset0:9 offset1:10
	;; [unrolled: 1-line block ×10, first 2 shown]
	s_waitcnt lgkmcnt(9)
	v_fma_f64 v[76:77], -v[92:93], v[126:127], v[76:77]
	v_fma_f64 v[90:91], -v[92:93], v[128:129], v[90:91]
	s_waitcnt lgkmcnt(8)
	v_fma_f64 v[74:75], -v[92:93], v[130:131], v[74:75]
	v_fma_f64 v[88:89], -v[92:93], v[132:133], v[88:89]
	;; [unrolled: 3-line block ×10, first 2 shown]
.LBB53_36:
	s_or_b32 exec_lo, exec_lo, s1
	s_mov_b32 s1, exec_lo
	s_waitcnt lgkmcnt(0)
	s_barrier
	buffer_gl0_inv
	v_cmpx_eq_u32_e32 7, v0
	s_cbranch_execz .LBB53_39
; %bb.37:
	v_mov_b32_e32 v126, v90
	v_mov_b32_e32 v127, v91
	;; [unrolled: 1-line block ×16, first 2 shown]
	ds_write_b64 v1, v[76:77]
	ds_write2_b64 v164, v[126:127], v[128:129] offset0:8 offset1:9
	ds_write2_b64 v164, v[130:131], v[132:133] offset0:10 offset1:11
	;; [unrolled: 1-line block ×4, first 2 shown]
	v_mov_b32_e32 v126, v82
	v_mov_b32_e32 v127, v83
	v_mov_b32_e32 v128, v66
	v_mov_b32_e32 v129, v67
	v_mov_b32_e32 v130, v80
	v_mov_b32_e32 v131, v81
	v_mov_b32_e32 v132, v60
	v_mov_b32_e32 v133, v61
	v_mov_b32_e32 v134, v64
	v_mov_b32_e32 v135, v65
	v_mov_b32_e32 v136, v58
	v_mov_b32_e32 v137, v59
	v_mov_b32_e32 v138, v62
	v_mov_b32_e32 v139, v63
	v_mov_b32_e32 v140, v56
	v_mov_b32_e32 v141, v57
	v_mov_b32_e32 v142, v100
	v_mov_b32_e32 v143, v101
	v_mov_b32_e32 v144, v98
	v_mov_b32_e32 v145, v99
	ds_write2_b64 v164, v[126:127], v[128:129] offset0:16 offset1:17
	ds_write2_b64 v164, v[130:131], v[132:133] offset0:18 offset1:19
	;; [unrolled: 1-line block ×5, first 2 shown]
	ds_write_b64 v164, v[102:103] offset:208
	ds_read_b64 v[126:127], v1
	s_waitcnt lgkmcnt(0)
	v_cmp_neq_f64_e32 vcc_lo, 0, v[126:127]
	s_and_b32 exec_lo, exec_lo, vcc_lo
	s_cbranch_execz .LBB53_39
; %bb.38:
	v_div_scale_f64 v[128:129], null, v[126:127], v[126:127], 1.0
	v_rcp_f64_e32 v[130:131], v[128:129]
	v_fma_f64 v[132:133], -v[128:129], v[130:131], 1.0
	v_fma_f64 v[130:131], v[130:131], v[132:133], v[130:131]
	v_fma_f64 v[132:133], -v[128:129], v[130:131], 1.0
	v_fma_f64 v[130:131], v[130:131], v[132:133], v[130:131]
	v_div_scale_f64 v[132:133], vcc_lo, 1.0, v[126:127], 1.0
	v_mul_f64 v[134:135], v[132:133], v[130:131]
	v_fma_f64 v[128:129], -v[128:129], v[134:135], v[132:133]
	v_div_fmas_f64 v[128:129], v[128:129], v[130:131], v[134:135]
	v_div_fixup_f64 v[126:127], v[128:129], v[126:127], 1.0
	ds_write_b64 v1, v[126:127]
.LBB53_39:
	s_or_b32 exec_lo, exec_lo, s1
	s_waitcnt lgkmcnt(0)
	s_barrier
	buffer_gl0_inv
	ds_read_b64 v[126:127], v1
	s_mov_b32 s1, exec_lo
	v_cmpx_lt_u32_e32 7, v0
	s_cbranch_execz .LBB53_41
; %bb.40:
	s_waitcnt lgkmcnt(0)
	v_mul_f64 v[76:77], v[126:127], v[76:77]
	ds_read2_b64 v[128:131], v164 offset0:8 offset1:9
	ds_read2_b64 v[132:135], v164 offset0:10 offset1:11
	;; [unrolled: 1-line block ×9, first 2 shown]
	ds_read_b64 v[165:166], v164 offset:208
	s_waitcnt lgkmcnt(9)
	v_fma_f64 v[90:91], -v[76:77], v[128:129], v[90:91]
	v_fma_f64 v[74:75], -v[76:77], v[130:131], v[74:75]
	s_waitcnt lgkmcnt(8)
	v_fma_f64 v[88:89], -v[76:77], v[132:133], v[88:89]
	v_fma_f64 v[72:73], -v[76:77], v[134:135], v[72:73]
	;; [unrolled: 3-line block ×9, first 2 shown]
	s_waitcnt lgkmcnt(0)
	v_fma_f64 v[102:103], -v[76:77], v[165:166], v[102:103]
.LBB53_41:
	s_or_b32 exec_lo, exec_lo, s1
	s_mov_b32 s1, exec_lo
	s_waitcnt lgkmcnt(0)
	s_barrier
	buffer_gl0_inv
	v_cmpx_eq_u32_e32 8, v0
	s_cbranch_execz .LBB53_44
; %bb.42:
	ds_write_b64 v1, v[90:91]
	ds_write2_b64 v164, v[74:75], v[88:89] offset0:9 offset1:10
	ds_write2_b64 v164, v[72:73], v[86:87] offset0:11 offset1:12
	;; [unrolled: 1-line block ×9, first 2 shown]
	ds_read_b64 v[128:129], v1
	s_waitcnt lgkmcnt(0)
	v_cmp_neq_f64_e32 vcc_lo, 0, v[128:129]
	s_and_b32 exec_lo, exec_lo, vcc_lo
	s_cbranch_execz .LBB53_44
; %bb.43:
	v_div_scale_f64 v[130:131], null, v[128:129], v[128:129], 1.0
	v_rcp_f64_e32 v[132:133], v[130:131]
	v_fma_f64 v[134:135], -v[130:131], v[132:133], 1.0
	v_fma_f64 v[132:133], v[132:133], v[134:135], v[132:133]
	v_fma_f64 v[134:135], -v[130:131], v[132:133], 1.0
	v_fma_f64 v[132:133], v[132:133], v[134:135], v[132:133]
	v_div_scale_f64 v[134:135], vcc_lo, 1.0, v[128:129], 1.0
	v_mul_f64 v[136:137], v[134:135], v[132:133]
	v_fma_f64 v[130:131], -v[130:131], v[136:137], v[134:135]
	v_div_fmas_f64 v[130:131], v[130:131], v[132:133], v[136:137]
	v_div_fixup_f64 v[128:129], v[130:131], v[128:129], 1.0
	ds_write_b64 v1, v[128:129]
.LBB53_44:
	s_or_b32 exec_lo, exec_lo, s1
	s_waitcnt lgkmcnt(0)
	s_barrier
	buffer_gl0_inv
	ds_read_b64 v[128:129], v1
	s_mov_b32 s1, exec_lo
	v_cmpx_lt_u32_e32 8, v0
	s_cbranch_execz .LBB53_46
; %bb.45:
	s_waitcnt lgkmcnt(0)
	v_mul_f64 v[90:91], v[128:129], v[90:91]
	ds_read2_b64 v[130:133], v164 offset0:9 offset1:10
	ds_read2_b64 v[134:137], v164 offset0:11 offset1:12
	;; [unrolled: 1-line block ×9, first 2 shown]
	s_waitcnt lgkmcnt(8)
	v_fma_f64 v[74:75], -v[90:91], v[130:131], v[74:75]
	v_fma_f64 v[88:89], -v[90:91], v[132:133], v[88:89]
	s_waitcnt lgkmcnt(7)
	v_fma_f64 v[72:73], -v[90:91], v[134:135], v[72:73]
	v_fma_f64 v[86:87], -v[90:91], v[136:137], v[86:87]
	;; [unrolled: 3-line block ×9, first 2 shown]
.LBB53_46:
	s_or_b32 exec_lo, exec_lo, s1
	s_mov_b32 s1, exec_lo
	s_waitcnt lgkmcnt(0)
	s_barrier
	buffer_gl0_inv
	v_cmpx_eq_u32_e32 9, v0
	s_cbranch_execz .LBB53_49
; %bb.47:
	v_mov_b32_e32 v130, v88
	v_mov_b32_e32 v131, v89
	;; [unrolled: 1-line block ×12, first 2 shown]
	ds_write_b64 v1, v[74:75]
	ds_write2_b64 v164, v[130:131], v[132:133] offset0:10 offset1:11
	ds_write2_b64 v164, v[134:135], v[136:137] offset0:12 offset1:13
	;; [unrolled: 1-line block ×3, first 2 shown]
	v_mov_b32_e32 v130, v82
	v_mov_b32_e32 v131, v83
	;; [unrolled: 1-line block ×20, first 2 shown]
	ds_write2_b64 v164, v[130:131], v[132:133] offset0:16 offset1:17
	ds_write2_b64 v164, v[134:135], v[136:137] offset0:18 offset1:19
	ds_write2_b64 v164, v[138:139], v[140:141] offset0:20 offset1:21
	ds_write2_b64 v164, v[142:143], v[144:145] offset0:22 offset1:23
	ds_write2_b64 v164, v[146:147], v[148:149] offset0:24 offset1:25
	ds_write_b64 v164, v[102:103] offset:208
	ds_read_b64 v[130:131], v1
	s_waitcnt lgkmcnt(0)
	v_cmp_neq_f64_e32 vcc_lo, 0, v[130:131]
	s_and_b32 exec_lo, exec_lo, vcc_lo
	s_cbranch_execz .LBB53_49
; %bb.48:
	v_div_scale_f64 v[132:133], null, v[130:131], v[130:131], 1.0
	v_rcp_f64_e32 v[134:135], v[132:133]
	v_fma_f64 v[136:137], -v[132:133], v[134:135], 1.0
	v_fma_f64 v[134:135], v[134:135], v[136:137], v[134:135]
	v_fma_f64 v[136:137], -v[132:133], v[134:135], 1.0
	v_fma_f64 v[134:135], v[134:135], v[136:137], v[134:135]
	v_div_scale_f64 v[136:137], vcc_lo, 1.0, v[130:131], 1.0
	v_mul_f64 v[138:139], v[136:137], v[134:135]
	v_fma_f64 v[132:133], -v[132:133], v[138:139], v[136:137]
	v_div_fmas_f64 v[132:133], v[132:133], v[134:135], v[138:139]
	v_div_fixup_f64 v[130:131], v[132:133], v[130:131], 1.0
	ds_write_b64 v1, v[130:131]
.LBB53_49:
	s_or_b32 exec_lo, exec_lo, s1
	s_waitcnt lgkmcnt(0)
	s_barrier
	buffer_gl0_inv
	ds_read_b64 v[130:131], v1
	s_mov_b32 s1, exec_lo
	v_cmpx_lt_u32_e32 9, v0
	s_cbranch_execz .LBB53_51
; %bb.50:
	s_waitcnt lgkmcnt(0)
	v_mul_f64 v[74:75], v[130:131], v[74:75]
	ds_read2_b64 v[132:135], v164 offset0:10 offset1:11
	ds_read2_b64 v[136:139], v164 offset0:12 offset1:13
	;; [unrolled: 1-line block ×8, first 2 shown]
	ds_read_b64 v[165:166], v164 offset:208
	s_waitcnt lgkmcnt(8)
	v_fma_f64 v[88:89], -v[74:75], v[132:133], v[88:89]
	v_fma_f64 v[72:73], -v[74:75], v[134:135], v[72:73]
	s_waitcnt lgkmcnt(7)
	v_fma_f64 v[86:87], -v[74:75], v[136:137], v[86:87]
	v_fma_f64 v[70:71], -v[74:75], v[138:139], v[70:71]
	;; [unrolled: 3-line block ×8, first 2 shown]
	s_waitcnt lgkmcnt(0)
	v_fma_f64 v[102:103], -v[74:75], v[165:166], v[102:103]
.LBB53_51:
	s_or_b32 exec_lo, exec_lo, s1
	s_mov_b32 s1, exec_lo
	s_waitcnt lgkmcnt(0)
	s_barrier
	buffer_gl0_inv
	v_cmpx_eq_u32_e32 10, v0
	s_cbranch_execz .LBB53_54
; %bb.52:
	ds_write_b64 v1, v[88:89]
	ds_write2_b64 v164, v[72:73], v[86:87] offset0:11 offset1:12
	ds_write2_b64 v164, v[70:71], v[84:85] offset0:13 offset1:14
	;; [unrolled: 1-line block ×8, first 2 shown]
	ds_read_b64 v[132:133], v1
	s_waitcnt lgkmcnt(0)
	v_cmp_neq_f64_e32 vcc_lo, 0, v[132:133]
	s_and_b32 exec_lo, exec_lo, vcc_lo
	s_cbranch_execz .LBB53_54
; %bb.53:
	v_div_scale_f64 v[134:135], null, v[132:133], v[132:133], 1.0
	v_rcp_f64_e32 v[136:137], v[134:135]
	v_fma_f64 v[138:139], -v[134:135], v[136:137], 1.0
	v_fma_f64 v[136:137], v[136:137], v[138:139], v[136:137]
	v_fma_f64 v[138:139], -v[134:135], v[136:137], 1.0
	v_fma_f64 v[136:137], v[136:137], v[138:139], v[136:137]
	v_div_scale_f64 v[138:139], vcc_lo, 1.0, v[132:133], 1.0
	v_mul_f64 v[140:141], v[138:139], v[136:137]
	v_fma_f64 v[134:135], -v[134:135], v[140:141], v[138:139]
	v_div_fmas_f64 v[134:135], v[134:135], v[136:137], v[140:141]
	v_div_fixup_f64 v[132:133], v[134:135], v[132:133], 1.0
	ds_write_b64 v1, v[132:133]
.LBB53_54:
	s_or_b32 exec_lo, exec_lo, s1
	s_waitcnt lgkmcnt(0)
	s_barrier
	buffer_gl0_inv
	ds_read_b64 v[132:133], v1
	s_mov_b32 s1, exec_lo
	v_cmpx_lt_u32_e32 10, v0
	s_cbranch_execz .LBB53_56
; %bb.55:
	s_waitcnt lgkmcnt(0)
	v_mul_f64 v[88:89], v[132:133], v[88:89]
	ds_read2_b64 v[134:137], v164 offset0:11 offset1:12
	ds_read2_b64 v[138:141], v164 offset0:13 offset1:14
	;; [unrolled: 1-line block ×8, first 2 shown]
	s_waitcnt lgkmcnt(7)
	v_fma_f64 v[72:73], -v[88:89], v[134:135], v[72:73]
	v_fma_f64 v[86:87], -v[88:89], v[136:137], v[86:87]
	s_waitcnt lgkmcnt(6)
	v_fma_f64 v[70:71], -v[88:89], v[138:139], v[70:71]
	v_fma_f64 v[84:85], -v[88:89], v[140:141], v[84:85]
	;; [unrolled: 3-line block ×8, first 2 shown]
.LBB53_56:
	s_or_b32 exec_lo, exec_lo, s1
	s_mov_b32 s1, exec_lo
	s_waitcnt lgkmcnt(0)
	s_barrier
	buffer_gl0_inv
	v_cmpx_eq_u32_e32 11, v0
	s_cbranch_execz .LBB53_59
; %bb.57:
	v_mov_b32_e32 v134, v86
	v_mov_b32_e32 v135, v87
	;; [unrolled: 1-line block ×8, first 2 shown]
	ds_write_b64 v1, v[72:73]
	ds_write2_b64 v164, v[134:135], v[136:137] offset0:12 offset1:13
	ds_write2_b64 v164, v[138:139], v[140:141] offset0:14 offset1:15
	v_mov_b32_e32 v134, v82
	v_mov_b32_e32 v135, v83
	;; [unrolled: 1-line block ×20, first 2 shown]
	ds_write2_b64 v164, v[134:135], v[136:137] offset0:16 offset1:17
	ds_write2_b64 v164, v[138:139], v[140:141] offset0:18 offset1:19
	;; [unrolled: 1-line block ×5, first 2 shown]
	ds_write_b64 v164, v[102:103] offset:208
	ds_read_b64 v[134:135], v1
	s_waitcnt lgkmcnt(0)
	v_cmp_neq_f64_e32 vcc_lo, 0, v[134:135]
	s_and_b32 exec_lo, exec_lo, vcc_lo
	s_cbranch_execz .LBB53_59
; %bb.58:
	v_div_scale_f64 v[136:137], null, v[134:135], v[134:135], 1.0
	v_rcp_f64_e32 v[138:139], v[136:137]
	v_fma_f64 v[140:141], -v[136:137], v[138:139], 1.0
	v_fma_f64 v[138:139], v[138:139], v[140:141], v[138:139]
	v_fma_f64 v[140:141], -v[136:137], v[138:139], 1.0
	v_fma_f64 v[138:139], v[138:139], v[140:141], v[138:139]
	v_div_scale_f64 v[140:141], vcc_lo, 1.0, v[134:135], 1.0
	v_mul_f64 v[142:143], v[140:141], v[138:139]
	v_fma_f64 v[136:137], -v[136:137], v[142:143], v[140:141]
	v_div_fmas_f64 v[136:137], v[136:137], v[138:139], v[142:143]
	v_div_fixup_f64 v[134:135], v[136:137], v[134:135], 1.0
	ds_write_b64 v1, v[134:135]
.LBB53_59:
	s_or_b32 exec_lo, exec_lo, s1
	s_waitcnt lgkmcnt(0)
	s_barrier
	buffer_gl0_inv
	ds_read_b64 v[134:135], v1
	s_mov_b32 s1, exec_lo
	v_cmpx_lt_u32_e32 11, v0
	s_cbranch_execz .LBB53_61
; %bb.60:
	s_waitcnt lgkmcnt(0)
	v_mul_f64 v[72:73], v[134:135], v[72:73]
	ds_read2_b64 v[136:139], v164 offset0:12 offset1:13
	ds_read2_b64 v[140:143], v164 offset0:14 offset1:15
	;; [unrolled: 1-line block ×7, first 2 shown]
	ds_read_b64 v[165:166], v164 offset:208
	s_waitcnt lgkmcnt(7)
	v_fma_f64 v[86:87], -v[72:73], v[136:137], v[86:87]
	v_fma_f64 v[70:71], -v[72:73], v[138:139], v[70:71]
	s_waitcnt lgkmcnt(6)
	v_fma_f64 v[84:85], -v[72:73], v[140:141], v[84:85]
	v_fma_f64 v[68:69], -v[72:73], v[142:143], v[68:69]
	;; [unrolled: 3-line block ×7, first 2 shown]
	s_waitcnt lgkmcnt(0)
	v_fma_f64 v[102:103], -v[72:73], v[165:166], v[102:103]
.LBB53_61:
	s_or_b32 exec_lo, exec_lo, s1
	s_mov_b32 s1, exec_lo
	s_waitcnt lgkmcnt(0)
	s_barrier
	buffer_gl0_inv
	v_cmpx_eq_u32_e32 12, v0
	s_cbranch_execz .LBB53_64
; %bb.62:
	ds_write_b64 v1, v[86:87]
	ds_write2_b64 v164, v[70:71], v[84:85] offset0:13 offset1:14
	ds_write2_b64 v164, v[68:69], v[82:83] offset0:15 offset1:16
	;; [unrolled: 1-line block ×7, first 2 shown]
	ds_read_b64 v[136:137], v1
	s_waitcnt lgkmcnt(0)
	v_cmp_neq_f64_e32 vcc_lo, 0, v[136:137]
	s_and_b32 exec_lo, exec_lo, vcc_lo
	s_cbranch_execz .LBB53_64
; %bb.63:
	v_div_scale_f64 v[138:139], null, v[136:137], v[136:137], 1.0
	v_rcp_f64_e32 v[140:141], v[138:139]
	v_fma_f64 v[142:143], -v[138:139], v[140:141], 1.0
	v_fma_f64 v[140:141], v[140:141], v[142:143], v[140:141]
	v_fma_f64 v[142:143], -v[138:139], v[140:141], 1.0
	v_fma_f64 v[140:141], v[140:141], v[142:143], v[140:141]
	v_div_scale_f64 v[142:143], vcc_lo, 1.0, v[136:137], 1.0
	v_mul_f64 v[144:145], v[142:143], v[140:141]
	v_fma_f64 v[138:139], -v[138:139], v[144:145], v[142:143]
	v_div_fmas_f64 v[138:139], v[138:139], v[140:141], v[144:145]
	v_div_fixup_f64 v[136:137], v[138:139], v[136:137], 1.0
	ds_write_b64 v1, v[136:137]
.LBB53_64:
	s_or_b32 exec_lo, exec_lo, s1
	s_waitcnt lgkmcnt(0)
	s_barrier
	buffer_gl0_inv
	ds_read_b64 v[136:137], v1
	s_mov_b32 s1, exec_lo
	v_cmpx_lt_u32_e32 12, v0
	s_cbranch_execz .LBB53_66
; %bb.65:
	s_waitcnt lgkmcnt(0)
	v_mul_f64 v[86:87], v[136:137], v[86:87]
	ds_read2_b64 v[138:141], v164 offset0:13 offset1:14
	ds_read2_b64 v[142:145], v164 offset0:15 offset1:16
	ds_read2_b64 v[146:149], v164 offset0:17 offset1:18
	ds_read2_b64 v[150:153], v164 offset0:19 offset1:20
	ds_read2_b64 v[154:157], v164 offset0:21 offset1:22
	ds_read2_b64 v[158:161], v164 offset0:23 offset1:24
	ds_read2_b64 v[165:168], v164 offset0:25 offset1:26
	s_waitcnt lgkmcnt(6)
	v_fma_f64 v[70:71], -v[86:87], v[138:139], v[70:71]
	v_fma_f64 v[84:85], -v[86:87], v[140:141], v[84:85]
	s_waitcnt lgkmcnt(5)
	v_fma_f64 v[68:69], -v[86:87], v[142:143], v[68:69]
	v_fma_f64 v[82:83], -v[86:87], v[144:145], v[82:83]
	;; [unrolled: 3-line block ×7, first 2 shown]
.LBB53_66:
	s_or_b32 exec_lo, exec_lo, s1
	s_mov_b32 s1, exec_lo
	s_waitcnt lgkmcnt(0)
	s_barrier
	buffer_gl0_inv
	v_cmpx_eq_u32_e32 13, v0
	s_cbranch_execz .LBB53_69
; %bb.67:
	v_mov_b32_e32 v138, v84
	v_mov_b32_e32 v139, v85
	;; [unrolled: 1-line block ×4, first 2 shown]
	ds_write_b64 v1, v[70:71]
	ds_write2_b64 v164, v[138:139], v[140:141] offset0:14 offset1:15
	v_mov_b32_e32 v138, v82
	v_mov_b32_e32 v139, v83
	;; [unrolled: 1-line block ×20, first 2 shown]
	ds_write2_b64 v164, v[138:139], v[140:141] offset0:16 offset1:17
	ds_write2_b64 v164, v[142:143], v[144:145] offset0:18 offset1:19
	ds_write2_b64 v164, v[146:147], v[148:149] offset0:20 offset1:21
	ds_write2_b64 v164, v[150:151], v[152:153] offset0:22 offset1:23
	ds_write2_b64 v164, v[154:155], v[156:157] offset0:24 offset1:25
	ds_write_b64 v164, v[102:103] offset:208
	ds_read_b64 v[138:139], v1
	s_waitcnt lgkmcnt(0)
	v_cmp_neq_f64_e32 vcc_lo, 0, v[138:139]
	s_and_b32 exec_lo, exec_lo, vcc_lo
	s_cbranch_execz .LBB53_69
; %bb.68:
	v_div_scale_f64 v[140:141], null, v[138:139], v[138:139], 1.0
	v_rcp_f64_e32 v[142:143], v[140:141]
	v_fma_f64 v[144:145], -v[140:141], v[142:143], 1.0
	v_fma_f64 v[142:143], v[142:143], v[144:145], v[142:143]
	v_fma_f64 v[144:145], -v[140:141], v[142:143], 1.0
	v_fma_f64 v[142:143], v[142:143], v[144:145], v[142:143]
	v_div_scale_f64 v[144:145], vcc_lo, 1.0, v[138:139], 1.0
	v_mul_f64 v[146:147], v[144:145], v[142:143]
	v_fma_f64 v[140:141], -v[140:141], v[146:147], v[144:145]
	v_div_fmas_f64 v[140:141], v[140:141], v[142:143], v[146:147]
	v_div_fixup_f64 v[138:139], v[140:141], v[138:139], 1.0
	ds_write_b64 v1, v[138:139]
.LBB53_69:
	s_or_b32 exec_lo, exec_lo, s1
	s_waitcnt lgkmcnt(0)
	s_barrier
	buffer_gl0_inv
	ds_read_b64 v[138:139], v1
	s_mov_b32 s1, exec_lo
	v_cmpx_lt_u32_e32 13, v0
	s_cbranch_execz .LBB53_71
; %bb.70:
	s_waitcnt lgkmcnt(0)
	v_mul_f64 v[70:71], v[138:139], v[70:71]
	ds_read2_b64 v[140:143], v164 offset0:14 offset1:15
	ds_read2_b64 v[144:147], v164 offset0:16 offset1:17
	;; [unrolled: 1-line block ×6, first 2 shown]
	ds_read_b64 v[165:166], v164 offset:208
	s_waitcnt lgkmcnt(6)
	v_fma_f64 v[84:85], -v[70:71], v[140:141], v[84:85]
	v_fma_f64 v[68:69], -v[70:71], v[142:143], v[68:69]
	s_waitcnt lgkmcnt(5)
	v_fma_f64 v[82:83], -v[70:71], v[144:145], v[82:83]
	v_fma_f64 v[66:67], -v[70:71], v[146:147], v[66:67]
	;; [unrolled: 3-line block ×6, first 2 shown]
	s_waitcnt lgkmcnt(0)
	v_fma_f64 v[102:103], -v[70:71], v[165:166], v[102:103]
.LBB53_71:
	s_or_b32 exec_lo, exec_lo, s1
	s_mov_b32 s1, exec_lo
	s_waitcnt lgkmcnt(0)
	s_barrier
	buffer_gl0_inv
	v_cmpx_eq_u32_e32 14, v0
	s_cbranch_execz .LBB53_74
; %bb.72:
	ds_write_b64 v1, v[84:85]
	ds_write2_b64 v164, v[68:69], v[82:83] offset0:15 offset1:16
	ds_write2_b64 v164, v[66:67], v[80:81] offset0:17 offset1:18
	;; [unrolled: 1-line block ×6, first 2 shown]
	ds_read_b64 v[140:141], v1
	s_waitcnt lgkmcnt(0)
	v_cmp_neq_f64_e32 vcc_lo, 0, v[140:141]
	s_and_b32 exec_lo, exec_lo, vcc_lo
	s_cbranch_execz .LBB53_74
; %bb.73:
	v_div_scale_f64 v[142:143], null, v[140:141], v[140:141], 1.0
	v_rcp_f64_e32 v[144:145], v[142:143]
	v_fma_f64 v[146:147], -v[142:143], v[144:145], 1.0
	v_fma_f64 v[144:145], v[144:145], v[146:147], v[144:145]
	v_fma_f64 v[146:147], -v[142:143], v[144:145], 1.0
	v_fma_f64 v[144:145], v[144:145], v[146:147], v[144:145]
	v_div_scale_f64 v[146:147], vcc_lo, 1.0, v[140:141], 1.0
	v_mul_f64 v[148:149], v[146:147], v[144:145]
	v_fma_f64 v[142:143], -v[142:143], v[148:149], v[146:147]
	v_div_fmas_f64 v[142:143], v[142:143], v[144:145], v[148:149]
	v_div_fixup_f64 v[140:141], v[142:143], v[140:141], 1.0
	ds_write_b64 v1, v[140:141]
.LBB53_74:
	s_or_b32 exec_lo, exec_lo, s1
	s_waitcnt lgkmcnt(0)
	s_barrier
	buffer_gl0_inv
	ds_read_b64 v[140:141], v1
	s_mov_b32 s1, exec_lo
	v_cmpx_lt_u32_e32 14, v0
	s_cbranch_execz .LBB53_76
; %bb.75:
	s_waitcnt lgkmcnt(0)
	v_mul_f64 v[84:85], v[140:141], v[84:85]
	ds_read2_b64 v[142:145], v164 offset0:15 offset1:16
	ds_read2_b64 v[146:149], v164 offset0:17 offset1:18
	;; [unrolled: 1-line block ×6, first 2 shown]
	s_waitcnt lgkmcnt(5)
	v_fma_f64 v[68:69], -v[84:85], v[142:143], v[68:69]
	v_fma_f64 v[82:83], -v[84:85], v[144:145], v[82:83]
	s_waitcnt lgkmcnt(4)
	v_fma_f64 v[66:67], -v[84:85], v[146:147], v[66:67]
	v_fma_f64 v[80:81], -v[84:85], v[148:149], v[80:81]
	;; [unrolled: 3-line block ×6, first 2 shown]
.LBB53_76:
	s_or_b32 exec_lo, exec_lo, s1
	s_mov_b32 s1, exec_lo
	s_waitcnt lgkmcnt(0)
	s_barrier
	buffer_gl0_inv
	v_cmpx_eq_u32_e32 15, v0
	s_cbranch_execz .LBB53_79
; %bb.77:
	v_mov_b32_e32 v142, v82
	v_mov_b32_e32 v143, v83
	;; [unrolled: 1-line block ×20, first 2 shown]
	ds_write_b64 v1, v[68:69]
	ds_write2_b64 v164, v[142:143], v[144:145] offset0:16 offset1:17
	ds_write2_b64 v164, v[146:147], v[148:149] offset0:18 offset1:19
	;; [unrolled: 1-line block ×5, first 2 shown]
	ds_write_b64 v164, v[102:103] offset:208
	ds_read_b64 v[142:143], v1
	s_waitcnt lgkmcnt(0)
	v_cmp_neq_f64_e32 vcc_lo, 0, v[142:143]
	s_and_b32 exec_lo, exec_lo, vcc_lo
	s_cbranch_execz .LBB53_79
; %bb.78:
	v_div_scale_f64 v[144:145], null, v[142:143], v[142:143], 1.0
	v_rcp_f64_e32 v[146:147], v[144:145]
	v_fma_f64 v[148:149], -v[144:145], v[146:147], 1.0
	v_fma_f64 v[146:147], v[146:147], v[148:149], v[146:147]
	v_fma_f64 v[148:149], -v[144:145], v[146:147], 1.0
	v_fma_f64 v[146:147], v[146:147], v[148:149], v[146:147]
	v_div_scale_f64 v[148:149], vcc_lo, 1.0, v[142:143], 1.0
	v_mul_f64 v[150:151], v[148:149], v[146:147]
	v_fma_f64 v[144:145], -v[144:145], v[150:151], v[148:149]
	v_div_fmas_f64 v[144:145], v[144:145], v[146:147], v[150:151]
	v_div_fixup_f64 v[142:143], v[144:145], v[142:143], 1.0
	ds_write_b64 v1, v[142:143]
.LBB53_79:
	s_or_b32 exec_lo, exec_lo, s1
	s_waitcnt lgkmcnt(0)
	s_barrier
	buffer_gl0_inv
	ds_read_b64 v[142:143], v1
	s_mov_b32 s1, exec_lo
	v_cmpx_lt_u32_e32 15, v0
	s_cbranch_execz .LBB53_81
; %bb.80:
	s_waitcnt lgkmcnt(0)
	v_mul_f64 v[68:69], v[142:143], v[68:69]
	ds_read2_b64 v[144:147], v164 offset0:16 offset1:17
	ds_read2_b64 v[148:151], v164 offset0:18 offset1:19
	;; [unrolled: 1-line block ×5, first 2 shown]
	ds_read_b64 v[165:166], v164 offset:208
	s_waitcnt lgkmcnt(5)
	v_fma_f64 v[82:83], -v[68:69], v[144:145], v[82:83]
	v_fma_f64 v[66:67], -v[68:69], v[146:147], v[66:67]
	s_waitcnt lgkmcnt(4)
	v_fma_f64 v[80:81], -v[68:69], v[148:149], v[80:81]
	v_fma_f64 v[60:61], -v[68:69], v[150:151], v[60:61]
	;; [unrolled: 3-line block ×5, first 2 shown]
	s_waitcnt lgkmcnt(0)
	v_fma_f64 v[102:103], -v[68:69], v[165:166], v[102:103]
.LBB53_81:
	s_or_b32 exec_lo, exec_lo, s1
	s_mov_b32 s1, exec_lo
	s_waitcnt lgkmcnt(0)
	s_barrier
	buffer_gl0_inv
	v_cmpx_eq_u32_e32 16, v0
	s_cbranch_execz .LBB53_84
; %bb.82:
	ds_write_b64 v1, v[82:83]
	ds_write2_b64 v164, v[66:67], v[80:81] offset0:17 offset1:18
	ds_write2_b64 v164, v[60:61], v[64:65] offset0:19 offset1:20
	;; [unrolled: 1-line block ×5, first 2 shown]
	ds_read_b64 v[144:145], v1
	s_waitcnt lgkmcnt(0)
	v_cmp_neq_f64_e32 vcc_lo, 0, v[144:145]
	s_and_b32 exec_lo, exec_lo, vcc_lo
	s_cbranch_execz .LBB53_84
; %bb.83:
	v_div_scale_f64 v[146:147], null, v[144:145], v[144:145], 1.0
	v_rcp_f64_e32 v[148:149], v[146:147]
	v_fma_f64 v[150:151], -v[146:147], v[148:149], 1.0
	v_fma_f64 v[148:149], v[148:149], v[150:151], v[148:149]
	v_fma_f64 v[150:151], -v[146:147], v[148:149], 1.0
	v_fma_f64 v[148:149], v[148:149], v[150:151], v[148:149]
	v_div_scale_f64 v[150:151], vcc_lo, 1.0, v[144:145], 1.0
	v_mul_f64 v[152:153], v[150:151], v[148:149]
	v_fma_f64 v[146:147], -v[146:147], v[152:153], v[150:151]
	v_div_fmas_f64 v[146:147], v[146:147], v[148:149], v[152:153]
	v_div_fixup_f64 v[144:145], v[146:147], v[144:145], 1.0
	ds_write_b64 v1, v[144:145]
.LBB53_84:
	s_or_b32 exec_lo, exec_lo, s1
	s_waitcnt lgkmcnt(0)
	s_barrier
	buffer_gl0_inv
	ds_read_b64 v[144:145], v1
	s_mov_b32 s1, exec_lo
	v_cmpx_lt_u32_e32 16, v0
	s_cbranch_execz .LBB53_86
; %bb.85:
	s_waitcnt lgkmcnt(0)
	v_mul_f64 v[82:83], v[144:145], v[82:83]
	ds_read2_b64 v[146:149], v164 offset0:17 offset1:18
	ds_read2_b64 v[150:153], v164 offset0:19 offset1:20
	;; [unrolled: 1-line block ×5, first 2 shown]
	s_waitcnt lgkmcnt(4)
	v_fma_f64 v[66:67], -v[82:83], v[146:147], v[66:67]
	v_fma_f64 v[80:81], -v[82:83], v[148:149], v[80:81]
	s_waitcnt lgkmcnt(3)
	v_fma_f64 v[60:61], -v[82:83], v[150:151], v[60:61]
	v_fma_f64 v[64:65], -v[82:83], v[152:153], v[64:65]
	;; [unrolled: 3-line block ×5, first 2 shown]
.LBB53_86:
	s_or_b32 exec_lo, exec_lo, s1
	s_mov_b32 s1, exec_lo
	s_waitcnt lgkmcnt(0)
	s_barrier
	buffer_gl0_inv
	v_cmpx_eq_u32_e32 17, v0
	s_cbranch_execz .LBB53_89
; %bb.87:
	v_mov_b32_e32 v146, v80
	v_mov_b32_e32 v147, v81
	;; [unrolled: 1-line block ×16, first 2 shown]
	ds_write_b64 v1, v[66:67]
	ds_write2_b64 v164, v[146:147], v[148:149] offset0:18 offset1:19
	ds_write2_b64 v164, v[150:151], v[152:153] offset0:20 offset1:21
	;; [unrolled: 1-line block ×4, first 2 shown]
	ds_write_b64 v164, v[102:103] offset:208
	ds_read_b64 v[146:147], v1
	s_waitcnt lgkmcnt(0)
	v_cmp_neq_f64_e32 vcc_lo, 0, v[146:147]
	s_and_b32 exec_lo, exec_lo, vcc_lo
	s_cbranch_execz .LBB53_89
; %bb.88:
	v_div_scale_f64 v[148:149], null, v[146:147], v[146:147], 1.0
	v_rcp_f64_e32 v[150:151], v[148:149]
	v_fma_f64 v[152:153], -v[148:149], v[150:151], 1.0
	v_fma_f64 v[150:151], v[150:151], v[152:153], v[150:151]
	v_fma_f64 v[152:153], -v[148:149], v[150:151], 1.0
	v_fma_f64 v[150:151], v[150:151], v[152:153], v[150:151]
	v_div_scale_f64 v[152:153], vcc_lo, 1.0, v[146:147], 1.0
	v_mul_f64 v[154:155], v[152:153], v[150:151]
	v_fma_f64 v[148:149], -v[148:149], v[154:155], v[152:153]
	v_div_fmas_f64 v[148:149], v[148:149], v[150:151], v[154:155]
	v_div_fixup_f64 v[146:147], v[148:149], v[146:147], 1.0
	ds_write_b64 v1, v[146:147]
.LBB53_89:
	s_or_b32 exec_lo, exec_lo, s1
	s_waitcnt lgkmcnt(0)
	s_barrier
	buffer_gl0_inv
	ds_read_b64 v[146:147], v1
	s_mov_b32 s1, exec_lo
	v_cmpx_lt_u32_e32 17, v0
	s_cbranch_execz .LBB53_91
; %bb.90:
	s_waitcnt lgkmcnt(0)
	v_mul_f64 v[66:67], v[146:147], v[66:67]
	ds_read2_b64 v[148:151], v164 offset0:18 offset1:19
	ds_read2_b64 v[152:155], v164 offset0:20 offset1:21
	;; [unrolled: 1-line block ×4, first 2 shown]
	ds_read_b64 v[165:166], v164 offset:208
	s_waitcnt lgkmcnt(4)
	v_fma_f64 v[80:81], -v[66:67], v[148:149], v[80:81]
	v_fma_f64 v[60:61], -v[66:67], v[150:151], v[60:61]
	s_waitcnt lgkmcnt(3)
	v_fma_f64 v[64:65], -v[66:67], v[152:153], v[64:65]
	v_fma_f64 v[58:59], -v[66:67], v[154:155], v[58:59]
	;; [unrolled: 3-line block ×4, first 2 shown]
	s_waitcnt lgkmcnt(0)
	v_fma_f64 v[102:103], -v[66:67], v[165:166], v[102:103]
.LBB53_91:
	s_or_b32 exec_lo, exec_lo, s1
	s_mov_b32 s1, exec_lo
	s_waitcnt lgkmcnt(0)
	s_barrier
	buffer_gl0_inv
	v_cmpx_eq_u32_e32 18, v0
	s_cbranch_execz .LBB53_94
; %bb.92:
	ds_write_b64 v1, v[80:81]
	ds_write2_b64 v164, v[60:61], v[64:65] offset0:19 offset1:20
	ds_write2_b64 v164, v[58:59], v[62:63] offset0:21 offset1:22
	;; [unrolled: 1-line block ×4, first 2 shown]
	ds_read_b64 v[148:149], v1
	s_waitcnt lgkmcnt(0)
	v_cmp_neq_f64_e32 vcc_lo, 0, v[148:149]
	s_and_b32 exec_lo, exec_lo, vcc_lo
	s_cbranch_execz .LBB53_94
; %bb.93:
	v_div_scale_f64 v[150:151], null, v[148:149], v[148:149], 1.0
	v_rcp_f64_e32 v[152:153], v[150:151]
	v_fma_f64 v[154:155], -v[150:151], v[152:153], 1.0
	v_fma_f64 v[152:153], v[152:153], v[154:155], v[152:153]
	v_fma_f64 v[154:155], -v[150:151], v[152:153], 1.0
	v_fma_f64 v[152:153], v[152:153], v[154:155], v[152:153]
	v_div_scale_f64 v[154:155], vcc_lo, 1.0, v[148:149], 1.0
	v_mul_f64 v[156:157], v[154:155], v[152:153]
	v_fma_f64 v[150:151], -v[150:151], v[156:157], v[154:155]
	v_div_fmas_f64 v[150:151], v[150:151], v[152:153], v[156:157]
	v_div_fixup_f64 v[148:149], v[150:151], v[148:149], 1.0
	ds_write_b64 v1, v[148:149]
.LBB53_94:
	s_or_b32 exec_lo, exec_lo, s1
	s_waitcnt lgkmcnt(0)
	s_barrier
	buffer_gl0_inv
	ds_read_b64 v[148:149], v1
	s_mov_b32 s1, exec_lo
	v_cmpx_lt_u32_e32 18, v0
	s_cbranch_execz .LBB53_96
; %bb.95:
	s_waitcnt lgkmcnt(0)
	v_mul_f64 v[80:81], v[148:149], v[80:81]
	ds_read2_b64 v[150:153], v164 offset0:19 offset1:20
	ds_read2_b64 v[154:157], v164 offset0:21 offset1:22
	;; [unrolled: 1-line block ×4, first 2 shown]
	s_waitcnt lgkmcnt(3)
	v_fma_f64 v[60:61], -v[80:81], v[150:151], v[60:61]
	v_fma_f64 v[64:65], -v[80:81], v[152:153], v[64:65]
	s_waitcnt lgkmcnt(2)
	v_fma_f64 v[58:59], -v[80:81], v[154:155], v[58:59]
	v_fma_f64 v[62:63], -v[80:81], v[156:157], v[62:63]
	;; [unrolled: 3-line block ×4, first 2 shown]
.LBB53_96:
	s_or_b32 exec_lo, exec_lo, s1
	s_mov_b32 s1, exec_lo
	s_waitcnt lgkmcnt(0)
	s_barrier
	buffer_gl0_inv
	v_cmpx_eq_u32_e32 19, v0
	s_cbranch_execz .LBB53_99
; %bb.97:
	v_mov_b32_e32 v150, v64
	v_mov_b32_e32 v151, v65
	;; [unrolled: 1-line block ×12, first 2 shown]
	ds_write_b64 v1, v[60:61]
	ds_write2_b64 v164, v[150:151], v[152:153] offset0:20 offset1:21
	ds_write2_b64 v164, v[154:155], v[156:157] offset0:22 offset1:23
	ds_write2_b64 v164, v[158:159], v[160:161] offset0:24 offset1:25
	ds_write_b64 v164, v[102:103] offset:208
	ds_read_b64 v[150:151], v1
	s_waitcnt lgkmcnt(0)
	v_cmp_neq_f64_e32 vcc_lo, 0, v[150:151]
	s_and_b32 exec_lo, exec_lo, vcc_lo
	s_cbranch_execz .LBB53_99
; %bb.98:
	v_div_scale_f64 v[152:153], null, v[150:151], v[150:151], 1.0
	v_rcp_f64_e32 v[154:155], v[152:153]
	v_fma_f64 v[156:157], -v[152:153], v[154:155], 1.0
	v_fma_f64 v[154:155], v[154:155], v[156:157], v[154:155]
	v_fma_f64 v[156:157], -v[152:153], v[154:155], 1.0
	v_fma_f64 v[154:155], v[154:155], v[156:157], v[154:155]
	v_div_scale_f64 v[156:157], vcc_lo, 1.0, v[150:151], 1.0
	v_mul_f64 v[158:159], v[156:157], v[154:155]
	v_fma_f64 v[152:153], -v[152:153], v[158:159], v[156:157]
	v_div_fmas_f64 v[152:153], v[152:153], v[154:155], v[158:159]
	v_div_fixup_f64 v[150:151], v[152:153], v[150:151], 1.0
	ds_write_b64 v1, v[150:151]
.LBB53_99:
	s_or_b32 exec_lo, exec_lo, s1
	s_waitcnt lgkmcnt(0)
	s_barrier
	buffer_gl0_inv
	ds_read_b64 v[150:151], v1
	s_mov_b32 s1, exec_lo
	v_cmpx_lt_u32_e32 19, v0
	s_cbranch_execz .LBB53_101
; %bb.100:
	s_waitcnt lgkmcnt(0)
	v_mul_f64 v[60:61], v[150:151], v[60:61]
	ds_read2_b64 v[152:155], v164 offset0:20 offset1:21
	ds_read2_b64 v[156:159], v164 offset0:22 offset1:23
	;; [unrolled: 1-line block ×3, first 2 shown]
	ds_read_b64 v[165:166], v164 offset:208
	s_waitcnt lgkmcnt(3)
	v_fma_f64 v[64:65], -v[60:61], v[152:153], v[64:65]
	v_fma_f64 v[58:59], -v[60:61], v[154:155], v[58:59]
	s_waitcnt lgkmcnt(2)
	v_fma_f64 v[62:63], -v[60:61], v[156:157], v[62:63]
	v_fma_f64 v[56:57], -v[60:61], v[158:159], v[56:57]
	;; [unrolled: 3-line block ×3, first 2 shown]
	s_waitcnt lgkmcnt(0)
	v_fma_f64 v[102:103], -v[60:61], v[165:166], v[102:103]
.LBB53_101:
	s_or_b32 exec_lo, exec_lo, s1
	s_mov_b32 s1, exec_lo
	s_waitcnt lgkmcnt(0)
	s_barrier
	buffer_gl0_inv
	v_cmpx_eq_u32_e32 20, v0
	s_cbranch_execz .LBB53_104
; %bb.102:
	ds_write_b64 v1, v[64:65]
	ds_write2_b64 v164, v[58:59], v[62:63] offset0:21 offset1:22
	ds_write2_b64 v164, v[56:57], v[100:101] offset0:23 offset1:24
	;; [unrolled: 1-line block ×3, first 2 shown]
	ds_read_b64 v[152:153], v1
	s_waitcnt lgkmcnt(0)
	v_cmp_neq_f64_e32 vcc_lo, 0, v[152:153]
	s_and_b32 exec_lo, exec_lo, vcc_lo
	s_cbranch_execz .LBB53_104
; %bb.103:
	v_div_scale_f64 v[154:155], null, v[152:153], v[152:153], 1.0
	v_rcp_f64_e32 v[156:157], v[154:155]
	v_fma_f64 v[158:159], -v[154:155], v[156:157], 1.0
	v_fma_f64 v[156:157], v[156:157], v[158:159], v[156:157]
	v_fma_f64 v[158:159], -v[154:155], v[156:157], 1.0
	v_fma_f64 v[156:157], v[156:157], v[158:159], v[156:157]
	v_div_scale_f64 v[158:159], vcc_lo, 1.0, v[152:153], 1.0
	v_mul_f64 v[160:161], v[158:159], v[156:157]
	v_fma_f64 v[154:155], -v[154:155], v[160:161], v[158:159]
	v_div_fmas_f64 v[154:155], v[154:155], v[156:157], v[160:161]
	v_div_fixup_f64 v[152:153], v[154:155], v[152:153], 1.0
	ds_write_b64 v1, v[152:153]
.LBB53_104:
	s_or_b32 exec_lo, exec_lo, s1
	s_waitcnt lgkmcnt(0)
	s_barrier
	buffer_gl0_inv
	ds_read_b64 v[152:153], v1
	s_mov_b32 s1, exec_lo
	v_cmpx_lt_u32_e32 20, v0
	s_cbranch_execz .LBB53_106
; %bb.105:
	s_waitcnt lgkmcnt(0)
	v_mul_f64 v[64:65], v[152:153], v[64:65]
	ds_read2_b64 v[154:157], v164 offset0:21 offset1:22
	ds_read2_b64 v[158:161], v164 offset0:23 offset1:24
	;; [unrolled: 1-line block ×3, first 2 shown]
	s_waitcnt lgkmcnt(2)
	v_fma_f64 v[58:59], -v[64:65], v[154:155], v[58:59]
	v_fma_f64 v[62:63], -v[64:65], v[156:157], v[62:63]
	s_waitcnt lgkmcnt(1)
	v_fma_f64 v[56:57], -v[64:65], v[158:159], v[56:57]
	v_fma_f64 v[100:101], -v[64:65], v[160:161], v[100:101]
	;; [unrolled: 3-line block ×3, first 2 shown]
.LBB53_106:
	s_or_b32 exec_lo, exec_lo, s1
	s_mov_b32 s1, exec_lo
	s_waitcnt lgkmcnt(0)
	s_barrier
	buffer_gl0_inv
	v_cmpx_eq_u32_e32 21, v0
	s_cbranch_execz .LBB53_109
; %bb.107:
	v_mov_b32_e32 v154, v62
	v_mov_b32_e32 v155, v63
	;; [unrolled: 1-line block ×8, first 2 shown]
	ds_write_b64 v1, v[58:59]
	ds_write2_b64 v164, v[154:155], v[156:157] offset0:22 offset1:23
	ds_write2_b64 v164, v[158:159], v[160:161] offset0:24 offset1:25
	ds_write_b64 v164, v[102:103] offset:208
	ds_read_b64 v[154:155], v1
	s_waitcnt lgkmcnt(0)
	v_cmp_neq_f64_e32 vcc_lo, 0, v[154:155]
	s_and_b32 exec_lo, exec_lo, vcc_lo
	s_cbranch_execz .LBB53_109
; %bb.108:
	v_div_scale_f64 v[156:157], null, v[154:155], v[154:155], 1.0
	v_rcp_f64_e32 v[158:159], v[156:157]
	v_fma_f64 v[160:161], -v[156:157], v[158:159], 1.0
	v_fma_f64 v[158:159], v[158:159], v[160:161], v[158:159]
	v_fma_f64 v[160:161], -v[156:157], v[158:159], 1.0
	v_fma_f64 v[158:159], v[158:159], v[160:161], v[158:159]
	v_div_scale_f64 v[160:161], vcc_lo, 1.0, v[154:155], 1.0
	v_mul_f64 v[162:163], v[160:161], v[158:159]
	v_fma_f64 v[156:157], -v[156:157], v[162:163], v[160:161]
	v_div_fmas_f64 v[156:157], v[156:157], v[158:159], v[162:163]
	v_div_fixup_f64 v[154:155], v[156:157], v[154:155], 1.0
	ds_write_b64 v1, v[154:155]
.LBB53_109:
	s_or_b32 exec_lo, exec_lo, s1
	s_waitcnt lgkmcnt(0)
	s_barrier
	buffer_gl0_inv
	ds_read_b64 v[154:155], v1
	s_mov_b32 s1, exec_lo
	v_cmpx_lt_u32_e32 21, v0
	s_cbranch_execz .LBB53_111
; %bb.110:
	s_waitcnt lgkmcnt(0)
	v_mul_f64 v[58:59], v[154:155], v[58:59]
	ds_read2_b64 v[156:159], v164 offset0:22 offset1:23
	ds_read2_b64 v[160:163], v164 offset0:24 offset1:25
	ds_read_b64 v[165:166], v164 offset:208
	s_waitcnt lgkmcnt(2)
	v_fma_f64 v[62:63], -v[58:59], v[156:157], v[62:63]
	v_fma_f64 v[56:57], -v[58:59], v[158:159], v[56:57]
	s_waitcnt lgkmcnt(1)
	v_fma_f64 v[100:101], -v[58:59], v[160:161], v[100:101]
	v_fma_f64 v[98:99], -v[58:59], v[162:163], v[98:99]
	s_waitcnt lgkmcnt(0)
	v_fma_f64 v[102:103], -v[58:59], v[165:166], v[102:103]
.LBB53_111:
	s_or_b32 exec_lo, exec_lo, s1
	s_mov_b32 s1, exec_lo
	s_waitcnt lgkmcnt(0)
	s_barrier
	buffer_gl0_inv
	v_cmpx_eq_u32_e32 22, v0
	s_cbranch_execz .LBB53_114
; %bb.112:
	ds_write_b64 v1, v[62:63]
	ds_write2_b64 v164, v[56:57], v[100:101] offset0:23 offset1:24
	ds_write2_b64 v164, v[98:99], v[102:103] offset0:25 offset1:26
	ds_read_b64 v[156:157], v1
	s_waitcnt lgkmcnt(0)
	v_cmp_neq_f64_e32 vcc_lo, 0, v[156:157]
	s_and_b32 exec_lo, exec_lo, vcc_lo
	s_cbranch_execz .LBB53_114
; %bb.113:
	v_div_scale_f64 v[158:159], null, v[156:157], v[156:157], 1.0
	v_rcp_f64_e32 v[160:161], v[158:159]
	v_fma_f64 v[162:163], -v[158:159], v[160:161], 1.0
	v_fma_f64 v[160:161], v[160:161], v[162:163], v[160:161]
	v_fma_f64 v[162:163], -v[158:159], v[160:161], 1.0
	v_fma_f64 v[160:161], v[160:161], v[162:163], v[160:161]
	v_div_scale_f64 v[162:163], vcc_lo, 1.0, v[156:157], 1.0
	v_mul_f64 v[165:166], v[162:163], v[160:161]
	v_fma_f64 v[158:159], -v[158:159], v[165:166], v[162:163]
	v_div_fmas_f64 v[158:159], v[158:159], v[160:161], v[165:166]
	v_div_fixup_f64 v[156:157], v[158:159], v[156:157], 1.0
	ds_write_b64 v1, v[156:157]
.LBB53_114:
	s_or_b32 exec_lo, exec_lo, s1
	s_waitcnt lgkmcnt(0)
	s_barrier
	buffer_gl0_inv
	ds_read_b64 v[156:157], v1
	s_mov_b32 s1, exec_lo
	v_cmpx_lt_u32_e32 22, v0
	s_cbranch_execz .LBB53_116
; %bb.115:
	s_waitcnt lgkmcnt(0)
	v_mul_f64 v[62:63], v[156:157], v[62:63]
	ds_read2_b64 v[158:161], v164 offset0:23 offset1:24
	ds_read2_b64 v[165:168], v164 offset0:25 offset1:26
	s_waitcnt lgkmcnt(1)
	v_fma_f64 v[56:57], -v[62:63], v[158:159], v[56:57]
	v_fma_f64 v[100:101], -v[62:63], v[160:161], v[100:101]
	s_waitcnt lgkmcnt(0)
	v_fma_f64 v[98:99], -v[62:63], v[165:166], v[98:99]
	v_fma_f64 v[102:103], -v[62:63], v[167:168], v[102:103]
.LBB53_116:
	s_or_b32 exec_lo, exec_lo, s1
	s_mov_b32 s1, exec_lo
	s_waitcnt lgkmcnt(0)
	s_barrier
	buffer_gl0_inv
	v_cmpx_eq_u32_e32 23, v0
	s_cbranch_execz .LBB53_119
; %bb.117:
	v_mov_b32_e32 v158, v100
	v_mov_b32_e32 v159, v101
	;; [unrolled: 1-line block ×4, first 2 shown]
	ds_write_b64 v1, v[56:57]
	ds_write2_b64 v164, v[158:159], v[160:161] offset0:24 offset1:25
	ds_write_b64 v164, v[102:103] offset:208
	ds_read_b64 v[158:159], v1
	s_waitcnt lgkmcnt(0)
	v_cmp_neq_f64_e32 vcc_lo, 0, v[158:159]
	s_and_b32 exec_lo, exec_lo, vcc_lo
	s_cbranch_execz .LBB53_119
; %bb.118:
	v_div_scale_f64 v[160:161], null, v[158:159], v[158:159], 1.0
	v_rcp_f64_e32 v[162:163], v[160:161]
	v_fma_f64 v[165:166], -v[160:161], v[162:163], 1.0
	v_fma_f64 v[162:163], v[162:163], v[165:166], v[162:163]
	v_fma_f64 v[165:166], -v[160:161], v[162:163], 1.0
	v_fma_f64 v[162:163], v[162:163], v[165:166], v[162:163]
	v_div_scale_f64 v[165:166], vcc_lo, 1.0, v[158:159], 1.0
	v_mul_f64 v[167:168], v[165:166], v[162:163]
	v_fma_f64 v[160:161], -v[160:161], v[167:168], v[165:166]
	v_div_fmas_f64 v[160:161], v[160:161], v[162:163], v[167:168]
	v_div_fixup_f64 v[158:159], v[160:161], v[158:159], 1.0
	ds_write_b64 v1, v[158:159]
.LBB53_119:
	s_or_b32 exec_lo, exec_lo, s1
	s_waitcnt lgkmcnt(0)
	s_barrier
	buffer_gl0_inv
	ds_read_b64 v[158:159], v1
	s_mov_b32 s1, exec_lo
	v_cmpx_lt_u32_e32 23, v0
	s_cbranch_execz .LBB53_121
; %bb.120:
	s_waitcnt lgkmcnt(0)
	v_mul_f64 v[56:57], v[158:159], v[56:57]
	ds_read2_b64 v[160:163], v164 offset0:24 offset1:25
	ds_read_b64 v[165:166], v164 offset:208
	s_waitcnt lgkmcnt(1)
	v_fma_f64 v[100:101], -v[56:57], v[160:161], v[100:101]
	v_fma_f64 v[98:99], -v[56:57], v[162:163], v[98:99]
	s_waitcnt lgkmcnt(0)
	v_fma_f64 v[102:103], -v[56:57], v[165:166], v[102:103]
.LBB53_121:
	s_or_b32 exec_lo, exec_lo, s1
	s_mov_b32 s1, exec_lo
	s_waitcnt lgkmcnt(0)
	s_barrier
	buffer_gl0_inv
	v_cmpx_eq_u32_e32 24, v0
	s_cbranch_execz .LBB53_124
; %bb.122:
	ds_write_b64 v1, v[100:101]
	ds_write2_b64 v164, v[98:99], v[102:103] offset0:25 offset1:26
	ds_read_b64 v[160:161], v1
	s_waitcnt lgkmcnt(0)
	v_cmp_neq_f64_e32 vcc_lo, 0, v[160:161]
	s_and_b32 exec_lo, exec_lo, vcc_lo
	s_cbranch_execz .LBB53_124
; %bb.123:
	v_div_scale_f64 v[162:163], null, v[160:161], v[160:161], 1.0
	v_rcp_f64_e32 v[165:166], v[162:163]
	v_fma_f64 v[167:168], -v[162:163], v[165:166], 1.0
	v_fma_f64 v[165:166], v[165:166], v[167:168], v[165:166]
	v_fma_f64 v[167:168], -v[162:163], v[165:166], 1.0
	v_fma_f64 v[165:166], v[165:166], v[167:168], v[165:166]
	v_div_scale_f64 v[167:168], vcc_lo, 1.0, v[160:161], 1.0
	v_mul_f64 v[169:170], v[167:168], v[165:166]
	v_fma_f64 v[162:163], -v[162:163], v[169:170], v[167:168]
	v_div_fmas_f64 v[162:163], v[162:163], v[165:166], v[169:170]
	v_div_fixup_f64 v[160:161], v[162:163], v[160:161], 1.0
	ds_write_b64 v1, v[160:161]
.LBB53_124:
	s_or_b32 exec_lo, exec_lo, s1
	s_waitcnt lgkmcnt(0)
	s_barrier
	buffer_gl0_inv
	ds_read_b64 v[160:161], v1
	s_mov_b32 s1, exec_lo
	v_cmpx_lt_u32_e32 24, v0
	s_cbranch_execz .LBB53_126
; %bb.125:
	s_waitcnt lgkmcnt(0)
	v_mul_f64 v[100:101], v[160:161], v[100:101]
	ds_read2_b64 v[165:168], v164 offset0:25 offset1:26
	s_waitcnt lgkmcnt(0)
	v_fma_f64 v[98:99], -v[100:101], v[165:166], v[98:99]
	v_fma_f64 v[102:103], -v[100:101], v[167:168], v[102:103]
.LBB53_126:
	s_or_b32 exec_lo, exec_lo, s1
	s_mov_b32 s1, exec_lo
	s_waitcnt lgkmcnt(0)
	s_barrier
	buffer_gl0_inv
	v_cmpx_eq_u32_e32 25, v0
	s_cbranch_execz .LBB53_129
; %bb.127:
	ds_write_b64 v1, v[98:99]
	ds_write_b64 v164, v[102:103] offset:208
	ds_read_b64 v[162:163], v1
	s_waitcnt lgkmcnt(0)
	v_cmp_neq_f64_e32 vcc_lo, 0, v[162:163]
	s_and_b32 exec_lo, exec_lo, vcc_lo
	s_cbranch_execz .LBB53_129
; %bb.128:
	v_div_scale_f64 v[165:166], null, v[162:163], v[162:163], 1.0
	v_rcp_f64_e32 v[167:168], v[165:166]
	v_fma_f64 v[169:170], -v[165:166], v[167:168], 1.0
	v_fma_f64 v[167:168], v[167:168], v[169:170], v[167:168]
	v_fma_f64 v[169:170], -v[165:166], v[167:168], 1.0
	v_fma_f64 v[167:168], v[167:168], v[169:170], v[167:168]
	v_div_scale_f64 v[169:170], vcc_lo, 1.0, v[162:163], 1.0
	v_mul_f64 v[171:172], v[169:170], v[167:168]
	v_fma_f64 v[165:166], -v[165:166], v[171:172], v[169:170]
	v_div_fmas_f64 v[165:166], v[165:166], v[167:168], v[171:172]
	v_div_fixup_f64 v[162:163], v[165:166], v[162:163], 1.0
	ds_write_b64 v1, v[162:163]
.LBB53_129:
	s_or_b32 exec_lo, exec_lo, s1
	s_waitcnt lgkmcnt(0)
	s_barrier
	buffer_gl0_inv
	ds_read_b64 v[162:163], v1
	s_mov_b32 s1, exec_lo
	v_cmpx_lt_u32_e32 25, v0
	s_cbranch_execz .LBB53_131
; %bb.130:
	s_waitcnt lgkmcnt(0)
	v_mul_f64 v[98:99], v[162:163], v[98:99]
	ds_read_b64 v[164:165], v164 offset:208
	s_waitcnt lgkmcnt(0)
	v_fma_f64 v[102:103], -v[98:99], v[164:165], v[102:103]
.LBB53_131:
	s_or_b32 exec_lo, exec_lo, s1
	s_mov_b32 s1, exec_lo
	s_waitcnt lgkmcnt(0)
	s_barrier
	buffer_gl0_inv
	v_cmpx_eq_u32_e32 26, v0
	s_cbranch_execz .LBB53_134
; %bb.132:
	v_cmp_neq_f64_e32 vcc_lo, 0, v[102:103]
	ds_write_b64 v1, v[102:103]
	s_and_b32 exec_lo, exec_lo, vcc_lo
	s_cbranch_execz .LBB53_134
; %bb.133:
	v_div_scale_f64 v[164:165], null, v[102:103], v[102:103], 1.0
	v_rcp_f64_e32 v[166:167], v[164:165]
	v_fma_f64 v[168:169], -v[164:165], v[166:167], 1.0
	v_fma_f64 v[166:167], v[166:167], v[168:169], v[166:167]
	v_fma_f64 v[168:169], -v[164:165], v[166:167], 1.0
	v_fma_f64 v[166:167], v[166:167], v[168:169], v[166:167]
	v_div_scale_f64 v[168:169], vcc_lo, 1.0, v[102:103], 1.0
	v_mul_f64 v[170:171], v[168:169], v[166:167]
	v_fma_f64 v[164:165], -v[164:165], v[170:171], v[168:169]
	v_div_fmas_f64 v[164:165], v[164:165], v[166:167], v[170:171]
	v_div_fixup_f64 v[164:165], v[164:165], v[102:103], 1.0
	ds_write_b64 v1, v[164:165]
.LBB53_134:
	s_or_b32 exec_lo, exec_lo, s1
	s_waitcnt lgkmcnt(0)
	s_barrier
	buffer_gl0_inv
	ds_read_b64 v[164:165], v1
	s_waitcnt lgkmcnt(0)
	s_barrier
	buffer_gl0_inv
	s_and_saveexec_b32 s3, s0
	s_cbranch_execz .LBB53_137
; %bb.135:
	s_load_dwordx2 s[0:1], s[4:5], 0x28
	v_lshlrev_b64 v[1:2], 2, v[2:3]
	v_cmp_eq_f64_e64 s2, 0, v[118:119]
	s_waitcnt lgkmcnt(0)
	v_add_co_u32 v1, vcc_lo, s0, v1
	v_add_co_ci_u32_e64 v2, null, s1, v2, vcc_lo
	v_cmp_eq_f64_e32 vcc_lo, 0, v[112:113]
	v_cmp_neq_f64_e64 s0, 0, v[114:115]
	v_cmp_eq_f64_e64 s1, 0, v[116:117]
	global_load_dword v166, v[1:2], off
	v_cndmask_b32_e64 v3, 0, 1, vcc_lo
	s_or_b32 vcc_lo, s0, vcc_lo
	v_cmp_eq_f64_e64 s0, 0, v[120:121]
	v_cndmask_b32_e32 v3, 2, v3, vcc_lo
	v_cmp_eq_u32_e32 vcc_lo, 0, v3
	s_and_b32 s1, s1, vcc_lo
	v_cndmask_b32_e64 v3, v3, 3, s1
	v_cmp_eq_f64_e64 s1, 0, v[122:123]
	v_cmp_eq_u32_e32 vcc_lo, 0, v3
	s_and_b32 s2, s2, vcc_lo
	v_cndmask_b32_e64 v3, v3, 4, s2
	v_cmp_eq_f64_e64 s2, 0, v[124:125]
	;; [unrolled: 4-line block ×22, first 2 shown]
	v_cmp_eq_u32_e32 vcc_lo, 0, v3
	s_and_b32 s2, s2, vcc_lo
	v_cndmask_b32_e64 v3, v3, 25, s2
	v_cmp_eq_u32_e32 vcc_lo, 0, v3
	s_and_b32 s0, s0, vcc_lo
	v_cndmask_b32_e64 v3, v3, 26, s0
	v_cmp_eq_u32_e32 vcc_lo, 0, v3
	s_and_b32 s0, s1, vcc_lo
	s_waitcnt vmcnt(0)
	v_cmp_eq_u32_e32 vcc_lo, 0, v166
	v_cndmask_b32_e64 v3, v3, 27, s0
	v_cmp_ne_u32_e64 s0, 0, v3
	s_and_b32 s0, vcc_lo, s0
	s_and_b32 exec_lo, exec_lo, s0
	s_cbranch_execz .LBB53_137
; %bb.136:
	v_add_nc_u32_e32 v3, s9, v3
	global_store_dword v[1:2], v3, off
.LBB53_137:
	s_or_b32 exec_lo, exec_lo, s3
	v_mul_f64 v[1:2], v[164:165], v[102:103]
	v_cmp_lt_u32_e32 vcc_lo, 26, v0
	flat_store_dwordx2 v[54:55], v[104:105]
	flat_store_dwordx2 v[96:97], v[108:109]
	;; [unrolled: 1-line block ×19, first 2 shown]
	v_cndmask_b32_e32 v2, v103, v2, vcc_lo
	v_cndmask_b32_e32 v1, v102, v1, vcc_lo
	flat_store_dwordx2 v[36:37], v[60:61]
	flat_store_dwordx2 v[40:41], v[64:65]
	;; [unrolled: 1-line block ×8, first 2 shown]
.LBB53_138:
	s_endpgm
	.section	.rodata,"a",@progbits
	.p2align	6, 0x0
	.amdhsa_kernel _ZN9rocsolver6v33100L23getf2_npvt_small_kernelILi27EdiiPKPdEEvT1_T3_lS5_lPT2_S5_S5_
		.amdhsa_group_segment_fixed_size 0
		.amdhsa_private_segment_fixed_size 0
		.amdhsa_kernarg_size 312
		.amdhsa_user_sgpr_count 6
		.amdhsa_user_sgpr_private_segment_buffer 1
		.amdhsa_user_sgpr_dispatch_ptr 0
		.amdhsa_user_sgpr_queue_ptr 0
		.amdhsa_user_sgpr_kernarg_segment_ptr 1
		.amdhsa_user_sgpr_dispatch_id 0
		.amdhsa_user_sgpr_flat_scratch_init 0
		.amdhsa_user_sgpr_private_segment_size 0
		.amdhsa_wavefront_size32 1
		.amdhsa_uses_dynamic_stack 0
		.amdhsa_system_sgpr_private_segment_wavefront_offset 0
		.amdhsa_system_sgpr_workgroup_id_x 1
		.amdhsa_system_sgpr_workgroup_id_y 1
		.amdhsa_system_sgpr_workgroup_id_z 0
		.amdhsa_system_sgpr_workgroup_info 0
		.amdhsa_system_vgpr_workitem_id 1
		.amdhsa_next_free_vgpr 173
		.amdhsa_next_free_sgpr 11
		.amdhsa_reserve_vcc 1
		.amdhsa_reserve_flat_scratch 1
		.amdhsa_float_round_mode_32 0
		.amdhsa_float_round_mode_16_64 0
		.amdhsa_float_denorm_mode_32 3
		.amdhsa_float_denorm_mode_16_64 3
		.amdhsa_dx10_clamp 1
		.amdhsa_ieee_mode 1
		.amdhsa_fp16_overflow 0
		.amdhsa_workgroup_processor_mode 1
		.amdhsa_memory_ordered 1
		.amdhsa_forward_progress 1
		.amdhsa_shared_vgpr_count 0
		.amdhsa_exception_fp_ieee_invalid_op 0
		.amdhsa_exception_fp_denorm_src 0
		.amdhsa_exception_fp_ieee_div_zero 0
		.amdhsa_exception_fp_ieee_overflow 0
		.amdhsa_exception_fp_ieee_underflow 0
		.amdhsa_exception_fp_ieee_inexact 0
		.amdhsa_exception_int_div_zero 0
	.end_amdhsa_kernel
	.section	.text._ZN9rocsolver6v33100L23getf2_npvt_small_kernelILi27EdiiPKPdEEvT1_T3_lS5_lPT2_S5_S5_,"axG",@progbits,_ZN9rocsolver6v33100L23getf2_npvt_small_kernelILi27EdiiPKPdEEvT1_T3_lS5_lPT2_S5_S5_,comdat
.Lfunc_end53:
	.size	_ZN9rocsolver6v33100L23getf2_npvt_small_kernelILi27EdiiPKPdEEvT1_T3_lS5_lPT2_S5_S5_, .Lfunc_end53-_ZN9rocsolver6v33100L23getf2_npvt_small_kernelILi27EdiiPKPdEEvT1_T3_lS5_lPT2_S5_S5_
                                        ; -- End function
	.set _ZN9rocsolver6v33100L23getf2_npvt_small_kernelILi27EdiiPKPdEEvT1_T3_lS5_lPT2_S5_S5_.num_vgpr, 173
	.set _ZN9rocsolver6v33100L23getf2_npvt_small_kernelILi27EdiiPKPdEEvT1_T3_lS5_lPT2_S5_S5_.num_agpr, 0
	.set _ZN9rocsolver6v33100L23getf2_npvt_small_kernelILi27EdiiPKPdEEvT1_T3_lS5_lPT2_S5_S5_.numbered_sgpr, 11
	.set _ZN9rocsolver6v33100L23getf2_npvt_small_kernelILi27EdiiPKPdEEvT1_T3_lS5_lPT2_S5_S5_.num_named_barrier, 0
	.set _ZN9rocsolver6v33100L23getf2_npvt_small_kernelILi27EdiiPKPdEEvT1_T3_lS5_lPT2_S5_S5_.private_seg_size, 0
	.set _ZN9rocsolver6v33100L23getf2_npvt_small_kernelILi27EdiiPKPdEEvT1_T3_lS5_lPT2_S5_S5_.uses_vcc, 1
	.set _ZN9rocsolver6v33100L23getf2_npvt_small_kernelILi27EdiiPKPdEEvT1_T3_lS5_lPT2_S5_S5_.uses_flat_scratch, 1
	.set _ZN9rocsolver6v33100L23getf2_npvt_small_kernelILi27EdiiPKPdEEvT1_T3_lS5_lPT2_S5_S5_.has_dyn_sized_stack, 0
	.set _ZN9rocsolver6v33100L23getf2_npvt_small_kernelILi27EdiiPKPdEEvT1_T3_lS5_lPT2_S5_S5_.has_recursion, 0
	.set _ZN9rocsolver6v33100L23getf2_npvt_small_kernelILi27EdiiPKPdEEvT1_T3_lS5_lPT2_S5_S5_.has_indirect_call, 0
	.section	.AMDGPU.csdata,"",@progbits
; Kernel info:
; codeLenInByte = 15496
; TotalNumSgprs: 13
; NumVgprs: 173
; ScratchSize: 0
; MemoryBound: 0
; FloatMode: 240
; IeeeMode: 1
; LDSByteSize: 0 bytes/workgroup (compile time only)
; SGPRBlocks: 0
; VGPRBlocks: 21
; NumSGPRsForWavesPerEU: 13
; NumVGPRsForWavesPerEU: 173
; Occupancy: 5
; WaveLimiterHint : 1
; COMPUTE_PGM_RSRC2:SCRATCH_EN: 0
; COMPUTE_PGM_RSRC2:USER_SGPR: 6
; COMPUTE_PGM_RSRC2:TRAP_HANDLER: 0
; COMPUTE_PGM_RSRC2:TGID_X_EN: 1
; COMPUTE_PGM_RSRC2:TGID_Y_EN: 1
; COMPUTE_PGM_RSRC2:TGID_Z_EN: 0
; COMPUTE_PGM_RSRC2:TIDIG_COMP_CNT: 1
	.section	.text._ZN9rocsolver6v33100L18getf2_small_kernelILi28EdiiPKPdEEvT1_T3_lS5_lPS5_llPT2_S5_S5_S7_l,"axG",@progbits,_ZN9rocsolver6v33100L18getf2_small_kernelILi28EdiiPKPdEEvT1_T3_lS5_lPS5_llPT2_S5_S5_S7_l,comdat
	.globl	_ZN9rocsolver6v33100L18getf2_small_kernelILi28EdiiPKPdEEvT1_T3_lS5_lPS5_llPT2_S5_S5_S7_l ; -- Begin function _ZN9rocsolver6v33100L18getf2_small_kernelILi28EdiiPKPdEEvT1_T3_lS5_lPS5_llPT2_S5_S5_S7_l
	.p2align	8
	.type	_ZN9rocsolver6v33100L18getf2_small_kernelILi28EdiiPKPdEEvT1_T3_lS5_lPS5_llPT2_S5_S5_S7_l,@function
_ZN9rocsolver6v33100L18getf2_small_kernelILi28EdiiPKPdEEvT1_T3_lS5_lPS5_llPT2_S5_S5_S7_l: ; @_ZN9rocsolver6v33100L18getf2_small_kernelILi28EdiiPKPdEEvT1_T3_lS5_lPS5_llPT2_S5_S5_S7_l
; %bb.0:
	s_clause 0x1
	s_load_dword s0, s[4:5], 0x6c
	s_load_dwordx2 s[12:13], s[4:5], 0x48
	s_waitcnt lgkmcnt(0)
	s_lshr_b32 s0, s0, 16
	v_mad_u64_u32 v[2:3], null, s7, s0, v[1:2]
	s_mov_b32 s0, exec_lo
	v_cmpx_gt_i32_e64 s12, v2
	s_cbranch_execz .LBB54_473
; %bb.1:
	s_clause 0x1
	s_load_dwordx4 s[0:3], s[4:5], 0x8
	s_load_dwordx4 s[8:11], s[4:5], 0x50
	v_ashrrev_i32_e32 v3, 31, v2
	v_mov_b32_e32 v16, 0
	v_mov_b32_e32 v17, 0
	v_lshlrev_b64 v[4:5], 3, v[2:3]
	s_waitcnt lgkmcnt(0)
	v_add_co_u32 v4, vcc_lo, s0, v4
	v_add_co_ci_u32_e64 v5, null, s1, v5, vcc_lo
	s_cmp_eq_u64 s[8:9], 0
	s_cselect_b32 s6, -1, 0
	global_load_dwordx2 v[4:5], v[4:5], off
	s_and_b32 vcc_lo, exec_lo, s6
	s_cbranch_vccnz .LBB54_3
; %bb.2:
	v_mul_lo_u32 v8, s11, v2
	v_mul_lo_u32 v9, s10, v3
	v_mad_u64_u32 v[6:7], null, s10, v2, 0
	v_add3_u32 v7, v7, v9, v8
	v_lshlrev_b64 v[6:7], 2, v[6:7]
	v_add_co_u32 v16, vcc_lo, s8, v6
	v_add_co_ci_u32_e64 v17, null, s9, v7, vcc_lo
.LBB54_3:
	s_clause 0x1
	s_load_dword s8, s[4:5], 0x18
	s_load_dword s7, s[4:5], 0x0
	s_lshl_b64 s[0:1], s[2:3], 3
	v_lshlrev_b32_e32 v88, 3, v0
	s_waitcnt vmcnt(0)
	v_add_co_u32 v66, vcc_lo, v4, s0
	v_add_co_ci_u32_e64 v67, null, s1, v5, vcc_lo
	s_waitcnt lgkmcnt(0)
	v_add3_u32 v6, s8, s8, v0
	s_ashr_i32 s9, s8, 31
	s_max_i32 s0, s7, 28
	s_lshl_b64 s[10:11], s[8:9], 3
	v_mul_lo_u32 v1, s0, v1
	v_add_nc_u32_e32 v8, s8, v6
	v_ashrrev_i32_e32 v7, 31, v6
	s_cmp_lt_i32 s7, 2
	v_ashrrev_i32_e32 v9, 31, v8
	v_add_nc_u32_e32 v10, s8, v8
	v_lshlrev_b64 v[4:5], 3, v[6:7]
	v_lshlrev_b64 v[6:7], 3, v[8:9]
	v_add_nc_u32_e32 v8, s8, v10
	v_ashrrev_i32_e32 v11, 31, v10
	v_add_co_u32 v4, vcc_lo, v66, v4
	v_add_co_ci_u32_e64 v5, null, v67, v5, vcc_lo
	v_add_nc_u32_e32 v12, s8, v8
	v_ashrrev_i32_e32 v9, 31, v8
	v_lshlrev_b64 v[10:11], 3, v[10:11]
	v_add_co_u32 v6, vcc_lo, v66, v6
	v_add_nc_u32_e32 v14, s8, v12
	v_ashrrev_i32_e32 v13, 31, v12
	v_lshlrev_b64 v[8:9], 3, v[8:9]
	v_add_co_ci_u32_e64 v7, null, v67, v7, vcc_lo
	v_add_nc_u32_e32 v18, s8, v14
	v_ashrrev_i32_e32 v15, 31, v14
	v_lshlrev_b64 v[12:13], 3, v[12:13]
	v_add_co_u32 v10, vcc_lo, v66, v10
	v_add_nc_u32_e32 v20, s8, v18
	v_ashrrev_i32_e32 v19, 31, v18
	v_lshlrev_b64 v[14:15], 3, v[14:15]
	v_add_co_ci_u32_e64 v11, null, v67, v11, vcc_lo
	v_add_nc_u32_e32 v22, s8, v20
	v_ashrrev_i32_e32 v21, 31, v20
	v_add_co_u32 v8, vcc_lo, v66, v8
	v_lshlrev_b64 v[18:19], 3, v[18:19]
	v_add_nc_u32_e32 v24, s8, v22
	v_ashrrev_i32_e32 v23, 31, v22
	v_add_co_ci_u32_e64 v9, null, v67, v9, vcc_lo
	v_add_co_u32 v12, vcc_lo, v66, v12
	v_add_nc_u32_e32 v26, s8, v24
	v_ashrrev_i32_e32 v25, 31, v24
	v_lshlrev_b64 v[20:21], 3, v[20:21]
	v_add_co_ci_u32_e64 v13, null, v67, v13, vcc_lo
	v_add_nc_u32_e32 v28, s8, v26
	v_ashrrev_i32_e32 v27, 31, v26
	v_add_co_u32 v14, vcc_lo, v66, v14
	v_lshlrev_b64 v[22:23], 3, v[22:23]
	v_add_nc_u32_e32 v30, s8, v28
	v_ashrrev_i32_e32 v29, 31, v28
	v_add_co_ci_u32_e64 v15, null, v67, v15, vcc_lo
	v_add_co_u32 v18, vcc_lo, v66, v18
	v_add_nc_u32_e32 v32, s8, v30
	v_lshlrev_b64 v[24:25], 3, v[24:25]
	v_ashrrev_i32_e32 v31, 31, v30
	v_add_co_ci_u32_e64 v19, null, v67, v19, vcc_lo
	v_add_nc_u32_e32 v34, s8, v32
	v_add_co_u32 v20, vcc_lo, v66, v20
	v_lshlrev_b64 v[26:27], 3, v[26:27]
	v_ashrrev_i32_e32 v33, 31, v32
	v_add_co_ci_u32_e64 v21, null, v67, v21, vcc_lo
	v_add_co_u32 v22, vcc_lo, v66, v22
	v_lshlrev_b64 v[28:29], 3, v[28:29]
	v_add_co_ci_u32_e64 v23, null, v67, v23, vcc_lo
	v_add_co_u32 v24, vcc_lo, v66, v24
	v_lshlrev_b64 v[30:31], 3, v[30:31]
	v_add_nc_u32_e32 v36, s8, v34
	v_add_co_ci_u32_e64 v25, null, v67, v25, vcc_lo
	v_add_co_u32 v26, vcc_lo, v66, v26
	v_lshlrev_b64 v[32:33], 3, v[32:33]
	v_ashrrev_i32_e32 v35, 31, v34
	v_add_co_ci_u32_e64 v27, null, v67, v27, vcc_lo
	v_add_co_u32 v28, vcc_lo, v66, v28
	v_ashrrev_i32_e32 v37, 31, v36
	v_add_nc_u32_e32 v38, s8, v36
	v_add_co_ci_u32_e64 v29, null, v67, v29, vcc_lo
	v_add_co_u32 v30, vcc_lo, v66, v30
	v_lshlrev_b64 v[34:35], 3, v[34:35]
	v_add_co_ci_u32_e64 v31, null, v67, v31, vcc_lo
	v_add_co_u32 v60, vcc_lo, v66, v32
	v_add_co_ci_u32_e64 v61, null, v67, v33, vcc_lo
	v_lshlrev_b64 v[32:33], 3, v[36:37]
	v_ashrrev_i32_e32 v39, 31, v38
	v_add_nc_u32_e32 v36, s8, v38
	v_add_co_u32 v62, vcc_lo, v66, v34
	v_add_co_ci_u32_e64 v63, null, v67, v35, vcc_lo
	v_lshlrev_b64 v[34:35], 3, v[38:39]
	v_ashrrev_i32_e32 v37, 31, v36
	v_add_nc_u32_e32 v38, s8, v36
	;; [unrolled: 5-line block ×7, first 2 shown]
	v_add_co_u32 v76, vcc_lo, v66, v34
	v_add_co_ci_u32_e64 v77, null, v67, v35, vcc_lo
	v_lshlrev_b64 v[34:35], 3, v[38:39]
	v_add_nc_u32_e32 v38, s8, v36
	v_ashrrev_i32_e32 v37, 31, v36
	v_add_co_u32 v78, vcc_lo, v66, v32
	v_add_co_ci_u32_e64 v79, null, v67, v33, vcc_lo
	v_ashrrev_i32_e32 v39, 31, v38
	v_lshlrev_b64 v[32:33], 3, v[36:37]
	v_add_co_u32 v80, vcc_lo, v66, v34
	v_add_co_ci_u32_e64 v81, null, v67, v35, vcc_lo
	v_lshlrev_b64 v[34:35], 3, v[38:39]
	v_add_nc_u32_e32 v36, s8, v38
	v_add_co_u32 v82, vcc_lo, v66, v32
	v_add_co_ci_u32_e64 v83, null, v67, v33, vcc_lo
	v_ashrrev_i32_e32 v37, 31, v36
	v_add_co_u32 v84, vcc_lo, v66, v34
	v_add_co_ci_u32_e64 v85, null, v67, v35, vcc_lo
	v_add_co_u32 v34, vcc_lo, v66, v88
	v_add_co_ci_u32_e64 v35, null, 0, v67, vcc_lo
	v_lshlrev_b64 v[32:33], 3, v[36:37]
	v_add_co_u32 v36, vcc_lo, v34, s10
	v_add_co_ci_u32_e64 v37, null, s11, v35, vcc_lo
	v_add_co_u32 v86, vcc_lo, v66, v32
	v_add_co_ci_u32_e64 v87, null, v67, v33, vcc_lo
	s_clause 0x1b
	flat_load_dwordx2 v[58:59], v[34:35]
	flat_load_dwordx2 v[54:55], v[36:37]
	;; [unrolled: 1-line block ×28, first 2 shown]
	v_lshl_add_u32 v68, v1, 3, 0
	v_lshlrev_b32_e32 v69, 3, v1
	v_mov_b32_e32 v64, 0
	v_add_nc_u32_e32 v62, v68, v88
	s_waitcnt vmcnt(27) lgkmcnt(27)
	ds_write_b64 v62, v[58:59]
	s_waitcnt vmcnt(0) lgkmcnt(0)
	s_barrier
	buffer_gl0_inv
	ds_read_b64 v[62:63], v68
	s_cbranch_scc1 .LBB54_6
; %bb.4:
	v_add3_u32 v1, v69, 0, 8
	v_mov_b32_e32 v64, 0
	s_mov_b32 s0, 1
.LBB54_5:                               ; =>This Inner Loop Header: Depth=1
	ds_read_b64 v[70:71], v1
	v_add_nc_u32_e32 v1, 8, v1
	s_waitcnt lgkmcnt(0)
	v_cmp_lt_f64_e64 vcc_lo, |v[62:63]|, |v[70:71]|
	v_cndmask_b32_e32 v63, v63, v71, vcc_lo
	v_cndmask_b32_e32 v62, v62, v70, vcc_lo
	v_cndmask_b32_e64 v64, v64, s0, vcc_lo
	s_add_i32 s0, s0, 1
	s_cmp_eq_u32 s7, s0
	s_cbranch_scc0 .LBB54_5
.LBB54_6:
	s_mov_b32 s0, exec_lo
                                        ; implicit-def: $vgpr71
	v_cmpx_ne_u32_e64 v0, v64
	s_xor_b32 s0, exec_lo, s0
	s_cbranch_execz .LBB54_12
; %bb.7:
	s_mov_b32 s1, exec_lo
	v_cmpx_eq_u32_e32 0, v0
	s_cbranch_execz .LBB54_11
; %bb.8:
	v_cmp_ne_u32_e32 vcc_lo, 0, v64
	s_xor_b32 s2, s6, -1
	s_and_b32 s3, s2, vcc_lo
	s_and_saveexec_b32 s2, s3
	s_cbranch_execz .LBB54_10
; %bb.9:
	v_ashrrev_i32_e32 v65, 31, v64
	v_lshlrev_b64 v[0:1], 2, v[64:65]
	v_add_co_u32 v0, vcc_lo, v16, v0
	v_add_co_ci_u32_e64 v1, null, v17, v1, vcc_lo
	s_clause 0x1
	global_load_dword v65, v[0:1], off
	global_load_dword v70, v[16:17], off
	s_waitcnt vmcnt(1)
	global_store_dword v[16:17], v65, off
	s_waitcnt vmcnt(0)
	global_store_dword v[0:1], v70, off
.LBB54_10:
	s_or_b32 exec_lo, exec_lo, s2
	v_mov_b32_e32 v0, v64
.LBB54_11:
	s_or_b32 exec_lo, exec_lo, s1
	v_mov_b32_e32 v71, v0
                                        ; implicit-def: $vgpr0
.LBB54_12:
	s_or_saveexec_b32 s0, s0
	v_mov_b32_e32 v65, v71
	s_xor_b32 exec_lo, exec_lo, s0
	s_cbranch_execz .LBB54_14
; %bb.13:
	v_mov_b32_e32 v71, 0
	v_mov_b32_e32 v65, v0
	ds_write2_b64 v68, v[54:55], v[56:57] offset0:1 offset1:2
	ds_write2_b64 v68, v[52:53], v[50:51] offset0:3 offset1:4
	;; [unrolled: 1-line block ×13, first 2 shown]
	ds_write_b64 v68, v[60:61] offset:216
.LBB54_14:
	s_or_b32 exec_lo, exec_lo, s0
	s_waitcnt lgkmcnt(0)
	v_cmp_eq_f64_e64 s0, 0, v[62:63]
	s_mov_b32 s1, exec_lo
	s_waitcnt_vscnt null, 0x0
	s_barrier
	buffer_gl0_inv
	v_cmpx_lt_i32_e32 0, v71
	s_cbranch_execz .LBB54_16
; %bb.15:
	v_div_scale_f64 v[0:1], null, v[62:63], v[62:63], 1.0
	v_div_scale_f64 v[76:77], vcc_lo, 1.0, v[62:63], 1.0
	v_rcp_f64_e32 v[72:73], v[0:1]
	v_fma_f64 v[74:75], -v[0:1], v[72:73], 1.0
	v_fma_f64 v[72:73], v[72:73], v[74:75], v[72:73]
	v_fma_f64 v[74:75], -v[0:1], v[72:73], 1.0
	v_fma_f64 v[72:73], v[72:73], v[74:75], v[72:73]
	v_mul_f64 v[74:75], v[76:77], v[72:73]
	v_fma_f64 v[0:1], -v[0:1], v[74:75], v[76:77]
	v_div_fmas_f64 v[0:1], v[0:1], v[72:73], v[74:75]
	v_div_fixup_f64 v[0:1], v[0:1], v[62:63], 1.0
	v_cndmask_b32_e64 v1, v1, v63, s0
	v_cndmask_b32_e64 v0, v0, v62, s0
	v_mul_f64 v[58:59], v[0:1], v[58:59]
	ds_read2_b64 v[72:75], v68 offset0:1 offset1:2
	ds_read2_b64 v[76:79], v68 offset0:3 offset1:4
	;; [unrolled: 1-line block ×13, first 2 shown]
	ds_read_b64 v[0:1], v68 offset:216
	s_waitcnt lgkmcnt(13)
	v_fma_f64 v[54:55], -v[58:59], v[72:73], v[54:55]
	v_fma_f64 v[56:57], -v[58:59], v[74:75], v[56:57]
	s_waitcnt lgkmcnt(12)
	v_fma_f64 v[52:53], -v[58:59], v[76:77], v[52:53]
	v_fma_f64 v[50:51], -v[58:59], v[78:79], v[50:51]
	;; [unrolled: 3-line block ×13, first 2 shown]
	s_waitcnt lgkmcnt(0)
	v_fma_f64 v[60:61], -v[58:59], v[0:1], v[60:61]
.LBB54_16:
	s_or_b32 exec_lo, exec_lo, s1
	v_lshl_add_u32 v0, v71, 3, v68
	s_barrier
	buffer_gl0_inv
	v_mov_b32_e32 v62, 1
	ds_write_b64 v0, v[54:55]
	s_waitcnt lgkmcnt(0)
	s_barrier
	buffer_gl0_inv
	ds_read_b64 v[0:1], v68 offset:8
	s_cmp_lt_i32 s7, 3
	s_cbranch_scc1 .LBB54_19
; %bb.17:
	v_add3_u32 v63, v69, 0, 16
	v_mov_b32_e32 v62, 1
	s_mov_b32 s1, 2
.LBB54_18:                              ; =>This Inner Loop Header: Depth=1
	ds_read_b64 v[72:73], v63
	v_add_nc_u32_e32 v63, 8, v63
	s_waitcnt lgkmcnt(0)
	v_cmp_lt_f64_e64 vcc_lo, |v[0:1]|, |v[72:73]|
	v_cndmask_b32_e32 v1, v1, v73, vcc_lo
	v_cndmask_b32_e32 v0, v0, v72, vcc_lo
	v_cndmask_b32_e64 v62, v62, s1, vcc_lo
	s_add_i32 s1, s1, 1
	s_cmp_lg_u32 s7, s1
	s_cbranch_scc1 .LBB54_18
.LBB54_19:
	s_mov_b32 s1, exec_lo
	v_cmpx_ne_u32_e64 v71, v62
	s_xor_b32 s1, exec_lo, s1
	s_cbranch_execz .LBB54_25
; %bb.20:
	s_mov_b32 s2, exec_lo
	v_cmpx_eq_u32_e32 1, v71
	s_cbranch_execz .LBB54_24
; %bb.21:
	v_cmp_ne_u32_e32 vcc_lo, 1, v62
	s_xor_b32 s3, s6, -1
	s_and_b32 s9, s3, vcc_lo
	s_and_saveexec_b32 s3, s9
	s_cbranch_execz .LBB54_23
; %bb.22:
	v_ashrrev_i32_e32 v63, 31, v62
	v_lshlrev_b64 v[63:64], 2, v[62:63]
	v_add_co_u32 v63, vcc_lo, v16, v63
	v_add_co_ci_u32_e64 v64, null, v17, v64, vcc_lo
	s_clause 0x1
	global_load_dword v65, v[63:64], off
	global_load_dword v70, v[16:17], off offset:4
	s_waitcnt vmcnt(1)
	global_store_dword v[16:17], v65, off offset:4
	s_waitcnt vmcnt(0)
	global_store_dword v[63:64], v70, off
.LBB54_23:
	s_or_b32 exec_lo, exec_lo, s3
	v_mov_b32_e32 v65, v62
	v_mov_b32_e32 v71, v62
.LBB54_24:
	s_or_b32 exec_lo, exec_lo, s2
.LBB54_25:
	s_andn2_saveexec_b32 s1, s1
	s_cbranch_execz .LBB54_27
; %bb.26:
	v_mov_b32_e32 v62, v56
	v_mov_b32_e32 v63, v57
	;; [unrolled: 1-line block ×16, first 2 shown]
	ds_write2_b64 v68, v[62:63], v[70:71] offset0:2 offset1:3
	ds_write2_b64 v68, v[72:73], v[74:75] offset0:4 offset1:5
	;; [unrolled: 1-line block ×4, first 2 shown]
	v_mov_b32_e32 v62, v40
	v_mov_b32_e32 v63, v41
	;; [unrolled: 1-line block ×20, first 2 shown]
	ds_write2_b64 v68, v[62:63], v[70:71] offset0:10 offset1:11
	ds_write2_b64 v68, v[72:73], v[74:75] offset0:12 offset1:13
	;; [unrolled: 1-line block ×5, first 2 shown]
	v_mov_b32_e32 v62, v20
	v_mov_b32_e32 v63, v21
	;; [unrolled: 1-line block ×15, first 2 shown]
	ds_write2_b64 v68, v[62:63], v[72:73] offset0:20 offset1:21
	ds_write2_b64 v68, v[74:75], v[76:77] offset0:22 offset1:23
	;; [unrolled: 1-line block ×4, first 2 shown]
.LBB54_27:
	s_or_b32 exec_lo, exec_lo, s1
	s_waitcnt lgkmcnt(0)
	v_cmp_neq_f64_e64 s1, 0, v[0:1]
	s_mov_b32 s2, exec_lo
	s_waitcnt_vscnt null, 0x0
	s_barrier
	buffer_gl0_inv
	v_cmpx_lt_i32_e32 1, v71
	s_cbranch_execz .LBB54_29
; %bb.28:
	v_div_scale_f64 v[62:63], null, v[0:1], v[0:1], 1.0
	v_div_scale_f64 v[76:77], vcc_lo, 1.0, v[0:1], 1.0
	v_rcp_f64_e32 v[72:73], v[62:63]
	v_fma_f64 v[74:75], -v[62:63], v[72:73], 1.0
	v_fma_f64 v[72:73], v[72:73], v[74:75], v[72:73]
	v_fma_f64 v[74:75], -v[62:63], v[72:73], 1.0
	v_fma_f64 v[72:73], v[72:73], v[74:75], v[72:73]
	v_mul_f64 v[74:75], v[76:77], v[72:73]
	v_fma_f64 v[62:63], -v[62:63], v[74:75], v[76:77]
	v_div_fmas_f64 v[62:63], v[62:63], v[72:73], v[74:75]
	ds_read2_b64 v[72:75], v68 offset0:2 offset1:3
	ds_read2_b64 v[76:79], v68 offset0:4 offset1:5
	;; [unrolled: 1-line block ×13, first 2 shown]
	v_div_fixup_f64 v[62:63], v[62:63], v[0:1], 1.0
	v_cndmask_b32_e64 v1, v1, v63, s1
	v_cndmask_b32_e64 v0, v0, v62, s1
	v_mul_f64 v[54:55], v[0:1], v[54:55]
	s_waitcnt lgkmcnt(12)
	v_fma_f64 v[56:57], -v[54:55], v[72:73], v[56:57]
	v_fma_f64 v[52:53], -v[54:55], v[74:75], v[52:53]
	s_waitcnt lgkmcnt(11)
	v_fma_f64 v[50:51], -v[54:55], v[76:77], v[50:51]
	v_fma_f64 v[48:49], -v[54:55], v[78:79], v[48:49]
	;; [unrolled: 3-line block ×13, first 2 shown]
.LBB54_29:
	s_or_b32 exec_lo, exec_lo, s2
	v_lshl_add_u32 v0, v71, 3, v68
	s_barrier
	buffer_gl0_inv
	v_mov_b32_e32 v62, 2
	ds_write_b64 v0, v[56:57]
	s_waitcnt lgkmcnt(0)
	s_barrier
	buffer_gl0_inv
	ds_read_b64 v[0:1], v68 offset:16
	s_cmp_lt_i32 s7, 4
	s_mov_b32 s2, 3
	s_cbranch_scc1 .LBB54_32
; %bb.30:
	v_add3_u32 v63, v69, 0, 24
	v_mov_b32_e32 v62, 2
.LBB54_31:                              ; =>This Inner Loop Header: Depth=1
	ds_read_b64 v[72:73], v63
	v_add_nc_u32_e32 v63, 8, v63
	s_waitcnt lgkmcnt(0)
	v_cmp_lt_f64_e64 vcc_lo, |v[0:1]|, |v[72:73]|
	v_cndmask_b32_e32 v1, v1, v73, vcc_lo
	v_cndmask_b32_e32 v0, v0, v72, vcc_lo
	v_cndmask_b32_e64 v62, v62, s2, vcc_lo
	s_add_i32 s2, s2, 1
	s_cmp_lg_u32 s7, s2
	s_cbranch_scc1 .LBB54_31
.LBB54_32:
	v_cndmask_b32_e64 v63, 2, 1, s0
	v_cndmask_b32_e64 v64, 0, 1, s0
	s_mov_b32 s0, exec_lo
	v_cndmask_b32_e64 v70, v63, v64, s1
	s_waitcnt lgkmcnt(0)
	v_cmpx_eq_f64_e32 0, v[0:1]
	s_xor_b32 s0, exec_lo, s0
; %bb.33:
	v_cmp_ne_u32_e32 vcc_lo, 0, v70
	v_cndmask_b32_e32 v70, 3, v70, vcc_lo
; %bb.34:
	s_andn2_saveexec_b32 s0, s0
	s_cbranch_execz .LBB54_36
; %bb.35:
	v_div_scale_f64 v[63:64], null, v[0:1], v[0:1], 1.0
	v_rcp_f64_e32 v[72:73], v[63:64]
	v_fma_f64 v[74:75], -v[63:64], v[72:73], 1.0
	v_fma_f64 v[72:73], v[72:73], v[74:75], v[72:73]
	v_fma_f64 v[74:75], -v[63:64], v[72:73], 1.0
	v_fma_f64 v[72:73], v[72:73], v[74:75], v[72:73]
	v_div_scale_f64 v[74:75], vcc_lo, 1.0, v[0:1], 1.0
	v_mul_f64 v[76:77], v[74:75], v[72:73]
	v_fma_f64 v[63:64], -v[63:64], v[76:77], v[74:75]
	v_div_fmas_f64 v[63:64], v[63:64], v[72:73], v[76:77]
	v_div_fixup_f64 v[0:1], v[63:64], v[0:1], 1.0
.LBB54_36:
	s_or_b32 exec_lo, exec_lo, s0
	s_mov_b32 s0, exec_lo
	v_cmpx_ne_u32_e64 v71, v62
	s_xor_b32 s0, exec_lo, s0
	s_cbranch_execz .LBB54_42
; %bb.37:
	s_mov_b32 s1, exec_lo
	v_cmpx_eq_u32_e32 2, v71
	s_cbranch_execz .LBB54_41
; %bb.38:
	v_cmp_ne_u32_e32 vcc_lo, 2, v62
	s_xor_b32 s2, s6, -1
	s_and_b32 s3, s2, vcc_lo
	s_and_saveexec_b32 s2, s3
	s_cbranch_execz .LBB54_40
; %bb.39:
	v_ashrrev_i32_e32 v63, 31, v62
	v_lshlrev_b64 v[63:64], 2, v[62:63]
	v_add_co_u32 v63, vcc_lo, v16, v63
	v_add_co_ci_u32_e64 v64, null, v17, v64, vcc_lo
	s_clause 0x1
	global_load_dword v65, v[63:64], off
	global_load_dword v71, v[16:17], off offset:8
	s_waitcnt vmcnt(1)
	global_store_dword v[16:17], v65, off offset:8
	s_waitcnt vmcnt(0)
	global_store_dword v[63:64], v71, off
.LBB54_40:
	s_or_b32 exec_lo, exec_lo, s2
	v_mov_b32_e32 v65, v62
	v_mov_b32_e32 v71, v62
.LBB54_41:
	s_or_b32 exec_lo, exec_lo, s1
.LBB54_42:
	s_andn2_saveexec_b32 s0, s0
	s_cbranch_execz .LBB54_44
; %bb.43:
	v_mov_b32_e32 v71, 2
	ds_write2_b64 v68, v[52:53], v[50:51] offset0:3 offset1:4
	ds_write2_b64 v68, v[48:49], v[46:47] offset0:5 offset1:6
	;; [unrolled: 1-line block ×12, first 2 shown]
	ds_write_b64 v68, v[60:61] offset:216
.LBB54_44:
	s_or_b32 exec_lo, exec_lo, s0
	s_mov_b32 s0, exec_lo
	s_waitcnt lgkmcnt(0)
	s_waitcnt_vscnt null, 0x0
	s_barrier
	buffer_gl0_inv
	v_cmpx_lt_i32_e32 2, v71
	s_cbranch_execz .LBB54_46
; %bb.45:
	v_mul_f64 v[56:57], v[0:1], v[56:57]
	ds_read2_b64 v[72:75], v68 offset0:3 offset1:4
	ds_read2_b64 v[76:79], v68 offset0:5 offset1:6
	ds_read2_b64 v[80:83], v68 offset0:7 offset1:8
	ds_read2_b64 v[84:87], v68 offset0:9 offset1:10
	ds_read2_b64 v[88:91], v68 offset0:11 offset1:12
	ds_read2_b64 v[92:95], v68 offset0:13 offset1:14
	ds_read2_b64 v[96:99], v68 offset0:15 offset1:16
	ds_read2_b64 v[100:103], v68 offset0:17 offset1:18
	ds_read2_b64 v[104:107], v68 offset0:19 offset1:20
	ds_read2_b64 v[108:111], v68 offset0:21 offset1:22
	ds_read2_b64 v[112:115], v68 offset0:23 offset1:24
	ds_read2_b64 v[116:119], v68 offset0:25 offset1:26
	ds_read_b64 v[0:1], v68 offset:216
	s_waitcnt lgkmcnt(12)
	v_fma_f64 v[52:53], -v[56:57], v[72:73], v[52:53]
	v_fma_f64 v[50:51], -v[56:57], v[74:75], v[50:51]
	s_waitcnt lgkmcnt(11)
	v_fma_f64 v[48:49], -v[56:57], v[76:77], v[48:49]
	v_fma_f64 v[46:47], -v[56:57], v[78:79], v[46:47]
	;; [unrolled: 3-line block ×12, first 2 shown]
	s_waitcnt lgkmcnt(0)
	v_fma_f64 v[60:61], -v[56:57], v[0:1], v[60:61]
.LBB54_46:
	s_or_b32 exec_lo, exec_lo, s0
	v_lshl_add_u32 v0, v71, 3, v68
	s_barrier
	buffer_gl0_inv
	v_mov_b32_e32 v62, 3
	ds_write_b64 v0, v[52:53]
	s_waitcnt lgkmcnt(0)
	s_barrier
	buffer_gl0_inv
	ds_read_b64 v[0:1], v68 offset:24
	s_cmp_lt_i32 s7, 5
	s_cbranch_scc1 .LBB54_49
; %bb.47:
	v_mov_b32_e32 v62, 3
	v_add3_u32 v63, v69, 0, 32
	s_mov_b32 s0, 4
.LBB54_48:                              ; =>This Inner Loop Header: Depth=1
	ds_read_b64 v[72:73], v63
	v_add_nc_u32_e32 v63, 8, v63
	s_waitcnt lgkmcnt(0)
	v_cmp_lt_f64_e64 vcc_lo, |v[0:1]|, |v[72:73]|
	v_cndmask_b32_e32 v1, v1, v73, vcc_lo
	v_cndmask_b32_e32 v0, v0, v72, vcc_lo
	v_cndmask_b32_e64 v62, v62, s0, vcc_lo
	s_add_i32 s0, s0, 1
	s_cmp_lg_u32 s7, s0
	s_cbranch_scc1 .LBB54_48
.LBB54_49:
	s_mov_b32 s0, exec_lo
	s_waitcnt lgkmcnt(0)
	v_cmpx_eq_f64_e32 0, v[0:1]
	s_xor_b32 s0, exec_lo, s0
; %bb.50:
	v_cmp_ne_u32_e32 vcc_lo, 0, v70
	v_cndmask_b32_e32 v70, 4, v70, vcc_lo
; %bb.51:
	s_andn2_saveexec_b32 s0, s0
	s_cbranch_execz .LBB54_53
; %bb.52:
	v_div_scale_f64 v[63:64], null, v[0:1], v[0:1], 1.0
	v_rcp_f64_e32 v[72:73], v[63:64]
	v_fma_f64 v[74:75], -v[63:64], v[72:73], 1.0
	v_fma_f64 v[72:73], v[72:73], v[74:75], v[72:73]
	v_fma_f64 v[74:75], -v[63:64], v[72:73], 1.0
	v_fma_f64 v[72:73], v[72:73], v[74:75], v[72:73]
	v_div_scale_f64 v[74:75], vcc_lo, 1.0, v[0:1], 1.0
	v_mul_f64 v[76:77], v[74:75], v[72:73]
	v_fma_f64 v[63:64], -v[63:64], v[76:77], v[74:75]
	v_div_fmas_f64 v[63:64], v[63:64], v[72:73], v[76:77]
	v_div_fixup_f64 v[0:1], v[63:64], v[0:1], 1.0
.LBB54_53:
	s_or_b32 exec_lo, exec_lo, s0
	s_mov_b32 s0, exec_lo
	v_cmpx_ne_u32_e64 v71, v62
	s_xor_b32 s0, exec_lo, s0
	s_cbranch_execz .LBB54_59
; %bb.54:
	s_mov_b32 s1, exec_lo
	v_cmpx_eq_u32_e32 3, v71
	s_cbranch_execz .LBB54_58
; %bb.55:
	v_cmp_ne_u32_e32 vcc_lo, 3, v62
	s_xor_b32 s2, s6, -1
	s_and_b32 s3, s2, vcc_lo
	s_and_saveexec_b32 s2, s3
	s_cbranch_execz .LBB54_57
; %bb.56:
	v_ashrrev_i32_e32 v63, 31, v62
	v_lshlrev_b64 v[63:64], 2, v[62:63]
	v_add_co_u32 v63, vcc_lo, v16, v63
	v_add_co_ci_u32_e64 v64, null, v17, v64, vcc_lo
	s_clause 0x1
	global_load_dword v65, v[63:64], off
	global_load_dword v71, v[16:17], off offset:12
	s_waitcnt vmcnt(1)
	global_store_dword v[16:17], v65, off offset:12
	s_waitcnt vmcnt(0)
	global_store_dword v[63:64], v71, off
.LBB54_57:
	s_or_b32 exec_lo, exec_lo, s2
	v_mov_b32_e32 v65, v62
	v_mov_b32_e32 v71, v62
.LBB54_58:
	s_or_b32 exec_lo, exec_lo, s1
.LBB54_59:
	s_andn2_saveexec_b32 s0, s0
	s_cbranch_execz .LBB54_61
; %bb.60:
	v_mov_b32_e32 v62, v50
	v_mov_b32_e32 v63, v51
	;; [unrolled: 1-line block ×12, first 2 shown]
	ds_write2_b64 v68, v[62:63], v[71:72] offset0:4 offset1:5
	ds_write2_b64 v68, v[73:74], v[75:76] offset0:6 offset1:7
	;; [unrolled: 1-line block ×3, first 2 shown]
	v_mov_b32_e32 v62, v40
	v_mov_b32_e32 v63, v41
	;; [unrolled: 1-line block ×20, first 2 shown]
	ds_write2_b64 v68, v[62:63], v[71:72] offset0:10 offset1:11
	ds_write2_b64 v68, v[73:74], v[75:76] offset0:12 offset1:13
	;; [unrolled: 1-line block ×5, first 2 shown]
	v_mov_b32_e32 v62, v20
	v_mov_b32_e32 v63, v21
	;; [unrolled: 1-line block ×15, first 2 shown]
	ds_write2_b64 v68, v[62:63], v[72:73] offset0:20 offset1:21
	ds_write2_b64 v68, v[74:75], v[76:77] offset0:22 offset1:23
	;; [unrolled: 1-line block ×4, first 2 shown]
.LBB54_61:
	s_or_b32 exec_lo, exec_lo, s0
	s_mov_b32 s0, exec_lo
	s_waitcnt lgkmcnt(0)
	s_waitcnt_vscnt null, 0x0
	s_barrier
	buffer_gl0_inv
	v_cmpx_lt_i32_e32 3, v71
	s_cbranch_execz .LBB54_63
; %bb.62:
	v_mul_f64 v[52:53], v[0:1], v[52:53]
	ds_read2_b64 v[72:75], v68 offset0:4 offset1:5
	ds_read2_b64 v[76:79], v68 offset0:6 offset1:7
	;; [unrolled: 1-line block ×12, first 2 shown]
	s_waitcnt lgkmcnt(11)
	v_fma_f64 v[50:51], -v[52:53], v[72:73], v[50:51]
	v_fma_f64 v[48:49], -v[52:53], v[74:75], v[48:49]
	s_waitcnt lgkmcnt(10)
	v_fma_f64 v[46:47], -v[52:53], v[76:77], v[46:47]
	v_fma_f64 v[44:45], -v[52:53], v[78:79], v[44:45]
	;; [unrolled: 3-line block ×12, first 2 shown]
.LBB54_63:
	s_or_b32 exec_lo, exec_lo, s0
	v_lshl_add_u32 v0, v71, 3, v68
	s_barrier
	buffer_gl0_inv
	v_mov_b32_e32 v62, 4
	ds_write_b64 v0, v[50:51]
	s_waitcnt lgkmcnt(0)
	s_barrier
	buffer_gl0_inv
	ds_read_b64 v[0:1], v68 offset:32
	s_cmp_lt_i32 s7, 6
	s_cbranch_scc1 .LBB54_66
; %bb.64:
	v_add3_u32 v63, v69, 0, 40
	v_mov_b32_e32 v62, 4
	s_mov_b32 s0, 5
.LBB54_65:                              ; =>This Inner Loop Header: Depth=1
	ds_read_b64 v[72:73], v63
	v_add_nc_u32_e32 v63, 8, v63
	s_waitcnt lgkmcnt(0)
	v_cmp_lt_f64_e64 vcc_lo, |v[0:1]|, |v[72:73]|
	v_cndmask_b32_e32 v1, v1, v73, vcc_lo
	v_cndmask_b32_e32 v0, v0, v72, vcc_lo
	v_cndmask_b32_e64 v62, v62, s0, vcc_lo
	s_add_i32 s0, s0, 1
	s_cmp_lg_u32 s7, s0
	s_cbranch_scc1 .LBB54_65
.LBB54_66:
	s_mov_b32 s0, exec_lo
	s_waitcnt lgkmcnt(0)
	v_cmpx_eq_f64_e32 0, v[0:1]
	s_xor_b32 s0, exec_lo, s0
; %bb.67:
	v_cmp_ne_u32_e32 vcc_lo, 0, v70
	v_cndmask_b32_e32 v70, 5, v70, vcc_lo
; %bb.68:
	s_andn2_saveexec_b32 s0, s0
	s_cbranch_execz .LBB54_70
; %bb.69:
	v_div_scale_f64 v[63:64], null, v[0:1], v[0:1], 1.0
	v_rcp_f64_e32 v[72:73], v[63:64]
	v_fma_f64 v[74:75], -v[63:64], v[72:73], 1.0
	v_fma_f64 v[72:73], v[72:73], v[74:75], v[72:73]
	v_fma_f64 v[74:75], -v[63:64], v[72:73], 1.0
	v_fma_f64 v[72:73], v[72:73], v[74:75], v[72:73]
	v_div_scale_f64 v[74:75], vcc_lo, 1.0, v[0:1], 1.0
	v_mul_f64 v[76:77], v[74:75], v[72:73]
	v_fma_f64 v[63:64], -v[63:64], v[76:77], v[74:75]
	v_div_fmas_f64 v[63:64], v[63:64], v[72:73], v[76:77]
	v_div_fixup_f64 v[0:1], v[63:64], v[0:1], 1.0
.LBB54_70:
	s_or_b32 exec_lo, exec_lo, s0
	s_mov_b32 s0, exec_lo
	v_cmpx_ne_u32_e64 v71, v62
	s_xor_b32 s0, exec_lo, s0
	s_cbranch_execz .LBB54_76
; %bb.71:
	s_mov_b32 s1, exec_lo
	v_cmpx_eq_u32_e32 4, v71
	s_cbranch_execz .LBB54_75
; %bb.72:
	v_cmp_ne_u32_e32 vcc_lo, 4, v62
	s_xor_b32 s2, s6, -1
	s_and_b32 s3, s2, vcc_lo
	s_and_saveexec_b32 s2, s3
	s_cbranch_execz .LBB54_74
; %bb.73:
	v_ashrrev_i32_e32 v63, 31, v62
	v_lshlrev_b64 v[63:64], 2, v[62:63]
	v_add_co_u32 v63, vcc_lo, v16, v63
	v_add_co_ci_u32_e64 v64, null, v17, v64, vcc_lo
	s_clause 0x1
	global_load_dword v65, v[63:64], off
	global_load_dword v71, v[16:17], off offset:16
	s_waitcnt vmcnt(1)
	global_store_dword v[16:17], v65, off offset:16
	s_waitcnt vmcnt(0)
	global_store_dword v[63:64], v71, off
.LBB54_74:
	s_or_b32 exec_lo, exec_lo, s2
	v_mov_b32_e32 v65, v62
	v_mov_b32_e32 v71, v62
.LBB54_75:
	s_or_b32 exec_lo, exec_lo, s1
.LBB54_76:
	s_andn2_saveexec_b32 s0, s0
	s_cbranch_execz .LBB54_78
; %bb.77:
	v_mov_b32_e32 v71, 4
	ds_write2_b64 v68, v[48:49], v[46:47] offset0:5 offset1:6
	ds_write2_b64 v68, v[44:45], v[42:43] offset0:7 offset1:8
	;; [unrolled: 1-line block ×11, first 2 shown]
	ds_write_b64 v68, v[60:61] offset:216
.LBB54_78:
	s_or_b32 exec_lo, exec_lo, s0
	s_mov_b32 s0, exec_lo
	s_waitcnt lgkmcnt(0)
	s_waitcnt_vscnt null, 0x0
	s_barrier
	buffer_gl0_inv
	v_cmpx_lt_i32_e32 4, v71
	s_cbranch_execz .LBB54_80
; %bb.79:
	v_mul_f64 v[50:51], v[0:1], v[50:51]
	ds_read2_b64 v[72:75], v68 offset0:5 offset1:6
	ds_read2_b64 v[76:79], v68 offset0:7 offset1:8
	;; [unrolled: 1-line block ×11, first 2 shown]
	ds_read_b64 v[0:1], v68 offset:216
	s_waitcnt lgkmcnt(11)
	v_fma_f64 v[48:49], -v[50:51], v[72:73], v[48:49]
	v_fma_f64 v[46:47], -v[50:51], v[74:75], v[46:47]
	s_waitcnt lgkmcnt(10)
	v_fma_f64 v[44:45], -v[50:51], v[76:77], v[44:45]
	v_fma_f64 v[42:43], -v[50:51], v[78:79], v[42:43]
	;; [unrolled: 3-line block ×11, first 2 shown]
	s_waitcnt lgkmcnt(0)
	v_fma_f64 v[60:61], -v[50:51], v[0:1], v[60:61]
.LBB54_80:
	s_or_b32 exec_lo, exec_lo, s0
	v_lshl_add_u32 v0, v71, 3, v68
	s_barrier
	buffer_gl0_inv
	v_mov_b32_e32 v62, 5
	ds_write_b64 v0, v[48:49]
	s_waitcnt lgkmcnt(0)
	s_barrier
	buffer_gl0_inv
	ds_read_b64 v[0:1], v68 offset:40
	s_cmp_lt_i32 s7, 7
	s_cbranch_scc1 .LBB54_83
; %bb.81:
	v_add3_u32 v63, v69, 0, 48
	v_mov_b32_e32 v62, 5
	s_mov_b32 s0, 6
.LBB54_82:                              ; =>This Inner Loop Header: Depth=1
	ds_read_b64 v[72:73], v63
	v_add_nc_u32_e32 v63, 8, v63
	s_waitcnt lgkmcnt(0)
	v_cmp_lt_f64_e64 vcc_lo, |v[0:1]|, |v[72:73]|
	v_cndmask_b32_e32 v1, v1, v73, vcc_lo
	v_cndmask_b32_e32 v0, v0, v72, vcc_lo
	v_cndmask_b32_e64 v62, v62, s0, vcc_lo
	s_add_i32 s0, s0, 1
	s_cmp_lg_u32 s7, s0
	s_cbranch_scc1 .LBB54_82
.LBB54_83:
	s_mov_b32 s0, exec_lo
	s_waitcnt lgkmcnt(0)
	v_cmpx_eq_f64_e32 0, v[0:1]
	s_xor_b32 s0, exec_lo, s0
; %bb.84:
	v_cmp_ne_u32_e32 vcc_lo, 0, v70
	v_cndmask_b32_e32 v70, 6, v70, vcc_lo
; %bb.85:
	s_andn2_saveexec_b32 s0, s0
	s_cbranch_execz .LBB54_87
; %bb.86:
	v_div_scale_f64 v[63:64], null, v[0:1], v[0:1], 1.0
	v_rcp_f64_e32 v[72:73], v[63:64]
	v_fma_f64 v[74:75], -v[63:64], v[72:73], 1.0
	v_fma_f64 v[72:73], v[72:73], v[74:75], v[72:73]
	v_fma_f64 v[74:75], -v[63:64], v[72:73], 1.0
	v_fma_f64 v[72:73], v[72:73], v[74:75], v[72:73]
	v_div_scale_f64 v[74:75], vcc_lo, 1.0, v[0:1], 1.0
	v_mul_f64 v[76:77], v[74:75], v[72:73]
	v_fma_f64 v[63:64], -v[63:64], v[76:77], v[74:75]
	v_div_fmas_f64 v[63:64], v[63:64], v[72:73], v[76:77]
	v_div_fixup_f64 v[0:1], v[63:64], v[0:1], 1.0
.LBB54_87:
	s_or_b32 exec_lo, exec_lo, s0
	s_mov_b32 s0, exec_lo
	v_cmpx_ne_u32_e64 v71, v62
	s_xor_b32 s0, exec_lo, s0
	s_cbranch_execz .LBB54_93
; %bb.88:
	s_mov_b32 s1, exec_lo
	v_cmpx_eq_u32_e32 5, v71
	s_cbranch_execz .LBB54_92
; %bb.89:
	v_cmp_ne_u32_e32 vcc_lo, 5, v62
	s_xor_b32 s2, s6, -1
	s_and_b32 s3, s2, vcc_lo
	s_and_saveexec_b32 s2, s3
	s_cbranch_execz .LBB54_91
; %bb.90:
	v_ashrrev_i32_e32 v63, 31, v62
	v_lshlrev_b64 v[63:64], 2, v[62:63]
	v_add_co_u32 v63, vcc_lo, v16, v63
	v_add_co_ci_u32_e64 v64, null, v17, v64, vcc_lo
	s_clause 0x1
	global_load_dword v65, v[63:64], off
	global_load_dword v71, v[16:17], off offset:20
	s_waitcnt vmcnt(1)
	global_store_dword v[16:17], v65, off offset:20
	s_waitcnt vmcnt(0)
	global_store_dword v[63:64], v71, off
.LBB54_91:
	s_or_b32 exec_lo, exec_lo, s2
	v_mov_b32_e32 v65, v62
	v_mov_b32_e32 v71, v62
.LBB54_92:
	s_or_b32 exec_lo, exec_lo, s1
.LBB54_93:
	s_andn2_saveexec_b32 s0, s0
	s_cbranch_execz .LBB54_95
; %bb.94:
	v_mov_b32_e32 v62, v46
	v_mov_b32_e32 v63, v47
	v_mov_b32_e32 v71, v44
	v_mov_b32_e32 v72, v45
	v_mov_b32_e32 v73, v42
	v_mov_b32_e32 v74, v43
	v_mov_b32_e32 v75, v38
	v_mov_b32_e32 v76, v39
	ds_write2_b64 v68, v[62:63], v[71:72] offset0:6 offset1:7
	ds_write2_b64 v68, v[73:74], v[75:76] offset0:8 offset1:9
	v_mov_b32_e32 v62, v40
	v_mov_b32_e32 v63, v41
	;; [unrolled: 1-line block ×20, first 2 shown]
	ds_write2_b64 v68, v[62:63], v[71:72] offset0:10 offset1:11
	ds_write2_b64 v68, v[73:74], v[75:76] offset0:12 offset1:13
	;; [unrolled: 1-line block ×5, first 2 shown]
	v_mov_b32_e32 v62, v20
	v_mov_b32_e32 v63, v21
	;; [unrolled: 1-line block ×15, first 2 shown]
	ds_write2_b64 v68, v[62:63], v[72:73] offset0:20 offset1:21
	ds_write2_b64 v68, v[74:75], v[76:77] offset0:22 offset1:23
	;; [unrolled: 1-line block ×4, first 2 shown]
.LBB54_95:
	s_or_b32 exec_lo, exec_lo, s0
	s_mov_b32 s0, exec_lo
	s_waitcnt lgkmcnt(0)
	s_waitcnt_vscnt null, 0x0
	s_barrier
	buffer_gl0_inv
	v_cmpx_lt_i32_e32 5, v71
	s_cbranch_execz .LBB54_97
; %bb.96:
	v_mul_f64 v[48:49], v[0:1], v[48:49]
	ds_read2_b64 v[72:75], v68 offset0:6 offset1:7
	ds_read2_b64 v[76:79], v68 offset0:8 offset1:9
	;; [unrolled: 1-line block ×11, first 2 shown]
	s_waitcnt lgkmcnt(10)
	v_fma_f64 v[46:47], -v[48:49], v[72:73], v[46:47]
	v_fma_f64 v[44:45], -v[48:49], v[74:75], v[44:45]
	s_waitcnt lgkmcnt(9)
	v_fma_f64 v[42:43], -v[48:49], v[76:77], v[42:43]
	v_fma_f64 v[38:39], -v[48:49], v[78:79], v[38:39]
	;; [unrolled: 3-line block ×11, first 2 shown]
.LBB54_97:
	s_or_b32 exec_lo, exec_lo, s0
	v_lshl_add_u32 v0, v71, 3, v68
	s_barrier
	buffer_gl0_inv
	v_mov_b32_e32 v62, 6
	ds_write_b64 v0, v[46:47]
	s_waitcnt lgkmcnt(0)
	s_barrier
	buffer_gl0_inv
	ds_read_b64 v[0:1], v68 offset:48
	s_cmp_lt_i32 s7, 8
	s_cbranch_scc1 .LBB54_100
; %bb.98:
	v_add3_u32 v63, v69, 0, 56
	v_mov_b32_e32 v62, 6
	s_mov_b32 s0, 7
.LBB54_99:                              ; =>This Inner Loop Header: Depth=1
	ds_read_b64 v[72:73], v63
	v_add_nc_u32_e32 v63, 8, v63
	s_waitcnt lgkmcnt(0)
	v_cmp_lt_f64_e64 vcc_lo, |v[0:1]|, |v[72:73]|
	v_cndmask_b32_e32 v1, v1, v73, vcc_lo
	v_cndmask_b32_e32 v0, v0, v72, vcc_lo
	v_cndmask_b32_e64 v62, v62, s0, vcc_lo
	s_add_i32 s0, s0, 1
	s_cmp_lg_u32 s7, s0
	s_cbranch_scc1 .LBB54_99
.LBB54_100:
	s_mov_b32 s0, exec_lo
	s_waitcnt lgkmcnt(0)
	v_cmpx_eq_f64_e32 0, v[0:1]
	s_xor_b32 s0, exec_lo, s0
; %bb.101:
	v_cmp_ne_u32_e32 vcc_lo, 0, v70
	v_cndmask_b32_e32 v70, 7, v70, vcc_lo
; %bb.102:
	s_andn2_saveexec_b32 s0, s0
	s_cbranch_execz .LBB54_104
; %bb.103:
	v_div_scale_f64 v[63:64], null, v[0:1], v[0:1], 1.0
	v_rcp_f64_e32 v[72:73], v[63:64]
	v_fma_f64 v[74:75], -v[63:64], v[72:73], 1.0
	v_fma_f64 v[72:73], v[72:73], v[74:75], v[72:73]
	v_fma_f64 v[74:75], -v[63:64], v[72:73], 1.0
	v_fma_f64 v[72:73], v[72:73], v[74:75], v[72:73]
	v_div_scale_f64 v[74:75], vcc_lo, 1.0, v[0:1], 1.0
	v_mul_f64 v[76:77], v[74:75], v[72:73]
	v_fma_f64 v[63:64], -v[63:64], v[76:77], v[74:75]
	v_div_fmas_f64 v[63:64], v[63:64], v[72:73], v[76:77]
	v_div_fixup_f64 v[0:1], v[63:64], v[0:1], 1.0
.LBB54_104:
	s_or_b32 exec_lo, exec_lo, s0
	s_mov_b32 s0, exec_lo
	v_cmpx_ne_u32_e64 v71, v62
	s_xor_b32 s0, exec_lo, s0
	s_cbranch_execz .LBB54_110
; %bb.105:
	s_mov_b32 s1, exec_lo
	v_cmpx_eq_u32_e32 6, v71
	s_cbranch_execz .LBB54_109
; %bb.106:
	v_cmp_ne_u32_e32 vcc_lo, 6, v62
	s_xor_b32 s2, s6, -1
	s_and_b32 s3, s2, vcc_lo
	s_and_saveexec_b32 s2, s3
	s_cbranch_execz .LBB54_108
; %bb.107:
	v_ashrrev_i32_e32 v63, 31, v62
	v_lshlrev_b64 v[63:64], 2, v[62:63]
	v_add_co_u32 v63, vcc_lo, v16, v63
	v_add_co_ci_u32_e64 v64, null, v17, v64, vcc_lo
	s_clause 0x1
	global_load_dword v65, v[63:64], off
	global_load_dword v71, v[16:17], off offset:24
	s_waitcnt vmcnt(1)
	global_store_dword v[16:17], v65, off offset:24
	s_waitcnt vmcnt(0)
	global_store_dword v[63:64], v71, off
.LBB54_108:
	s_or_b32 exec_lo, exec_lo, s2
	v_mov_b32_e32 v65, v62
	v_mov_b32_e32 v71, v62
.LBB54_109:
	s_or_b32 exec_lo, exec_lo, s1
.LBB54_110:
	s_andn2_saveexec_b32 s0, s0
	s_cbranch_execz .LBB54_112
; %bb.111:
	v_mov_b32_e32 v71, 6
	ds_write2_b64 v68, v[44:45], v[42:43] offset0:7 offset1:8
	ds_write2_b64 v68, v[38:39], v[40:41] offset0:9 offset1:10
	;; [unrolled: 1-line block ×10, first 2 shown]
	ds_write_b64 v68, v[60:61] offset:216
.LBB54_112:
	s_or_b32 exec_lo, exec_lo, s0
	s_mov_b32 s0, exec_lo
	s_waitcnt lgkmcnt(0)
	s_waitcnt_vscnt null, 0x0
	s_barrier
	buffer_gl0_inv
	v_cmpx_lt_i32_e32 6, v71
	s_cbranch_execz .LBB54_114
; %bb.113:
	v_mul_f64 v[46:47], v[0:1], v[46:47]
	ds_read2_b64 v[72:75], v68 offset0:7 offset1:8
	ds_read2_b64 v[76:79], v68 offset0:9 offset1:10
	;; [unrolled: 1-line block ×10, first 2 shown]
	ds_read_b64 v[0:1], v68 offset:216
	s_waitcnt lgkmcnt(10)
	v_fma_f64 v[44:45], -v[46:47], v[72:73], v[44:45]
	v_fma_f64 v[42:43], -v[46:47], v[74:75], v[42:43]
	s_waitcnt lgkmcnt(9)
	v_fma_f64 v[38:39], -v[46:47], v[76:77], v[38:39]
	v_fma_f64 v[40:41], -v[46:47], v[78:79], v[40:41]
	;; [unrolled: 3-line block ×10, first 2 shown]
	s_waitcnt lgkmcnt(0)
	v_fma_f64 v[60:61], -v[46:47], v[0:1], v[60:61]
.LBB54_114:
	s_or_b32 exec_lo, exec_lo, s0
	v_lshl_add_u32 v0, v71, 3, v68
	s_barrier
	buffer_gl0_inv
	v_mov_b32_e32 v62, 7
	ds_write_b64 v0, v[44:45]
	s_waitcnt lgkmcnt(0)
	s_barrier
	buffer_gl0_inv
	ds_read_b64 v[0:1], v68 offset:56
	s_cmp_lt_i32 s7, 9
	s_cbranch_scc1 .LBB54_117
; %bb.115:
	v_add3_u32 v63, v69, 0, 64
	v_mov_b32_e32 v62, 7
	s_mov_b32 s0, 8
.LBB54_116:                             ; =>This Inner Loop Header: Depth=1
	ds_read_b64 v[72:73], v63
	v_add_nc_u32_e32 v63, 8, v63
	s_waitcnt lgkmcnt(0)
	v_cmp_lt_f64_e64 vcc_lo, |v[0:1]|, |v[72:73]|
	v_cndmask_b32_e32 v1, v1, v73, vcc_lo
	v_cndmask_b32_e32 v0, v0, v72, vcc_lo
	v_cndmask_b32_e64 v62, v62, s0, vcc_lo
	s_add_i32 s0, s0, 1
	s_cmp_lg_u32 s7, s0
	s_cbranch_scc1 .LBB54_116
.LBB54_117:
	s_mov_b32 s0, exec_lo
	s_waitcnt lgkmcnt(0)
	v_cmpx_eq_f64_e32 0, v[0:1]
	s_xor_b32 s0, exec_lo, s0
; %bb.118:
	v_cmp_ne_u32_e32 vcc_lo, 0, v70
	v_cndmask_b32_e32 v70, 8, v70, vcc_lo
; %bb.119:
	s_andn2_saveexec_b32 s0, s0
	s_cbranch_execz .LBB54_121
; %bb.120:
	v_div_scale_f64 v[63:64], null, v[0:1], v[0:1], 1.0
	v_rcp_f64_e32 v[72:73], v[63:64]
	v_fma_f64 v[74:75], -v[63:64], v[72:73], 1.0
	v_fma_f64 v[72:73], v[72:73], v[74:75], v[72:73]
	v_fma_f64 v[74:75], -v[63:64], v[72:73], 1.0
	v_fma_f64 v[72:73], v[72:73], v[74:75], v[72:73]
	v_div_scale_f64 v[74:75], vcc_lo, 1.0, v[0:1], 1.0
	v_mul_f64 v[76:77], v[74:75], v[72:73]
	v_fma_f64 v[63:64], -v[63:64], v[76:77], v[74:75]
	v_div_fmas_f64 v[63:64], v[63:64], v[72:73], v[76:77]
	v_div_fixup_f64 v[0:1], v[63:64], v[0:1], 1.0
.LBB54_121:
	s_or_b32 exec_lo, exec_lo, s0
	s_mov_b32 s0, exec_lo
	v_cmpx_ne_u32_e64 v71, v62
	s_xor_b32 s0, exec_lo, s0
	s_cbranch_execz .LBB54_127
; %bb.122:
	s_mov_b32 s1, exec_lo
	v_cmpx_eq_u32_e32 7, v71
	s_cbranch_execz .LBB54_126
; %bb.123:
	v_cmp_ne_u32_e32 vcc_lo, 7, v62
	s_xor_b32 s2, s6, -1
	s_and_b32 s3, s2, vcc_lo
	s_and_saveexec_b32 s2, s3
	s_cbranch_execz .LBB54_125
; %bb.124:
	v_ashrrev_i32_e32 v63, 31, v62
	v_lshlrev_b64 v[63:64], 2, v[62:63]
	v_add_co_u32 v63, vcc_lo, v16, v63
	v_add_co_ci_u32_e64 v64, null, v17, v64, vcc_lo
	s_clause 0x1
	global_load_dword v65, v[63:64], off
	global_load_dword v71, v[16:17], off offset:28
	s_waitcnt vmcnt(1)
	global_store_dword v[16:17], v65, off offset:28
	s_waitcnt vmcnt(0)
	global_store_dword v[63:64], v71, off
.LBB54_125:
	s_or_b32 exec_lo, exec_lo, s2
	v_mov_b32_e32 v65, v62
	v_mov_b32_e32 v71, v62
.LBB54_126:
	s_or_b32 exec_lo, exec_lo, s1
.LBB54_127:
	s_andn2_saveexec_b32 s0, s0
	s_cbranch_execz .LBB54_129
; %bb.128:
	v_mov_b32_e32 v62, v42
	v_mov_b32_e32 v63, v43
	;; [unrolled: 1-line block ×8, first 2 shown]
	ds_write2_b64 v68, v[62:63], v[71:72] offset0:8 offset1:9
	v_mov_b32_e32 v62, v34
	v_mov_b32_e32 v63, v35
	;; [unrolled: 1-line block ×16, first 2 shown]
	ds_write2_b64 v68, v[73:74], v[62:63] offset0:10 offset1:11
	ds_write2_b64 v68, v[71:72], v[75:76] offset0:12 offset1:13
	;; [unrolled: 1-line block ×5, first 2 shown]
	v_mov_b32_e32 v62, v20
	v_mov_b32_e32 v63, v21
	;; [unrolled: 1-line block ×15, first 2 shown]
	ds_write2_b64 v68, v[62:63], v[72:73] offset0:20 offset1:21
	ds_write2_b64 v68, v[74:75], v[76:77] offset0:22 offset1:23
	;; [unrolled: 1-line block ×4, first 2 shown]
.LBB54_129:
	s_or_b32 exec_lo, exec_lo, s0
	s_mov_b32 s0, exec_lo
	s_waitcnt lgkmcnt(0)
	s_waitcnt_vscnt null, 0x0
	s_barrier
	buffer_gl0_inv
	v_cmpx_lt_i32_e32 7, v71
	s_cbranch_execz .LBB54_131
; %bb.130:
	v_mul_f64 v[44:45], v[0:1], v[44:45]
	ds_read2_b64 v[72:75], v68 offset0:8 offset1:9
	ds_read2_b64 v[76:79], v68 offset0:10 offset1:11
	;; [unrolled: 1-line block ×10, first 2 shown]
	s_waitcnt lgkmcnt(9)
	v_fma_f64 v[42:43], -v[44:45], v[72:73], v[42:43]
	v_fma_f64 v[38:39], -v[44:45], v[74:75], v[38:39]
	s_waitcnt lgkmcnt(8)
	v_fma_f64 v[40:41], -v[44:45], v[76:77], v[40:41]
	v_fma_f64 v[34:35], -v[44:45], v[78:79], v[34:35]
	;; [unrolled: 3-line block ×10, first 2 shown]
.LBB54_131:
	s_or_b32 exec_lo, exec_lo, s0
	v_lshl_add_u32 v0, v71, 3, v68
	s_barrier
	buffer_gl0_inv
	v_mov_b32_e32 v62, 8
	ds_write_b64 v0, v[42:43]
	s_waitcnt lgkmcnt(0)
	s_barrier
	buffer_gl0_inv
	ds_read_b64 v[0:1], v68 offset:64
	s_cmp_lt_i32 s7, 10
	s_cbranch_scc1 .LBB54_134
; %bb.132:
	v_add3_u32 v63, v69, 0, 0x48
	v_mov_b32_e32 v62, 8
	s_mov_b32 s0, 9
.LBB54_133:                             ; =>This Inner Loop Header: Depth=1
	ds_read_b64 v[72:73], v63
	v_add_nc_u32_e32 v63, 8, v63
	s_waitcnt lgkmcnt(0)
	v_cmp_lt_f64_e64 vcc_lo, |v[0:1]|, |v[72:73]|
	v_cndmask_b32_e32 v1, v1, v73, vcc_lo
	v_cndmask_b32_e32 v0, v0, v72, vcc_lo
	v_cndmask_b32_e64 v62, v62, s0, vcc_lo
	s_add_i32 s0, s0, 1
	s_cmp_lg_u32 s7, s0
	s_cbranch_scc1 .LBB54_133
.LBB54_134:
	s_mov_b32 s0, exec_lo
	s_waitcnt lgkmcnt(0)
	v_cmpx_eq_f64_e32 0, v[0:1]
	s_xor_b32 s0, exec_lo, s0
; %bb.135:
	v_cmp_ne_u32_e32 vcc_lo, 0, v70
	v_cndmask_b32_e32 v70, 9, v70, vcc_lo
; %bb.136:
	s_andn2_saveexec_b32 s0, s0
	s_cbranch_execz .LBB54_138
; %bb.137:
	v_div_scale_f64 v[63:64], null, v[0:1], v[0:1], 1.0
	v_rcp_f64_e32 v[72:73], v[63:64]
	v_fma_f64 v[74:75], -v[63:64], v[72:73], 1.0
	v_fma_f64 v[72:73], v[72:73], v[74:75], v[72:73]
	v_fma_f64 v[74:75], -v[63:64], v[72:73], 1.0
	v_fma_f64 v[72:73], v[72:73], v[74:75], v[72:73]
	v_div_scale_f64 v[74:75], vcc_lo, 1.0, v[0:1], 1.0
	v_mul_f64 v[76:77], v[74:75], v[72:73]
	v_fma_f64 v[63:64], -v[63:64], v[76:77], v[74:75]
	v_div_fmas_f64 v[63:64], v[63:64], v[72:73], v[76:77]
	v_div_fixup_f64 v[0:1], v[63:64], v[0:1], 1.0
.LBB54_138:
	s_or_b32 exec_lo, exec_lo, s0
	s_mov_b32 s0, exec_lo
	v_cmpx_ne_u32_e64 v71, v62
	s_xor_b32 s0, exec_lo, s0
	s_cbranch_execz .LBB54_144
; %bb.139:
	s_mov_b32 s1, exec_lo
	v_cmpx_eq_u32_e32 8, v71
	s_cbranch_execz .LBB54_143
; %bb.140:
	v_cmp_ne_u32_e32 vcc_lo, 8, v62
	s_xor_b32 s2, s6, -1
	s_and_b32 s3, s2, vcc_lo
	s_and_saveexec_b32 s2, s3
	s_cbranch_execz .LBB54_142
; %bb.141:
	v_ashrrev_i32_e32 v63, 31, v62
	v_lshlrev_b64 v[63:64], 2, v[62:63]
	v_add_co_u32 v63, vcc_lo, v16, v63
	v_add_co_ci_u32_e64 v64, null, v17, v64, vcc_lo
	s_clause 0x1
	global_load_dword v65, v[63:64], off
	global_load_dword v71, v[16:17], off offset:32
	s_waitcnt vmcnt(1)
	global_store_dword v[16:17], v65, off offset:32
	s_waitcnt vmcnt(0)
	global_store_dword v[63:64], v71, off
.LBB54_142:
	s_or_b32 exec_lo, exec_lo, s2
	v_mov_b32_e32 v65, v62
	v_mov_b32_e32 v71, v62
.LBB54_143:
	s_or_b32 exec_lo, exec_lo, s1
.LBB54_144:
	s_andn2_saveexec_b32 s0, s0
	s_cbranch_execz .LBB54_146
; %bb.145:
	v_mov_b32_e32 v71, 8
	ds_write2_b64 v68, v[38:39], v[40:41] offset0:9 offset1:10
	ds_write2_b64 v68, v[34:35], v[36:37] offset0:11 offset1:12
	;; [unrolled: 1-line block ×9, first 2 shown]
	ds_write_b64 v68, v[60:61] offset:216
.LBB54_146:
	s_or_b32 exec_lo, exec_lo, s0
	s_mov_b32 s0, exec_lo
	s_waitcnt lgkmcnt(0)
	s_waitcnt_vscnt null, 0x0
	s_barrier
	buffer_gl0_inv
	v_cmpx_lt_i32_e32 8, v71
	s_cbranch_execz .LBB54_148
; %bb.147:
	v_mul_f64 v[42:43], v[0:1], v[42:43]
	ds_read2_b64 v[72:75], v68 offset0:9 offset1:10
	ds_read2_b64 v[76:79], v68 offset0:11 offset1:12
	;; [unrolled: 1-line block ×9, first 2 shown]
	ds_read_b64 v[0:1], v68 offset:216
	s_waitcnt lgkmcnt(9)
	v_fma_f64 v[38:39], -v[42:43], v[72:73], v[38:39]
	v_fma_f64 v[40:41], -v[42:43], v[74:75], v[40:41]
	s_waitcnt lgkmcnt(8)
	v_fma_f64 v[34:35], -v[42:43], v[76:77], v[34:35]
	v_fma_f64 v[36:37], -v[42:43], v[78:79], v[36:37]
	;; [unrolled: 3-line block ×9, first 2 shown]
	s_waitcnt lgkmcnt(0)
	v_fma_f64 v[60:61], -v[42:43], v[0:1], v[60:61]
.LBB54_148:
	s_or_b32 exec_lo, exec_lo, s0
	v_lshl_add_u32 v0, v71, 3, v68
	s_barrier
	buffer_gl0_inv
	v_mov_b32_e32 v62, 9
	ds_write_b64 v0, v[38:39]
	s_waitcnt lgkmcnt(0)
	s_barrier
	buffer_gl0_inv
	ds_read_b64 v[0:1], v68 offset:72
	s_cmp_lt_i32 s7, 11
	s_cbranch_scc1 .LBB54_151
; %bb.149:
	v_add3_u32 v63, v69, 0, 0x50
	v_mov_b32_e32 v62, 9
	s_mov_b32 s0, 10
.LBB54_150:                             ; =>This Inner Loop Header: Depth=1
	ds_read_b64 v[72:73], v63
	v_add_nc_u32_e32 v63, 8, v63
	s_waitcnt lgkmcnt(0)
	v_cmp_lt_f64_e64 vcc_lo, |v[0:1]|, |v[72:73]|
	v_cndmask_b32_e32 v1, v1, v73, vcc_lo
	v_cndmask_b32_e32 v0, v0, v72, vcc_lo
	v_cndmask_b32_e64 v62, v62, s0, vcc_lo
	s_add_i32 s0, s0, 1
	s_cmp_lg_u32 s7, s0
	s_cbranch_scc1 .LBB54_150
.LBB54_151:
	s_mov_b32 s0, exec_lo
	s_waitcnt lgkmcnt(0)
	v_cmpx_eq_f64_e32 0, v[0:1]
	s_xor_b32 s0, exec_lo, s0
; %bb.152:
	v_cmp_ne_u32_e32 vcc_lo, 0, v70
	v_cndmask_b32_e32 v70, 10, v70, vcc_lo
; %bb.153:
	s_andn2_saveexec_b32 s0, s0
	s_cbranch_execz .LBB54_155
; %bb.154:
	v_div_scale_f64 v[63:64], null, v[0:1], v[0:1], 1.0
	v_rcp_f64_e32 v[72:73], v[63:64]
	v_fma_f64 v[74:75], -v[63:64], v[72:73], 1.0
	v_fma_f64 v[72:73], v[72:73], v[74:75], v[72:73]
	v_fma_f64 v[74:75], -v[63:64], v[72:73], 1.0
	v_fma_f64 v[72:73], v[72:73], v[74:75], v[72:73]
	v_div_scale_f64 v[74:75], vcc_lo, 1.0, v[0:1], 1.0
	v_mul_f64 v[76:77], v[74:75], v[72:73]
	v_fma_f64 v[63:64], -v[63:64], v[76:77], v[74:75]
	v_div_fmas_f64 v[63:64], v[63:64], v[72:73], v[76:77]
	v_div_fixup_f64 v[0:1], v[63:64], v[0:1], 1.0
.LBB54_155:
	s_or_b32 exec_lo, exec_lo, s0
	s_mov_b32 s0, exec_lo
	v_cmpx_ne_u32_e64 v71, v62
	s_xor_b32 s0, exec_lo, s0
	s_cbranch_execz .LBB54_161
; %bb.156:
	s_mov_b32 s1, exec_lo
	v_cmpx_eq_u32_e32 9, v71
	s_cbranch_execz .LBB54_160
; %bb.157:
	v_cmp_ne_u32_e32 vcc_lo, 9, v62
	s_xor_b32 s2, s6, -1
	s_and_b32 s3, s2, vcc_lo
	s_and_saveexec_b32 s2, s3
	s_cbranch_execz .LBB54_159
; %bb.158:
	v_ashrrev_i32_e32 v63, 31, v62
	v_lshlrev_b64 v[63:64], 2, v[62:63]
	v_add_co_u32 v63, vcc_lo, v16, v63
	v_add_co_ci_u32_e64 v64, null, v17, v64, vcc_lo
	s_clause 0x1
	global_load_dword v65, v[63:64], off
	global_load_dword v71, v[16:17], off offset:36
	s_waitcnt vmcnt(1)
	global_store_dword v[16:17], v65, off offset:36
	s_waitcnt vmcnt(0)
	global_store_dword v[63:64], v71, off
.LBB54_159:
	s_or_b32 exec_lo, exec_lo, s2
	v_mov_b32_e32 v65, v62
	v_mov_b32_e32 v71, v62
.LBB54_160:
	s_or_b32 exec_lo, exec_lo, s1
.LBB54_161:
	s_andn2_saveexec_b32 s0, s0
	s_cbranch_execz .LBB54_163
; %bb.162:
	v_mov_b32_e32 v62, v40
	v_mov_b32_e32 v63, v41
	;; [unrolled: 1-line block ×20, first 2 shown]
	ds_write2_b64 v68, v[62:63], v[71:72] offset0:10 offset1:11
	ds_write2_b64 v68, v[73:74], v[75:76] offset0:12 offset1:13
	;; [unrolled: 1-line block ×5, first 2 shown]
	v_mov_b32_e32 v62, v20
	v_mov_b32_e32 v63, v21
	;; [unrolled: 1-line block ×15, first 2 shown]
	ds_write2_b64 v68, v[62:63], v[72:73] offset0:20 offset1:21
	ds_write2_b64 v68, v[74:75], v[76:77] offset0:22 offset1:23
	;; [unrolled: 1-line block ×4, first 2 shown]
.LBB54_163:
	s_or_b32 exec_lo, exec_lo, s0
	s_mov_b32 s0, exec_lo
	s_waitcnt lgkmcnt(0)
	s_waitcnt_vscnt null, 0x0
	s_barrier
	buffer_gl0_inv
	v_cmpx_lt_i32_e32 9, v71
	s_cbranch_execz .LBB54_165
; %bb.164:
	v_mul_f64 v[38:39], v[0:1], v[38:39]
	ds_read2_b64 v[72:75], v68 offset0:10 offset1:11
	ds_read2_b64 v[76:79], v68 offset0:12 offset1:13
	;; [unrolled: 1-line block ×9, first 2 shown]
	s_waitcnt lgkmcnt(8)
	v_fma_f64 v[40:41], -v[38:39], v[72:73], v[40:41]
	v_fma_f64 v[34:35], -v[38:39], v[74:75], v[34:35]
	s_waitcnt lgkmcnt(7)
	v_fma_f64 v[36:37], -v[38:39], v[76:77], v[36:37]
	v_fma_f64 v[32:33], -v[38:39], v[78:79], v[32:33]
	;; [unrolled: 3-line block ×9, first 2 shown]
.LBB54_165:
	s_or_b32 exec_lo, exec_lo, s0
	v_lshl_add_u32 v0, v71, 3, v68
	s_barrier
	buffer_gl0_inv
	v_mov_b32_e32 v62, 10
	ds_write_b64 v0, v[40:41]
	s_waitcnt lgkmcnt(0)
	s_barrier
	buffer_gl0_inv
	ds_read_b64 v[0:1], v68 offset:80
	s_cmp_lt_i32 s7, 12
	s_cbranch_scc1 .LBB54_168
; %bb.166:
	v_add3_u32 v63, v69, 0, 0x58
	v_mov_b32_e32 v62, 10
	s_mov_b32 s0, 11
.LBB54_167:                             ; =>This Inner Loop Header: Depth=1
	ds_read_b64 v[72:73], v63
	v_add_nc_u32_e32 v63, 8, v63
	s_waitcnt lgkmcnt(0)
	v_cmp_lt_f64_e64 vcc_lo, |v[0:1]|, |v[72:73]|
	v_cndmask_b32_e32 v1, v1, v73, vcc_lo
	v_cndmask_b32_e32 v0, v0, v72, vcc_lo
	v_cndmask_b32_e64 v62, v62, s0, vcc_lo
	s_add_i32 s0, s0, 1
	s_cmp_lg_u32 s7, s0
	s_cbranch_scc1 .LBB54_167
.LBB54_168:
	s_mov_b32 s0, exec_lo
	s_waitcnt lgkmcnt(0)
	v_cmpx_eq_f64_e32 0, v[0:1]
	s_xor_b32 s0, exec_lo, s0
; %bb.169:
	v_cmp_ne_u32_e32 vcc_lo, 0, v70
	v_cndmask_b32_e32 v70, 11, v70, vcc_lo
; %bb.170:
	s_andn2_saveexec_b32 s0, s0
	s_cbranch_execz .LBB54_172
; %bb.171:
	v_div_scale_f64 v[63:64], null, v[0:1], v[0:1], 1.0
	v_rcp_f64_e32 v[72:73], v[63:64]
	v_fma_f64 v[74:75], -v[63:64], v[72:73], 1.0
	v_fma_f64 v[72:73], v[72:73], v[74:75], v[72:73]
	v_fma_f64 v[74:75], -v[63:64], v[72:73], 1.0
	v_fma_f64 v[72:73], v[72:73], v[74:75], v[72:73]
	v_div_scale_f64 v[74:75], vcc_lo, 1.0, v[0:1], 1.0
	v_mul_f64 v[76:77], v[74:75], v[72:73]
	v_fma_f64 v[63:64], -v[63:64], v[76:77], v[74:75]
	v_div_fmas_f64 v[63:64], v[63:64], v[72:73], v[76:77]
	v_div_fixup_f64 v[0:1], v[63:64], v[0:1], 1.0
.LBB54_172:
	s_or_b32 exec_lo, exec_lo, s0
	s_mov_b32 s0, exec_lo
	v_cmpx_ne_u32_e64 v71, v62
	s_xor_b32 s0, exec_lo, s0
	s_cbranch_execz .LBB54_178
; %bb.173:
	s_mov_b32 s1, exec_lo
	v_cmpx_eq_u32_e32 10, v71
	s_cbranch_execz .LBB54_177
; %bb.174:
	v_cmp_ne_u32_e32 vcc_lo, 10, v62
	s_xor_b32 s2, s6, -1
	s_and_b32 s3, s2, vcc_lo
	s_and_saveexec_b32 s2, s3
	s_cbranch_execz .LBB54_176
; %bb.175:
	v_ashrrev_i32_e32 v63, 31, v62
	v_lshlrev_b64 v[63:64], 2, v[62:63]
	v_add_co_u32 v63, vcc_lo, v16, v63
	v_add_co_ci_u32_e64 v64, null, v17, v64, vcc_lo
	s_clause 0x1
	global_load_dword v65, v[63:64], off
	global_load_dword v71, v[16:17], off offset:40
	s_waitcnt vmcnt(1)
	global_store_dword v[16:17], v65, off offset:40
	s_waitcnt vmcnt(0)
	global_store_dword v[63:64], v71, off
.LBB54_176:
	s_or_b32 exec_lo, exec_lo, s2
	v_mov_b32_e32 v65, v62
	v_mov_b32_e32 v71, v62
.LBB54_177:
	s_or_b32 exec_lo, exec_lo, s1
.LBB54_178:
	s_andn2_saveexec_b32 s0, s0
	s_cbranch_execz .LBB54_180
; %bb.179:
	v_mov_b32_e32 v71, 10
	ds_write2_b64 v68, v[34:35], v[36:37] offset0:11 offset1:12
	ds_write2_b64 v68, v[32:33], v[30:31] offset0:13 offset1:14
	;; [unrolled: 1-line block ×8, first 2 shown]
	ds_write_b64 v68, v[60:61] offset:216
.LBB54_180:
	s_or_b32 exec_lo, exec_lo, s0
	s_mov_b32 s0, exec_lo
	s_waitcnt lgkmcnt(0)
	s_waitcnt_vscnt null, 0x0
	s_barrier
	buffer_gl0_inv
	v_cmpx_lt_i32_e32 10, v71
	s_cbranch_execz .LBB54_182
; %bb.181:
	v_mul_f64 v[40:41], v[0:1], v[40:41]
	ds_read2_b64 v[72:75], v68 offset0:11 offset1:12
	ds_read2_b64 v[76:79], v68 offset0:13 offset1:14
	ds_read2_b64 v[80:83], v68 offset0:15 offset1:16
	ds_read2_b64 v[84:87], v68 offset0:17 offset1:18
	ds_read2_b64 v[88:91], v68 offset0:19 offset1:20
	ds_read2_b64 v[92:95], v68 offset0:21 offset1:22
	ds_read2_b64 v[96:99], v68 offset0:23 offset1:24
	ds_read2_b64 v[100:103], v68 offset0:25 offset1:26
	ds_read_b64 v[0:1], v68 offset:216
	s_waitcnt lgkmcnt(8)
	v_fma_f64 v[34:35], -v[40:41], v[72:73], v[34:35]
	v_fma_f64 v[36:37], -v[40:41], v[74:75], v[36:37]
	s_waitcnt lgkmcnt(7)
	v_fma_f64 v[32:33], -v[40:41], v[76:77], v[32:33]
	v_fma_f64 v[30:31], -v[40:41], v[78:79], v[30:31]
	;; [unrolled: 3-line block ×8, first 2 shown]
	s_waitcnt lgkmcnt(0)
	v_fma_f64 v[60:61], -v[40:41], v[0:1], v[60:61]
.LBB54_182:
	s_or_b32 exec_lo, exec_lo, s0
	v_lshl_add_u32 v0, v71, 3, v68
	s_barrier
	buffer_gl0_inv
	v_mov_b32_e32 v62, 11
	ds_write_b64 v0, v[34:35]
	s_waitcnt lgkmcnt(0)
	s_barrier
	buffer_gl0_inv
	ds_read_b64 v[0:1], v68 offset:88
	s_cmp_lt_i32 s7, 13
	s_cbranch_scc1 .LBB54_185
; %bb.183:
	v_add3_u32 v63, v69, 0, 0x60
	v_mov_b32_e32 v62, 11
	s_mov_b32 s0, 12
.LBB54_184:                             ; =>This Inner Loop Header: Depth=1
	ds_read_b64 v[72:73], v63
	v_add_nc_u32_e32 v63, 8, v63
	s_waitcnt lgkmcnt(0)
	v_cmp_lt_f64_e64 vcc_lo, |v[0:1]|, |v[72:73]|
	v_cndmask_b32_e32 v1, v1, v73, vcc_lo
	v_cndmask_b32_e32 v0, v0, v72, vcc_lo
	v_cndmask_b32_e64 v62, v62, s0, vcc_lo
	s_add_i32 s0, s0, 1
	s_cmp_lg_u32 s7, s0
	s_cbranch_scc1 .LBB54_184
.LBB54_185:
	s_mov_b32 s0, exec_lo
	s_waitcnt lgkmcnt(0)
	v_cmpx_eq_f64_e32 0, v[0:1]
	s_xor_b32 s0, exec_lo, s0
; %bb.186:
	v_cmp_ne_u32_e32 vcc_lo, 0, v70
	v_cndmask_b32_e32 v70, 12, v70, vcc_lo
; %bb.187:
	s_andn2_saveexec_b32 s0, s0
	s_cbranch_execz .LBB54_189
; %bb.188:
	v_div_scale_f64 v[63:64], null, v[0:1], v[0:1], 1.0
	v_rcp_f64_e32 v[72:73], v[63:64]
	v_fma_f64 v[74:75], -v[63:64], v[72:73], 1.0
	v_fma_f64 v[72:73], v[72:73], v[74:75], v[72:73]
	v_fma_f64 v[74:75], -v[63:64], v[72:73], 1.0
	v_fma_f64 v[72:73], v[72:73], v[74:75], v[72:73]
	v_div_scale_f64 v[74:75], vcc_lo, 1.0, v[0:1], 1.0
	v_mul_f64 v[76:77], v[74:75], v[72:73]
	v_fma_f64 v[63:64], -v[63:64], v[76:77], v[74:75]
	v_div_fmas_f64 v[63:64], v[63:64], v[72:73], v[76:77]
	v_div_fixup_f64 v[0:1], v[63:64], v[0:1], 1.0
.LBB54_189:
	s_or_b32 exec_lo, exec_lo, s0
	s_mov_b32 s0, exec_lo
	v_cmpx_ne_u32_e64 v71, v62
	s_xor_b32 s0, exec_lo, s0
	s_cbranch_execz .LBB54_195
; %bb.190:
	s_mov_b32 s1, exec_lo
	v_cmpx_eq_u32_e32 11, v71
	s_cbranch_execz .LBB54_194
; %bb.191:
	v_cmp_ne_u32_e32 vcc_lo, 11, v62
	s_xor_b32 s2, s6, -1
	s_and_b32 s3, s2, vcc_lo
	s_and_saveexec_b32 s2, s3
	s_cbranch_execz .LBB54_193
; %bb.192:
	v_ashrrev_i32_e32 v63, 31, v62
	v_lshlrev_b64 v[63:64], 2, v[62:63]
	v_add_co_u32 v63, vcc_lo, v16, v63
	v_add_co_ci_u32_e64 v64, null, v17, v64, vcc_lo
	s_clause 0x1
	global_load_dword v65, v[63:64], off
	global_load_dword v71, v[16:17], off offset:44
	s_waitcnt vmcnt(1)
	global_store_dword v[16:17], v65, off offset:44
	s_waitcnt vmcnt(0)
	global_store_dword v[63:64], v71, off
.LBB54_193:
	s_or_b32 exec_lo, exec_lo, s2
	v_mov_b32_e32 v65, v62
	v_mov_b32_e32 v71, v62
.LBB54_194:
	s_or_b32 exec_lo, exec_lo, s1
.LBB54_195:
	s_andn2_saveexec_b32 s0, s0
	s_cbranch_execz .LBB54_197
; %bb.196:
	v_mov_b32_e32 v62, v36
	v_mov_b32_e32 v63, v37
	;; [unrolled: 1-line block ×16, first 2 shown]
	ds_write2_b64 v68, v[62:63], v[71:72] offset0:12 offset1:13
	ds_write2_b64 v68, v[73:74], v[75:76] offset0:14 offset1:15
	;; [unrolled: 1-line block ×4, first 2 shown]
	v_mov_b32_e32 v62, v20
	v_mov_b32_e32 v63, v21
	;; [unrolled: 1-line block ×15, first 2 shown]
	ds_write2_b64 v68, v[62:63], v[72:73] offset0:20 offset1:21
	ds_write2_b64 v68, v[74:75], v[76:77] offset0:22 offset1:23
	;; [unrolled: 1-line block ×4, first 2 shown]
.LBB54_197:
	s_or_b32 exec_lo, exec_lo, s0
	s_mov_b32 s0, exec_lo
	s_waitcnt lgkmcnt(0)
	s_waitcnt_vscnt null, 0x0
	s_barrier
	buffer_gl0_inv
	v_cmpx_lt_i32_e32 11, v71
	s_cbranch_execz .LBB54_199
; %bb.198:
	v_mul_f64 v[34:35], v[0:1], v[34:35]
	ds_read2_b64 v[72:75], v68 offset0:12 offset1:13
	ds_read2_b64 v[76:79], v68 offset0:14 offset1:15
	;; [unrolled: 1-line block ×8, first 2 shown]
	s_waitcnt lgkmcnt(7)
	v_fma_f64 v[36:37], -v[34:35], v[72:73], v[36:37]
	v_fma_f64 v[32:33], -v[34:35], v[74:75], v[32:33]
	s_waitcnt lgkmcnt(6)
	v_fma_f64 v[30:31], -v[34:35], v[76:77], v[30:31]
	v_fma_f64 v[28:29], -v[34:35], v[78:79], v[28:29]
	;; [unrolled: 3-line block ×8, first 2 shown]
.LBB54_199:
	s_or_b32 exec_lo, exec_lo, s0
	v_lshl_add_u32 v0, v71, 3, v68
	s_barrier
	buffer_gl0_inv
	v_mov_b32_e32 v62, 12
	ds_write_b64 v0, v[36:37]
	s_waitcnt lgkmcnt(0)
	s_barrier
	buffer_gl0_inv
	ds_read_b64 v[0:1], v68 offset:96
	s_cmp_lt_i32 s7, 14
	s_cbranch_scc1 .LBB54_202
; %bb.200:
	v_add3_u32 v63, v69, 0, 0x68
	v_mov_b32_e32 v62, 12
	s_mov_b32 s0, 13
.LBB54_201:                             ; =>This Inner Loop Header: Depth=1
	ds_read_b64 v[72:73], v63
	v_add_nc_u32_e32 v63, 8, v63
	s_waitcnt lgkmcnt(0)
	v_cmp_lt_f64_e64 vcc_lo, |v[0:1]|, |v[72:73]|
	v_cndmask_b32_e32 v1, v1, v73, vcc_lo
	v_cndmask_b32_e32 v0, v0, v72, vcc_lo
	v_cndmask_b32_e64 v62, v62, s0, vcc_lo
	s_add_i32 s0, s0, 1
	s_cmp_lg_u32 s7, s0
	s_cbranch_scc1 .LBB54_201
.LBB54_202:
	s_mov_b32 s0, exec_lo
	s_waitcnt lgkmcnt(0)
	v_cmpx_eq_f64_e32 0, v[0:1]
	s_xor_b32 s0, exec_lo, s0
; %bb.203:
	v_cmp_ne_u32_e32 vcc_lo, 0, v70
	v_cndmask_b32_e32 v70, 13, v70, vcc_lo
; %bb.204:
	s_andn2_saveexec_b32 s0, s0
	s_cbranch_execz .LBB54_206
; %bb.205:
	v_div_scale_f64 v[63:64], null, v[0:1], v[0:1], 1.0
	v_rcp_f64_e32 v[72:73], v[63:64]
	v_fma_f64 v[74:75], -v[63:64], v[72:73], 1.0
	v_fma_f64 v[72:73], v[72:73], v[74:75], v[72:73]
	v_fma_f64 v[74:75], -v[63:64], v[72:73], 1.0
	v_fma_f64 v[72:73], v[72:73], v[74:75], v[72:73]
	v_div_scale_f64 v[74:75], vcc_lo, 1.0, v[0:1], 1.0
	v_mul_f64 v[76:77], v[74:75], v[72:73]
	v_fma_f64 v[63:64], -v[63:64], v[76:77], v[74:75]
	v_div_fmas_f64 v[63:64], v[63:64], v[72:73], v[76:77]
	v_div_fixup_f64 v[0:1], v[63:64], v[0:1], 1.0
.LBB54_206:
	s_or_b32 exec_lo, exec_lo, s0
	s_mov_b32 s0, exec_lo
	v_cmpx_ne_u32_e64 v71, v62
	s_xor_b32 s0, exec_lo, s0
	s_cbranch_execz .LBB54_212
; %bb.207:
	s_mov_b32 s1, exec_lo
	v_cmpx_eq_u32_e32 12, v71
	s_cbranch_execz .LBB54_211
; %bb.208:
	v_cmp_ne_u32_e32 vcc_lo, 12, v62
	s_xor_b32 s2, s6, -1
	s_and_b32 s3, s2, vcc_lo
	s_and_saveexec_b32 s2, s3
	s_cbranch_execz .LBB54_210
; %bb.209:
	v_ashrrev_i32_e32 v63, 31, v62
	v_lshlrev_b64 v[63:64], 2, v[62:63]
	v_add_co_u32 v63, vcc_lo, v16, v63
	v_add_co_ci_u32_e64 v64, null, v17, v64, vcc_lo
	s_clause 0x1
	global_load_dword v65, v[63:64], off
	global_load_dword v71, v[16:17], off offset:48
	s_waitcnt vmcnt(1)
	global_store_dword v[16:17], v65, off offset:48
	s_waitcnt vmcnt(0)
	global_store_dword v[63:64], v71, off
.LBB54_210:
	s_or_b32 exec_lo, exec_lo, s2
	v_mov_b32_e32 v65, v62
	v_mov_b32_e32 v71, v62
.LBB54_211:
	s_or_b32 exec_lo, exec_lo, s1
.LBB54_212:
	s_andn2_saveexec_b32 s0, s0
	s_cbranch_execz .LBB54_214
; %bb.213:
	v_mov_b32_e32 v71, 12
	ds_write2_b64 v68, v[32:33], v[30:31] offset0:13 offset1:14
	ds_write2_b64 v68, v[28:29], v[26:27] offset0:15 offset1:16
	;; [unrolled: 1-line block ×7, first 2 shown]
	ds_write_b64 v68, v[60:61] offset:216
.LBB54_214:
	s_or_b32 exec_lo, exec_lo, s0
	s_mov_b32 s0, exec_lo
	s_waitcnt lgkmcnt(0)
	s_waitcnt_vscnt null, 0x0
	s_barrier
	buffer_gl0_inv
	v_cmpx_lt_i32_e32 12, v71
	s_cbranch_execz .LBB54_216
; %bb.215:
	v_mul_f64 v[36:37], v[0:1], v[36:37]
	ds_read2_b64 v[72:75], v68 offset0:13 offset1:14
	ds_read2_b64 v[76:79], v68 offset0:15 offset1:16
	;; [unrolled: 1-line block ×7, first 2 shown]
	ds_read_b64 v[0:1], v68 offset:216
	s_waitcnt lgkmcnt(7)
	v_fma_f64 v[32:33], -v[36:37], v[72:73], v[32:33]
	v_fma_f64 v[30:31], -v[36:37], v[74:75], v[30:31]
	s_waitcnt lgkmcnt(6)
	v_fma_f64 v[28:29], -v[36:37], v[76:77], v[28:29]
	v_fma_f64 v[26:27], -v[36:37], v[78:79], v[26:27]
	;; [unrolled: 3-line block ×7, first 2 shown]
	s_waitcnt lgkmcnt(0)
	v_fma_f64 v[60:61], -v[36:37], v[0:1], v[60:61]
.LBB54_216:
	s_or_b32 exec_lo, exec_lo, s0
	v_lshl_add_u32 v0, v71, 3, v68
	s_barrier
	buffer_gl0_inv
	v_mov_b32_e32 v62, 13
	ds_write_b64 v0, v[32:33]
	s_waitcnt lgkmcnt(0)
	s_barrier
	buffer_gl0_inv
	ds_read_b64 v[0:1], v68 offset:104
	s_cmp_lt_i32 s7, 15
	s_cbranch_scc1 .LBB54_219
; %bb.217:
	v_add3_u32 v63, v69, 0, 0x70
	v_mov_b32_e32 v62, 13
	s_mov_b32 s0, 14
.LBB54_218:                             ; =>This Inner Loop Header: Depth=1
	ds_read_b64 v[72:73], v63
	v_add_nc_u32_e32 v63, 8, v63
	s_waitcnt lgkmcnt(0)
	v_cmp_lt_f64_e64 vcc_lo, |v[0:1]|, |v[72:73]|
	v_cndmask_b32_e32 v1, v1, v73, vcc_lo
	v_cndmask_b32_e32 v0, v0, v72, vcc_lo
	v_cndmask_b32_e64 v62, v62, s0, vcc_lo
	s_add_i32 s0, s0, 1
	s_cmp_lg_u32 s7, s0
	s_cbranch_scc1 .LBB54_218
.LBB54_219:
	s_mov_b32 s0, exec_lo
	s_waitcnt lgkmcnt(0)
	v_cmpx_eq_f64_e32 0, v[0:1]
	s_xor_b32 s0, exec_lo, s0
; %bb.220:
	v_cmp_ne_u32_e32 vcc_lo, 0, v70
	v_cndmask_b32_e32 v70, 14, v70, vcc_lo
; %bb.221:
	s_andn2_saveexec_b32 s0, s0
	s_cbranch_execz .LBB54_223
; %bb.222:
	v_div_scale_f64 v[63:64], null, v[0:1], v[0:1], 1.0
	v_rcp_f64_e32 v[72:73], v[63:64]
	v_fma_f64 v[74:75], -v[63:64], v[72:73], 1.0
	v_fma_f64 v[72:73], v[72:73], v[74:75], v[72:73]
	v_fma_f64 v[74:75], -v[63:64], v[72:73], 1.0
	v_fma_f64 v[72:73], v[72:73], v[74:75], v[72:73]
	v_div_scale_f64 v[74:75], vcc_lo, 1.0, v[0:1], 1.0
	v_mul_f64 v[76:77], v[74:75], v[72:73]
	v_fma_f64 v[63:64], -v[63:64], v[76:77], v[74:75]
	v_div_fmas_f64 v[63:64], v[63:64], v[72:73], v[76:77]
	v_div_fixup_f64 v[0:1], v[63:64], v[0:1], 1.0
.LBB54_223:
	s_or_b32 exec_lo, exec_lo, s0
	s_mov_b32 s0, exec_lo
	v_cmpx_ne_u32_e64 v71, v62
	s_xor_b32 s0, exec_lo, s0
	s_cbranch_execz .LBB54_229
; %bb.224:
	s_mov_b32 s1, exec_lo
	v_cmpx_eq_u32_e32 13, v71
	s_cbranch_execz .LBB54_228
; %bb.225:
	v_cmp_ne_u32_e32 vcc_lo, 13, v62
	s_xor_b32 s2, s6, -1
	s_and_b32 s3, s2, vcc_lo
	s_and_saveexec_b32 s2, s3
	s_cbranch_execz .LBB54_227
; %bb.226:
	v_ashrrev_i32_e32 v63, 31, v62
	v_lshlrev_b64 v[63:64], 2, v[62:63]
	v_add_co_u32 v63, vcc_lo, v16, v63
	v_add_co_ci_u32_e64 v64, null, v17, v64, vcc_lo
	s_clause 0x1
	global_load_dword v65, v[63:64], off
	global_load_dword v71, v[16:17], off offset:52
	s_waitcnt vmcnt(1)
	global_store_dword v[16:17], v65, off offset:52
	s_waitcnt vmcnt(0)
	global_store_dword v[63:64], v71, off
.LBB54_227:
	s_or_b32 exec_lo, exec_lo, s2
	v_mov_b32_e32 v65, v62
	v_mov_b32_e32 v71, v62
.LBB54_228:
	s_or_b32 exec_lo, exec_lo, s1
.LBB54_229:
	s_andn2_saveexec_b32 s0, s0
	s_cbranch_execz .LBB54_231
; %bb.230:
	v_mov_b32_e32 v62, v30
	v_mov_b32_e32 v63, v31
	;; [unrolled: 1-line block ×12, first 2 shown]
	ds_write2_b64 v68, v[62:63], v[71:72] offset0:14 offset1:15
	ds_write2_b64 v68, v[73:74], v[75:76] offset0:16 offset1:17
	;; [unrolled: 1-line block ×3, first 2 shown]
	v_mov_b32_e32 v62, v20
	v_mov_b32_e32 v63, v21
	;; [unrolled: 1-line block ×15, first 2 shown]
	ds_write2_b64 v68, v[62:63], v[72:73] offset0:20 offset1:21
	ds_write2_b64 v68, v[74:75], v[76:77] offset0:22 offset1:23
	;; [unrolled: 1-line block ×4, first 2 shown]
.LBB54_231:
	s_or_b32 exec_lo, exec_lo, s0
	s_mov_b32 s0, exec_lo
	s_waitcnt lgkmcnt(0)
	s_waitcnt_vscnt null, 0x0
	s_barrier
	buffer_gl0_inv
	v_cmpx_lt_i32_e32 13, v71
	s_cbranch_execz .LBB54_233
; %bb.232:
	v_mul_f64 v[32:33], v[0:1], v[32:33]
	ds_read2_b64 v[72:75], v68 offset0:14 offset1:15
	ds_read2_b64 v[76:79], v68 offset0:16 offset1:17
	;; [unrolled: 1-line block ×7, first 2 shown]
	s_waitcnt lgkmcnt(6)
	v_fma_f64 v[30:31], -v[32:33], v[72:73], v[30:31]
	v_fma_f64 v[28:29], -v[32:33], v[74:75], v[28:29]
	s_waitcnt lgkmcnt(5)
	v_fma_f64 v[26:27], -v[32:33], v[76:77], v[26:27]
	v_fma_f64 v[24:25], -v[32:33], v[78:79], v[24:25]
	;; [unrolled: 3-line block ×7, first 2 shown]
.LBB54_233:
	s_or_b32 exec_lo, exec_lo, s0
	v_lshl_add_u32 v0, v71, 3, v68
	s_barrier
	buffer_gl0_inv
	v_mov_b32_e32 v62, 14
	ds_write_b64 v0, v[30:31]
	s_waitcnt lgkmcnt(0)
	s_barrier
	buffer_gl0_inv
	ds_read_b64 v[0:1], v68 offset:112
	s_cmp_lt_i32 s7, 16
	s_cbranch_scc1 .LBB54_236
; %bb.234:
	v_add3_u32 v63, v69, 0, 0x78
	v_mov_b32_e32 v62, 14
	s_mov_b32 s0, 15
.LBB54_235:                             ; =>This Inner Loop Header: Depth=1
	ds_read_b64 v[72:73], v63
	v_add_nc_u32_e32 v63, 8, v63
	s_waitcnt lgkmcnt(0)
	v_cmp_lt_f64_e64 vcc_lo, |v[0:1]|, |v[72:73]|
	v_cndmask_b32_e32 v1, v1, v73, vcc_lo
	v_cndmask_b32_e32 v0, v0, v72, vcc_lo
	v_cndmask_b32_e64 v62, v62, s0, vcc_lo
	s_add_i32 s0, s0, 1
	s_cmp_lg_u32 s7, s0
	s_cbranch_scc1 .LBB54_235
.LBB54_236:
	s_mov_b32 s0, exec_lo
	s_waitcnt lgkmcnt(0)
	v_cmpx_eq_f64_e32 0, v[0:1]
	s_xor_b32 s0, exec_lo, s0
; %bb.237:
	v_cmp_ne_u32_e32 vcc_lo, 0, v70
	v_cndmask_b32_e32 v70, 15, v70, vcc_lo
; %bb.238:
	s_andn2_saveexec_b32 s0, s0
	s_cbranch_execz .LBB54_240
; %bb.239:
	v_div_scale_f64 v[63:64], null, v[0:1], v[0:1], 1.0
	v_rcp_f64_e32 v[72:73], v[63:64]
	v_fma_f64 v[74:75], -v[63:64], v[72:73], 1.0
	v_fma_f64 v[72:73], v[72:73], v[74:75], v[72:73]
	v_fma_f64 v[74:75], -v[63:64], v[72:73], 1.0
	v_fma_f64 v[72:73], v[72:73], v[74:75], v[72:73]
	v_div_scale_f64 v[74:75], vcc_lo, 1.0, v[0:1], 1.0
	v_mul_f64 v[76:77], v[74:75], v[72:73]
	v_fma_f64 v[63:64], -v[63:64], v[76:77], v[74:75]
	v_div_fmas_f64 v[63:64], v[63:64], v[72:73], v[76:77]
	v_div_fixup_f64 v[0:1], v[63:64], v[0:1], 1.0
.LBB54_240:
	s_or_b32 exec_lo, exec_lo, s0
	s_mov_b32 s0, exec_lo
	v_cmpx_ne_u32_e64 v71, v62
	s_xor_b32 s0, exec_lo, s0
	s_cbranch_execz .LBB54_246
; %bb.241:
	s_mov_b32 s1, exec_lo
	v_cmpx_eq_u32_e32 14, v71
	s_cbranch_execz .LBB54_245
; %bb.242:
	v_cmp_ne_u32_e32 vcc_lo, 14, v62
	s_xor_b32 s2, s6, -1
	s_and_b32 s3, s2, vcc_lo
	s_and_saveexec_b32 s2, s3
	s_cbranch_execz .LBB54_244
; %bb.243:
	v_ashrrev_i32_e32 v63, 31, v62
	v_lshlrev_b64 v[63:64], 2, v[62:63]
	v_add_co_u32 v63, vcc_lo, v16, v63
	v_add_co_ci_u32_e64 v64, null, v17, v64, vcc_lo
	s_clause 0x1
	global_load_dword v65, v[63:64], off
	global_load_dword v71, v[16:17], off offset:56
	s_waitcnt vmcnt(1)
	global_store_dword v[16:17], v65, off offset:56
	s_waitcnt vmcnt(0)
	global_store_dword v[63:64], v71, off
.LBB54_244:
	s_or_b32 exec_lo, exec_lo, s2
	v_mov_b32_e32 v65, v62
	v_mov_b32_e32 v71, v62
.LBB54_245:
	s_or_b32 exec_lo, exec_lo, s1
.LBB54_246:
	s_andn2_saveexec_b32 s0, s0
	s_cbranch_execz .LBB54_248
; %bb.247:
	v_mov_b32_e32 v71, 14
	ds_write2_b64 v68, v[28:29], v[26:27] offset0:15 offset1:16
	ds_write2_b64 v68, v[24:25], v[22:23] offset0:17 offset1:18
	;; [unrolled: 1-line block ×6, first 2 shown]
	ds_write_b64 v68, v[60:61] offset:216
.LBB54_248:
	s_or_b32 exec_lo, exec_lo, s0
	s_mov_b32 s0, exec_lo
	s_waitcnt lgkmcnt(0)
	s_waitcnt_vscnt null, 0x0
	s_barrier
	buffer_gl0_inv
	v_cmpx_lt_i32_e32 14, v71
	s_cbranch_execz .LBB54_250
; %bb.249:
	v_mul_f64 v[30:31], v[0:1], v[30:31]
	ds_read2_b64 v[72:75], v68 offset0:15 offset1:16
	ds_read2_b64 v[76:79], v68 offset0:17 offset1:18
	;; [unrolled: 1-line block ×6, first 2 shown]
	ds_read_b64 v[0:1], v68 offset:216
	s_waitcnt lgkmcnt(6)
	v_fma_f64 v[28:29], -v[30:31], v[72:73], v[28:29]
	v_fma_f64 v[26:27], -v[30:31], v[74:75], v[26:27]
	s_waitcnt lgkmcnt(5)
	v_fma_f64 v[24:25], -v[30:31], v[76:77], v[24:25]
	v_fma_f64 v[22:23], -v[30:31], v[78:79], v[22:23]
	;; [unrolled: 3-line block ×6, first 2 shown]
	s_waitcnt lgkmcnt(0)
	v_fma_f64 v[60:61], -v[30:31], v[0:1], v[60:61]
.LBB54_250:
	s_or_b32 exec_lo, exec_lo, s0
	v_lshl_add_u32 v0, v71, 3, v68
	s_barrier
	buffer_gl0_inv
	v_mov_b32_e32 v62, 15
	ds_write_b64 v0, v[28:29]
	s_waitcnt lgkmcnt(0)
	s_barrier
	buffer_gl0_inv
	ds_read_b64 v[0:1], v68 offset:120
	s_cmp_lt_i32 s7, 17
	s_cbranch_scc1 .LBB54_253
; %bb.251:
	v_add3_u32 v63, v69, 0, 0x80
	v_mov_b32_e32 v62, 15
	s_mov_b32 s0, 16
.LBB54_252:                             ; =>This Inner Loop Header: Depth=1
	ds_read_b64 v[72:73], v63
	v_add_nc_u32_e32 v63, 8, v63
	s_waitcnt lgkmcnt(0)
	v_cmp_lt_f64_e64 vcc_lo, |v[0:1]|, |v[72:73]|
	v_cndmask_b32_e32 v1, v1, v73, vcc_lo
	v_cndmask_b32_e32 v0, v0, v72, vcc_lo
	v_cndmask_b32_e64 v62, v62, s0, vcc_lo
	s_add_i32 s0, s0, 1
	s_cmp_lg_u32 s7, s0
	s_cbranch_scc1 .LBB54_252
.LBB54_253:
	s_mov_b32 s0, exec_lo
	s_waitcnt lgkmcnt(0)
	v_cmpx_eq_f64_e32 0, v[0:1]
	s_xor_b32 s0, exec_lo, s0
; %bb.254:
	v_cmp_ne_u32_e32 vcc_lo, 0, v70
	v_cndmask_b32_e32 v70, 16, v70, vcc_lo
; %bb.255:
	s_andn2_saveexec_b32 s0, s0
	s_cbranch_execz .LBB54_257
; %bb.256:
	v_div_scale_f64 v[63:64], null, v[0:1], v[0:1], 1.0
	v_rcp_f64_e32 v[72:73], v[63:64]
	v_fma_f64 v[74:75], -v[63:64], v[72:73], 1.0
	v_fma_f64 v[72:73], v[72:73], v[74:75], v[72:73]
	v_fma_f64 v[74:75], -v[63:64], v[72:73], 1.0
	v_fma_f64 v[72:73], v[72:73], v[74:75], v[72:73]
	v_div_scale_f64 v[74:75], vcc_lo, 1.0, v[0:1], 1.0
	v_mul_f64 v[76:77], v[74:75], v[72:73]
	v_fma_f64 v[63:64], -v[63:64], v[76:77], v[74:75]
	v_div_fmas_f64 v[63:64], v[63:64], v[72:73], v[76:77]
	v_div_fixup_f64 v[0:1], v[63:64], v[0:1], 1.0
.LBB54_257:
	s_or_b32 exec_lo, exec_lo, s0
	s_mov_b32 s0, exec_lo
	v_cmpx_ne_u32_e64 v71, v62
	s_xor_b32 s0, exec_lo, s0
	s_cbranch_execz .LBB54_263
; %bb.258:
	s_mov_b32 s1, exec_lo
	v_cmpx_eq_u32_e32 15, v71
	s_cbranch_execz .LBB54_262
; %bb.259:
	v_cmp_ne_u32_e32 vcc_lo, 15, v62
	s_xor_b32 s2, s6, -1
	s_and_b32 s3, s2, vcc_lo
	s_and_saveexec_b32 s2, s3
	s_cbranch_execz .LBB54_261
; %bb.260:
	v_ashrrev_i32_e32 v63, 31, v62
	v_lshlrev_b64 v[63:64], 2, v[62:63]
	v_add_co_u32 v63, vcc_lo, v16, v63
	v_add_co_ci_u32_e64 v64, null, v17, v64, vcc_lo
	s_clause 0x1
	global_load_dword v65, v[63:64], off
	global_load_dword v71, v[16:17], off offset:60
	s_waitcnt vmcnt(1)
	global_store_dword v[16:17], v65, off offset:60
	s_waitcnt vmcnt(0)
	global_store_dword v[63:64], v71, off
.LBB54_261:
	s_or_b32 exec_lo, exec_lo, s2
	v_mov_b32_e32 v65, v62
	v_mov_b32_e32 v71, v62
.LBB54_262:
	s_or_b32 exec_lo, exec_lo, s1
.LBB54_263:
	s_andn2_saveexec_b32 s0, s0
	s_cbranch_execz .LBB54_265
; %bb.264:
	v_mov_b32_e32 v62, v26
	v_mov_b32_e32 v63, v27
	;; [unrolled: 1-line block ×8, first 2 shown]
	ds_write2_b64 v68, v[62:63], v[71:72] offset0:16 offset1:17
	ds_write2_b64 v68, v[73:74], v[75:76] offset0:18 offset1:19
	v_mov_b32_e32 v62, v20
	v_mov_b32_e32 v63, v21
	;; [unrolled: 1-line block ×15, first 2 shown]
	ds_write2_b64 v68, v[62:63], v[72:73] offset0:20 offset1:21
	ds_write2_b64 v68, v[74:75], v[76:77] offset0:22 offset1:23
	;; [unrolled: 1-line block ×4, first 2 shown]
.LBB54_265:
	s_or_b32 exec_lo, exec_lo, s0
	s_mov_b32 s0, exec_lo
	s_waitcnt lgkmcnt(0)
	s_waitcnt_vscnt null, 0x0
	s_barrier
	buffer_gl0_inv
	v_cmpx_lt_i32_e32 15, v71
	s_cbranch_execz .LBB54_267
; %bb.266:
	v_mul_f64 v[28:29], v[0:1], v[28:29]
	ds_read2_b64 v[72:75], v68 offset0:16 offset1:17
	ds_read2_b64 v[76:79], v68 offset0:18 offset1:19
	;; [unrolled: 1-line block ×6, first 2 shown]
	s_waitcnt lgkmcnt(5)
	v_fma_f64 v[26:27], -v[28:29], v[72:73], v[26:27]
	v_fma_f64 v[24:25], -v[28:29], v[74:75], v[24:25]
	s_waitcnt lgkmcnt(4)
	v_fma_f64 v[22:23], -v[28:29], v[76:77], v[22:23]
	v_fma_f64 v[18:19], -v[28:29], v[78:79], v[18:19]
	;; [unrolled: 3-line block ×6, first 2 shown]
.LBB54_267:
	s_or_b32 exec_lo, exec_lo, s0
	v_lshl_add_u32 v0, v71, 3, v68
	s_barrier
	buffer_gl0_inv
	v_mov_b32_e32 v62, 16
	ds_write_b64 v0, v[26:27]
	s_waitcnt lgkmcnt(0)
	s_barrier
	buffer_gl0_inv
	ds_read_b64 v[0:1], v68 offset:128
	s_cmp_lt_i32 s7, 18
	s_cbranch_scc1 .LBB54_270
; %bb.268:
	v_add3_u32 v63, v69, 0, 0x88
	v_mov_b32_e32 v62, 16
	s_mov_b32 s0, 17
.LBB54_269:                             ; =>This Inner Loop Header: Depth=1
	ds_read_b64 v[72:73], v63
	v_add_nc_u32_e32 v63, 8, v63
	s_waitcnt lgkmcnt(0)
	v_cmp_lt_f64_e64 vcc_lo, |v[0:1]|, |v[72:73]|
	v_cndmask_b32_e32 v1, v1, v73, vcc_lo
	v_cndmask_b32_e32 v0, v0, v72, vcc_lo
	v_cndmask_b32_e64 v62, v62, s0, vcc_lo
	s_add_i32 s0, s0, 1
	s_cmp_lg_u32 s7, s0
	s_cbranch_scc1 .LBB54_269
.LBB54_270:
	s_mov_b32 s0, exec_lo
	s_waitcnt lgkmcnt(0)
	v_cmpx_eq_f64_e32 0, v[0:1]
	s_xor_b32 s0, exec_lo, s0
; %bb.271:
	v_cmp_ne_u32_e32 vcc_lo, 0, v70
	v_cndmask_b32_e32 v70, 17, v70, vcc_lo
; %bb.272:
	s_andn2_saveexec_b32 s0, s0
	s_cbranch_execz .LBB54_274
; %bb.273:
	v_div_scale_f64 v[63:64], null, v[0:1], v[0:1], 1.0
	v_rcp_f64_e32 v[72:73], v[63:64]
	v_fma_f64 v[74:75], -v[63:64], v[72:73], 1.0
	v_fma_f64 v[72:73], v[72:73], v[74:75], v[72:73]
	v_fma_f64 v[74:75], -v[63:64], v[72:73], 1.0
	v_fma_f64 v[72:73], v[72:73], v[74:75], v[72:73]
	v_div_scale_f64 v[74:75], vcc_lo, 1.0, v[0:1], 1.0
	v_mul_f64 v[76:77], v[74:75], v[72:73]
	v_fma_f64 v[63:64], -v[63:64], v[76:77], v[74:75]
	v_div_fmas_f64 v[63:64], v[63:64], v[72:73], v[76:77]
	v_div_fixup_f64 v[0:1], v[63:64], v[0:1], 1.0
.LBB54_274:
	s_or_b32 exec_lo, exec_lo, s0
	s_mov_b32 s0, exec_lo
	v_cmpx_ne_u32_e64 v71, v62
	s_xor_b32 s0, exec_lo, s0
	s_cbranch_execz .LBB54_280
; %bb.275:
	s_mov_b32 s1, exec_lo
	v_cmpx_eq_u32_e32 16, v71
	s_cbranch_execz .LBB54_279
; %bb.276:
	v_cmp_ne_u32_e32 vcc_lo, 16, v62
	s_xor_b32 s2, s6, -1
	s_and_b32 s3, s2, vcc_lo
	s_and_saveexec_b32 s2, s3
	s_cbranch_execz .LBB54_278
; %bb.277:
	v_ashrrev_i32_e32 v63, 31, v62
	v_lshlrev_b64 v[63:64], 2, v[62:63]
	v_add_co_u32 v63, vcc_lo, v16, v63
	v_add_co_ci_u32_e64 v64, null, v17, v64, vcc_lo
	s_clause 0x1
	global_load_dword v65, v[63:64], off
	global_load_dword v71, v[16:17], off offset:64
	s_waitcnt vmcnt(1)
	global_store_dword v[16:17], v65, off offset:64
	s_waitcnt vmcnt(0)
	global_store_dword v[63:64], v71, off
.LBB54_278:
	s_or_b32 exec_lo, exec_lo, s2
	v_mov_b32_e32 v65, v62
	v_mov_b32_e32 v71, v62
.LBB54_279:
	s_or_b32 exec_lo, exec_lo, s1
.LBB54_280:
	s_andn2_saveexec_b32 s0, s0
	s_cbranch_execz .LBB54_282
; %bb.281:
	v_mov_b32_e32 v71, 16
	ds_write2_b64 v68, v[24:25], v[22:23] offset0:17 offset1:18
	ds_write2_b64 v68, v[18:19], v[20:21] offset0:19 offset1:20
	;; [unrolled: 1-line block ×5, first 2 shown]
	ds_write_b64 v68, v[60:61] offset:216
.LBB54_282:
	s_or_b32 exec_lo, exec_lo, s0
	s_mov_b32 s0, exec_lo
	s_waitcnt lgkmcnt(0)
	s_waitcnt_vscnt null, 0x0
	s_barrier
	buffer_gl0_inv
	v_cmpx_lt_i32_e32 16, v71
	s_cbranch_execz .LBB54_284
; %bb.283:
	v_mul_f64 v[26:27], v[0:1], v[26:27]
	ds_read2_b64 v[72:75], v68 offset0:17 offset1:18
	ds_read2_b64 v[76:79], v68 offset0:19 offset1:20
	;; [unrolled: 1-line block ×5, first 2 shown]
	ds_read_b64 v[0:1], v68 offset:216
	s_waitcnt lgkmcnt(5)
	v_fma_f64 v[24:25], -v[26:27], v[72:73], v[24:25]
	v_fma_f64 v[22:23], -v[26:27], v[74:75], v[22:23]
	s_waitcnt lgkmcnt(4)
	v_fma_f64 v[18:19], -v[26:27], v[76:77], v[18:19]
	v_fma_f64 v[20:21], -v[26:27], v[78:79], v[20:21]
	;; [unrolled: 3-line block ×5, first 2 shown]
	s_waitcnt lgkmcnt(0)
	v_fma_f64 v[60:61], -v[26:27], v[0:1], v[60:61]
.LBB54_284:
	s_or_b32 exec_lo, exec_lo, s0
	v_lshl_add_u32 v0, v71, 3, v68
	s_barrier
	buffer_gl0_inv
	v_mov_b32_e32 v62, 17
	ds_write_b64 v0, v[24:25]
	s_waitcnt lgkmcnt(0)
	s_barrier
	buffer_gl0_inv
	ds_read_b64 v[0:1], v68 offset:136
	s_cmp_lt_i32 s7, 19
	s_cbranch_scc1 .LBB54_287
; %bb.285:
	v_add3_u32 v63, v69, 0, 0x90
	v_mov_b32_e32 v62, 17
	s_mov_b32 s0, 18
.LBB54_286:                             ; =>This Inner Loop Header: Depth=1
	ds_read_b64 v[72:73], v63
	v_add_nc_u32_e32 v63, 8, v63
	s_waitcnt lgkmcnt(0)
	v_cmp_lt_f64_e64 vcc_lo, |v[0:1]|, |v[72:73]|
	v_cndmask_b32_e32 v1, v1, v73, vcc_lo
	v_cndmask_b32_e32 v0, v0, v72, vcc_lo
	v_cndmask_b32_e64 v62, v62, s0, vcc_lo
	s_add_i32 s0, s0, 1
	s_cmp_lg_u32 s7, s0
	s_cbranch_scc1 .LBB54_286
.LBB54_287:
	s_mov_b32 s0, exec_lo
	s_waitcnt lgkmcnt(0)
	v_cmpx_eq_f64_e32 0, v[0:1]
	s_xor_b32 s0, exec_lo, s0
; %bb.288:
	v_cmp_ne_u32_e32 vcc_lo, 0, v70
	v_cndmask_b32_e32 v70, 18, v70, vcc_lo
; %bb.289:
	s_andn2_saveexec_b32 s0, s0
	s_cbranch_execz .LBB54_291
; %bb.290:
	v_div_scale_f64 v[63:64], null, v[0:1], v[0:1], 1.0
	v_rcp_f64_e32 v[72:73], v[63:64]
	v_fma_f64 v[74:75], -v[63:64], v[72:73], 1.0
	v_fma_f64 v[72:73], v[72:73], v[74:75], v[72:73]
	v_fma_f64 v[74:75], -v[63:64], v[72:73], 1.0
	v_fma_f64 v[72:73], v[72:73], v[74:75], v[72:73]
	v_div_scale_f64 v[74:75], vcc_lo, 1.0, v[0:1], 1.0
	v_mul_f64 v[76:77], v[74:75], v[72:73]
	v_fma_f64 v[63:64], -v[63:64], v[76:77], v[74:75]
	v_div_fmas_f64 v[63:64], v[63:64], v[72:73], v[76:77]
	v_div_fixup_f64 v[0:1], v[63:64], v[0:1], 1.0
.LBB54_291:
	s_or_b32 exec_lo, exec_lo, s0
	s_mov_b32 s0, exec_lo
	v_cmpx_ne_u32_e64 v71, v62
	s_xor_b32 s0, exec_lo, s0
	s_cbranch_execz .LBB54_297
; %bb.292:
	s_mov_b32 s1, exec_lo
	v_cmpx_eq_u32_e32 17, v71
	s_cbranch_execz .LBB54_296
; %bb.293:
	v_cmp_ne_u32_e32 vcc_lo, 17, v62
	s_xor_b32 s2, s6, -1
	s_and_b32 s3, s2, vcc_lo
	s_and_saveexec_b32 s2, s3
	s_cbranch_execz .LBB54_295
; %bb.294:
	v_ashrrev_i32_e32 v63, 31, v62
	v_lshlrev_b64 v[63:64], 2, v[62:63]
	v_add_co_u32 v63, vcc_lo, v16, v63
	v_add_co_ci_u32_e64 v64, null, v17, v64, vcc_lo
	s_clause 0x1
	global_load_dword v65, v[63:64], off
	global_load_dword v71, v[16:17], off offset:68
	s_waitcnt vmcnt(1)
	global_store_dword v[16:17], v65, off offset:68
	s_waitcnt vmcnt(0)
	global_store_dword v[63:64], v71, off
.LBB54_295:
	s_or_b32 exec_lo, exec_lo, s2
	v_mov_b32_e32 v65, v62
	v_mov_b32_e32 v71, v62
.LBB54_296:
	s_or_b32 exec_lo, exec_lo, s1
.LBB54_297:
	s_andn2_saveexec_b32 s0, s0
	s_cbranch_execz .LBB54_299
; %bb.298:
	v_mov_b32_e32 v62, v22
	v_mov_b32_e32 v63, v23
	;; [unrolled: 1-line block ×8, first 2 shown]
	ds_write2_b64 v68, v[62:63], v[71:72] offset0:18 offset1:19
	v_mov_b32_e32 v62, v14
	v_mov_b32_e32 v63, v15
	v_mov_b32_e32 v71, 17
	v_mov_b32_e32 v77, v6
	v_mov_b32_e32 v78, v7
	v_mov_b32_e32 v79, v10
	v_mov_b32_e32 v80, v11
	v_mov_b32_e32 v81, v4
	v_mov_b32_e32 v82, v5
	v_mov_b32_e32 v83, v8
	v_mov_b32_e32 v84, v9
	ds_write2_b64 v68, v[73:74], v[62:63] offset0:20 offset1:21
	ds_write2_b64 v68, v[75:76], v[77:78] offset0:22 offset1:23
	;; [unrolled: 1-line block ×4, first 2 shown]
.LBB54_299:
	s_or_b32 exec_lo, exec_lo, s0
	s_mov_b32 s0, exec_lo
	s_waitcnt lgkmcnt(0)
	s_waitcnt_vscnt null, 0x0
	s_barrier
	buffer_gl0_inv
	v_cmpx_lt_i32_e32 17, v71
	s_cbranch_execz .LBB54_301
; %bb.300:
	v_mul_f64 v[24:25], v[0:1], v[24:25]
	ds_read2_b64 v[72:75], v68 offset0:18 offset1:19
	ds_read2_b64 v[76:79], v68 offset0:20 offset1:21
	;; [unrolled: 1-line block ×5, first 2 shown]
	s_waitcnt lgkmcnt(4)
	v_fma_f64 v[22:23], -v[24:25], v[72:73], v[22:23]
	v_fma_f64 v[18:19], -v[24:25], v[74:75], v[18:19]
	s_waitcnt lgkmcnt(3)
	v_fma_f64 v[20:21], -v[24:25], v[76:77], v[20:21]
	v_fma_f64 v[14:15], -v[24:25], v[78:79], v[14:15]
	;; [unrolled: 3-line block ×5, first 2 shown]
.LBB54_301:
	s_or_b32 exec_lo, exec_lo, s0
	v_lshl_add_u32 v0, v71, 3, v68
	s_barrier
	buffer_gl0_inv
	v_mov_b32_e32 v62, 18
	ds_write_b64 v0, v[22:23]
	s_waitcnt lgkmcnt(0)
	s_barrier
	buffer_gl0_inv
	ds_read_b64 v[0:1], v68 offset:144
	s_cmp_lt_i32 s7, 20
	s_cbranch_scc1 .LBB54_304
; %bb.302:
	v_add3_u32 v63, v69, 0, 0x98
	v_mov_b32_e32 v62, 18
	s_mov_b32 s0, 19
.LBB54_303:                             ; =>This Inner Loop Header: Depth=1
	ds_read_b64 v[72:73], v63
	v_add_nc_u32_e32 v63, 8, v63
	s_waitcnt lgkmcnt(0)
	v_cmp_lt_f64_e64 vcc_lo, |v[0:1]|, |v[72:73]|
	v_cndmask_b32_e32 v1, v1, v73, vcc_lo
	v_cndmask_b32_e32 v0, v0, v72, vcc_lo
	v_cndmask_b32_e64 v62, v62, s0, vcc_lo
	s_add_i32 s0, s0, 1
	s_cmp_lg_u32 s7, s0
	s_cbranch_scc1 .LBB54_303
.LBB54_304:
	s_mov_b32 s0, exec_lo
	s_waitcnt lgkmcnt(0)
	v_cmpx_eq_f64_e32 0, v[0:1]
	s_xor_b32 s0, exec_lo, s0
; %bb.305:
	v_cmp_ne_u32_e32 vcc_lo, 0, v70
	v_cndmask_b32_e32 v70, 19, v70, vcc_lo
; %bb.306:
	s_andn2_saveexec_b32 s0, s0
	s_cbranch_execz .LBB54_308
; %bb.307:
	v_div_scale_f64 v[63:64], null, v[0:1], v[0:1], 1.0
	v_rcp_f64_e32 v[72:73], v[63:64]
	v_fma_f64 v[74:75], -v[63:64], v[72:73], 1.0
	v_fma_f64 v[72:73], v[72:73], v[74:75], v[72:73]
	v_fma_f64 v[74:75], -v[63:64], v[72:73], 1.0
	v_fma_f64 v[72:73], v[72:73], v[74:75], v[72:73]
	v_div_scale_f64 v[74:75], vcc_lo, 1.0, v[0:1], 1.0
	v_mul_f64 v[76:77], v[74:75], v[72:73]
	v_fma_f64 v[63:64], -v[63:64], v[76:77], v[74:75]
	v_div_fmas_f64 v[63:64], v[63:64], v[72:73], v[76:77]
	v_div_fixup_f64 v[0:1], v[63:64], v[0:1], 1.0
.LBB54_308:
	s_or_b32 exec_lo, exec_lo, s0
	s_mov_b32 s0, exec_lo
	v_cmpx_ne_u32_e64 v71, v62
	s_xor_b32 s0, exec_lo, s0
	s_cbranch_execz .LBB54_314
; %bb.309:
	s_mov_b32 s1, exec_lo
	v_cmpx_eq_u32_e32 18, v71
	s_cbranch_execz .LBB54_313
; %bb.310:
	v_cmp_ne_u32_e32 vcc_lo, 18, v62
	s_xor_b32 s2, s6, -1
	s_and_b32 s3, s2, vcc_lo
	s_and_saveexec_b32 s2, s3
	s_cbranch_execz .LBB54_312
; %bb.311:
	v_ashrrev_i32_e32 v63, 31, v62
	v_lshlrev_b64 v[63:64], 2, v[62:63]
	v_add_co_u32 v63, vcc_lo, v16, v63
	v_add_co_ci_u32_e64 v64, null, v17, v64, vcc_lo
	s_clause 0x1
	global_load_dword v65, v[63:64], off
	global_load_dword v71, v[16:17], off offset:72
	s_waitcnt vmcnt(1)
	global_store_dword v[16:17], v65, off offset:72
	s_waitcnt vmcnt(0)
	global_store_dword v[63:64], v71, off
.LBB54_312:
	s_or_b32 exec_lo, exec_lo, s2
	v_mov_b32_e32 v65, v62
	v_mov_b32_e32 v71, v62
.LBB54_313:
	s_or_b32 exec_lo, exec_lo, s1
.LBB54_314:
	s_andn2_saveexec_b32 s0, s0
	s_cbranch_execz .LBB54_316
; %bb.315:
	v_mov_b32_e32 v71, 18
	ds_write2_b64 v68, v[18:19], v[20:21] offset0:19 offset1:20
	ds_write2_b64 v68, v[14:15], v[12:13] offset0:21 offset1:22
	;; [unrolled: 1-line block ×4, first 2 shown]
	ds_write_b64 v68, v[60:61] offset:216
.LBB54_316:
	s_or_b32 exec_lo, exec_lo, s0
	s_mov_b32 s0, exec_lo
	s_waitcnt lgkmcnt(0)
	s_waitcnt_vscnt null, 0x0
	s_barrier
	buffer_gl0_inv
	v_cmpx_lt_i32_e32 18, v71
	s_cbranch_execz .LBB54_318
; %bb.317:
	v_mul_f64 v[22:23], v[0:1], v[22:23]
	ds_read2_b64 v[72:75], v68 offset0:19 offset1:20
	ds_read2_b64 v[76:79], v68 offset0:21 offset1:22
	;; [unrolled: 1-line block ×4, first 2 shown]
	ds_read_b64 v[0:1], v68 offset:216
	s_waitcnt lgkmcnt(4)
	v_fma_f64 v[18:19], -v[22:23], v[72:73], v[18:19]
	v_fma_f64 v[20:21], -v[22:23], v[74:75], v[20:21]
	s_waitcnt lgkmcnt(3)
	v_fma_f64 v[14:15], -v[22:23], v[76:77], v[14:15]
	v_fma_f64 v[12:13], -v[22:23], v[78:79], v[12:13]
	;; [unrolled: 3-line block ×4, first 2 shown]
	s_waitcnt lgkmcnt(0)
	v_fma_f64 v[60:61], -v[22:23], v[0:1], v[60:61]
.LBB54_318:
	s_or_b32 exec_lo, exec_lo, s0
	v_lshl_add_u32 v0, v71, 3, v68
	s_barrier
	buffer_gl0_inv
	v_mov_b32_e32 v62, 19
	ds_write_b64 v0, v[18:19]
	s_waitcnt lgkmcnt(0)
	s_barrier
	buffer_gl0_inv
	ds_read_b64 v[0:1], v68 offset:152
	s_cmp_lt_i32 s7, 21
	s_cbranch_scc1 .LBB54_321
; %bb.319:
	v_add3_u32 v63, v69, 0, 0xa0
	v_mov_b32_e32 v62, 19
	s_mov_b32 s0, 20
.LBB54_320:                             ; =>This Inner Loop Header: Depth=1
	ds_read_b64 v[72:73], v63
	v_add_nc_u32_e32 v63, 8, v63
	s_waitcnt lgkmcnt(0)
	v_cmp_lt_f64_e64 vcc_lo, |v[0:1]|, |v[72:73]|
	v_cndmask_b32_e32 v1, v1, v73, vcc_lo
	v_cndmask_b32_e32 v0, v0, v72, vcc_lo
	v_cndmask_b32_e64 v62, v62, s0, vcc_lo
	s_add_i32 s0, s0, 1
	s_cmp_lg_u32 s7, s0
	s_cbranch_scc1 .LBB54_320
.LBB54_321:
	s_mov_b32 s0, exec_lo
	s_waitcnt lgkmcnt(0)
	v_cmpx_eq_f64_e32 0, v[0:1]
	s_xor_b32 s0, exec_lo, s0
; %bb.322:
	v_cmp_ne_u32_e32 vcc_lo, 0, v70
	v_cndmask_b32_e32 v70, 20, v70, vcc_lo
; %bb.323:
	s_andn2_saveexec_b32 s0, s0
	s_cbranch_execz .LBB54_325
; %bb.324:
	v_div_scale_f64 v[63:64], null, v[0:1], v[0:1], 1.0
	v_rcp_f64_e32 v[72:73], v[63:64]
	v_fma_f64 v[74:75], -v[63:64], v[72:73], 1.0
	v_fma_f64 v[72:73], v[72:73], v[74:75], v[72:73]
	v_fma_f64 v[74:75], -v[63:64], v[72:73], 1.0
	v_fma_f64 v[72:73], v[72:73], v[74:75], v[72:73]
	v_div_scale_f64 v[74:75], vcc_lo, 1.0, v[0:1], 1.0
	v_mul_f64 v[76:77], v[74:75], v[72:73]
	v_fma_f64 v[63:64], -v[63:64], v[76:77], v[74:75]
	v_div_fmas_f64 v[63:64], v[63:64], v[72:73], v[76:77]
	v_div_fixup_f64 v[0:1], v[63:64], v[0:1], 1.0
.LBB54_325:
	s_or_b32 exec_lo, exec_lo, s0
	s_mov_b32 s0, exec_lo
	v_cmpx_ne_u32_e64 v71, v62
	s_xor_b32 s0, exec_lo, s0
	s_cbranch_execz .LBB54_331
; %bb.326:
	s_mov_b32 s1, exec_lo
	v_cmpx_eq_u32_e32 19, v71
	s_cbranch_execz .LBB54_330
; %bb.327:
	v_cmp_ne_u32_e32 vcc_lo, 19, v62
	s_xor_b32 s2, s6, -1
	s_and_b32 s3, s2, vcc_lo
	s_and_saveexec_b32 s2, s3
	s_cbranch_execz .LBB54_329
; %bb.328:
	v_ashrrev_i32_e32 v63, 31, v62
	v_lshlrev_b64 v[63:64], 2, v[62:63]
	v_add_co_u32 v63, vcc_lo, v16, v63
	v_add_co_ci_u32_e64 v64, null, v17, v64, vcc_lo
	s_clause 0x1
	global_load_dword v65, v[63:64], off
	global_load_dword v71, v[16:17], off offset:76
	s_waitcnt vmcnt(1)
	global_store_dword v[16:17], v65, off offset:76
	s_waitcnt vmcnt(0)
	global_store_dword v[63:64], v71, off
.LBB54_329:
	s_or_b32 exec_lo, exec_lo, s2
	v_mov_b32_e32 v65, v62
	v_mov_b32_e32 v71, v62
.LBB54_330:
	s_or_b32 exec_lo, exec_lo, s1
.LBB54_331:
	s_andn2_saveexec_b32 s0, s0
	s_cbranch_execz .LBB54_333
; %bb.332:
	v_mov_b32_e32 v62, v20
	v_mov_b32_e32 v63, v21
	;; [unrolled: 1-line block ×15, first 2 shown]
	ds_write2_b64 v68, v[62:63], v[72:73] offset0:20 offset1:21
	ds_write2_b64 v68, v[74:75], v[76:77] offset0:22 offset1:23
	;; [unrolled: 1-line block ×4, first 2 shown]
.LBB54_333:
	s_or_b32 exec_lo, exec_lo, s0
	s_mov_b32 s0, exec_lo
	s_waitcnt lgkmcnt(0)
	s_waitcnt_vscnt null, 0x0
	s_barrier
	buffer_gl0_inv
	v_cmpx_lt_i32_e32 19, v71
	s_cbranch_execz .LBB54_335
; %bb.334:
	v_mul_f64 v[18:19], v[0:1], v[18:19]
	ds_read2_b64 v[72:75], v68 offset0:20 offset1:21
	ds_read2_b64 v[76:79], v68 offset0:22 offset1:23
	;; [unrolled: 1-line block ×4, first 2 shown]
	s_waitcnt lgkmcnt(3)
	v_fma_f64 v[20:21], -v[18:19], v[72:73], v[20:21]
	v_fma_f64 v[14:15], -v[18:19], v[74:75], v[14:15]
	s_waitcnt lgkmcnt(2)
	v_fma_f64 v[12:13], -v[18:19], v[76:77], v[12:13]
	v_fma_f64 v[6:7], -v[18:19], v[78:79], v[6:7]
	;; [unrolled: 3-line block ×4, first 2 shown]
.LBB54_335:
	s_or_b32 exec_lo, exec_lo, s0
	v_lshl_add_u32 v0, v71, 3, v68
	s_barrier
	buffer_gl0_inv
	v_mov_b32_e32 v62, 20
	ds_write_b64 v0, v[20:21]
	s_waitcnt lgkmcnt(0)
	s_barrier
	buffer_gl0_inv
	ds_read_b64 v[0:1], v68 offset:160
	s_cmp_lt_i32 s7, 22
	s_cbranch_scc1 .LBB54_338
; %bb.336:
	v_add3_u32 v63, v69, 0, 0xa8
	v_mov_b32_e32 v62, 20
	s_mov_b32 s0, 21
.LBB54_337:                             ; =>This Inner Loop Header: Depth=1
	ds_read_b64 v[72:73], v63
	v_add_nc_u32_e32 v63, 8, v63
	s_waitcnt lgkmcnt(0)
	v_cmp_lt_f64_e64 vcc_lo, |v[0:1]|, |v[72:73]|
	v_cndmask_b32_e32 v1, v1, v73, vcc_lo
	v_cndmask_b32_e32 v0, v0, v72, vcc_lo
	v_cndmask_b32_e64 v62, v62, s0, vcc_lo
	s_add_i32 s0, s0, 1
	s_cmp_lg_u32 s7, s0
	s_cbranch_scc1 .LBB54_337
.LBB54_338:
	s_mov_b32 s0, exec_lo
	s_waitcnt lgkmcnt(0)
	v_cmpx_eq_f64_e32 0, v[0:1]
	s_xor_b32 s0, exec_lo, s0
; %bb.339:
	v_cmp_ne_u32_e32 vcc_lo, 0, v70
	v_cndmask_b32_e32 v70, 21, v70, vcc_lo
; %bb.340:
	s_andn2_saveexec_b32 s0, s0
	s_cbranch_execz .LBB54_342
; %bb.341:
	v_div_scale_f64 v[63:64], null, v[0:1], v[0:1], 1.0
	v_rcp_f64_e32 v[72:73], v[63:64]
	v_fma_f64 v[74:75], -v[63:64], v[72:73], 1.0
	v_fma_f64 v[72:73], v[72:73], v[74:75], v[72:73]
	v_fma_f64 v[74:75], -v[63:64], v[72:73], 1.0
	v_fma_f64 v[72:73], v[72:73], v[74:75], v[72:73]
	v_div_scale_f64 v[74:75], vcc_lo, 1.0, v[0:1], 1.0
	v_mul_f64 v[76:77], v[74:75], v[72:73]
	v_fma_f64 v[63:64], -v[63:64], v[76:77], v[74:75]
	v_div_fmas_f64 v[63:64], v[63:64], v[72:73], v[76:77]
	v_div_fixup_f64 v[0:1], v[63:64], v[0:1], 1.0
.LBB54_342:
	s_or_b32 exec_lo, exec_lo, s0
	s_mov_b32 s0, exec_lo
	v_cmpx_ne_u32_e64 v71, v62
	s_xor_b32 s0, exec_lo, s0
	s_cbranch_execz .LBB54_348
; %bb.343:
	s_mov_b32 s1, exec_lo
	v_cmpx_eq_u32_e32 20, v71
	s_cbranch_execz .LBB54_347
; %bb.344:
	v_cmp_ne_u32_e32 vcc_lo, 20, v62
	s_xor_b32 s2, s6, -1
	s_and_b32 s3, s2, vcc_lo
	s_and_saveexec_b32 s2, s3
	s_cbranch_execz .LBB54_346
; %bb.345:
	v_ashrrev_i32_e32 v63, 31, v62
	v_lshlrev_b64 v[63:64], 2, v[62:63]
	v_add_co_u32 v63, vcc_lo, v16, v63
	v_add_co_ci_u32_e64 v64, null, v17, v64, vcc_lo
	s_clause 0x1
	global_load_dword v65, v[63:64], off
	global_load_dword v71, v[16:17], off offset:80
	s_waitcnt vmcnt(1)
	global_store_dword v[16:17], v65, off offset:80
	s_waitcnt vmcnt(0)
	global_store_dword v[63:64], v71, off
.LBB54_346:
	s_or_b32 exec_lo, exec_lo, s2
	v_mov_b32_e32 v65, v62
	v_mov_b32_e32 v71, v62
.LBB54_347:
	s_or_b32 exec_lo, exec_lo, s1
.LBB54_348:
	s_andn2_saveexec_b32 s0, s0
	s_cbranch_execz .LBB54_350
; %bb.349:
	v_mov_b32_e32 v71, 20
	ds_write2_b64 v68, v[14:15], v[12:13] offset0:21 offset1:22
	ds_write2_b64 v68, v[6:7], v[10:11] offset0:23 offset1:24
	;; [unrolled: 1-line block ×3, first 2 shown]
	ds_write_b64 v68, v[60:61] offset:216
.LBB54_350:
	s_or_b32 exec_lo, exec_lo, s0
	s_mov_b32 s0, exec_lo
	s_waitcnt lgkmcnt(0)
	s_waitcnt_vscnt null, 0x0
	s_barrier
	buffer_gl0_inv
	v_cmpx_lt_i32_e32 20, v71
	s_cbranch_execz .LBB54_352
; %bb.351:
	v_mul_f64 v[20:21], v[0:1], v[20:21]
	ds_read2_b64 v[72:75], v68 offset0:21 offset1:22
	ds_read2_b64 v[76:79], v68 offset0:23 offset1:24
	;; [unrolled: 1-line block ×3, first 2 shown]
	ds_read_b64 v[0:1], v68 offset:216
	s_waitcnt lgkmcnt(3)
	v_fma_f64 v[14:15], -v[20:21], v[72:73], v[14:15]
	v_fma_f64 v[12:13], -v[20:21], v[74:75], v[12:13]
	s_waitcnt lgkmcnt(2)
	v_fma_f64 v[6:7], -v[20:21], v[76:77], v[6:7]
	v_fma_f64 v[10:11], -v[20:21], v[78:79], v[10:11]
	;; [unrolled: 3-line block ×3, first 2 shown]
	s_waitcnt lgkmcnt(0)
	v_fma_f64 v[60:61], -v[20:21], v[0:1], v[60:61]
.LBB54_352:
	s_or_b32 exec_lo, exec_lo, s0
	v_lshl_add_u32 v0, v71, 3, v68
	s_barrier
	buffer_gl0_inv
	v_mov_b32_e32 v62, 21
	ds_write_b64 v0, v[14:15]
	s_waitcnt lgkmcnt(0)
	s_barrier
	buffer_gl0_inv
	ds_read_b64 v[0:1], v68 offset:168
	s_cmp_lt_i32 s7, 23
	s_cbranch_scc1 .LBB54_355
; %bb.353:
	v_add3_u32 v63, v69, 0, 0xb0
	v_mov_b32_e32 v62, 21
	s_mov_b32 s0, 22
.LBB54_354:                             ; =>This Inner Loop Header: Depth=1
	ds_read_b64 v[72:73], v63
	v_add_nc_u32_e32 v63, 8, v63
	s_waitcnt lgkmcnt(0)
	v_cmp_lt_f64_e64 vcc_lo, |v[0:1]|, |v[72:73]|
	v_cndmask_b32_e32 v1, v1, v73, vcc_lo
	v_cndmask_b32_e32 v0, v0, v72, vcc_lo
	v_cndmask_b32_e64 v62, v62, s0, vcc_lo
	s_add_i32 s0, s0, 1
	s_cmp_lg_u32 s7, s0
	s_cbranch_scc1 .LBB54_354
.LBB54_355:
	s_mov_b32 s0, exec_lo
	s_waitcnt lgkmcnt(0)
	v_cmpx_eq_f64_e32 0, v[0:1]
	s_xor_b32 s0, exec_lo, s0
; %bb.356:
	v_cmp_ne_u32_e32 vcc_lo, 0, v70
	v_cndmask_b32_e32 v70, 22, v70, vcc_lo
; %bb.357:
	s_andn2_saveexec_b32 s0, s0
	s_cbranch_execz .LBB54_359
; %bb.358:
	v_div_scale_f64 v[63:64], null, v[0:1], v[0:1], 1.0
	v_rcp_f64_e32 v[72:73], v[63:64]
	v_fma_f64 v[74:75], -v[63:64], v[72:73], 1.0
	v_fma_f64 v[72:73], v[72:73], v[74:75], v[72:73]
	v_fma_f64 v[74:75], -v[63:64], v[72:73], 1.0
	v_fma_f64 v[72:73], v[72:73], v[74:75], v[72:73]
	v_div_scale_f64 v[74:75], vcc_lo, 1.0, v[0:1], 1.0
	v_mul_f64 v[76:77], v[74:75], v[72:73]
	v_fma_f64 v[63:64], -v[63:64], v[76:77], v[74:75]
	v_div_fmas_f64 v[63:64], v[63:64], v[72:73], v[76:77]
	v_div_fixup_f64 v[0:1], v[63:64], v[0:1], 1.0
.LBB54_359:
	s_or_b32 exec_lo, exec_lo, s0
	s_mov_b32 s0, exec_lo
	v_cmpx_ne_u32_e64 v71, v62
	s_xor_b32 s0, exec_lo, s0
	s_cbranch_execz .LBB54_365
; %bb.360:
	s_mov_b32 s1, exec_lo
	v_cmpx_eq_u32_e32 21, v71
	s_cbranch_execz .LBB54_364
; %bb.361:
	v_cmp_ne_u32_e32 vcc_lo, 21, v62
	s_xor_b32 s2, s6, -1
	s_and_b32 s3, s2, vcc_lo
	s_and_saveexec_b32 s2, s3
	s_cbranch_execz .LBB54_363
; %bb.362:
	v_ashrrev_i32_e32 v63, 31, v62
	v_lshlrev_b64 v[63:64], 2, v[62:63]
	v_add_co_u32 v63, vcc_lo, v16, v63
	v_add_co_ci_u32_e64 v64, null, v17, v64, vcc_lo
	s_clause 0x1
	global_load_dword v65, v[63:64], off
	global_load_dword v71, v[16:17], off offset:84
	s_waitcnt vmcnt(1)
	global_store_dword v[16:17], v65, off offset:84
	s_waitcnt vmcnt(0)
	global_store_dword v[63:64], v71, off
.LBB54_363:
	s_or_b32 exec_lo, exec_lo, s2
	v_mov_b32_e32 v65, v62
	v_mov_b32_e32 v71, v62
.LBB54_364:
	s_or_b32 exec_lo, exec_lo, s1
.LBB54_365:
	s_andn2_saveexec_b32 s0, s0
	s_cbranch_execz .LBB54_367
; %bb.366:
	v_mov_b32_e32 v62, v12
	v_mov_b32_e32 v63, v13
	;; [unrolled: 1-line block ×11, first 2 shown]
	ds_write2_b64 v68, v[62:63], v[72:73] offset0:22 offset1:23
	ds_write2_b64 v68, v[74:75], v[76:77] offset0:24 offset1:25
	;; [unrolled: 1-line block ×3, first 2 shown]
.LBB54_367:
	s_or_b32 exec_lo, exec_lo, s0
	s_mov_b32 s0, exec_lo
	s_waitcnt lgkmcnt(0)
	s_waitcnt_vscnt null, 0x0
	s_barrier
	buffer_gl0_inv
	v_cmpx_lt_i32_e32 21, v71
	s_cbranch_execz .LBB54_369
; %bb.368:
	v_mul_f64 v[14:15], v[0:1], v[14:15]
	ds_read2_b64 v[72:75], v68 offset0:22 offset1:23
	ds_read2_b64 v[76:79], v68 offset0:24 offset1:25
	;; [unrolled: 1-line block ×3, first 2 shown]
	s_waitcnt lgkmcnt(2)
	v_fma_f64 v[12:13], -v[14:15], v[72:73], v[12:13]
	v_fma_f64 v[6:7], -v[14:15], v[74:75], v[6:7]
	s_waitcnt lgkmcnt(1)
	v_fma_f64 v[10:11], -v[14:15], v[76:77], v[10:11]
	v_fma_f64 v[4:5], -v[14:15], v[78:79], v[4:5]
	;; [unrolled: 3-line block ×3, first 2 shown]
.LBB54_369:
	s_or_b32 exec_lo, exec_lo, s0
	v_lshl_add_u32 v0, v71, 3, v68
	s_barrier
	buffer_gl0_inv
	v_mov_b32_e32 v62, 22
	ds_write_b64 v0, v[12:13]
	s_waitcnt lgkmcnt(0)
	s_barrier
	buffer_gl0_inv
	ds_read_b64 v[0:1], v68 offset:176
	s_cmp_lt_i32 s7, 24
	s_cbranch_scc1 .LBB54_372
; %bb.370:
	v_add3_u32 v63, v69, 0, 0xb8
	v_mov_b32_e32 v62, 22
	s_mov_b32 s0, 23
.LBB54_371:                             ; =>This Inner Loop Header: Depth=1
	ds_read_b64 v[72:73], v63
	v_add_nc_u32_e32 v63, 8, v63
	s_waitcnt lgkmcnt(0)
	v_cmp_lt_f64_e64 vcc_lo, |v[0:1]|, |v[72:73]|
	v_cndmask_b32_e32 v1, v1, v73, vcc_lo
	v_cndmask_b32_e32 v0, v0, v72, vcc_lo
	v_cndmask_b32_e64 v62, v62, s0, vcc_lo
	s_add_i32 s0, s0, 1
	s_cmp_lg_u32 s7, s0
	s_cbranch_scc1 .LBB54_371
.LBB54_372:
	s_mov_b32 s0, exec_lo
	s_waitcnt lgkmcnt(0)
	v_cmpx_eq_f64_e32 0, v[0:1]
	s_xor_b32 s0, exec_lo, s0
; %bb.373:
	v_cmp_ne_u32_e32 vcc_lo, 0, v70
	v_cndmask_b32_e32 v70, 23, v70, vcc_lo
; %bb.374:
	s_andn2_saveexec_b32 s0, s0
	s_cbranch_execz .LBB54_376
; %bb.375:
	v_div_scale_f64 v[63:64], null, v[0:1], v[0:1], 1.0
	v_rcp_f64_e32 v[72:73], v[63:64]
	v_fma_f64 v[74:75], -v[63:64], v[72:73], 1.0
	v_fma_f64 v[72:73], v[72:73], v[74:75], v[72:73]
	v_fma_f64 v[74:75], -v[63:64], v[72:73], 1.0
	v_fma_f64 v[72:73], v[72:73], v[74:75], v[72:73]
	v_div_scale_f64 v[74:75], vcc_lo, 1.0, v[0:1], 1.0
	v_mul_f64 v[76:77], v[74:75], v[72:73]
	v_fma_f64 v[63:64], -v[63:64], v[76:77], v[74:75]
	v_div_fmas_f64 v[63:64], v[63:64], v[72:73], v[76:77]
	v_div_fixup_f64 v[0:1], v[63:64], v[0:1], 1.0
.LBB54_376:
	s_or_b32 exec_lo, exec_lo, s0
	s_mov_b32 s0, exec_lo
	v_cmpx_ne_u32_e64 v71, v62
	s_xor_b32 s0, exec_lo, s0
	s_cbranch_execz .LBB54_382
; %bb.377:
	s_mov_b32 s1, exec_lo
	v_cmpx_eq_u32_e32 22, v71
	s_cbranch_execz .LBB54_381
; %bb.378:
	v_cmp_ne_u32_e32 vcc_lo, 22, v62
	s_xor_b32 s2, s6, -1
	s_and_b32 s3, s2, vcc_lo
	s_and_saveexec_b32 s2, s3
	s_cbranch_execz .LBB54_380
; %bb.379:
	v_ashrrev_i32_e32 v63, 31, v62
	v_lshlrev_b64 v[63:64], 2, v[62:63]
	v_add_co_u32 v63, vcc_lo, v16, v63
	v_add_co_ci_u32_e64 v64, null, v17, v64, vcc_lo
	s_clause 0x1
	global_load_dword v65, v[63:64], off
	global_load_dword v71, v[16:17], off offset:88
	s_waitcnt vmcnt(1)
	global_store_dword v[16:17], v65, off offset:88
	s_waitcnt vmcnt(0)
	global_store_dword v[63:64], v71, off
.LBB54_380:
	s_or_b32 exec_lo, exec_lo, s2
	v_mov_b32_e32 v65, v62
	v_mov_b32_e32 v71, v62
.LBB54_381:
	s_or_b32 exec_lo, exec_lo, s1
.LBB54_382:
	s_andn2_saveexec_b32 s0, s0
	s_cbranch_execz .LBB54_384
; %bb.383:
	v_mov_b32_e32 v71, 22
	ds_write2_b64 v68, v[6:7], v[10:11] offset0:23 offset1:24
	ds_write2_b64 v68, v[4:5], v[8:9] offset0:25 offset1:26
	ds_write_b64 v68, v[60:61] offset:216
.LBB54_384:
	s_or_b32 exec_lo, exec_lo, s0
	s_mov_b32 s0, exec_lo
	s_waitcnt lgkmcnt(0)
	s_waitcnt_vscnt null, 0x0
	s_barrier
	buffer_gl0_inv
	v_cmpx_lt_i32_e32 22, v71
	s_cbranch_execz .LBB54_386
; %bb.385:
	v_mul_f64 v[12:13], v[0:1], v[12:13]
	ds_read2_b64 v[72:75], v68 offset0:23 offset1:24
	ds_read2_b64 v[76:79], v68 offset0:25 offset1:26
	ds_read_b64 v[0:1], v68 offset:216
	s_waitcnt lgkmcnt(2)
	v_fma_f64 v[6:7], -v[12:13], v[72:73], v[6:7]
	v_fma_f64 v[10:11], -v[12:13], v[74:75], v[10:11]
	s_waitcnt lgkmcnt(1)
	v_fma_f64 v[4:5], -v[12:13], v[76:77], v[4:5]
	v_fma_f64 v[8:9], -v[12:13], v[78:79], v[8:9]
	s_waitcnt lgkmcnt(0)
	v_fma_f64 v[60:61], -v[12:13], v[0:1], v[60:61]
.LBB54_386:
	s_or_b32 exec_lo, exec_lo, s0
	v_lshl_add_u32 v0, v71, 3, v68
	s_barrier
	buffer_gl0_inv
	v_mov_b32_e32 v62, 23
	ds_write_b64 v0, v[6:7]
	s_waitcnt lgkmcnt(0)
	s_barrier
	buffer_gl0_inv
	ds_read_b64 v[0:1], v68 offset:184
	s_cmp_lt_i32 s7, 25
	s_cbranch_scc1 .LBB54_389
; %bb.387:
	v_add3_u32 v63, v69, 0, 0xc0
	v_mov_b32_e32 v62, 23
	s_mov_b32 s0, 24
.LBB54_388:                             ; =>This Inner Loop Header: Depth=1
	ds_read_b64 v[72:73], v63
	v_add_nc_u32_e32 v63, 8, v63
	s_waitcnt lgkmcnt(0)
	v_cmp_lt_f64_e64 vcc_lo, |v[0:1]|, |v[72:73]|
	v_cndmask_b32_e32 v1, v1, v73, vcc_lo
	v_cndmask_b32_e32 v0, v0, v72, vcc_lo
	v_cndmask_b32_e64 v62, v62, s0, vcc_lo
	s_add_i32 s0, s0, 1
	s_cmp_lg_u32 s7, s0
	s_cbranch_scc1 .LBB54_388
.LBB54_389:
	s_mov_b32 s0, exec_lo
	s_waitcnt lgkmcnt(0)
	v_cmpx_eq_f64_e32 0, v[0:1]
	s_xor_b32 s0, exec_lo, s0
; %bb.390:
	v_cmp_ne_u32_e32 vcc_lo, 0, v70
	v_cndmask_b32_e32 v70, 24, v70, vcc_lo
; %bb.391:
	s_andn2_saveexec_b32 s0, s0
	s_cbranch_execz .LBB54_393
; %bb.392:
	v_div_scale_f64 v[63:64], null, v[0:1], v[0:1], 1.0
	v_rcp_f64_e32 v[72:73], v[63:64]
	v_fma_f64 v[74:75], -v[63:64], v[72:73], 1.0
	v_fma_f64 v[72:73], v[72:73], v[74:75], v[72:73]
	v_fma_f64 v[74:75], -v[63:64], v[72:73], 1.0
	v_fma_f64 v[72:73], v[72:73], v[74:75], v[72:73]
	v_div_scale_f64 v[74:75], vcc_lo, 1.0, v[0:1], 1.0
	v_mul_f64 v[76:77], v[74:75], v[72:73]
	v_fma_f64 v[63:64], -v[63:64], v[76:77], v[74:75]
	v_div_fmas_f64 v[63:64], v[63:64], v[72:73], v[76:77]
	v_div_fixup_f64 v[0:1], v[63:64], v[0:1], 1.0
.LBB54_393:
	s_or_b32 exec_lo, exec_lo, s0
	s_mov_b32 s0, exec_lo
	v_cmpx_ne_u32_e64 v71, v62
	s_xor_b32 s0, exec_lo, s0
	s_cbranch_execz .LBB54_399
; %bb.394:
	s_mov_b32 s1, exec_lo
	v_cmpx_eq_u32_e32 23, v71
	s_cbranch_execz .LBB54_398
; %bb.395:
	v_cmp_ne_u32_e32 vcc_lo, 23, v62
	s_xor_b32 s2, s6, -1
	s_and_b32 s3, s2, vcc_lo
	s_and_saveexec_b32 s2, s3
	s_cbranch_execz .LBB54_397
; %bb.396:
	v_ashrrev_i32_e32 v63, 31, v62
	v_lshlrev_b64 v[63:64], 2, v[62:63]
	v_add_co_u32 v63, vcc_lo, v16, v63
	v_add_co_ci_u32_e64 v64, null, v17, v64, vcc_lo
	s_clause 0x1
	global_load_dword v65, v[63:64], off
	global_load_dword v71, v[16:17], off offset:92
	s_waitcnt vmcnt(1)
	global_store_dword v[16:17], v65, off offset:92
	s_waitcnt vmcnt(0)
	global_store_dword v[63:64], v71, off
.LBB54_397:
	s_or_b32 exec_lo, exec_lo, s2
	v_mov_b32_e32 v65, v62
	v_mov_b32_e32 v71, v62
.LBB54_398:
	s_or_b32 exec_lo, exec_lo, s1
.LBB54_399:
	s_andn2_saveexec_b32 s0, s0
	s_cbranch_execz .LBB54_401
; %bb.400:
	v_mov_b32_e32 v62, v10
	v_mov_b32_e32 v63, v11
	;; [unrolled: 1-line block ×7, first 2 shown]
	ds_write2_b64 v68, v[62:63], v[72:73] offset0:24 offset1:25
	ds_write2_b64 v68, v[74:75], v[60:61] offset0:26 offset1:27
.LBB54_401:
	s_or_b32 exec_lo, exec_lo, s0
	s_mov_b32 s0, exec_lo
	s_waitcnt lgkmcnt(0)
	s_waitcnt_vscnt null, 0x0
	s_barrier
	buffer_gl0_inv
	v_cmpx_lt_i32_e32 23, v71
	s_cbranch_execz .LBB54_403
; %bb.402:
	v_mul_f64 v[6:7], v[0:1], v[6:7]
	ds_read2_b64 v[72:75], v68 offset0:24 offset1:25
	ds_read2_b64 v[76:79], v68 offset0:26 offset1:27
	s_waitcnt lgkmcnt(1)
	v_fma_f64 v[10:11], -v[6:7], v[72:73], v[10:11]
	v_fma_f64 v[4:5], -v[6:7], v[74:75], v[4:5]
	s_waitcnt lgkmcnt(0)
	v_fma_f64 v[8:9], -v[6:7], v[76:77], v[8:9]
	v_fma_f64 v[60:61], -v[6:7], v[78:79], v[60:61]
.LBB54_403:
	s_or_b32 exec_lo, exec_lo, s0
	v_lshl_add_u32 v0, v71, 3, v68
	s_barrier
	buffer_gl0_inv
	v_mov_b32_e32 v62, 24
	ds_write_b64 v0, v[10:11]
	s_waitcnt lgkmcnt(0)
	s_barrier
	buffer_gl0_inv
	ds_read_b64 v[0:1], v68 offset:192
	s_cmp_lt_i32 s7, 26
	s_cbranch_scc1 .LBB54_406
; %bb.404:
	v_add3_u32 v63, v69, 0, 0xc8
	v_mov_b32_e32 v62, 24
	s_mov_b32 s0, 25
.LBB54_405:                             ; =>This Inner Loop Header: Depth=1
	ds_read_b64 v[72:73], v63
	v_add_nc_u32_e32 v63, 8, v63
	s_waitcnt lgkmcnt(0)
	v_cmp_lt_f64_e64 vcc_lo, |v[0:1]|, |v[72:73]|
	v_cndmask_b32_e32 v1, v1, v73, vcc_lo
	v_cndmask_b32_e32 v0, v0, v72, vcc_lo
	v_cndmask_b32_e64 v62, v62, s0, vcc_lo
	s_add_i32 s0, s0, 1
	s_cmp_lg_u32 s7, s0
	s_cbranch_scc1 .LBB54_405
.LBB54_406:
	s_mov_b32 s0, exec_lo
	s_waitcnt lgkmcnt(0)
	v_cmpx_eq_f64_e32 0, v[0:1]
	s_xor_b32 s0, exec_lo, s0
; %bb.407:
	v_cmp_ne_u32_e32 vcc_lo, 0, v70
	v_cndmask_b32_e32 v70, 25, v70, vcc_lo
; %bb.408:
	s_andn2_saveexec_b32 s0, s0
	s_cbranch_execz .LBB54_410
; %bb.409:
	v_div_scale_f64 v[63:64], null, v[0:1], v[0:1], 1.0
	v_rcp_f64_e32 v[72:73], v[63:64]
	v_fma_f64 v[74:75], -v[63:64], v[72:73], 1.0
	v_fma_f64 v[72:73], v[72:73], v[74:75], v[72:73]
	v_fma_f64 v[74:75], -v[63:64], v[72:73], 1.0
	v_fma_f64 v[72:73], v[72:73], v[74:75], v[72:73]
	v_div_scale_f64 v[74:75], vcc_lo, 1.0, v[0:1], 1.0
	v_mul_f64 v[76:77], v[74:75], v[72:73]
	v_fma_f64 v[63:64], -v[63:64], v[76:77], v[74:75]
	v_div_fmas_f64 v[63:64], v[63:64], v[72:73], v[76:77]
	v_div_fixup_f64 v[0:1], v[63:64], v[0:1], 1.0
.LBB54_410:
	s_or_b32 exec_lo, exec_lo, s0
	s_mov_b32 s0, exec_lo
	v_cmpx_ne_u32_e64 v71, v62
	s_xor_b32 s0, exec_lo, s0
	s_cbranch_execz .LBB54_416
; %bb.411:
	s_mov_b32 s1, exec_lo
	v_cmpx_eq_u32_e32 24, v71
	s_cbranch_execz .LBB54_415
; %bb.412:
	v_cmp_ne_u32_e32 vcc_lo, 24, v62
	s_xor_b32 s2, s6, -1
	s_and_b32 s3, s2, vcc_lo
	s_and_saveexec_b32 s2, s3
	s_cbranch_execz .LBB54_414
; %bb.413:
	v_ashrrev_i32_e32 v63, 31, v62
	v_lshlrev_b64 v[63:64], 2, v[62:63]
	v_add_co_u32 v63, vcc_lo, v16, v63
	v_add_co_ci_u32_e64 v64, null, v17, v64, vcc_lo
	s_clause 0x1
	global_load_dword v65, v[63:64], off
	global_load_dword v71, v[16:17], off offset:96
	s_waitcnt vmcnt(1)
	global_store_dword v[16:17], v65, off offset:96
	s_waitcnt vmcnt(0)
	global_store_dword v[63:64], v71, off
.LBB54_414:
	s_or_b32 exec_lo, exec_lo, s2
	v_mov_b32_e32 v65, v62
	v_mov_b32_e32 v71, v62
.LBB54_415:
	s_or_b32 exec_lo, exec_lo, s1
.LBB54_416:
	s_andn2_saveexec_b32 s0, s0
	s_cbranch_execz .LBB54_418
; %bb.417:
	v_mov_b32_e32 v71, 24
	ds_write2_b64 v68, v[4:5], v[8:9] offset0:25 offset1:26
	ds_write_b64 v68, v[60:61] offset:216
.LBB54_418:
	s_or_b32 exec_lo, exec_lo, s0
	s_mov_b32 s0, exec_lo
	s_waitcnt lgkmcnt(0)
	s_waitcnt_vscnt null, 0x0
	s_barrier
	buffer_gl0_inv
	v_cmpx_lt_i32_e32 24, v71
	s_cbranch_execz .LBB54_420
; %bb.419:
	v_mul_f64 v[10:11], v[0:1], v[10:11]
	ds_read2_b64 v[72:75], v68 offset0:25 offset1:26
	ds_read_b64 v[0:1], v68 offset:216
	s_waitcnt lgkmcnt(1)
	v_fma_f64 v[4:5], -v[10:11], v[72:73], v[4:5]
	v_fma_f64 v[8:9], -v[10:11], v[74:75], v[8:9]
	s_waitcnt lgkmcnt(0)
	v_fma_f64 v[60:61], -v[10:11], v[0:1], v[60:61]
.LBB54_420:
	s_or_b32 exec_lo, exec_lo, s0
	v_lshl_add_u32 v0, v71, 3, v68
	s_barrier
	buffer_gl0_inv
	v_mov_b32_e32 v62, 25
	ds_write_b64 v0, v[4:5]
	s_waitcnt lgkmcnt(0)
	s_barrier
	buffer_gl0_inv
	ds_read_b64 v[0:1], v68 offset:200
	s_cmp_lt_i32 s7, 27
	s_cbranch_scc1 .LBB54_423
; %bb.421:
	v_add3_u32 v63, v69, 0, 0xd0
	v_mov_b32_e32 v62, 25
	s_mov_b32 s0, 26
.LBB54_422:                             ; =>This Inner Loop Header: Depth=1
	ds_read_b64 v[72:73], v63
	v_add_nc_u32_e32 v63, 8, v63
	s_waitcnt lgkmcnt(0)
	v_cmp_lt_f64_e64 vcc_lo, |v[0:1]|, |v[72:73]|
	v_cndmask_b32_e32 v1, v1, v73, vcc_lo
	v_cndmask_b32_e32 v0, v0, v72, vcc_lo
	v_cndmask_b32_e64 v62, v62, s0, vcc_lo
	s_add_i32 s0, s0, 1
	s_cmp_lg_u32 s7, s0
	s_cbranch_scc1 .LBB54_422
.LBB54_423:
	s_mov_b32 s0, exec_lo
	s_waitcnt lgkmcnt(0)
	v_cmpx_eq_f64_e32 0, v[0:1]
	s_xor_b32 s0, exec_lo, s0
; %bb.424:
	v_cmp_ne_u32_e32 vcc_lo, 0, v70
	v_cndmask_b32_e32 v70, 26, v70, vcc_lo
; %bb.425:
	s_andn2_saveexec_b32 s0, s0
	s_cbranch_execz .LBB54_427
; %bb.426:
	v_div_scale_f64 v[63:64], null, v[0:1], v[0:1], 1.0
	v_rcp_f64_e32 v[72:73], v[63:64]
	v_fma_f64 v[74:75], -v[63:64], v[72:73], 1.0
	v_fma_f64 v[72:73], v[72:73], v[74:75], v[72:73]
	v_fma_f64 v[74:75], -v[63:64], v[72:73], 1.0
	v_fma_f64 v[72:73], v[72:73], v[74:75], v[72:73]
	v_div_scale_f64 v[74:75], vcc_lo, 1.0, v[0:1], 1.0
	v_mul_f64 v[76:77], v[74:75], v[72:73]
	v_fma_f64 v[63:64], -v[63:64], v[76:77], v[74:75]
	v_div_fmas_f64 v[63:64], v[63:64], v[72:73], v[76:77]
	v_div_fixup_f64 v[0:1], v[63:64], v[0:1], 1.0
.LBB54_427:
	s_or_b32 exec_lo, exec_lo, s0
	s_mov_b32 s0, exec_lo
	v_cmpx_ne_u32_e64 v71, v62
	s_xor_b32 s0, exec_lo, s0
	s_cbranch_execz .LBB54_433
; %bb.428:
	s_mov_b32 s1, exec_lo
	v_cmpx_eq_u32_e32 25, v71
	s_cbranch_execz .LBB54_432
; %bb.429:
	v_cmp_ne_u32_e32 vcc_lo, 25, v62
	s_xor_b32 s2, s6, -1
	s_and_b32 s3, s2, vcc_lo
	s_and_saveexec_b32 s2, s3
	s_cbranch_execz .LBB54_431
; %bb.430:
	v_ashrrev_i32_e32 v63, 31, v62
	v_lshlrev_b64 v[63:64], 2, v[62:63]
	v_add_co_u32 v63, vcc_lo, v16, v63
	v_add_co_ci_u32_e64 v64, null, v17, v64, vcc_lo
	s_clause 0x1
	global_load_dword v65, v[63:64], off
	global_load_dword v71, v[16:17], off offset:100
	s_waitcnt vmcnt(1)
	global_store_dword v[16:17], v65, off offset:100
	s_waitcnt vmcnt(0)
	global_store_dword v[63:64], v71, off
.LBB54_431:
	s_or_b32 exec_lo, exec_lo, s2
	v_mov_b32_e32 v65, v62
	v_mov_b32_e32 v71, v62
.LBB54_432:
	s_or_b32 exec_lo, exec_lo, s1
.LBB54_433:
	s_andn2_saveexec_b32 s0, s0
	s_cbranch_execz .LBB54_435
; %bb.434:
	v_mov_b32_e32 v62, v8
	v_mov_b32_e32 v63, v9
	;; [unrolled: 1-line block ×3, first 2 shown]
	ds_write2_b64 v68, v[62:63], v[60:61] offset0:26 offset1:27
.LBB54_435:
	s_or_b32 exec_lo, exec_lo, s0
	s_mov_b32 s0, exec_lo
	s_waitcnt lgkmcnt(0)
	s_waitcnt_vscnt null, 0x0
	s_barrier
	buffer_gl0_inv
	v_cmpx_lt_i32_e32 25, v71
	s_cbranch_execz .LBB54_437
; %bb.436:
	v_mul_f64 v[4:5], v[0:1], v[4:5]
	ds_read2_b64 v[72:75], v68 offset0:26 offset1:27
	s_waitcnt lgkmcnt(0)
	v_fma_f64 v[8:9], -v[4:5], v[72:73], v[8:9]
	v_fma_f64 v[60:61], -v[4:5], v[74:75], v[60:61]
.LBB54_437:
	s_or_b32 exec_lo, exec_lo, s0
	v_lshl_add_u32 v0, v71, 3, v68
	s_barrier
	buffer_gl0_inv
	v_mov_b32_e32 v62, 26
	ds_write_b64 v0, v[8:9]
	s_waitcnt lgkmcnt(0)
	s_barrier
	buffer_gl0_inv
	ds_read_b64 v[0:1], v68 offset:208
	s_cmp_lt_i32 s7, 28
	s_cbranch_scc1 .LBB54_440
; %bb.438:
	v_add3_u32 v63, v69, 0, 0xd8
	v_mov_b32_e32 v62, 26
	s_mov_b32 s0, 27
.LBB54_439:                             ; =>This Inner Loop Header: Depth=1
	ds_read_b64 v[72:73], v63
	v_add_nc_u32_e32 v63, 8, v63
	s_waitcnt lgkmcnt(0)
	v_cmp_lt_f64_e64 vcc_lo, |v[0:1]|, |v[72:73]|
	v_cndmask_b32_e32 v1, v1, v73, vcc_lo
	v_cndmask_b32_e32 v0, v0, v72, vcc_lo
	v_cndmask_b32_e64 v62, v62, s0, vcc_lo
	s_add_i32 s0, s0, 1
	s_cmp_lg_u32 s7, s0
	s_cbranch_scc1 .LBB54_439
.LBB54_440:
	s_mov_b32 s0, exec_lo
	s_waitcnt lgkmcnt(0)
	v_cmpx_eq_f64_e32 0, v[0:1]
	s_xor_b32 s0, exec_lo, s0
; %bb.441:
	v_cmp_ne_u32_e32 vcc_lo, 0, v70
	v_cndmask_b32_e32 v70, 27, v70, vcc_lo
; %bb.442:
	s_andn2_saveexec_b32 s0, s0
	s_cbranch_execz .LBB54_444
; %bb.443:
	v_div_scale_f64 v[63:64], null, v[0:1], v[0:1], 1.0
	v_rcp_f64_e32 v[72:73], v[63:64]
	v_fma_f64 v[74:75], -v[63:64], v[72:73], 1.0
	v_fma_f64 v[72:73], v[72:73], v[74:75], v[72:73]
	v_fma_f64 v[74:75], -v[63:64], v[72:73], 1.0
	v_fma_f64 v[72:73], v[72:73], v[74:75], v[72:73]
	v_div_scale_f64 v[74:75], vcc_lo, 1.0, v[0:1], 1.0
	v_mul_f64 v[76:77], v[74:75], v[72:73]
	v_fma_f64 v[63:64], -v[63:64], v[76:77], v[74:75]
	v_div_fmas_f64 v[63:64], v[63:64], v[72:73], v[76:77]
	v_div_fixup_f64 v[0:1], v[63:64], v[0:1], 1.0
.LBB54_444:
	s_or_b32 exec_lo, exec_lo, s0
	s_mov_b32 s0, exec_lo
	v_cmpx_ne_u32_e64 v71, v62
	s_xor_b32 s0, exec_lo, s0
	s_cbranch_execz .LBB54_450
; %bb.445:
	s_mov_b32 s1, exec_lo
	v_cmpx_eq_u32_e32 26, v71
	s_cbranch_execz .LBB54_449
; %bb.446:
	v_cmp_ne_u32_e32 vcc_lo, 26, v62
	s_xor_b32 s2, s6, -1
	s_and_b32 s3, s2, vcc_lo
	s_and_saveexec_b32 s2, s3
	s_cbranch_execz .LBB54_448
; %bb.447:
	v_ashrrev_i32_e32 v63, 31, v62
	v_lshlrev_b64 v[63:64], 2, v[62:63]
	v_add_co_u32 v63, vcc_lo, v16, v63
	v_add_co_ci_u32_e64 v64, null, v17, v64, vcc_lo
	s_clause 0x1
	global_load_dword v65, v[63:64], off
	global_load_dword v71, v[16:17], off offset:104
	s_waitcnt vmcnt(1)
	global_store_dword v[16:17], v65, off offset:104
	s_waitcnt vmcnt(0)
	global_store_dword v[63:64], v71, off
.LBB54_448:
	s_or_b32 exec_lo, exec_lo, s2
	v_mov_b32_e32 v65, v62
	v_mov_b32_e32 v71, v62
.LBB54_449:
	s_or_b32 exec_lo, exec_lo, s1
.LBB54_450:
	s_andn2_saveexec_b32 s0, s0
; %bb.451:
	v_mov_b32_e32 v71, 26
	ds_write_b64 v68, v[60:61] offset:216
; %bb.452:
	s_or_b32 exec_lo, exec_lo, s0
	s_mov_b32 s0, exec_lo
	s_waitcnt lgkmcnt(0)
	s_waitcnt_vscnt null, 0x0
	s_barrier
	buffer_gl0_inv
	v_cmpx_lt_i32_e32 26, v71
	s_cbranch_execz .LBB54_454
; %bb.453:
	v_mul_f64 v[8:9], v[0:1], v[8:9]
	ds_read_b64 v[0:1], v68 offset:216
	s_waitcnt lgkmcnt(0)
	v_fma_f64 v[60:61], -v[8:9], v[0:1], v[60:61]
.LBB54_454:
	s_or_b32 exec_lo, exec_lo, s0
	v_lshl_add_u32 v0, v71, 3, v68
	s_barrier
	buffer_gl0_inv
	v_mov_b32_e32 v62, 27
	ds_write_b64 v0, v[60:61]
	s_waitcnt lgkmcnt(0)
	s_barrier
	buffer_gl0_inv
	ds_read_b64 v[0:1], v68 offset:216
	s_cmp_lt_i32 s7, 29
	s_cbranch_scc1 .LBB54_457
; %bb.455:
	v_add3_u32 v63, v69, 0, 0xe0
	v_mov_b32_e32 v62, 27
	s_mov_b32 s0, 28
.LBB54_456:                             ; =>This Inner Loop Header: Depth=1
	ds_read_b64 v[68:69], v63
	v_add_nc_u32_e32 v63, 8, v63
	s_waitcnt lgkmcnt(0)
	v_cmp_lt_f64_e64 vcc_lo, |v[0:1]|, |v[68:69]|
	v_cndmask_b32_e32 v1, v1, v69, vcc_lo
	v_cndmask_b32_e32 v0, v0, v68, vcc_lo
	v_cndmask_b32_e64 v62, v62, s0, vcc_lo
	s_add_i32 s0, s0, 1
	s_cmp_lg_u32 s7, s0
	s_cbranch_scc1 .LBB54_456
.LBB54_457:
	s_mov_b32 s0, exec_lo
	s_waitcnt lgkmcnt(0)
	v_cmpx_eq_f64_e32 0, v[0:1]
	s_xor_b32 s0, exec_lo, s0
; %bb.458:
	v_cmp_ne_u32_e32 vcc_lo, 0, v70
	v_cndmask_b32_e32 v70, 28, v70, vcc_lo
; %bb.459:
	s_andn2_saveexec_b32 s0, s0
	s_cbranch_execz .LBB54_461
; %bb.460:
	v_div_scale_f64 v[63:64], null, v[0:1], v[0:1], 1.0
	v_rcp_f64_e32 v[68:69], v[63:64]
	v_fma_f64 v[72:73], -v[63:64], v[68:69], 1.0
	v_fma_f64 v[68:69], v[68:69], v[72:73], v[68:69]
	v_fma_f64 v[72:73], -v[63:64], v[68:69], 1.0
	v_fma_f64 v[68:69], v[68:69], v[72:73], v[68:69]
	v_div_scale_f64 v[72:73], vcc_lo, 1.0, v[0:1], 1.0
	v_mul_f64 v[74:75], v[72:73], v[68:69]
	v_fma_f64 v[63:64], -v[63:64], v[74:75], v[72:73]
	v_div_fmas_f64 v[63:64], v[63:64], v[68:69], v[74:75]
	v_div_fixup_f64 v[0:1], v[63:64], v[0:1], 1.0
.LBB54_461:
	s_or_b32 exec_lo, exec_lo, s0
	v_mov_b32_e32 v63, 27
	s_mov_b32 s0, exec_lo
	v_cmpx_ne_u32_e64 v71, v62
	s_cbranch_execz .LBB54_467
; %bb.462:
	s_mov_b32 s1, exec_lo
	v_cmpx_eq_u32_e32 27, v71
	s_cbranch_execz .LBB54_466
; %bb.463:
	v_cmp_ne_u32_e32 vcc_lo, 27, v62
	s_xor_b32 s2, s6, -1
	s_and_b32 s3, s2, vcc_lo
	s_and_saveexec_b32 s2, s3
	s_cbranch_execz .LBB54_465
; %bb.464:
	v_ashrrev_i32_e32 v63, 31, v62
	v_lshlrev_b64 v[63:64], 2, v[62:63]
	v_add_co_u32 v63, vcc_lo, v16, v63
	v_add_co_ci_u32_e64 v64, null, v17, v64, vcc_lo
	s_clause 0x1
	global_load_dword v65, v[63:64], off
	global_load_dword v68, v[16:17], off offset:108
	s_waitcnt vmcnt(1)
	global_store_dword v[16:17], v65, off offset:108
	s_waitcnt vmcnt(0)
	global_store_dword v[63:64], v68, off
.LBB54_465:
	s_or_b32 exec_lo, exec_lo, s2
	v_mov_b32_e32 v65, v62
	v_mov_b32_e32 v71, v62
.LBB54_466:
	s_or_b32 exec_lo, exec_lo, s1
	v_mov_b32_e32 v63, v71
.LBB54_467:
	s_or_b32 exec_lo, exec_lo, s0
	s_load_dwordx8 s[0:7], s[4:5], 0x28
	v_ashrrev_i32_e32 v64, 31, v63
	s_mov_b32 s9, exec_lo
	s_waitcnt lgkmcnt(0)
	s_waitcnt_vscnt null, 0x0
	s_barrier
	buffer_gl0_inv
	s_barrier
	buffer_gl0_inv
	v_cmpx_gt_i32_e32 28, v63
	s_cbranch_execz .LBB54_469
; %bb.468:
	v_mul_lo_u32 v62, s5, v2
	v_mul_lo_u32 v68, s4, v3
	v_mad_u64_u32 v[16:17], null, s4, v2, 0
	s_lshl_b64 s[2:3], s[2:3], 2
	v_add3_u32 v17, v17, v68, v62
	v_lshlrev_b64 v[16:17], 2, v[16:17]
	v_add_co_u32 v62, vcc_lo, s0, v16
	v_add_co_ci_u32_e64 v68, null, s1, v17, vcc_lo
	v_lshlrev_b64 v[16:17], 2, v[63:64]
	v_add_co_u32 v62, vcc_lo, v62, s2
	v_add_co_ci_u32_e64 v68, null, s3, v68, vcc_lo
	v_add_co_u32 v16, vcc_lo, v62, v16
	v_add_co_ci_u32_e64 v17, null, v68, v17, vcc_lo
	v_add3_u32 v62, v65, s13, 1
	global_store_dword v[16:17], v62, off
.LBB54_469:
	s_or_b32 exec_lo, exec_lo, s9
	s_mov_b32 s1, exec_lo
	v_cmpx_eq_u32_e32 0, v63
	s_cbranch_execz .LBB54_472
; %bb.470:
	v_lshlrev_b64 v[2:3], 2, v[2:3]
	v_cmp_ne_u32_e64 s0, 0, v70
	v_add_co_u32 v2, vcc_lo, s6, v2
	v_add_co_ci_u32_e64 v3, null, s7, v3, vcc_lo
	global_load_dword v16, v[2:3], off
	s_waitcnt vmcnt(0)
	v_cmp_eq_u32_e32 vcc_lo, 0, v16
	s_and_b32 s0, vcc_lo, s0
	s_and_b32 exec_lo, exec_lo, s0
	s_cbranch_execz .LBB54_472
; %bb.471:
	v_add_nc_u32_e32 v16, s13, v70
	global_store_dword v[2:3], v16, off
.LBB54_472:
	s_or_b32 exec_lo, exec_lo, s1
	v_mul_f64 v[0:1], v[0:1], v[60:61]
	v_add3_u32 v2, s8, s8, v63
	v_lshlrev_b64 v[16:17], 3, v[63:64]
	v_add_nc_u32_e32 v62, s8, v2
	v_ashrrev_i32_e32 v3, 31, v2
	v_add_co_u32 v16, vcc_lo, v66, v16
	v_add_co_ci_u32_e64 v17, null, v67, v17, vcc_lo
	v_add_nc_u32_e32 v64, s8, v62
	v_lshlrev_b64 v[2:3], 3, v[2:3]
	v_cmp_lt_i32_e32 vcc_lo, 27, v63
	flat_store_dwordx2 v[16:17], v[58:59]
	v_ashrrev_i32_e32 v63, 31, v62
	v_add_nc_u32_e32 v58, s8, v64
	v_add_co_u32 v16, s0, v16, s10
	v_add_co_ci_u32_e64 v17, null, s11, v17, s0
	v_cndmask_b32_e32 v1, v61, v1, vcc_lo
	v_cndmask_b32_e32 v0, v60, v0, vcc_lo
	v_add_co_u32 v2, vcc_lo, v66, v2
	v_ashrrev_i32_e32 v65, 31, v64
	v_add_co_ci_u32_e64 v3, null, v67, v3, vcc_lo
	v_ashrrev_i32_e32 v59, 31, v58
	v_lshlrev_b64 v[60:61], 3, v[62:63]
	flat_store_dwordx2 v[16:17], v[54:55]
	flat_store_dwordx2 v[2:3], v[56:57]
	v_lshlrev_b64 v[2:3], 3, v[64:65]
	v_add_nc_u32_e32 v56, s8, v58
	v_lshlrev_b64 v[54:55], 3, v[58:59]
	v_add_co_u32 v16, vcc_lo, v66, v60
	v_add_co_ci_u32_e64 v17, null, v67, v61, vcc_lo
	v_add_co_u32 v2, vcc_lo, v66, v2
	v_add_co_ci_u32_e64 v3, null, v67, v3, vcc_lo
	v_add_co_u32 v54, vcc_lo, v66, v54
	v_add_nc_u32_e32 v58, s8, v56
	v_add_co_ci_u32_e64 v55, null, v67, v55, vcc_lo
	v_ashrrev_i32_e32 v57, 31, v56
	flat_store_dwordx2 v[16:17], v[52:53]
	flat_store_dwordx2 v[2:3], v[50:51]
	flat_store_dwordx2 v[54:55], v[48:49]
	v_add_nc_u32_e32 v48, s8, v58
	v_ashrrev_i32_e32 v59, 31, v58
	v_lshlrev_b64 v[16:17], 3, v[56:57]
	v_add_nc_u32_e32 v50, s8, v48
	v_lshlrev_b64 v[2:3], 3, v[58:59]
	v_ashrrev_i32_e32 v49, 31, v48
	v_add_co_u32 v16, vcc_lo, v66, v16
	v_add_nc_u32_e32 v52, s8, v50
	v_add_co_ci_u32_e64 v17, null, v67, v17, vcc_lo
	v_add_co_u32 v2, vcc_lo, v66, v2
	v_ashrrev_i32_e32 v51, 31, v50
	v_add_co_ci_u32_e64 v3, null, v67, v3, vcc_lo
	v_ashrrev_i32_e32 v53, 31, v52
	v_lshlrev_b64 v[48:49], 3, v[48:49]
	flat_store_dwordx2 v[16:17], v[46:47]
	flat_store_dwordx2 v[2:3], v[44:45]
	v_lshlrev_b64 v[2:3], 3, v[50:51]
	v_add_nc_u32_e32 v46, s8, v52
	v_lshlrev_b64 v[44:45], 3, v[52:53]
	v_add_co_u32 v16, vcc_lo, v66, v48
	v_add_co_ci_u32_e64 v17, null, v67, v49, vcc_lo
	v_add_co_u32 v2, vcc_lo, v66, v2
	v_add_co_ci_u32_e64 v3, null, v67, v3, vcc_lo
	v_add_co_u32 v44, vcc_lo, v66, v44
	v_add_nc_u32_e32 v48, s8, v46
	v_add_co_ci_u32_e64 v45, null, v67, v45, vcc_lo
	v_ashrrev_i32_e32 v47, 31, v46
	flat_store_dwordx2 v[16:17], v[42:43]
	flat_store_dwordx2 v[2:3], v[38:39]
	flat_store_dwordx2 v[44:45], v[40:41]
	v_add_nc_u32_e32 v38, s8, v48
	v_ashrrev_i32_e32 v49, 31, v48
	v_lshlrev_b64 v[16:17], 3, v[46:47]
	v_add_nc_u32_e32 v40, s8, v38
	v_lshlrev_b64 v[2:3], 3, v[48:49]
	v_ashrrev_i32_e32 v39, 31, v38
	v_add_co_u32 v16, vcc_lo, v66, v16
	v_add_nc_u32_e32 v42, s8, v40
	v_add_co_ci_u32_e64 v17, null, v67, v17, vcc_lo
	;; [unrolled: 30-line block ×3, first 2 shown]
	v_add_co_u32 v2, vcc_lo, v66, v2
	v_ashrrev_i32_e32 v31, 31, v30
	v_add_co_ci_u32_e64 v3, null, v67, v3, vcc_lo
	v_ashrrev_i32_e32 v33, 31, v32
	v_lshlrev_b64 v[28:29], 3, v[28:29]
	flat_store_dwordx2 v[16:17], v[26:27]
	flat_store_dwordx2 v[2:3], v[24:25]
	v_lshlrev_b64 v[2:3], 3, v[30:31]
	v_add_nc_u32_e32 v26, s8, v32
	v_lshlrev_b64 v[24:25], 3, v[32:33]
	v_add_co_u32 v16, vcc_lo, v66, v28
	v_add_co_ci_u32_e64 v17, null, v67, v29, vcc_lo
	v_add_co_u32 v2, vcc_lo, v66, v2
	v_add_nc_u32_e32 v28, s8, v26
	v_add_co_ci_u32_e64 v3, null, v67, v3, vcc_lo
	v_add_co_u32 v24, vcc_lo, v66, v24
	v_ashrrev_i32_e32 v27, 31, v26
	v_add_co_ci_u32_e64 v25, null, v67, v25, vcc_lo
	v_ashrrev_i32_e32 v29, 31, v28
	flat_store_dwordx2 v[16:17], v[22:23]
	v_lshlrev_b64 v[16:17], 3, v[26:27]
	flat_store_dwordx2 v[2:3], v[18:19]
	flat_store_dwordx2 v[24:25], v[20:21]
	v_add_nc_u32_e32 v18, s8, v28
	v_lshlrev_b64 v[2:3], 3, v[28:29]
	v_add_co_u32 v16, vcc_lo, v66, v16
	v_add_nc_u32_e32 v20, s8, v18
	v_add_co_ci_u32_e64 v17, null, v67, v17, vcc_lo
	v_add_co_u32 v2, vcc_lo, v66, v2
	v_add_co_ci_u32_e64 v3, null, v67, v3, vcc_lo
	v_add_nc_u32_e32 v22, s8, v20
	v_ashrrev_i32_e32 v19, 31, v18
	flat_store_dwordx2 v[16:17], v[14:15]
	flat_store_dwordx2 v[2:3], v[12:13]
	v_ashrrev_i32_e32 v21, 31, v20
	v_add_nc_u32_e32 v12, s8, v22
	v_lshlrev_b64 v[14:15], 3, v[18:19]
	v_ashrrev_i32_e32 v23, 31, v22
	v_lshlrev_b64 v[2:3], 3, v[20:21]
	v_add_nc_u32_e32 v18, s8, v12
	v_ashrrev_i32_e32 v13, 31, v12
	v_lshlrev_b64 v[16:17], 3, v[22:23]
	v_add_co_u32 v14, vcc_lo, v66, v14
	v_ashrrev_i32_e32 v19, 31, v18
	v_lshlrev_b64 v[12:13], 3, v[12:13]
	v_add_co_ci_u32_e64 v15, null, v67, v15, vcc_lo
	v_add_co_u32 v2, vcc_lo, v66, v2
	v_lshlrev_b64 v[18:19], 3, v[18:19]
	v_add_co_ci_u32_e64 v3, null, v67, v3, vcc_lo
	v_add_co_u32 v16, vcc_lo, v66, v16
	v_add_co_ci_u32_e64 v17, null, v67, v17, vcc_lo
	v_add_co_u32 v12, vcc_lo, v66, v12
	;; [unrolled: 2-line block ×3, first 2 shown]
	v_add_co_ci_u32_e64 v19, null, v67, v19, vcc_lo
	flat_store_dwordx2 v[14:15], v[6:7]
	flat_store_dwordx2 v[2:3], v[10:11]
	flat_store_dwordx2 v[16:17], v[4:5]
	flat_store_dwordx2 v[12:13], v[8:9]
	flat_store_dwordx2 v[18:19], v[0:1]
.LBB54_473:
	s_endpgm
	.section	.rodata,"a",@progbits
	.p2align	6, 0x0
	.amdhsa_kernel _ZN9rocsolver6v33100L18getf2_small_kernelILi28EdiiPKPdEEvT1_T3_lS5_lPS5_llPT2_S5_S5_S7_l
		.amdhsa_group_segment_fixed_size 0
		.amdhsa_private_segment_fixed_size 0
		.amdhsa_kernarg_size 352
		.amdhsa_user_sgpr_count 6
		.amdhsa_user_sgpr_private_segment_buffer 1
		.amdhsa_user_sgpr_dispatch_ptr 0
		.amdhsa_user_sgpr_queue_ptr 0
		.amdhsa_user_sgpr_kernarg_segment_ptr 1
		.amdhsa_user_sgpr_dispatch_id 0
		.amdhsa_user_sgpr_flat_scratch_init 0
		.amdhsa_user_sgpr_private_segment_size 0
		.amdhsa_wavefront_size32 1
		.amdhsa_uses_dynamic_stack 0
		.amdhsa_system_sgpr_private_segment_wavefront_offset 0
		.amdhsa_system_sgpr_workgroup_id_x 1
		.amdhsa_system_sgpr_workgroup_id_y 1
		.amdhsa_system_sgpr_workgroup_id_z 0
		.amdhsa_system_sgpr_workgroup_info 0
		.amdhsa_system_vgpr_workitem_id 1
		.amdhsa_next_free_vgpr 124
		.amdhsa_next_free_sgpr 14
		.amdhsa_reserve_vcc 1
		.amdhsa_reserve_flat_scratch 1
		.amdhsa_float_round_mode_32 0
		.amdhsa_float_round_mode_16_64 0
		.amdhsa_float_denorm_mode_32 3
		.amdhsa_float_denorm_mode_16_64 3
		.amdhsa_dx10_clamp 1
		.amdhsa_ieee_mode 1
		.amdhsa_fp16_overflow 0
		.amdhsa_workgroup_processor_mode 1
		.amdhsa_memory_ordered 1
		.amdhsa_forward_progress 1
		.amdhsa_shared_vgpr_count 0
		.amdhsa_exception_fp_ieee_invalid_op 0
		.amdhsa_exception_fp_denorm_src 0
		.amdhsa_exception_fp_ieee_div_zero 0
		.amdhsa_exception_fp_ieee_overflow 0
		.amdhsa_exception_fp_ieee_underflow 0
		.amdhsa_exception_fp_ieee_inexact 0
		.amdhsa_exception_int_div_zero 0
	.end_amdhsa_kernel
	.section	.text._ZN9rocsolver6v33100L18getf2_small_kernelILi28EdiiPKPdEEvT1_T3_lS5_lPS5_llPT2_S5_S5_S7_l,"axG",@progbits,_ZN9rocsolver6v33100L18getf2_small_kernelILi28EdiiPKPdEEvT1_T3_lS5_lPS5_llPT2_S5_S5_S7_l,comdat
.Lfunc_end54:
	.size	_ZN9rocsolver6v33100L18getf2_small_kernelILi28EdiiPKPdEEvT1_T3_lS5_lPS5_llPT2_S5_S5_S7_l, .Lfunc_end54-_ZN9rocsolver6v33100L18getf2_small_kernelILi28EdiiPKPdEEvT1_T3_lS5_lPS5_llPT2_S5_S5_S7_l
                                        ; -- End function
	.set _ZN9rocsolver6v33100L18getf2_small_kernelILi28EdiiPKPdEEvT1_T3_lS5_lPS5_llPT2_S5_S5_S7_l.num_vgpr, 124
	.set _ZN9rocsolver6v33100L18getf2_small_kernelILi28EdiiPKPdEEvT1_T3_lS5_lPS5_llPT2_S5_S5_S7_l.num_agpr, 0
	.set _ZN9rocsolver6v33100L18getf2_small_kernelILi28EdiiPKPdEEvT1_T3_lS5_lPS5_llPT2_S5_S5_S7_l.numbered_sgpr, 14
	.set _ZN9rocsolver6v33100L18getf2_small_kernelILi28EdiiPKPdEEvT1_T3_lS5_lPS5_llPT2_S5_S5_S7_l.num_named_barrier, 0
	.set _ZN9rocsolver6v33100L18getf2_small_kernelILi28EdiiPKPdEEvT1_T3_lS5_lPS5_llPT2_S5_S5_S7_l.private_seg_size, 0
	.set _ZN9rocsolver6v33100L18getf2_small_kernelILi28EdiiPKPdEEvT1_T3_lS5_lPS5_llPT2_S5_S5_S7_l.uses_vcc, 1
	.set _ZN9rocsolver6v33100L18getf2_small_kernelILi28EdiiPKPdEEvT1_T3_lS5_lPS5_llPT2_S5_S5_S7_l.uses_flat_scratch, 1
	.set _ZN9rocsolver6v33100L18getf2_small_kernelILi28EdiiPKPdEEvT1_T3_lS5_lPS5_llPT2_S5_S5_S7_l.has_dyn_sized_stack, 0
	.set _ZN9rocsolver6v33100L18getf2_small_kernelILi28EdiiPKPdEEvT1_T3_lS5_lPS5_llPT2_S5_S5_S7_l.has_recursion, 0
	.set _ZN9rocsolver6v33100L18getf2_small_kernelILi28EdiiPKPdEEvT1_T3_lS5_lPS5_llPT2_S5_S5_S7_l.has_indirect_call, 0
	.section	.AMDGPU.csdata,"",@progbits
; Kernel info:
; codeLenInByte = 23736
; TotalNumSgprs: 16
; NumVgprs: 124
; ScratchSize: 0
; MemoryBound: 0
; FloatMode: 240
; IeeeMode: 1
; LDSByteSize: 0 bytes/workgroup (compile time only)
; SGPRBlocks: 0
; VGPRBlocks: 15
; NumSGPRsForWavesPerEU: 16
; NumVGPRsForWavesPerEU: 124
; Occupancy: 8
; WaveLimiterHint : 1
; COMPUTE_PGM_RSRC2:SCRATCH_EN: 0
; COMPUTE_PGM_RSRC2:USER_SGPR: 6
; COMPUTE_PGM_RSRC2:TRAP_HANDLER: 0
; COMPUTE_PGM_RSRC2:TGID_X_EN: 1
; COMPUTE_PGM_RSRC2:TGID_Y_EN: 1
; COMPUTE_PGM_RSRC2:TGID_Z_EN: 0
; COMPUTE_PGM_RSRC2:TIDIG_COMP_CNT: 1
	.section	.text._ZN9rocsolver6v33100L23getf2_npvt_small_kernelILi28EdiiPKPdEEvT1_T3_lS5_lPT2_S5_S5_,"axG",@progbits,_ZN9rocsolver6v33100L23getf2_npvt_small_kernelILi28EdiiPKPdEEvT1_T3_lS5_lPT2_S5_S5_,comdat
	.globl	_ZN9rocsolver6v33100L23getf2_npvt_small_kernelILi28EdiiPKPdEEvT1_T3_lS5_lPT2_S5_S5_ ; -- Begin function _ZN9rocsolver6v33100L23getf2_npvt_small_kernelILi28EdiiPKPdEEvT1_T3_lS5_lPT2_S5_S5_
	.p2align	8
	.type	_ZN9rocsolver6v33100L23getf2_npvt_small_kernelILi28EdiiPKPdEEvT1_T3_lS5_lPT2_S5_S5_,@function
_ZN9rocsolver6v33100L23getf2_npvt_small_kernelILi28EdiiPKPdEEvT1_T3_lS5_lPT2_S5_S5_: ; @_ZN9rocsolver6v33100L23getf2_npvt_small_kernelILi28EdiiPKPdEEvT1_T3_lS5_lPT2_S5_S5_
; %bb.0:
	s_clause 0x1
	s_load_dword s0, s[4:5], 0x44
	s_load_dwordx2 s[8:9], s[4:5], 0x30
	s_waitcnt lgkmcnt(0)
	s_lshr_b32 s10, s0, 16
	s_mov_b32 s0, exec_lo
	v_mad_u64_u32 v[2:3], null, s7, s10, v[1:2]
	v_cmpx_gt_i32_e64 s8, v2
	s_cbranch_execz .LBB55_143
; %bb.1:
	s_clause 0x1
	s_load_dwordx4 s[0:3], s[4:5], 0x8
	s_load_dword s6, s[4:5], 0x18
	v_ashrrev_i32_e32 v3, 31, v2
	v_lshlrev_b32_e32 v60, 3, v0
	v_lshlrev_b32_e32 v116, 3, v1
	s_mulk_i32 s10, 0xe0
	v_mad_u32_u24 v170, 0xe0, v1, 0
	v_lshlrev_b64 v[4:5], 3, v[2:3]
	v_add3_u32 v1, 0, s10, v116
	s_waitcnt lgkmcnt(0)
	v_add_co_u32 v4, vcc_lo, s0, v4
	v_add_co_ci_u32_e64 v5, null, s1, v5, vcc_lo
	v_add3_u32 v6, s6, s6, v0
	s_lshl_b64 s[2:3], s[2:3], 3
	s_ashr_i32 s7, s6, 31
	global_load_dwordx2 v[4:5], v[4:5], off
	s_lshl_b64 s[0:1], s[6:7], 3
	v_add_nc_u32_e32 v8, s6, v6
	v_ashrrev_i32_e32 v7, 31, v6
	v_add_nc_u32_e32 v10, s6, v8
	v_ashrrev_i32_e32 v9, 31, v8
	v_lshlrev_b64 v[6:7], 3, v[6:7]
	v_add_nc_u32_e32 v12, s6, v10
	v_ashrrev_i32_e32 v11, 31, v10
	v_lshlrev_b64 v[8:9], 3, v[8:9]
	;; [unrolled: 3-line block ×23, first 2 shown]
	v_ashrrev_i32_e32 v55, 31, v54
	v_add_nc_u32_e32 v56, s6, v54
	v_lshlrev_b64 v[52:53], 3, v[52:53]
	v_lshlrev_b64 v[54:55], 3, v[54:55]
	v_ashrrev_i32_e32 v57, 31, v56
	v_lshlrev_b64 v[58:59], 3, v[56:57]
	s_waitcnt vmcnt(0)
	v_add_co_u32 v61, vcc_lo, v4, s2
	v_add_co_ci_u32_e64 v62, null, s3, v5, vcc_lo
	v_add_co_u32 v4, vcc_lo, v61, v6
	v_add_co_ci_u32_e64 v5, null, v62, v7, vcc_lo
	v_add_co_u32 v6, vcc_lo, v61, v8
	v_add_co_ci_u32_e64 v7, null, v62, v9, vcc_lo
	v_add_co_u32 v8, vcc_lo, v61, v10
	v_add_co_ci_u32_e64 v9, null, v62, v11, vcc_lo
	v_add_co_u32 v10, vcc_lo, v61, v12
	v_add_co_ci_u32_e64 v11, null, v62, v13, vcc_lo
	v_add_co_u32 v12, vcc_lo, v61, v14
	v_add_co_ci_u32_e64 v13, null, v62, v15, vcc_lo
	v_add_co_u32 v14, vcc_lo, v61, v16
	v_add_co_ci_u32_e64 v15, null, v62, v17, vcc_lo
	v_add_co_u32 v16, vcc_lo, v61, v18
	v_add_co_ci_u32_e64 v17, null, v62, v19, vcc_lo
	v_add_co_u32 v18, vcc_lo, v61, v20
	v_add_co_ci_u32_e64 v19, null, v62, v21, vcc_lo
	v_add_co_u32 v20, vcc_lo, v61, v22
	v_add_co_ci_u32_e64 v21, null, v62, v23, vcc_lo
	v_add_co_u32 v22, vcc_lo, v61, v24
	v_add_co_ci_u32_e64 v23, null, v62, v25, vcc_lo
	v_add_co_u32 v24, vcc_lo, v61, v26
	v_add_co_ci_u32_e64 v25, null, v62, v27, vcc_lo
	v_add_co_u32 v26, vcc_lo, v61, v28
	v_add_co_ci_u32_e64 v27, null, v62, v29, vcc_lo
	v_add_co_u32 v28, vcc_lo, v61, v30
	v_add_co_ci_u32_e64 v29, null, v62, v31, vcc_lo
	v_add_co_u32 v30, vcc_lo, v61, v32
	v_add_co_ci_u32_e64 v31, null, v62, v33, vcc_lo
	v_add_co_u32 v32, vcc_lo, v61, v34
	v_add_co_ci_u32_e64 v33, null, v62, v35, vcc_lo
	v_add_co_u32 v34, vcc_lo, v61, v36
	v_add_co_ci_u32_e64 v35, null, v62, v37, vcc_lo
	v_add_co_u32 v38, vcc_lo, v61, v38
	v_add_co_ci_u32_e64 v39, null, v62, v39, vcc_lo
	v_add_co_u32 v36, vcc_lo, v61, v40
	v_add_co_ci_u32_e64 v37, null, v62, v41, vcc_lo
	v_add_co_u32 v40, vcc_lo, v61, v42
	v_add_co_ci_u32_e64 v41, null, v62, v43, vcc_lo
	v_add_co_u32 v42, vcc_lo, v61, v44
	v_add_co_ci_u32_e64 v43, null, v62, v45, vcc_lo
	v_add_co_u32 v44, vcc_lo, v61, v46
	v_add_co_ci_u32_e64 v45, null, v62, v47, vcc_lo
	v_add_co_u32 v46, vcc_lo, v61, v48
	v_add_co_ci_u32_e64 v47, null, v62, v49, vcc_lo
	v_add_co_u32 v48, vcc_lo, v61, v50
	v_add_co_ci_u32_e64 v49, null, v62, v51, vcc_lo
	v_add_co_u32 v50, vcc_lo, v61, v52
	v_add_co_ci_u32_e64 v51, null, v62, v53, vcc_lo
	v_add_co_u32 v52, vcc_lo, v61, v54
	v_add_co_ci_u32_e64 v53, null, v62, v55, vcc_lo
	v_add_co_u32 v56, vcc_lo, v61, v60
	v_add_co_ci_u32_e64 v57, null, 0, v62, vcc_lo
	v_add_co_u32 v54, vcc_lo, v61, v58
	v_add_co_ci_u32_e64 v55, null, v62, v59, vcc_lo
	v_add_co_u32 v98, vcc_lo, v56, s0
	v_add_co_ci_u32_e64 v99, null, s1, v57, vcc_lo
	s_clause 0x1b
	flat_load_dwordx2 v[96:97], v[8:9]
	flat_load_dwordx2 v[80:81], v[10:11]
	;; [unrolled: 1-line block ×28, first 2 shown]
	v_cmp_ne_u32_e64 s1, 0, v0
	v_cmp_eq_u32_e64 s0, 0, v0
	s_and_saveexec_b32 s2, s0
	s_cbranch_execz .LBB55_4
; %bb.2:
	s_waitcnt vmcnt(7) lgkmcnt(7)
	ds_write_b64 v1, v[108:109]
	s_waitcnt vmcnt(5) lgkmcnt(6)
	ds_write2_b64 v170, v[112:113], v[114:115] offset0:1 offset1:2
	s_waitcnt vmcnt(4) lgkmcnt(6)
	ds_write2_b64 v170, v[110:111], v[96:97] offset0:3 offset1:4
	ds_write2_b64 v170, v[80:81], v[94:95] offset0:5 offset1:6
	;; [unrolled: 1-line block ×10, first 2 shown]
	s_waitcnt vmcnt(3) lgkmcnt(15)
	ds_write2_b64 v170, v[58:59], v[104:105] offset0:23 offset1:24
	s_waitcnt vmcnt(1) lgkmcnt(14)
	ds_write2_b64 v170, v[100:101], v[102:103] offset0:25 offset1:26
	s_waitcnt vmcnt(0) lgkmcnt(14)
	ds_write_b64 v170, v[106:107] offset:216
	ds_read_b64 v[116:117], v1
	s_waitcnt lgkmcnt(0)
	v_cmp_neq_f64_e32 vcc_lo, 0, v[116:117]
	s_and_b32 exec_lo, exec_lo, vcc_lo
	s_cbranch_execz .LBB55_4
; %bb.3:
	v_div_scale_f64 v[118:119], null, v[116:117], v[116:117], 1.0
	v_rcp_f64_e32 v[120:121], v[118:119]
	v_fma_f64 v[122:123], -v[118:119], v[120:121], 1.0
	v_fma_f64 v[120:121], v[120:121], v[122:123], v[120:121]
	v_fma_f64 v[122:123], -v[118:119], v[120:121], 1.0
	v_fma_f64 v[120:121], v[120:121], v[122:123], v[120:121]
	v_div_scale_f64 v[122:123], vcc_lo, 1.0, v[116:117], 1.0
	v_mul_f64 v[124:125], v[122:123], v[120:121]
	v_fma_f64 v[118:119], -v[118:119], v[124:125], v[122:123]
	v_div_fmas_f64 v[118:119], v[118:119], v[120:121], v[124:125]
	v_div_fixup_f64 v[116:117], v[118:119], v[116:117], 1.0
	ds_write_b64 v1, v[116:117]
.LBB55_4:
	s_or_b32 exec_lo, exec_lo, s2
	s_waitcnt vmcnt(0) lgkmcnt(0)
	s_barrier
	buffer_gl0_inv
	ds_read_b64 v[116:117], v1
	s_and_saveexec_b32 s2, s1
	s_cbranch_execz .LBB55_6
; %bb.5:
	s_waitcnt lgkmcnt(0)
	v_mul_f64 v[108:109], v[116:117], v[108:109]
	ds_read2_b64 v[118:121], v170 offset0:1 offset1:2
	ds_read2_b64 v[122:125], v170 offset0:3 offset1:4
	;; [unrolled: 1-line block ×13, first 2 shown]
	ds_read_b64 v[171:172], v170 offset:216
	s_waitcnt lgkmcnt(13)
	v_fma_f64 v[112:113], -v[108:109], v[118:119], v[112:113]
	v_fma_f64 v[114:115], -v[108:109], v[120:121], v[114:115]
	s_waitcnt lgkmcnt(12)
	v_fma_f64 v[110:111], -v[108:109], v[122:123], v[110:111]
	v_fma_f64 v[96:97], -v[108:109], v[124:125], v[96:97]
	s_waitcnt lgkmcnt(11)
	v_fma_f64 v[80:81], -v[108:109], v[126:127], v[80:81]
	v_fma_f64 v[94:95], -v[108:109], v[128:129], v[94:95]
	s_waitcnt lgkmcnt(10)
	v_fma_f64 v[78:79], -v[108:109], v[130:131], v[78:79]
	v_fma_f64 v[92:93], -v[108:109], v[132:133], v[92:93]
	s_waitcnt lgkmcnt(9)
	v_fma_f64 v[76:77], -v[108:109], v[134:135], v[76:77]
	v_fma_f64 v[90:91], -v[108:109], v[136:137], v[90:91]
	s_waitcnt lgkmcnt(8)
	v_fma_f64 v[74:75], -v[108:109], v[138:139], v[74:75]
	v_fma_f64 v[88:89], -v[108:109], v[140:141], v[88:89]
	s_waitcnt lgkmcnt(7)
	v_fma_f64 v[72:73], -v[108:109], v[142:143], v[72:73]
	v_fma_f64 v[86:87], -v[108:109], v[144:145], v[86:87]
	s_waitcnt lgkmcnt(6)
	v_fma_f64 v[70:71], -v[108:109], v[146:147], v[70:71]
	v_fma_f64 v[84:85], -v[108:109], v[148:149], v[84:85]
	s_waitcnt lgkmcnt(5)
	v_fma_f64 v[68:69], -v[108:109], v[150:151], v[68:69]
	v_fma_f64 v[82:83], -v[108:109], v[152:153], v[82:83]
	s_waitcnt lgkmcnt(4)
	v_fma_f64 v[62:63], -v[108:109], v[154:155], v[62:63]
	v_fma_f64 v[66:67], -v[108:109], v[156:157], v[66:67]
	s_waitcnt lgkmcnt(3)
	v_fma_f64 v[60:61], -v[108:109], v[158:159], v[60:61]
	v_fma_f64 v[64:65], -v[108:109], v[160:161], v[64:65]
	s_waitcnt lgkmcnt(2)
	v_fma_f64 v[58:59], -v[108:109], v[162:163], v[58:59]
	v_fma_f64 v[104:105], -v[108:109], v[164:165], v[104:105]
	s_waitcnt lgkmcnt(1)
	v_fma_f64 v[100:101], -v[108:109], v[166:167], v[100:101]
	v_fma_f64 v[102:103], -v[108:109], v[168:169], v[102:103]
	s_waitcnt lgkmcnt(0)
	v_fma_f64 v[106:107], -v[108:109], v[171:172], v[106:107]
.LBB55_6:
	s_or_b32 exec_lo, exec_lo, s2
	s_mov_b32 s1, exec_lo
	s_waitcnt lgkmcnt(0)
	s_barrier
	buffer_gl0_inv
	v_cmpx_eq_u32_e32 1, v0
	s_cbranch_execz .LBB55_9
; %bb.7:
	v_mov_b32_e32 v118, v114
	v_mov_b32_e32 v119, v115
	;; [unrolled: 1-line block ×12, first 2 shown]
	ds_write_b64 v1, v[112:113]
	ds_write2_b64 v170, v[118:119], v[120:121] offset0:2 offset1:3
	ds_write2_b64 v170, v[122:123], v[124:125] offset0:4 offset1:5
	;; [unrolled: 1-line block ×3, first 2 shown]
	v_mov_b32_e32 v118, v92
	v_mov_b32_e32 v119, v93
	;; [unrolled: 1-line block ×20, first 2 shown]
	ds_write2_b64 v170, v[118:119], v[120:121] offset0:8 offset1:9
	ds_write2_b64 v170, v[122:123], v[124:125] offset0:10 offset1:11
	;; [unrolled: 1-line block ×5, first 2 shown]
	v_mov_b32_e32 v118, v82
	v_mov_b32_e32 v119, v83
	v_mov_b32_e32 v120, v62
	v_mov_b32_e32 v121, v63
	v_mov_b32_e32 v122, v66
	v_mov_b32_e32 v123, v67
	v_mov_b32_e32 v124, v60
	v_mov_b32_e32 v125, v61
	v_mov_b32_e32 v126, v64
	v_mov_b32_e32 v127, v65
	v_mov_b32_e32 v128, v58
	v_mov_b32_e32 v129, v59
	v_mov_b32_e32 v130, v104
	v_mov_b32_e32 v131, v105
	v_mov_b32_e32 v132, v100
	v_mov_b32_e32 v133, v101
	v_mov_b32_e32 v134, v102
	v_mov_b32_e32 v135, v103
	ds_write2_b64 v170, v[118:119], v[120:121] offset0:18 offset1:19
	ds_write2_b64 v170, v[122:123], v[124:125] offset0:20 offset1:21
	;; [unrolled: 1-line block ×5, first 2 shown]
	ds_read_b64 v[118:119], v1
	s_waitcnt lgkmcnt(0)
	v_cmp_neq_f64_e32 vcc_lo, 0, v[118:119]
	s_and_b32 exec_lo, exec_lo, vcc_lo
	s_cbranch_execz .LBB55_9
; %bb.8:
	v_div_scale_f64 v[120:121], null, v[118:119], v[118:119], 1.0
	v_rcp_f64_e32 v[122:123], v[120:121]
	v_fma_f64 v[124:125], -v[120:121], v[122:123], 1.0
	v_fma_f64 v[122:123], v[122:123], v[124:125], v[122:123]
	v_fma_f64 v[124:125], -v[120:121], v[122:123], 1.0
	v_fma_f64 v[122:123], v[122:123], v[124:125], v[122:123]
	v_div_scale_f64 v[124:125], vcc_lo, 1.0, v[118:119], 1.0
	v_mul_f64 v[126:127], v[124:125], v[122:123]
	v_fma_f64 v[120:121], -v[120:121], v[126:127], v[124:125]
	v_div_fmas_f64 v[120:121], v[120:121], v[122:123], v[126:127]
	v_div_fixup_f64 v[118:119], v[120:121], v[118:119], 1.0
	ds_write_b64 v1, v[118:119]
.LBB55_9:
	s_or_b32 exec_lo, exec_lo, s1
	s_waitcnt lgkmcnt(0)
	s_barrier
	buffer_gl0_inv
	ds_read_b64 v[118:119], v1
	s_mov_b32 s1, exec_lo
	v_cmpx_lt_u32_e32 1, v0
	s_cbranch_execz .LBB55_11
; %bb.10:
	s_waitcnt lgkmcnt(0)
	v_mul_f64 v[112:113], v[118:119], v[112:113]
	ds_read2_b64 v[120:123], v170 offset0:2 offset1:3
	ds_read2_b64 v[124:127], v170 offset0:4 offset1:5
	;; [unrolled: 1-line block ×13, first 2 shown]
	s_waitcnt lgkmcnt(12)
	v_fma_f64 v[114:115], -v[112:113], v[120:121], v[114:115]
	v_fma_f64 v[110:111], -v[112:113], v[122:123], v[110:111]
	s_waitcnt lgkmcnt(11)
	v_fma_f64 v[96:97], -v[112:113], v[124:125], v[96:97]
	v_fma_f64 v[80:81], -v[112:113], v[126:127], v[80:81]
	;; [unrolled: 3-line block ×13, first 2 shown]
.LBB55_11:
	s_or_b32 exec_lo, exec_lo, s1
	s_mov_b32 s1, exec_lo
	s_waitcnt lgkmcnt(0)
	s_barrier
	buffer_gl0_inv
	v_cmpx_eq_u32_e32 2, v0
	s_cbranch_execz .LBB55_14
; %bb.12:
	ds_write_b64 v1, v[114:115]
	ds_write2_b64 v170, v[110:111], v[96:97] offset0:3 offset1:4
	ds_write2_b64 v170, v[80:81], v[94:95] offset0:5 offset1:6
	;; [unrolled: 1-line block ×12, first 2 shown]
	ds_write_b64 v170, v[106:107] offset:216
	ds_read_b64 v[120:121], v1
	s_waitcnt lgkmcnt(0)
	v_cmp_neq_f64_e32 vcc_lo, 0, v[120:121]
	s_and_b32 exec_lo, exec_lo, vcc_lo
	s_cbranch_execz .LBB55_14
; %bb.13:
	v_div_scale_f64 v[122:123], null, v[120:121], v[120:121], 1.0
	v_rcp_f64_e32 v[124:125], v[122:123]
	v_fma_f64 v[126:127], -v[122:123], v[124:125], 1.0
	v_fma_f64 v[124:125], v[124:125], v[126:127], v[124:125]
	v_fma_f64 v[126:127], -v[122:123], v[124:125], 1.0
	v_fma_f64 v[124:125], v[124:125], v[126:127], v[124:125]
	v_div_scale_f64 v[126:127], vcc_lo, 1.0, v[120:121], 1.0
	v_mul_f64 v[128:129], v[126:127], v[124:125]
	v_fma_f64 v[122:123], -v[122:123], v[128:129], v[126:127]
	v_div_fmas_f64 v[122:123], v[122:123], v[124:125], v[128:129]
	v_div_fixup_f64 v[120:121], v[122:123], v[120:121], 1.0
	ds_write_b64 v1, v[120:121]
.LBB55_14:
	s_or_b32 exec_lo, exec_lo, s1
	s_waitcnt lgkmcnt(0)
	s_barrier
	buffer_gl0_inv
	ds_read_b64 v[120:121], v1
	s_mov_b32 s1, exec_lo
	v_cmpx_lt_u32_e32 2, v0
	s_cbranch_execz .LBB55_16
; %bb.15:
	s_waitcnt lgkmcnt(0)
	v_mul_f64 v[114:115], v[120:121], v[114:115]
	ds_read2_b64 v[122:125], v170 offset0:3 offset1:4
	ds_read2_b64 v[126:129], v170 offset0:5 offset1:6
	ds_read2_b64 v[130:133], v170 offset0:7 offset1:8
	ds_read2_b64 v[134:137], v170 offset0:9 offset1:10
	ds_read2_b64 v[138:141], v170 offset0:11 offset1:12
	ds_read2_b64 v[142:145], v170 offset0:13 offset1:14
	ds_read2_b64 v[146:149], v170 offset0:15 offset1:16
	ds_read2_b64 v[150:153], v170 offset0:17 offset1:18
	ds_read2_b64 v[154:157], v170 offset0:19 offset1:20
	ds_read2_b64 v[158:161], v170 offset0:21 offset1:22
	ds_read2_b64 v[162:165], v170 offset0:23 offset1:24
	ds_read2_b64 v[166:169], v170 offset0:25 offset1:26
	ds_read_b64 v[171:172], v170 offset:216
	s_waitcnt lgkmcnt(12)
	v_fma_f64 v[110:111], -v[114:115], v[122:123], v[110:111]
	v_fma_f64 v[96:97], -v[114:115], v[124:125], v[96:97]
	s_waitcnt lgkmcnt(11)
	v_fma_f64 v[80:81], -v[114:115], v[126:127], v[80:81]
	v_fma_f64 v[94:95], -v[114:115], v[128:129], v[94:95]
	;; [unrolled: 3-line block ×12, first 2 shown]
	s_waitcnt lgkmcnt(0)
	v_fma_f64 v[106:107], -v[114:115], v[171:172], v[106:107]
.LBB55_16:
	s_or_b32 exec_lo, exec_lo, s1
	s_mov_b32 s1, exec_lo
	s_waitcnt lgkmcnt(0)
	s_barrier
	buffer_gl0_inv
	v_cmpx_eq_u32_e32 3, v0
	s_cbranch_execz .LBB55_19
; %bb.17:
	v_mov_b32_e32 v122, v96
	v_mov_b32_e32 v123, v97
	;; [unrolled: 1-line block ×8, first 2 shown]
	ds_write_b64 v1, v[110:111]
	ds_write2_b64 v170, v[122:123], v[124:125] offset0:4 offset1:5
	ds_write2_b64 v170, v[126:127], v[128:129] offset0:6 offset1:7
	v_mov_b32_e32 v122, v92
	v_mov_b32_e32 v123, v93
	;; [unrolled: 1-line block ×20, first 2 shown]
	ds_write2_b64 v170, v[122:123], v[124:125] offset0:8 offset1:9
	ds_write2_b64 v170, v[126:127], v[128:129] offset0:10 offset1:11
	;; [unrolled: 1-line block ×5, first 2 shown]
	v_mov_b32_e32 v122, v82
	v_mov_b32_e32 v123, v83
	v_mov_b32_e32 v124, v62
	v_mov_b32_e32 v125, v63
	v_mov_b32_e32 v126, v66
	v_mov_b32_e32 v127, v67
	v_mov_b32_e32 v128, v60
	v_mov_b32_e32 v129, v61
	v_mov_b32_e32 v130, v64
	v_mov_b32_e32 v131, v65
	v_mov_b32_e32 v132, v58
	v_mov_b32_e32 v133, v59
	v_mov_b32_e32 v134, v104
	v_mov_b32_e32 v135, v105
	v_mov_b32_e32 v136, v100
	v_mov_b32_e32 v137, v101
	v_mov_b32_e32 v138, v102
	v_mov_b32_e32 v139, v103
	ds_write2_b64 v170, v[122:123], v[124:125] offset0:18 offset1:19
	ds_write2_b64 v170, v[126:127], v[128:129] offset0:20 offset1:21
	;; [unrolled: 1-line block ×5, first 2 shown]
	ds_read_b64 v[122:123], v1
	s_waitcnt lgkmcnt(0)
	v_cmp_neq_f64_e32 vcc_lo, 0, v[122:123]
	s_and_b32 exec_lo, exec_lo, vcc_lo
	s_cbranch_execz .LBB55_19
; %bb.18:
	v_div_scale_f64 v[124:125], null, v[122:123], v[122:123], 1.0
	v_rcp_f64_e32 v[126:127], v[124:125]
	v_fma_f64 v[128:129], -v[124:125], v[126:127], 1.0
	v_fma_f64 v[126:127], v[126:127], v[128:129], v[126:127]
	v_fma_f64 v[128:129], -v[124:125], v[126:127], 1.0
	v_fma_f64 v[126:127], v[126:127], v[128:129], v[126:127]
	v_div_scale_f64 v[128:129], vcc_lo, 1.0, v[122:123], 1.0
	v_mul_f64 v[130:131], v[128:129], v[126:127]
	v_fma_f64 v[124:125], -v[124:125], v[130:131], v[128:129]
	v_div_fmas_f64 v[124:125], v[124:125], v[126:127], v[130:131]
	v_div_fixup_f64 v[122:123], v[124:125], v[122:123], 1.0
	ds_write_b64 v1, v[122:123]
.LBB55_19:
	s_or_b32 exec_lo, exec_lo, s1
	s_waitcnt lgkmcnt(0)
	s_barrier
	buffer_gl0_inv
	ds_read_b64 v[122:123], v1
	s_mov_b32 s1, exec_lo
	v_cmpx_lt_u32_e32 3, v0
	s_cbranch_execz .LBB55_21
; %bb.20:
	s_waitcnt lgkmcnt(0)
	v_mul_f64 v[110:111], v[122:123], v[110:111]
	ds_read2_b64 v[124:127], v170 offset0:4 offset1:5
	ds_read2_b64 v[128:131], v170 offset0:6 offset1:7
	;; [unrolled: 1-line block ×12, first 2 shown]
	s_waitcnt lgkmcnt(11)
	v_fma_f64 v[96:97], -v[110:111], v[124:125], v[96:97]
	v_fma_f64 v[80:81], -v[110:111], v[126:127], v[80:81]
	s_waitcnt lgkmcnt(10)
	v_fma_f64 v[94:95], -v[110:111], v[128:129], v[94:95]
	v_fma_f64 v[78:79], -v[110:111], v[130:131], v[78:79]
	;; [unrolled: 3-line block ×12, first 2 shown]
.LBB55_21:
	s_or_b32 exec_lo, exec_lo, s1
	s_mov_b32 s1, exec_lo
	s_waitcnt lgkmcnt(0)
	s_barrier
	buffer_gl0_inv
	v_cmpx_eq_u32_e32 4, v0
	s_cbranch_execz .LBB55_24
; %bb.22:
	ds_write_b64 v1, v[96:97]
	ds_write2_b64 v170, v[80:81], v[94:95] offset0:5 offset1:6
	ds_write2_b64 v170, v[78:79], v[92:93] offset0:7 offset1:8
	;; [unrolled: 1-line block ×11, first 2 shown]
	ds_write_b64 v170, v[106:107] offset:216
	ds_read_b64 v[124:125], v1
	s_waitcnt lgkmcnt(0)
	v_cmp_neq_f64_e32 vcc_lo, 0, v[124:125]
	s_and_b32 exec_lo, exec_lo, vcc_lo
	s_cbranch_execz .LBB55_24
; %bb.23:
	v_div_scale_f64 v[126:127], null, v[124:125], v[124:125], 1.0
	v_rcp_f64_e32 v[128:129], v[126:127]
	v_fma_f64 v[130:131], -v[126:127], v[128:129], 1.0
	v_fma_f64 v[128:129], v[128:129], v[130:131], v[128:129]
	v_fma_f64 v[130:131], -v[126:127], v[128:129], 1.0
	v_fma_f64 v[128:129], v[128:129], v[130:131], v[128:129]
	v_div_scale_f64 v[130:131], vcc_lo, 1.0, v[124:125], 1.0
	v_mul_f64 v[132:133], v[130:131], v[128:129]
	v_fma_f64 v[126:127], -v[126:127], v[132:133], v[130:131]
	v_div_fmas_f64 v[126:127], v[126:127], v[128:129], v[132:133]
	v_div_fixup_f64 v[124:125], v[126:127], v[124:125], 1.0
	ds_write_b64 v1, v[124:125]
.LBB55_24:
	s_or_b32 exec_lo, exec_lo, s1
	s_waitcnt lgkmcnt(0)
	s_barrier
	buffer_gl0_inv
	ds_read_b64 v[124:125], v1
	s_mov_b32 s1, exec_lo
	v_cmpx_lt_u32_e32 4, v0
	s_cbranch_execz .LBB55_26
; %bb.25:
	s_waitcnt lgkmcnt(0)
	v_mul_f64 v[96:97], v[124:125], v[96:97]
	ds_read2_b64 v[126:129], v170 offset0:5 offset1:6
	ds_read2_b64 v[130:133], v170 offset0:7 offset1:8
	ds_read2_b64 v[134:137], v170 offset0:9 offset1:10
	ds_read2_b64 v[138:141], v170 offset0:11 offset1:12
	ds_read2_b64 v[142:145], v170 offset0:13 offset1:14
	ds_read2_b64 v[146:149], v170 offset0:15 offset1:16
	ds_read2_b64 v[150:153], v170 offset0:17 offset1:18
	ds_read2_b64 v[154:157], v170 offset0:19 offset1:20
	ds_read2_b64 v[158:161], v170 offset0:21 offset1:22
	ds_read2_b64 v[162:165], v170 offset0:23 offset1:24
	ds_read2_b64 v[166:169], v170 offset0:25 offset1:26
	ds_read_b64 v[171:172], v170 offset:216
	s_waitcnt lgkmcnt(11)
	v_fma_f64 v[80:81], -v[96:97], v[126:127], v[80:81]
	v_fma_f64 v[94:95], -v[96:97], v[128:129], v[94:95]
	s_waitcnt lgkmcnt(10)
	v_fma_f64 v[78:79], -v[96:97], v[130:131], v[78:79]
	v_fma_f64 v[92:93], -v[96:97], v[132:133], v[92:93]
	;; [unrolled: 3-line block ×11, first 2 shown]
	s_waitcnt lgkmcnt(0)
	v_fma_f64 v[106:107], -v[96:97], v[171:172], v[106:107]
.LBB55_26:
	s_or_b32 exec_lo, exec_lo, s1
	s_mov_b32 s1, exec_lo
	s_waitcnt lgkmcnt(0)
	s_barrier
	buffer_gl0_inv
	v_cmpx_eq_u32_e32 5, v0
	s_cbranch_execz .LBB55_29
; %bb.27:
	v_mov_b32_e32 v126, v94
	v_mov_b32_e32 v127, v95
	;; [unrolled: 1-line block ×4, first 2 shown]
	ds_write_b64 v1, v[80:81]
	ds_write2_b64 v170, v[126:127], v[128:129] offset0:6 offset1:7
	v_mov_b32_e32 v126, v92
	v_mov_b32_e32 v127, v93
	;; [unrolled: 1-line block ×20, first 2 shown]
	ds_write2_b64 v170, v[126:127], v[128:129] offset0:8 offset1:9
	ds_write2_b64 v170, v[130:131], v[132:133] offset0:10 offset1:11
	;; [unrolled: 1-line block ×5, first 2 shown]
	v_mov_b32_e32 v126, v82
	v_mov_b32_e32 v127, v83
	;; [unrolled: 1-line block ×18, first 2 shown]
	ds_write2_b64 v170, v[126:127], v[128:129] offset0:18 offset1:19
	ds_write2_b64 v170, v[130:131], v[132:133] offset0:20 offset1:21
	;; [unrolled: 1-line block ×5, first 2 shown]
	ds_read_b64 v[126:127], v1
	s_waitcnt lgkmcnt(0)
	v_cmp_neq_f64_e32 vcc_lo, 0, v[126:127]
	s_and_b32 exec_lo, exec_lo, vcc_lo
	s_cbranch_execz .LBB55_29
; %bb.28:
	v_div_scale_f64 v[128:129], null, v[126:127], v[126:127], 1.0
	v_rcp_f64_e32 v[130:131], v[128:129]
	v_fma_f64 v[132:133], -v[128:129], v[130:131], 1.0
	v_fma_f64 v[130:131], v[130:131], v[132:133], v[130:131]
	v_fma_f64 v[132:133], -v[128:129], v[130:131], 1.0
	v_fma_f64 v[130:131], v[130:131], v[132:133], v[130:131]
	v_div_scale_f64 v[132:133], vcc_lo, 1.0, v[126:127], 1.0
	v_mul_f64 v[134:135], v[132:133], v[130:131]
	v_fma_f64 v[128:129], -v[128:129], v[134:135], v[132:133]
	v_div_fmas_f64 v[128:129], v[128:129], v[130:131], v[134:135]
	v_div_fixup_f64 v[126:127], v[128:129], v[126:127], 1.0
	ds_write_b64 v1, v[126:127]
.LBB55_29:
	s_or_b32 exec_lo, exec_lo, s1
	s_waitcnt lgkmcnt(0)
	s_barrier
	buffer_gl0_inv
	ds_read_b64 v[126:127], v1
	s_mov_b32 s1, exec_lo
	v_cmpx_lt_u32_e32 5, v0
	s_cbranch_execz .LBB55_31
; %bb.30:
	s_waitcnt lgkmcnt(0)
	v_mul_f64 v[80:81], v[126:127], v[80:81]
	ds_read2_b64 v[128:131], v170 offset0:6 offset1:7
	ds_read2_b64 v[132:135], v170 offset0:8 offset1:9
	;; [unrolled: 1-line block ×11, first 2 shown]
	s_waitcnt lgkmcnt(10)
	v_fma_f64 v[94:95], -v[80:81], v[128:129], v[94:95]
	v_fma_f64 v[78:79], -v[80:81], v[130:131], v[78:79]
	s_waitcnt lgkmcnt(9)
	v_fma_f64 v[92:93], -v[80:81], v[132:133], v[92:93]
	v_fma_f64 v[76:77], -v[80:81], v[134:135], v[76:77]
	;; [unrolled: 3-line block ×11, first 2 shown]
.LBB55_31:
	s_or_b32 exec_lo, exec_lo, s1
	s_mov_b32 s1, exec_lo
	s_waitcnt lgkmcnt(0)
	s_barrier
	buffer_gl0_inv
	v_cmpx_eq_u32_e32 6, v0
	s_cbranch_execz .LBB55_34
; %bb.32:
	ds_write_b64 v1, v[94:95]
	ds_write2_b64 v170, v[78:79], v[92:93] offset0:7 offset1:8
	ds_write2_b64 v170, v[76:77], v[90:91] offset0:9 offset1:10
	;; [unrolled: 1-line block ×10, first 2 shown]
	ds_write_b64 v170, v[106:107] offset:216
	ds_read_b64 v[128:129], v1
	s_waitcnt lgkmcnt(0)
	v_cmp_neq_f64_e32 vcc_lo, 0, v[128:129]
	s_and_b32 exec_lo, exec_lo, vcc_lo
	s_cbranch_execz .LBB55_34
; %bb.33:
	v_div_scale_f64 v[130:131], null, v[128:129], v[128:129], 1.0
	v_rcp_f64_e32 v[132:133], v[130:131]
	v_fma_f64 v[134:135], -v[130:131], v[132:133], 1.0
	v_fma_f64 v[132:133], v[132:133], v[134:135], v[132:133]
	v_fma_f64 v[134:135], -v[130:131], v[132:133], 1.0
	v_fma_f64 v[132:133], v[132:133], v[134:135], v[132:133]
	v_div_scale_f64 v[134:135], vcc_lo, 1.0, v[128:129], 1.0
	v_mul_f64 v[136:137], v[134:135], v[132:133]
	v_fma_f64 v[130:131], -v[130:131], v[136:137], v[134:135]
	v_div_fmas_f64 v[130:131], v[130:131], v[132:133], v[136:137]
	v_div_fixup_f64 v[128:129], v[130:131], v[128:129], 1.0
	ds_write_b64 v1, v[128:129]
.LBB55_34:
	s_or_b32 exec_lo, exec_lo, s1
	s_waitcnt lgkmcnt(0)
	s_barrier
	buffer_gl0_inv
	ds_read_b64 v[128:129], v1
	s_mov_b32 s1, exec_lo
	v_cmpx_lt_u32_e32 6, v0
	s_cbranch_execz .LBB55_36
; %bb.35:
	s_waitcnt lgkmcnt(0)
	v_mul_f64 v[94:95], v[128:129], v[94:95]
	ds_read2_b64 v[130:133], v170 offset0:7 offset1:8
	ds_read2_b64 v[134:137], v170 offset0:9 offset1:10
	;; [unrolled: 1-line block ×10, first 2 shown]
	ds_read_b64 v[171:172], v170 offset:216
	s_waitcnt lgkmcnt(10)
	v_fma_f64 v[78:79], -v[94:95], v[130:131], v[78:79]
	v_fma_f64 v[92:93], -v[94:95], v[132:133], v[92:93]
	s_waitcnt lgkmcnt(9)
	v_fma_f64 v[76:77], -v[94:95], v[134:135], v[76:77]
	v_fma_f64 v[90:91], -v[94:95], v[136:137], v[90:91]
	;; [unrolled: 3-line block ×10, first 2 shown]
	s_waitcnt lgkmcnt(0)
	v_fma_f64 v[106:107], -v[94:95], v[171:172], v[106:107]
.LBB55_36:
	s_or_b32 exec_lo, exec_lo, s1
	s_mov_b32 s1, exec_lo
	s_waitcnt lgkmcnt(0)
	s_barrier
	buffer_gl0_inv
	v_cmpx_eq_u32_e32 7, v0
	s_cbranch_execz .LBB55_39
; %bb.37:
	v_mov_b32_e32 v130, v92
	v_mov_b32_e32 v131, v93
	;; [unrolled: 1-line block ×20, first 2 shown]
	ds_write_b64 v1, v[78:79]
	ds_write2_b64 v170, v[130:131], v[132:133] offset0:8 offset1:9
	ds_write2_b64 v170, v[134:135], v[136:137] offset0:10 offset1:11
	;; [unrolled: 1-line block ×5, first 2 shown]
	v_mov_b32_e32 v130, v82
	v_mov_b32_e32 v131, v83
	;; [unrolled: 1-line block ×18, first 2 shown]
	ds_write2_b64 v170, v[130:131], v[132:133] offset0:18 offset1:19
	ds_write2_b64 v170, v[134:135], v[136:137] offset0:20 offset1:21
	;; [unrolled: 1-line block ×5, first 2 shown]
	ds_read_b64 v[130:131], v1
	s_waitcnt lgkmcnt(0)
	v_cmp_neq_f64_e32 vcc_lo, 0, v[130:131]
	s_and_b32 exec_lo, exec_lo, vcc_lo
	s_cbranch_execz .LBB55_39
; %bb.38:
	v_div_scale_f64 v[132:133], null, v[130:131], v[130:131], 1.0
	v_rcp_f64_e32 v[134:135], v[132:133]
	v_fma_f64 v[136:137], -v[132:133], v[134:135], 1.0
	v_fma_f64 v[134:135], v[134:135], v[136:137], v[134:135]
	v_fma_f64 v[136:137], -v[132:133], v[134:135], 1.0
	v_fma_f64 v[134:135], v[134:135], v[136:137], v[134:135]
	v_div_scale_f64 v[136:137], vcc_lo, 1.0, v[130:131], 1.0
	v_mul_f64 v[138:139], v[136:137], v[134:135]
	v_fma_f64 v[132:133], -v[132:133], v[138:139], v[136:137]
	v_div_fmas_f64 v[132:133], v[132:133], v[134:135], v[138:139]
	v_div_fixup_f64 v[130:131], v[132:133], v[130:131], 1.0
	ds_write_b64 v1, v[130:131]
.LBB55_39:
	s_or_b32 exec_lo, exec_lo, s1
	s_waitcnt lgkmcnt(0)
	s_barrier
	buffer_gl0_inv
	ds_read_b64 v[130:131], v1
	s_mov_b32 s1, exec_lo
	v_cmpx_lt_u32_e32 7, v0
	s_cbranch_execz .LBB55_41
; %bb.40:
	s_waitcnt lgkmcnt(0)
	v_mul_f64 v[78:79], v[130:131], v[78:79]
	ds_read2_b64 v[132:135], v170 offset0:8 offset1:9
	ds_read2_b64 v[136:139], v170 offset0:10 offset1:11
	ds_read2_b64 v[140:143], v170 offset0:12 offset1:13
	ds_read2_b64 v[144:147], v170 offset0:14 offset1:15
	ds_read2_b64 v[148:151], v170 offset0:16 offset1:17
	ds_read2_b64 v[152:155], v170 offset0:18 offset1:19
	ds_read2_b64 v[156:159], v170 offset0:20 offset1:21
	ds_read2_b64 v[160:163], v170 offset0:22 offset1:23
	ds_read2_b64 v[164:167], v170 offset0:24 offset1:25
	ds_read2_b64 v[171:174], v170 offset0:26 offset1:27
	s_waitcnt lgkmcnt(9)
	v_fma_f64 v[92:93], -v[78:79], v[132:133], v[92:93]
	v_fma_f64 v[76:77], -v[78:79], v[134:135], v[76:77]
	s_waitcnt lgkmcnt(8)
	v_fma_f64 v[90:91], -v[78:79], v[136:137], v[90:91]
	v_fma_f64 v[74:75], -v[78:79], v[138:139], v[74:75]
	;; [unrolled: 3-line block ×10, first 2 shown]
.LBB55_41:
	s_or_b32 exec_lo, exec_lo, s1
	s_mov_b32 s1, exec_lo
	s_waitcnt lgkmcnt(0)
	s_barrier
	buffer_gl0_inv
	v_cmpx_eq_u32_e32 8, v0
	s_cbranch_execz .LBB55_44
; %bb.42:
	ds_write_b64 v1, v[92:93]
	ds_write2_b64 v170, v[76:77], v[90:91] offset0:9 offset1:10
	ds_write2_b64 v170, v[74:75], v[88:89] offset0:11 offset1:12
	;; [unrolled: 1-line block ×9, first 2 shown]
	ds_write_b64 v170, v[106:107] offset:216
	ds_read_b64 v[132:133], v1
	s_waitcnt lgkmcnt(0)
	v_cmp_neq_f64_e32 vcc_lo, 0, v[132:133]
	s_and_b32 exec_lo, exec_lo, vcc_lo
	s_cbranch_execz .LBB55_44
; %bb.43:
	v_div_scale_f64 v[134:135], null, v[132:133], v[132:133], 1.0
	v_rcp_f64_e32 v[136:137], v[134:135]
	v_fma_f64 v[138:139], -v[134:135], v[136:137], 1.0
	v_fma_f64 v[136:137], v[136:137], v[138:139], v[136:137]
	v_fma_f64 v[138:139], -v[134:135], v[136:137], 1.0
	v_fma_f64 v[136:137], v[136:137], v[138:139], v[136:137]
	v_div_scale_f64 v[138:139], vcc_lo, 1.0, v[132:133], 1.0
	v_mul_f64 v[140:141], v[138:139], v[136:137]
	v_fma_f64 v[134:135], -v[134:135], v[140:141], v[138:139]
	v_div_fmas_f64 v[134:135], v[134:135], v[136:137], v[140:141]
	v_div_fixup_f64 v[132:133], v[134:135], v[132:133], 1.0
	ds_write_b64 v1, v[132:133]
.LBB55_44:
	s_or_b32 exec_lo, exec_lo, s1
	s_waitcnt lgkmcnt(0)
	s_barrier
	buffer_gl0_inv
	ds_read_b64 v[132:133], v1
	s_mov_b32 s1, exec_lo
	v_cmpx_lt_u32_e32 8, v0
	s_cbranch_execz .LBB55_46
; %bb.45:
	s_waitcnt lgkmcnt(0)
	v_mul_f64 v[92:93], v[132:133], v[92:93]
	ds_read2_b64 v[134:137], v170 offset0:9 offset1:10
	ds_read2_b64 v[138:141], v170 offset0:11 offset1:12
	;; [unrolled: 1-line block ×9, first 2 shown]
	ds_read_b64 v[171:172], v170 offset:216
	s_waitcnt lgkmcnt(9)
	v_fma_f64 v[76:77], -v[92:93], v[134:135], v[76:77]
	v_fma_f64 v[90:91], -v[92:93], v[136:137], v[90:91]
	s_waitcnt lgkmcnt(8)
	v_fma_f64 v[74:75], -v[92:93], v[138:139], v[74:75]
	v_fma_f64 v[88:89], -v[92:93], v[140:141], v[88:89]
	s_waitcnt lgkmcnt(7)
	v_fma_f64 v[72:73], -v[92:93], v[142:143], v[72:73]
	v_fma_f64 v[86:87], -v[92:93], v[144:145], v[86:87]
	s_waitcnt lgkmcnt(6)
	v_fma_f64 v[70:71], -v[92:93], v[146:147], v[70:71]
	v_fma_f64 v[84:85], -v[92:93], v[148:149], v[84:85]
	s_waitcnt lgkmcnt(5)
	v_fma_f64 v[68:69], -v[92:93], v[150:151], v[68:69]
	v_fma_f64 v[82:83], -v[92:93], v[152:153], v[82:83]
	s_waitcnt lgkmcnt(4)
	v_fma_f64 v[62:63], -v[92:93], v[154:155], v[62:63]
	v_fma_f64 v[66:67], -v[92:93], v[156:157], v[66:67]
	s_waitcnt lgkmcnt(3)
	v_fma_f64 v[60:61], -v[92:93], v[158:159], v[60:61]
	v_fma_f64 v[64:65], -v[92:93], v[160:161], v[64:65]
	s_waitcnt lgkmcnt(2)
	v_fma_f64 v[58:59], -v[92:93], v[162:163], v[58:59]
	v_fma_f64 v[104:105], -v[92:93], v[164:165], v[104:105]
	s_waitcnt lgkmcnt(1)
	v_fma_f64 v[100:101], -v[92:93], v[166:167], v[100:101]
	v_fma_f64 v[102:103], -v[92:93], v[168:169], v[102:103]
	s_waitcnt lgkmcnt(0)
	v_fma_f64 v[106:107], -v[92:93], v[171:172], v[106:107]
.LBB55_46:
	s_or_b32 exec_lo, exec_lo, s1
	s_mov_b32 s1, exec_lo
	s_waitcnt lgkmcnt(0)
	s_barrier
	buffer_gl0_inv
	v_cmpx_eq_u32_e32 9, v0
	s_cbranch_execz .LBB55_49
; %bb.47:
	v_mov_b32_e32 v134, v90
	v_mov_b32_e32 v135, v91
	;; [unrolled: 1-line block ×16, first 2 shown]
	ds_write_b64 v1, v[76:77]
	ds_write2_b64 v170, v[134:135], v[136:137] offset0:10 offset1:11
	ds_write2_b64 v170, v[138:139], v[140:141] offset0:12 offset1:13
	;; [unrolled: 1-line block ×4, first 2 shown]
	v_mov_b32_e32 v134, v82
	v_mov_b32_e32 v135, v83
	v_mov_b32_e32 v136, v62
	v_mov_b32_e32 v137, v63
	v_mov_b32_e32 v138, v66
	v_mov_b32_e32 v139, v67
	v_mov_b32_e32 v140, v60
	v_mov_b32_e32 v141, v61
	v_mov_b32_e32 v142, v64
	v_mov_b32_e32 v143, v65
	v_mov_b32_e32 v144, v58
	v_mov_b32_e32 v145, v59
	v_mov_b32_e32 v146, v104
	v_mov_b32_e32 v147, v105
	v_mov_b32_e32 v148, v100
	v_mov_b32_e32 v149, v101
	v_mov_b32_e32 v150, v102
	v_mov_b32_e32 v151, v103
	ds_write2_b64 v170, v[134:135], v[136:137] offset0:18 offset1:19
	ds_write2_b64 v170, v[138:139], v[140:141] offset0:20 offset1:21
	;; [unrolled: 1-line block ×5, first 2 shown]
	ds_read_b64 v[134:135], v1
	s_waitcnt lgkmcnt(0)
	v_cmp_neq_f64_e32 vcc_lo, 0, v[134:135]
	s_and_b32 exec_lo, exec_lo, vcc_lo
	s_cbranch_execz .LBB55_49
; %bb.48:
	v_div_scale_f64 v[136:137], null, v[134:135], v[134:135], 1.0
	v_rcp_f64_e32 v[138:139], v[136:137]
	v_fma_f64 v[140:141], -v[136:137], v[138:139], 1.0
	v_fma_f64 v[138:139], v[138:139], v[140:141], v[138:139]
	v_fma_f64 v[140:141], -v[136:137], v[138:139], 1.0
	v_fma_f64 v[138:139], v[138:139], v[140:141], v[138:139]
	v_div_scale_f64 v[140:141], vcc_lo, 1.0, v[134:135], 1.0
	v_mul_f64 v[142:143], v[140:141], v[138:139]
	v_fma_f64 v[136:137], -v[136:137], v[142:143], v[140:141]
	v_div_fmas_f64 v[136:137], v[136:137], v[138:139], v[142:143]
	v_div_fixup_f64 v[134:135], v[136:137], v[134:135], 1.0
	ds_write_b64 v1, v[134:135]
.LBB55_49:
	s_or_b32 exec_lo, exec_lo, s1
	s_waitcnt lgkmcnt(0)
	s_barrier
	buffer_gl0_inv
	ds_read_b64 v[134:135], v1
	s_mov_b32 s1, exec_lo
	v_cmpx_lt_u32_e32 9, v0
	s_cbranch_execz .LBB55_51
; %bb.50:
	s_waitcnt lgkmcnt(0)
	v_mul_f64 v[76:77], v[134:135], v[76:77]
	ds_read2_b64 v[136:139], v170 offset0:10 offset1:11
	ds_read2_b64 v[140:143], v170 offset0:12 offset1:13
	;; [unrolled: 1-line block ×9, first 2 shown]
	s_waitcnt lgkmcnt(8)
	v_fma_f64 v[90:91], -v[76:77], v[136:137], v[90:91]
	v_fma_f64 v[74:75], -v[76:77], v[138:139], v[74:75]
	s_waitcnt lgkmcnt(7)
	v_fma_f64 v[88:89], -v[76:77], v[140:141], v[88:89]
	v_fma_f64 v[72:73], -v[76:77], v[142:143], v[72:73]
	;; [unrolled: 3-line block ×9, first 2 shown]
.LBB55_51:
	s_or_b32 exec_lo, exec_lo, s1
	s_mov_b32 s1, exec_lo
	s_waitcnt lgkmcnt(0)
	s_barrier
	buffer_gl0_inv
	v_cmpx_eq_u32_e32 10, v0
	s_cbranch_execz .LBB55_54
; %bb.52:
	ds_write_b64 v1, v[90:91]
	ds_write2_b64 v170, v[74:75], v[88:89] offset0:11 offset1:12
	ds_write2_b64 v170, v[72:73], v[86:87] offset0:13 offset1:14
	;; [unrolled: 1-line block ×8, first 2 shown]
	ds_write_b64 v170, v[106:107] offset:216
	ds_read_b64 v[136:137], v1
	s_waitcnt lgkmcnt(0)
	v_cmp_neq_f64_e32 vcc_lo, 0, v[136:137]
	s_and_b32 exec_lo, exec_lo, vcc_lo
	s_cbranch_execz .LBB55_54
; %bb.53:
	v_div_scale_f64 v[138:139], null, v[136:137], v[136:137], 1.0
	v_rcp_f64_e32 v[140:141], v[138:139]
	v_fma_f64 v[142:143], -v[138:139], v[140:141], 1.0
	v_fma_f64 v[140:141], v[140:141], v[142:143], v[140:141]
	v_fma_f64 v[142:143], -v[138:139], v[140:141], 1.0
	v_fma_f64 v[140:141], v[140:141], v[142:143], v[140:141]
	v_div_scale_f64 v[142:143], vcc_lo, 1.0, v[136:137], 1.0
	v_mul_f64 v[144:145], v[142:143], v[140:141]
	v_fma_f64 v[138:139], -v[138:139], v[144:145], v[142:143]
	v_div_fmas_f64 v[138:139], v[138:139], v[140:141], v[144:145]
	v_div_fixup_f64 v[136:137], v[138:139], v[136:137], 1.0
	ds_write_b64 v1, v[136:137]
.LBB55_54:
	s_or_b32 exec_lo, exec_lo, s1
	s_waitcnt lgkmcnt(0)
	s_barrier
	buffer_gl0_inv
	ds_read_b64 v[136:137], v1
	s_mov_b32 s1, exec_lo
	v_cmpx_lt_u32_e32 10, v0
	s_cbranch_execz .LBB55_56
; %bb.55:
	s_waitcnt lgkmcnt(0)
	v_mul_f64 v[90:91], v[136:137], v[90:91]
	ds_read2_b64 v[138:141], v170 offset0:11 offset1:12
	ds_read2_b64 v[142:145], v170 offset0:13 offset1:14
	;; [unrolled: 1-line block ×8, first 2 shown]
	ds_read_b64 v[171:172], v170 offset:216
	s_waitcnt lgkmcnt(8)
	v_fma_f64 v[74:75], -v[90:91], v[138:139], v[74:75]
	v_fma_f64 v[88:89], -v[90:91], v[140:141], v[88:89]
	s_waitcnt lgkmcnt(7)
	v_fma_f64 v[72:73], -v[90:91], v[142:143], v[72:73]
	v_fma_f64 v[86:87], -v[90:91], v[144:145], v[86:87]
	;; [unrolled: 3-line block ×8, first 2 shown]
	s_waitcnt lgkmcnt(0)
	v_fma_f64 v[106:107], -v[90:91], v[171:172], v[106:107]
.LBB55_56:
	s_or_b32 exec_lo, exec_lo, s1
	s_mov_b32 s1, exec_lo
	s_waitcnt lgkmcnt(0)
	s_barrier
	buffer_gl0_inv
	v_cmpx_eq_u32_e32 11, v0
	s_cbranch_execz .LBB55_59
; %bb.57:
	v_mov_b32_e32 v138, v88
	v_mov_b32_e32 v139, v89
	;; [unrolled: 1-line block ×12, first 2 shown]
	ds_write_b64 v1, v[74:75]
	ds_write2_b64 v170, v[138:139], v[140:141] offset0:12 offset1:13
	ds_write2_b64 v170, v[142:143], v[144:145] offset0:14 offset1:15
	;; [unrolled: 1-line block ×3, first 2 shown]
	v_mov_b32_e32 v138, v82
	v_mov_b32_e32 v139, v83
	;; [unrolled: 1-line block ×18, first 2 shown]
	ds_write2_b64 v170, v[138:139], v[140:141] offset0:18 offset1:19
	ds_write2_b64 v170, v[142:143], v[144:145] offset0:20 offset1:21
	;; [unrolled: 1-line block ×5, first 2 shown]
	ds_read_b64 v[138:139], v1
	s_waitcnt lgkmcnt(0)
	v_cmp_neq_f64_e32 vcc_lo, 0, v[138:139]
	s_and_b32 exec_lo, exec_lo, vcc_lo
	s_cbranch_execz .LBB55_59
; %bb.58:
	v_div_scale_f64 v[140:141], null, v[138:139], v[138:139], 1.0
	v_rcp_f64_e32 v[142:143], v[140:141]
	v_fma_f64 v[144:145], -v[140:141], v[142:143], 1.0
	v_fma_f64 v[142:143], v[142:143], v[144:145], v[142:143]
	v_fma_f64 v[144:145], -v[140:141], v[142:143], 1.0
	v_fma_f64 v[142:143], v[142:143], v[144:145], v[142:143]
	v_div_scale_f64 v[144:145], vcc_lo, 1.0, v[138:139], 1.0
	v_mul_f64 v[146:147], v[144:145], v[142:143]
	v_fma_f64 v[140:141], -v[140:141], v[146:147], v[144:145]
	v_div_fmas_f64 v[140:141], v[140:141], v[142:143], v[146:147]
	v_div_fixup_f64 v[138:139], v[140:141], v[138:139], 1.0
	ds_write_b64 v1, v[138:139]
.LBB55_59:
	s_or_b32 exec_lo, exec_lo, s1
	s_waitcnt lgkmcnt(0)
	s_barrier
	buffer_gl0_inv
	ds_read_b64 v[138:139], v1
	s_mov_b32 s1, exec_lo
	v_cmpx_lt_u32_e32 11, v0
	s_cbranch_execz .LBB55_61
; %bb.60:
	s_waitcnt lgkmcnt(0)
	v_mul_f64 v[74:75], v[138:139], v[74:75]
	ds_read2_b64 v[140:143], v170 offset0:12 offset1:13
	ds_read2_b64 v[144:147], v170 offset0:14 offset1:15
	;; [unrolled: 1-line block ×8, first 2 shown]
	s_waitcnt lgkmcnt(7)
	v_fma_f64 v[88:89], -v[74:75], v[140:141], v[88:89]
	v_fma_f64 v[72:73], -v[74:75], v[142:143], v[72:73]
	s_waitcnt lgkmcnt(6)
	v_fma_f64 v[86:87], -v[74:75], v[144:145], v[86:87]
	v_fma_f64 v[70:71], -v[74:75], v[146:147], v[70:71]
	;; [unrolled: 3-line block ×8, first 2 shown]
.LBB55_61:
	s_or_b32 exec_lo, exec_lo, s1
	s_mov_b32 s1, exec_lo
	s_waitcnt lgkmcnt(0)
	s_barrier
	buffer_gl0_inv
	v_cmpx_eq_u32_e32 12, v0
	s_cbranch_execz .LBB55_64
; %bb.62:
	ds_write_b64 v1, v[88:89]
	ds_write2_b64 v170, v[72:73], v[86:87] offset0:13 offset1:14
	ds_write2_b64 v170, v[70:71], v[84:85] offset0:15 offset1:16
	;; [unrolled: 1-line block ×7, first 2 shown]
	ds_write_b64 v170, v[106:107] offset:216
	ds_read_b64 v[140:141], v1
	s_waitcnt lgkmcnt(0)
	v_cmp_neq_f64_e32 vcc_lo, 0, v[140:141]
	s_and_b32 exec_lo, exec_lo, vcc_lo
	s_cbranch_execz .LBB55_64
; %bb.63:
	v_div_scale_f64 v[142:143], null, v[140:141], v[140:141], 1.0
	v_rcp_f64_e32 v[144:145], v[142:143]
	v_fma_f64 v[146:147], -v[142:143], v[144:145], 1.0
	v_fma_f64 v[144:145], v[144:145], v[146:147], v[144:145]
	v_fma_f64 v[146:147], -v[142:143], v[144:145], 1.0
	v_fma_f64 v[144:145], v[144:145], v[146:147], v[144:145]
	v_div_scale_f64 v[146:147], vcc_lo, 1.0, v[140:141], 1.0
	v_mul_f64 v[148:149], v[146:147], v[144:145]
	v_fma_f64 v[142:143], -v[142:143], v[148:149], v[146:147]
	v_div_fmas_f64 v[142:143], v[142:143], v[144:145], v[148:149]
	v_div_fixup_f64 v[140:141], v[142:143], v[140:141], 1.0
	ds_write_b64 v1, v[140:141]
.LBB55_64:
	s_or_b32 exec_lo, exec_lo, s1
	s_waitcnt lgkmcnt(0)
	s_barrier
	buffer_gl0_inv
	ds_read_b64 v[140:141], v1
	s_mov_b32 s1, exec_lo
	v_cmpx_lt_u32_e32 12, v0
	s_cbranch_execz .LBB55_66
; %bb.65:
	s_waitcnt lgkmcnt(0)
	v_mul_f64 v[88:89], v[140:141], v[88:89]
	ds_read2_b64 v[142:145], v170 offset0:13 offset1:14
	ds_read2_b64 v[146:149], v170 offset0:15 offset1:16
	ds_read2_b64 v[150:153], v170 offset0:17 offset1:18
	ds_read2_b64 v[154:157], v170 offset0:19 offset1:20
	ds_read2_b64 v[158:161], v170 offset0:21 offset1:22
	ds_read2_b64 v[162:165], v170 offset0:23 offset1:24
	ds_read2_b64 v[166:169], v170 offset0:25 offset1:26
	ds_read_b64 v[171:172], v170 offset:216
	s_waitcnt lgkmcnt(7)
	v_fma_f64 v[72:73], -v[88:89], v[142:143], v[72:73]
	v_fma_f64 v[86:87], -v[88:89], v[144:145], v[86:87]
	s_waitcnt lgkmcnt(6)
	v_fma_f64 v[70:71], -v[88:89], v[146:147], v[70:71]
	v_fma_f64 v[84:85], -v[88:89], v[148:149], v[84:85]
	s_waitcnt lgkmcnt(5)
	v_fma_f64 v[68:69], -v[88:89], v[150:151], v[68:69]
	v_fma_f64 v[82:83], -v[88:89], v[152:153], v[82:83]
	s_waitcnt lgkmcnt(4)
	v_fma_f64 v[62:63], -v[88:89], v[154:155], v[62:63]
	v_fma_f64 v[66:67], -v[88:89], v[156:157], v[66:67]
	s_waitcnt lgkmcnt(3)
	v_fma_f64 v[60:61], -v[88:89], v[158:159], v[60:61]
	v_fma_f64 v[64:65], -v[88:89], v[160:161], v[64:65]
	s_waitcnt lgkmcnt(2)
	v_fma_f64 v[58:59], -v[88:89], v[162:163], v[58:59]
	v_fma_f64 v[104:105], -v[88:89], v[164:165], v[104:105]
	s_waitcnt lgkmcnt(1)
	v_fma_f64 v[100:101], -v[88:89], v[166:167], v[100:101]
	v_fma_f64 v[102:103], -v[88:89], v[168:169], v[102:103]
	s_waitcnt lgkmcnt(0)
	v_fma_f64 v[106:107], -v[88:89], v[171:172], v[106:107]
.LBB55_66:
	s_or_b32 exec_lo, exec_lo, s1
	s_mov_b32 s1, exec_lo
	s_waitcnt lgkmcnt(0)
	s_barrier
	buffer_gl0_inv
	v_cmpx_eq_u32_e32 13, v0
	s_cbranch_execz .LBB55_69
; %bb.67:
	v_mov_b32_e32 v142, v86
	v_mov_b32_e32 v143, v87
	;; [unrolled: 1-line block ×8, first 2 shown]
	ds_write_b64 v1, v[72:73]
	ds_write2_b64 v170, v[142:143], v[144:145] offset0:14 offset1:15
	ds_write2_b64 v170, v[146:147], v[148:149] offset0:16 offset1:17
	v_mov_b32_e32 v142, v82
	v_mov_b32_e32 v143, v83
	;; [unrolled: 1-line block ×18, first 2 shown]
	ds_write2_b64 v170, v[142:143], v[144:145] offset0:18 offset1:19
	ds_write2_b64 v170, v[146:147], v[148:149] offset0:20 offset1:21
	;; [unrolled: 1-line block ×5, first 2 shown]
	ds_read_b64 v[142:143], v1
	s_waitcnt lgkmcnt(0)
	v_cmp_neq_f64_e32 vcc_lo, 0, v[142:143]
	s_and_b32 exec_lo, exec_lo, vcc_lo
	s_cbranch_execz .LBB55_69
; %bb.68:
	v_div_scale_f64 v[144:145], null, v[142:143], v[142:143], 1.0
	v_rcp_f64_e32 v[146:147], v[144:145]
	v_fma_f64 v[148:149], -v[144:145], v[146:147], 1.0
	v_fma_f64 v[146:147], v[146:147], v[148:149], v[146:147]
	v_fma_f64 v[148:149], -v[144:145], v[146:147], 1.0
	v_fma_f64 v[146:147], v[146:147], v[148:149], v[146:147]
	v_div_scale_f64 v[148:149], vcc_lo, 1.0, v[142:143], 1.0
	v_mul_f64 v[150:151], v[148:149], v[146:147]
	v_fma_f64 v[144:145], -v[144:145], v[150:151], v[148:149]
	v_div_fmas_f64 v[144:145], v[144:145], v[146:147], v[150:151]
	v_div_fixup_f64 v[142:143], v[144:145], v[142:143], 1.0
	ds_write_b64 v1, v[142:143]
.LBB55_69:
	s_or_b32 exec_lo, exec_lo, s1
	s_waitcnt lgkmcnt(0)
	s_barrier
	buffer_gl0_inv
	ds_read_b64 v[142:143], v1
	s_mov_b32 s1, exec_lo
	v_cmpx_lt_u32_e32 13, v0
	s_cbranch_execz .LBB55_71
; %bb.70:
	s_waitcnt lgkmcnt(0)
	v_mul_f64 v[72:73], v[142:143], v[72:73]
	ds_read2_b64 v[144:147], v170 offset0:14 offset1:15
	ds_read2_b64 v[148:151], v170 offset0:16 offset1:17
	;; [unrolled: 1-line block ×7, first 2 shown]
	s_waitcnt lgkmcnt(6)
	v_fma_f64 v[86:87], -v[72:73], v[144:145], v[86:87]
	v_fma_f64 v[70:71], -v[72:73], v[146:147], v[70:71]
	s_waitcnt lgkmcnt(5)
	v_fma_f64 v[84:85], -v[72:73], v[148:149], v[84:85]
	v_fma_f64 v[68:69], -v[72:73], v[150:151], v[68:69]
	s_waitcnt lgkmcnt(4)
	v_fma_f64 v[82:83], -v[72:73], v[152:153], v[82:83]
	v_fma_f64 v[62:63], -v[72:73], v[154:155], v[62:63]
	s_waitcnt lgkmcnt(3)
	v_fma_f64 v[66:67], -v[72:73], v[156:157], v[66:67]
	v_fma_f64 v[60:61], -v[72:73], v[158:159], v[60:61]
	s_waitcnt lgkmcnt(2)
	v_fma_f64 v[64:65], -v[72:73], v[160:161], v[64:65]
	v_fma_f64 v[58:59], -v[72:73], v[162:163], v[58:59]
	s_waitcnt lgkmcnt(1)
	v_fma_f64 v[104:105], -v[72:73], v[164:165], v[104:105]
	v_fma_f64 v[100:101], -v[72:73], v[166:167], v[100:101]
	s_waitcnt lgkmcnt(0)
	v_fma_f64 v[102:103], -v[72:73], v[171:172], v[102:103]
	v_fma_f64 v[106:107], -v[72:73], v[173:174], v[106:107]
.LBB55_71:
	s_or_b32 exec_lo, exec_lo, s1
	s_mov_b32 s1, exec_lo
	s_waitcnt lgkmcnt(0)
	s_barrier
	buffer_gl0_inv
	v_cmpx_eq_u32_e32 14, v0
	s_cbranch_execz .LBB55_74
; %bb.72:
	ds_write_b64 v1, v[86:87]
	ds_write2_b64 v170, v[70:71], v[84:85] offset0:15 offset1:16
	ds_write2_b64 v170, v[68:69], v[82:83] offset0:17 offset1:18
	;; [unrolled: 1-line block ×6, first 2 shown]
	ds_write_b64 v170, v[106:107] offset:216
	ds_read_b64 v[144:145], v1
	s_waitcnt lgkmcnt(0)
	v_cmp_neq_f64_e32 vcc_lo, 0, v[144:145]
	s_and_b32 exec_lo, exec_lo, vcc_lo
	s_cbranch_execz .LBB55_74
; %bb.73:
	v_div_scale_f64 v[146:147], null, v[144:145], v[144:145], 1.0
	v_rcp_f64_e32 v[148:149], v[146:147]
	v_fma_f64 v[150:151], -v[146:147], v[148:149], 1.0
	v_fma_f64 v[148:149], v[148:149], v[150:151], v[148:149]
	v_fma_f64 v[150:151], -v[146:147], v[148:149], 1.0
	v_fma_f64 v[148:149], v[148:149], v[150:151], v[148:149]
	v_div_scale_f64 v[150:151], vcc_lo, 1.0, v[144:145], 1.0
	v_mul_f64 v[152:153], v[150:151], v[148:149]
	v_fma_f64 v[146:147], -v[146:147], v[152:153], v[150:151]
	v_div_fmas_f64 v[146:147], v[146:147], v[148:149], v[152:153]
	v_div_fixup_f64 v[144:145], v[146:147], v[144:145], 1.0
	ds_write_b64 v1, v[144:145]
.LBB55_74:
	s_or_b32 exec_lo, exec_lo, s1
	s_waitcnt lgkmcnt(0)
	s_barrier
	buffer_gl0_inv
	ds_read_b64 v[144:145], v1
	s_mov_b32 s1, exec_lo
	v_cmpx_lt_u32_e32 14, v0
	s_cbranch_execz .LBB55_76
; %bb.75:
	s_waitcnt lgkmcnt(0)
	v_mul_f64 v[86:87], v[144:145], v[86:87]
	ds_read2_b64 v[146:149], v170 offset0:15 offset1:16
	ds_read2_b64 v[150:153], v170 offset0:17 offset1:18
	;; [unrolled: 1-line block ×6, first 2 shown]
	ds_read_b64 v[171:172], v170 offset:216
	s_waitcnt lgkmcnt(6)
	v_fma_f64 v[70:71], -v[86:87], v[146:147], v[70:71]
	v_fma_f64 v[84:85], -v[86:87], v[148:149], v[84:85]
	s_waitcnt lgkmcnt(5)
	v_fma_f64 v[68:69], -v[86:87], v[150:151], v[68:69]
	v_fma_f64 v[82:83], -v[86:87], v[152:153], v[82:83]
	;; [unrolled: 3-line block ×6, first 2 shown]
	s_waitcnt lgkmcnt(0)
	v_fma_f64 v[106:107], -v[86:87], v[171:172], v[106:107]
.LBB55_76:
	s_or_b32 exec_lo, exec_lo, s1
	s_mov_b32 s1, exec_lo
	s_waitcnt lgkmcnt(0)
	s_barrier
	buffer_gl0_inv
	v_cmpx_eq_u32_e32 15, v0
	s_cbranch_execz .LBB55_79
; %bb.77:
	v_mov_b32_e32 v146, v84
	v_mov_b32_e32 v147, v85
	;; [unrolled: 1-line block ×4, first 2 shown]
	ds_write_b64 v1, v[70:71]
	ds_write2_b64 v170, v[146:147], v[148:149] offset0:16 offset1:17
	v_mov_b32_e32 v146, v82
	v_mov_b32_e32 v147, v83
	;; [unrolled: 1-line block ×18, first 2 shown]
	ds_write2_b64 v170, v[146:147], v[148:149] offset0:18 offset1:19
	ds_write2_b64 v170, v[150:151], v[152:153] offset0:20 offset1:21
	;; [unrolled: 1-line block ×5, first 2 shown]
	ds_read_b64 v[146:147], v1
	s_waitcnt lgkmcnt(0)
	v_cmp_neq_f64_e32 vcc_lo, 0, v[146:147]
	s_and_b32 exec_lo, exec_lo, vcc_lo
	s_cbranch_execz .LBB55_79
; %bb.78:
	v_div_scale_f64 v[148:149], null, v[146:147], v[146:147], 1.0
	v_rcp_f64_e32 v[150:151], v[148:149]
	v_fma_f64 v[152:153], -v[148:149], v[150:151], 1.0
	v_fma_f64 v[150:151], v[150:151], v[152:153], v[150:151]
	v_fma_f64 v[152:153], -v[148:149], v[150:151], 1.0
	v_fma_f64 v[150:151], v[150:151], v[152:153], v[150:151]
	v_div_scale_f64 v[152:153], vcc_lo, 1.0, v[146:147], 1.0
	v_mul_f64 v[154:155], v[152:153], v[150:151]
	v_fma_f64 v[148:149], -v[148:149], v[154:155], v[152:153]
	v_div_fmas_f64 v[148:149], v[148:149], v[150:151], v[154:155]
	v_div_fixup_f64 v[146:147], v[148:149], v[146:147], 1.0
	ds_write_b64 v1, v[146:147]
.LBB55_79:
	s_or_b32 exec_lo, exec_lo, s1
	s_waitcnt lgkmcnt(0)
	s_barrier
	buffer_gl0_inv
	ds_read_b64 v[146:147], v1
	s_mov_b32 s1, exec_lo
	v_cmpx_lt_u32_e32 15, v0
	s_cbranch_execz .LBB55_81
; %bb.80:
	s_waitcnt lgkmcnt(0)
	v_mul_f64 v[70:71], v[146:147], v[70:71]
	ds_read2_b64 v[148:151], v170 offset0:16 offset1:17
	ds_read2_b64 v[152:155], v170 offset0:18 offset1:19
	;; [unrolled: 1-line block ×6, first 2 shown]
	s_waitcnt lgkmcnt(5)
	v_fma_f64 v[84:85], -v[70:71], v[148:149], v[84:85]
	v_fma_f64 v[68:69], -v[70:71], v[150:151], v[68:69]
	s_waitcnt lgkmcnt(4)
	v_fma_f64 v[82:83], -v[70:71], v[152:153], v[82:83]
	v_fma_f64 v[62:63], -v[70:71], v[154:155], v[62:63]
	;; [unrolled: 3-line block ×6, first 2 shown]
.LBB55_81:
	s_or_b32 exec_lo, exec_lo, s1
	s_mov_b32 s1, exec_lo
	s_waitcnt lgkmcnt(0)
	s_barrier
	buffer_gl0_inv
	v_cmpx_eq_u32_e32 16, v0
	s_cbranch_execz .LBB55_84
; %bb.82:
	ds_write_b64 v1, v[84:85]
	ds_write2_b64 v170, v[68:69], v[82:83] offset0:17 offset1:18
	ds_write2_b64 v170, v[62:63], v[66:67] offset0:19 offset1:20
	;; [unrolled: 1-line block ×5, first 2 shown]
	ds_write_b64 v170, v[106:107] offset:216
	ds_read_b64 v[148:149], v1
	s_waitcnt lgkmcnt(0)
	v_cmp_neq_f64_e32 vcc_lo, 0, v[148:149]
	s_and_b32 exec_lo, exec_lo, vcc_lo
	s_cbranch_execz .LBB55_84
; %bb.83:
	v_div_scale_f64 v[150:151], null, v[148:149], v[148:149], 1.0
	v_rcp_f64_e32 v[152:153], v[150:151]
	v_fma_f64 v[154:155], -v[150:151], v[152:153], 1.0
	v_fma_f64 v[152:153], v[152:153], v[154:155], v[152:153]
	v_fma_f64 v[154:155], -v[150:151], v[152:153], 1.0
	v_fma_f64 v[152:153], v[152:153], v[154:155], v[152:153]
	v_div_scale_f64 v[154:155], vcc_lo, 1.0, v[148:149], 1.0
	v_mul_f64 v[156:157], v[154:155], v[152:153]
	v_fma_f64 v[150:151], -v[150:151], v[156:157], v[154:155]
	v_div_fmas_f64 v[150:151], v[150:151], v[152:153], v[156:157]
	v_div_fixup_f64 v[148:149], v[150:151], v[148:149], 1.0
	ds_write_b64 v1, v[148:149]
.LBB55_84:
	s_or_b32 exec_lo, exec_lo, s1
	s_waitcnt lgkmcnt(0)
	s_barrier
	buffer_gl0_inv
	ds_read_b64 v[148:149], v1
	s_mov_b32 s1, exec_lo
	v_cmpx_lt_u32_e32 16, v0
	s_cbranch_execz .LBB55_86
; %bb.85:
	s_waitcnt lgkmcnt(0)
	v_mul_f64 v[84:85], v[148:149], v[84:85]
	ds_read2_b64 v[150:153], v170 offset0:17 offset1:18
	ds_read2_b64 v[154:157], v170 offset0:19 offset1:20
	ds_read2_b64 v[158:161], v170 offset0:21 offset1:22
	ds_read2_b64 v[162:165], v170 offset0:23 offset1:24
	ds_read2_b64 v[166:169], v170 offset0:25 offset1:26
	ds_read_b64 v[171:172], v170 offset:216
	s_waitcnt lgkmcnt(5)
	v_fma_f64 v[68:69], -v[84:85], v[150:151], v[68:69]
	v_fma_f64 v[82:83], -v[84:85], v[152:153], v[82:83]
	s_waitcnt lgkmcnt(4)
	v_fma_f64 v[62:63], -v[84:85], v[154:155], v[62:63]
	v_fma_f64 v[66:67], -v[84:85], v[156:157], v[66:67]
	;; [unrolled: 3-line block ×5, first 2 shown]
	s_waitcnt lgkmcnt(0)
	v_fma_f64 v[106:107], -v[84:85], v[171:172], v[106:107]
.LBB55_86:
	s_or_b32 exec_lo, exec_lo, s1
	s_mov_b32 s1, exec_lo
	s_waitcnt lgkmcnt(0)
	s_barrier
	buffer_gl0_inv
	v_cmpx_eq_u32_e32 17, v0
	s_cbranch_execz .LBB55_89
; %bb.87:
	v_mov_b32_e32 v150, v82
	v_mov_b32_e32 v151, v83
	;; [unrolled: 1-line block ×18, first 2 shown]
	ds_write_b64 v1, v[68:69]
	ds_write2_b64 v170, v[150:151], v[152:153] offset0:18 offset1:19
	ds_write2_b64 v170, v[154:155], v[156:157] offset0:20 offset1:21
	;; [unrolled: 1-line block ×5, first 2 shown]
	ds_read_b64 v[150:151], v1
	s_waitcnt lgkmcnt(0)
	v_cmp_neq_f64_e32 vcc_lo, 0, v[150:151]
	s_and_b32 exec_lo, exec_lo, vcc_lo
	s_cbranch_execz .LBB55_89
; %bb.88:
	v_div_scale_f64 v[152:153], null, v[150:151], v[150:151], 1.0
	v_rcp_f64_e32 v[154:155], v[152:153]
	v_fma_f64 v[156:157], -v[152:153], v[154:155], 1.0
	v_fma_f64 v[154:155], v[154:155], v[156:157], v[154:155]
	v_fma_f64 v[156:157], -v[152:153], v[154:155], 1.0
	v_fma_f64 v[154:155], v[154:155], v[156:157], v[154:155]
	v_div_scale_f64 v[156:157], vcc_lo, 1.0, v[150:151], 1.0
	v_mul_f64 v[158:159], v[156:157], v[154:155]
	v_fma_f64 v[152:153], -v[152:153], v[158:159], v[156:157]
	v_div_fmas_f64 v[152:153], v[152:153], v[154:155], v[158:159]
	v_div_fixup_f64 v[150:151], v[152:153], v[150:151], 1.0
	ds_write_b64 v1, v[150:151]
.LBB55_89:
	s_or_b32 exec_lo, exec_lo, s1
	s_waitcnt lgkmcnt(0)
	s_barrier
	buffer_gl0_inv
	ds_read_b64 v[150:151], v1
	s_mov_b32 s1, exec_lo
	v_cmpx_lt_u32_e32 17, v0
	s_cbranch_execz .LBB55_91
; %bb.90:
	s_waitcnt lgkmcnt(0)
	v_mul_f64 v[68:69], v[150:151], v[68:69]
	ds_read2_b64 v[152:155], v170 offset0:18 offset1:19
	ds_read2_b64 v[156:159], v170 offset0:20 offset1:21
	;; [unrolled: 1-line block ×5, first 2 shown]
	s_waitcnt lgkmcnt(4)
	v_fma_f64 v[82:83], -v[68:69], v[152:153], v[82:83]
	v_fma_f64 v[62:63], -v[68:69], v[154:155], v[62:63]
	s_waitcnt lgkmcnt(3)
	v_fma_f64 v[66:67], -v[68:69], v[156:157], v[66:67]
	v_fma_f64 v[60:61], -v[68:69], v[158:159], v[60:61]
	;; [unrolled: 3-line block ×5, first 2 shown]
.LBB55_91:
	s_or_b32 exec_lo, exec_lo, s1
	s_mov_b32 s1, exec_lo
	s_waitcnt lgkmcnt(0)
	s_barrier
	buffer_gl0_inv
	v_cmpx_eq_u32_e32 18, v0
	s_cbranch_execz .LBB55_94
; %bb.92:
	ds_write_b64 v1, v[82:83]
	ds_write2_b64 v170, v[62:63], v[66:67] offset0:19 offset1:20
	ds_write2_b64 v170, v[60:61], v[64:65] offset0:21 offset1:22
	;; [unrolled: 1-line block ×4, first 2 shown]
	ds_write_b64 v170, v[106:107] offset:216
	ds_read_b64 v[152:153], v1
	s_waitcnt lgkmcnt(0)
	v_cmp_neq_f64_e32 vcc_lo, 0, v[152:153]
	s_and_b32 exec_lo, exec_lo, vcc_lo
	s_cbranch_execz .LBB55_94
; %bb.93:
	v_div_scale_f64 v[154:155], null, v[152:153], v[152:153], 1.0
	v_rcp_f64_e32 v[156:157], v[154:155]
	v_fma_f64 v[158:159], -v[154:155], v[156:157], 1.0
	v_fma_f64 v[156:157], v[156:157], v[158:159], v[156:157]
	v_fma_f64 v[158:159], -v[154:155], v[156:157], 1.0
	v_fma_f64 v[156:157], v[156:157], v[158:159], v[156:157]
	v_div_scale_f64 v[158:159], vcc_lo, 1.0, v[152:153], 1.0
	v_mul_f64 v[160:161], v[158:159], v[156:157]
	v_fma_f64 v[154:155], -v[154:155], v[160:161], v[158:159]
	v_div_fmas_f64 v[154:155], v[154:155], v[156:157], v[160:161]
	v_div_fixup_f64 v[152:153], v[154:155], v[152:153], 1.0
	ds_write_b64 v1, v[152:153]
.LBB55_94:
	s_or_b32 exec_lo, exec_lo, s1
	s_waitcnt lgkmcnt(0)
	s_barrier
	buffer_gl0_inv
	ds_read_b64 v[152:153], v1
	s_mov_b32 s1, exec_lo
	v_cmpx_lt_u32_e32 18, v0
	s_cbranch_execz .LBB55_96
; %bb.95:
	s_waitcnt lgkmcnt(0)
	v_mul_f64 v[82:83], v[152:153], v[82:83]
	ds_read2_b64 v[154:157], v170 offset0:19 offset1:20
	ds_read2_b64 v[158:161], v170 offset0:21 offset1:22
	;; [unrolled: 1-line block ×4, first 2 shown]
	ds_read_b64 v[171:172], v170 offset:216
	s_waitcnt lgkmcnt(4)
	v_fma_f64 v[62:63], -v[82:83], v[154:155], v[62:63]
	v_fma_f64 v[66:67], -v[82:83], v[156:157], v[66:67]
	s_waitcnt lgkmcnt(3)
	v_fma_f64 v[60:61], -v[82:83], v[158:159], v[60:61]
	v_fma_f64 v[64:65], -v[82:83], v[160:161], v[64:65]
	;; [unrolled: 3-line block ×4, first 2 shown]
	s_waitcnt lgkmcnt(0)
	v_fma_f64 v[106:107], -v[82:83], v[171:172], v[106:107]
.LBB55_96:
	s_or_b32 exec_lo, exec_lo, s1
	s_mov_b32 s1, exec_lo
	s_waitcnt lgkmcnt(0)
	s_barrier
	buffer_gl0_inv
	v_cmpx_eq_u32_e32 19, v0
	s_cbranch_execz .LBB55_99
; %bb.97:
	v_mov_b32_e32 v154, v66
	v_mov_b32_e32 v155, v67
	v_mov_b32_e32 v156, v60
	v_mov_b32_e32 v157, v61
	v_mov_b32_e32 v158, v64
	v_mov_b32_e32 v159, v65
	v_mov_b32_e32 v160, v58
	v_mov_b32_e32 v161, v59
	v_mov_b32_e32 v162, v104
	v_mov_b32_e32 v163, v105
	v_mov_b32_e32 v164, v100
	v_mov_b32_e32 v165, v101
	v_mov_b32_e32 v166, v102
	v_mov_b32_e32 v167, v103
	ds_write_b64 v1, v[62:63]
	ds_write2_b64 v170, v[154:155], v[156:157] offset0:20 offset1:21
	ds_write2_b64 v170, v[158:159], v[160:161] offset0:22 offset1:23
	;; [unrolled: 1-line block ×4, first 2 shown]
	ds_read_b64 v[154:155], v1
	s_waitcnt lgkmcnt(0)
	v_cmp_neq_f64_e32 vcc_lo, 0, v[154:155]
	s_and_b32 exec_lo, exec_lo, vcc_lo
	s_cbranch_execz .LBB55_99
; %bb.98:
	v_div_scale_f64 v[156:157], null, v[154:155], v[154:155], 1.0
	v_rcp_f64_e32 v[158:159], v[156:157]
	v_fma_f64 v[160:161], -v[156:157], v[158:159], 1.0
	v_fma_f64 v[158:159], v[158:159], v[160:161], v[158:159]
	v_fma_f64 v[160:161], -v[156:157], v[158:159], 1.0
	v_fma_f64 v[158:159], v[158:159], v[160:161], v[158:159]
	v_div_scale_f64 v[160:161], vcc_lo, 1.0, v[154:155], 1.0
	v_mul_f64 v[162:163], v[160:161], v[158:159]
	v_fma_f64 v[156:157], -v[156:157], v[162:163], v[160:161]
	v_div_fmas_f64 v[156:157], v[156:157], v[158:159], v[162:163]
	v_div_fixup_f64 v[154:155], v[156:157], v[154:155], 1.0
	ds_write_b64 v1, v[154:155]
.LBB55_99:
	s_or_b32 exec_lo, exec_lo, s1
	s_waitcnt lgkmcnt(0)
	s_barrier
	buffer_gl0_inv
	ds_read_b64 v[154:155], v1
	s_mov_b32 s1, exec_lo
	v_cmpx_lt_u32_e32 19, v0
	s_cbranch_execz .LBB55_101
; %bb.100:
	s_waitcnt lgkmcnt(0)
	v_mul_f64 v[62:63], v[154:155], v[62:63]
	ds_read2_b64 v[156:159], v170 offset0:20 offset1:21
	ds_read2_b64 v[160:163], v170 offset0:22 offset1:23
	;; [unrolled: 1-line block ×4, first 2 shown]
	s_waitcnt lgkmcnt(3)
	v_fma_f64 v[66:67], -v[62:63], v[156:157], v[66:67]
	v_fma_f64 v[60:61], -v[62:63], v[158:159], v[60:61]
	s_waitcnt lgkmcnt(2)
	v_fma_f64 v[64:65], -v[62:63], v[160:161], v[64:65]
	v_fma_f64 v[58:59], -v[62:63], v[162:163], v[58:59]
	;; [unrolled: 3-line block ×4, first 2 shown]
.LBB55_101:
	s_or_b32 exec_lo, exec_lo, s1
	s_mov_b32 s1, exec_lo
	s_waitcnt lgkmcnt(0)
	s_barrier
	buffer_gl0_inv
	v_cmpx_eq_u32_e32 20, v0
	s_cbranch_execz .LBB55_104
; %bb.102:
	ds_write_b64 v1, v[66:67]
	ds_write2_b64 v170, v[60:61], v[64:65] offset0:21 offset1:22
	ds_write2_b64 v170, v[58:59], v[104:105] offset0:23 offset1:24
	;; [unrolled: 1-line block ×3, first 2 shown]
	ds_write_b64 v170, v[106:107] offset:216
	ds_read_b64 v[156:157], v1
	s_waitcnt lgkmcnt(0)
	v_cmp_neq_f64_e32 vcc_lo, 0, v[156:157]
	s_and_b32 exec_lo, exec_lo, vcc_lo
	s_cbranch_execz .LBB55_104
; %bb.103:
	v_div_scale_f64 v[158:159], null, v[156:157], v[156:157], 1.0
	v_rcp_f64_e32 v[160:161], v[158:159]
	v_fma_f64 v[162:163], -v[158:159], v[160:161], 1.0
	v_fma_f64 v[160:161], v[160:161], v[162:163], v[160:161]
	v_fma_f64 v[162:163], -v[158:159], v[160:161], 1.0
	v_fma_f64 v[160:161], v[160:161], v[162:163], v[160:161]
	v_div_scale_f64 v[162:163], vcc_lo, 1.0, v[156:157], 1.0
	v_mul_f64 v[164:165], v[162:163], v[160:161]
	v_fma_f64 v[158:159], -v[158:159], v[164:165], v[162:163]
	v_div_fmas_f64 v[158:159], v[158:159], v[160:161], v[164:165]
	v_div_fixup_f64 v[156:157], v[158:159], v[156:157], 1.0
	ds_write_b64 v1, v[156:157]
.LBB55_104:
	s_or_b32 exec_lo, exec_lo, s1
	s_waitcnt lgkmcnt(0)
	s_barrier
	buffer_gl0_inv
	ds_read_b64 v[156:157], v1
	s_mov_b32 s1, exec_lo
	v_cmpx_lt_u32_e32 20, v0
	s_cbranch_execz .LBB55_106
; %bb.105:
	s_waitcnt lgkmcnt(0)
	v_mul_f64 v[66:67], v[156:157], v[66:67]
	ds_read2_b64 v[158:161], v170 offset0:21 offset1:22
	ds_read2_b64 v[162:165], v170 offset0:23 offset1:24
	;; [unrolled: 1-line block ×3, first 2 shown]
	ds_read_b64 v[171:172], v170 offset:216
	s_waitcnt lgkmcnt(3)
	v_fma_f64 v[60:61], -v[66:67], v[158:159], v[60:61]
	v_fma_f64 v[64:65], -v[66:67], v[160:161], v[64:65]
	s_waitcnt lgkmcnt(2)
	v_fma_f64 v[58:59], -v[66:67], v[162:163], v[58:59]
	v_fma_f64 v[104:105], -v[66:67], v[164:165], v[104:105]
	;; [unrolled: 3-line block ×3, first 2 shown]
	s_waitcnt lgkmcnt(0)
	v_fma_f64 v[106:107], -v[66:67], v[171:172], v[106:107]
.LBB55_106:
	s_or_b32 exec_lo, exec_lo, s1
	s_mov_b32 s1, exec_lo
	s_waitcnt lgkmcnt(0)
	s_barrier
	buffer_gl0_inv
	v_cmpx_eq_u32_e32 21, v0
	s_cbranch_execz .LBB55_109
; %bb.107:
	v_mov_b32_e32 v158, v64
	v_mov_b32_e32 v159, v65
	;; [unrolled: 1-line block ×10, first 2 shown]
	ds_write_b64 v1, v[60:61]
	ds_write2_b64 v170, v[158:159], v[160:161] offset0:22 offset1:23
	ds_write2_b64 v170, v[162:163], v[164:165] offset0:24 offset1:25
	;; [unrolled: 1-line block ×3, first 2 shown]
	ds_read_b64 v[158:159], v1
	s_waitcnt lgkmcnt(0)
	v_cmp_neq_f64_e32 vcc_lo, 0, v[158:159]
	s_and_b32 exec_lo, exec_lo, vcc_lo
	s_cbranch_execz .LBB55_109
; %bb.108:
	v_div_scale_f64 v[160:161], null, v[158:159], v[158:159], 1.0
	v_rcp_f64_e32 v[162:163], v[160:161]
	v_fma_f64 v[164:165], -v[160:161], v[162:163], 1.0
	v_fma_f64 v[162:163], v[162:163], v[164:165], v[162:163]
	v_fma_f64 v[164:165], -v[160:161], v[162:163], 1.0
	v_fma_f64 v[162:163], v[162:163], v[164:165], v[162:163]
	v_div_scale_f64 v[164:165], vcc_lo, 1.0, v[158:159], 1.0
	v_mul_f64 v[166:167], v[164:165], v[162:163]
	v_fma_f64 v[160:161], -v[160:161], v[166:167], v[164:165]
	v_div_fmas_f64 v[160:161], v[160:161], v[162:163], v[166:167]
	v_div_fixup_f64 v[158:159], v[160:161], v[158:159], 1.0
	ds_write_b64 v1, v[158:159]
.LBB55_109:
	s_or_b32 exec_lo, exec_lo, s1
	s_waitcnt lgkmcnt(0)
	s_barrier
	buffer_gl0_inv
	ds_read_b64 v[158:159], v1
	s_mov_b32 s1, exec_lo
	v_cmpx_lt_u32_e32 21, v0
	s_cbranch_execz .LBB55_111
; %bb.110:
	s_waitcnt lgkmcnt(0)
	v_mul_f64 v[60:61], v[158:159], v[60:61]
	ds_read2_b64 v[160:163], v170 offset0:22 offset1:23
	ds_read2_b64 v[164:167], v170 offset0:24 offset1:25
	;; [unrolled: 1-line block ×3, first 2 shown]
	s_waitcnt lgkmcnt(2)
	v_fma_f64 v[64:65], -v[60:61], v[160:161], v[64:65]
	v_fma_f64 v[58:59], -v[60:61], v[162:163], v[58:59]
	s_waitcnt lgkmcnt(1)
	v_fma_f64 v[104:105], -v[60:61], v[164:165], v[104:105]
	v_fma_f64 v[100:101], -v[60:61], v[166:167], v[100:101]
	;; [unrolled: 3-line block ×3, first 2 shown]
.LBB55_111:
	s_or_b32 exec_lo, exec_lo, s1
	s_mov_b32 s1, exec_lo
	s_waitcnt lgkmcnt(0)
	s_barrier
	buffer_gl0_inv
	v_cmpx_eq_u32_e32 22, v0
	s_cbranch_execz .LBB55_114
; %bb.112:
	ds_write_b64 v1, v[64:65]
	ds_write2_b64 v170, v[58:59], v[104:105] offset0:23 offset1:24
	ds_write2_b64 v170, v[100:101], v[102:103] offset0:25 offset1:26
	ds_write_b64 v170, v[106:107] offset:216
	ds_read_b64 v[160:161], v1
	s_waitcnt lgkmcnt(0)
	v_cmp_neq_f64_e32 vcc_lo, 0, v[160:161]
	s_and_b32 exec_lo, exec_lo, vcc_lo
	s_cbranch_execz .LBB55_114
; %bb.113:
	v_div_scale_f64 v[162:163], null, v[160:161], v[160:161], 1.0
	v_rcp_f64_e32 v[164:165], v[162:163]
	v_fma_f64 v[166:167], -v[162:163], v[164:165], 1.0
	v_fma_f64 v[164:165], v[164:165], v[166:167], v[164:165]
	v_fma_f64 v[166:167], -v[162:163], v[164:165], 1.0
	v_fma_f64 v[164:165], v[164:165], v[166:167], v[164:165]
	v_div_scale_f64 v[166:167], vcc_lo, 1.0, v[160:161], 1.0
	v_mul_f64 v[168:169], v[166:167], v[164:165]
	v_fma_f64 v[162:163], -v[162:163], v[168:169], v[166:167]
	v_div_fmas_f64 v[162:163], v[162:163], v[164:165], v[168:169]
	v_div_fixup_f64 v[160:161], v[162:163], v[160:161], 1.0
	ds_write_b64 v1, v[160:161]
.LBB55_114:
	s_or_b32 exec_lo, exec_lo, s1
	s_waitcnt lgkmcnt(0)
	s_barrier
	buffer_gl0_inv
	ds_read_b64 v[160:161], v1
	s_mov_b32 s1, exec_lo
	v_cmpx_lt_u32_e32 22, v0
	s_cbranch_execz .LBB55_116
; %bb.115:
	s_waitcnt lgkmcnt(0)
	v_mul_f64 v[64:65], v[160:161], v[64:65]
	ds_read2_b64 v[162:165], v170 offset0:23 offset1:24
	ds_read2_b64 v[166:169], v170 offset0:25 offset1:26
	ds_read_b64 v[171:172], v170 offset:216
	s_waitcnt lgkmcnt(2)
	v_fma_f64 v[58:59], -v[64:65], v[162:163], v[58:59]
	v_fma_f64 v[104:105], -v[64:65], v[164:165], v[104:105]
	s_waitcnt lgkmcnt(1)
	v_fma_f64 v[100:101], -v[64:65], v[166:167], v[100:101]
	v_fma_f64 v[102:103], -v[64:65], v[168:169], v[102:103]
	s_waitcnt lgkmcnt(0)
	v_fma_f64 v[106:107], -v[64:65], v[171:172], v[106:107]
.LBB55_116:
	s_or_b32 exec_lo, exec_lo, s1
	s_mov_b32 s1, exec_lo
	s_waitcnt lgkmcnt(0)
	s_barrier
	buffer_gl0_inv
	v_cmpx_eq_u32_e32 23, v0
	s_cbranch_execz .LBB55_119
; %bb.117:
	v_mov_b32_e32 v162, v104
	v_mov_b32_e32 v163, v105
	;; [unrolled: 1-line block ×6, first 2 shown]
	ds_write_b64 v1, v[58:59]
	ds_write2_b64 v170, v[162:163], v[164:165] offset0:24 offset1:25
	ds_write2_b64 v170, v[166:167], v[106:107] offset0:26 offset1:27
	ds_read_b64 v[162:163], v1
	s_waitcnt lgkmcnt(0)
	v_cmp_neq_f64_e32 vcc_lo, 0, v[162:163]
	s_and_b32 exec_lo, exec_lo, vcc_lo
	s_cbranch_execz .LBB55_119
; %bb.118:
	v_div_scale_f64 v[164:165], null, v[162:163], v[162:163], 1.0
	v_rcp_f64_e32 v[166:167], v[164:165]
	v_fma_f64 v[168:169], -v[164:165], v[166:167], 1.0
	v_fma_f64 v[166:167], v[166:167], v[168:169], v[166:167]
	v_fma_f64 v[168:169], -v[164:165], v[166:167], 1.0
	v_fma_f64 v[166:167], v[166:167], v[168:169], v[166:167]
	v_div_scale_f64 v[168:169], vcc_lo, 1.0, v[162:163], 1.0
	v_mul_f64 v[171:172], v[168:169], v[166:167]
	v_fma_f64 v[164:165], -v[164:165], v[171:172], v[168:169]
	v_div_fmas_f64 v[164:165], v[164:165], v[166:167], v[171:172]
	v_div_fixup_f64 v[162:163], v[164:165], v[162:163], 1.0
	ds_write_b64 v1, v[162:163]
.LBB55_119:
	s_or_b32 exec_lo, exec_lo, s1
	s_waitcnt lgkmcnt(0)
	s_barrier
	buffer_gl0_inv
	ds_read_b64 v[162:163], v1
	s_mov_b32 s1, exec_lo
	v_cmpx_lt_u32_e32 23, v0
	s_cbranch_execz .LBB55_121
; %bb.120:
	s_waitcnt lgkmcnt(0)
	v_mul_f64 v[58:59], v[162:163], v[58:59]
	ds_read2_b64 v[164:167], v170 offset0:24 offset1:25
	ds_read2_b64 v[171:174], v170 offset0:26 offset1:27
	s_waitcnt lgkmcnt(1)
	v_fma_f64 v[104:105], -v[58:59], v[164:165], v[104:105]
	v_fma_f64 v[100:101], -v[58:59], v[166:167], v[100:101]
	s_waitcnt lgkmcnt(0)
	v_fma_f64 v[102:103], -v[58:59], v[171:172], v[102:103]
	v_fma_f64 v[106:107], -v[58:59], v[173:174], v[106:107]
.LBB55_121:
	s_or_b32 exec_lo, exec_lo, s1
	s_mov_b32 s1, exec_lo
	s_waitcnt lgkmcnt(0)
	s_barrier
	buffer_gl0_inv
	v_cmpx_eq_u32_e32 24, v0
	s_cbranch_execz .LBB55_124
; %bb.122:
	ds_write_b64 v1, v[104:105]
	ds_write2_b64 v170, v[100:101], v[102:103] offset0:25 offset1:26
	ds_write_b64 v170, v[106:107] offset:216
	ds_read_b64 v[164:165], v1
	s_waitcnt lgkmcnt(0)
	v_cmp_neq_f64_e32 vcc_lo, 0, v[164:165]
	s_and_b32 exec_lo, exec_lo, vcc_lo
	s_cbranch_execz .LBB55_124
; %bb.123:
	v_div_scale_f64 v[166:167], null, v[164:165], v[164:165], 1.0
	v_rcp_f64_e32 v[168:169], v[166:167]
	v_fma_f64 v[171:172], -v[166:167], v[168:169], 1.0
	v_fma_f64 v[168:169], v[168:169], v[171:172], v[168:169]
	v_fma_f64 v[171:172], -v[166:167], v[168:169], 1.0
	v_fma_f64 v[168:169], v[168:169], v[171:172], v[168:169]
	v_div_scale_f64 v[171:172], vcc_lo, 1.0, v[164:165], 1.0
	v_mul_f64 v[173:174], v[171:172], v[168:169]
	v_fma_f64 v[166:167], -v[166:167], v[173:174], v[171:172]
	v_div_fmas_f64 v[166:167], v[166:167], v[168:169], v[173:174]
	v_div_fixup_f64 v[164:165], v[166:167], v[164:165], 1.0
	ds_write_b64 v1, v[164:165]
.LBB55_124:
	s_or_b32 exec_lo, exec_lo, s1
	s_waitcnt lgkmcnt(0)
	s_barrier
	buffer_gl0_inv
	ds_read_b64 v[164:165], v1
	s_mov_b32 s1, exec_lo
	v_cmpx_lt_u32_e32 24, v0
	s_cbranch_execz .LBB55_126
; %bb.125:
	s_waitcnt lgkmcnt(0)
	v_mul_f64 v[104:105], v[164:165], v[104:105]
	ds_read2_b64 v[166:169], v170 offset0:25 offset1:26
	ds_read_b64 v[171:172], v170 offset:216
	s_waitcnt lgkmcnt(1)
	v_fma_f64 v[100:101], -v[104:105], v[166:167], v[100:101]
	v_fma_f64 v[102:103], -v[104:105], v[168:169], v[102:103]
	s_waitcnt lgkmcnt(0)
	v_fma_f64 v[106:107], -v[104:105], v[171:172], v[106:107]
.LBB55_126:
	s_or_b32 exec_lo, exec_lo, s1
	s_mov_b32 s1, exec_lo
	s_waitcnt lgkmcnt(0)
	s_barrier
	buffer_gl0_inv
	v_cmpx_eq_u32_e32 25, v0
	s_cbranch_execz .LBB55_129
; %bb.127:
	v_mov_b32_e32 v166, v102
	v_mov_b32_e32 v167, v103
	ds_write_b64 v1, v[100:101]
	ds_write2_b64 v170, v[166:167], v[106:107] offset0:26 offset1:27
	ds_read_b64 v[166:167], v1
	s_waitcnt lgkmcnt(0)
	v_cmp_neq_f64_e32 vcc_lo, 0, v[166:167]
	s_and_b32 exec_lo, exec_lo, vcc_lo
	s_cbranch_execz .LBB55_129
; %bb.128:
	v_div_scale_f64 v[168:169], null, v[166:167], v[166:167], 1.0
	v_rcp_f64_e32 v[171:172], v[168:169]
	v_fma_f64 v[173:174], -v[168:169], v[171:172], 1.0
	v_fma_f64 v[171:172], v[171:172], v[173:174], v[171:172]
	v_fma_f64 v[173:174], -v[168:169], v[171:172], 1.0
	v_fma_f64 v[171:172], v[171:172], v[173:174], v[171:172]
	v_div_scale_f64 v[173:174], vcc_lo, 1.0, v[166:167], 1.0
	v_mul_f64 v[175:176], v[173:174], v[171:172]
	v_fma_f64 v[168:169], -v[168:169], v[175:176], v[173:174]
	v_div_fmas_f64 v[168:169], v[168:169], v[171:172], v[175:176]
	v_div_fixup_f64 v[166:167], v[168:169], v[166:167], 1.0
	ds_write_b64 v1, v[166:167]
.LBB55_129:
	s_or_b32 exec_lo, exec_lo, s1
	s_waitcnt lgkmcnt(0)
	s_barrier
	buffer_gl0_inv
	ds_read_b64 v[166:167], v1
	s_mov_b32 s1, exec_lo
	v_cmpx_lt_u32_e32 25, v0
	s_cbranch_execz .LBB55_131
; %bb.130:
	s_waitcnt lgkmcnt(0)
	v_mul_f64 v[100:101], v[166:167], v[100:101]
	ds_read2_b64 v[171:174], v170 offset0:26 offset1:27
	s_waitcnt lgkmcnt(0)
	v_fma_f64 v[102:103], -v[100:101], v[171:172], v[102:103]
	v_fma_f64 v[106:107], -v[100:101], v[173:174], v[106:107]
.LBB55_131:
	s_or_b32 exec_lo, exec_lo, s1
	s_mov_b32 s1, exec_lo
	s_waitcnt lgkmcnt(0)
	s_barrier
	buffer_gl0_inv
	v_cmpx_eq_u32_e32 26, v0
	s_cbranch_execz .LBB55_134
; %bb.132:
	ds_write_b64 v1, v[102:103]
	ds_write_b64 v170, v[106:107] offset:216
	ds_read_b64 v[168:169], v1
	s_waitcnt lgkmcnt(0)
	v_cmp_neq_f64_e32 vcc_lo, 0, v[168:169]
	s_and_b32 exec_lo, exec_lo, vcc_lo
	s_cbranch_execz .LBB55_134
; %bb.133:
	v_div_scale_f64 v[171:172], null, v[168:169], v[168:169], 1.0
	v_rcp_f64_e32 v[173:174], v[171:172]
	v_fma_f64 v[175:176], -v[171:172], v[173:174], 1.0
	v_fma_f64 v[173:174], v[173:174], v[175:176], v[173:174]
	v_fma_f64 v[175:176], -v[171:172], v[173:174], 1.0
	v_fma_f64 v[173:174], v[173:174], v[175:176], v[173:174]
	v_div_scale_f64 v[175:176], vcc_lo, 1.0, v[168:169], 1.0
	v_mul_f64 v[177:178], v[175:176], v[173:174]
	v_fma_f64 v[171:172], -v[171:172], v[177:178], v[175:176]
	v_div_fmas_f64 v[171:172], v[171:172], v[173:174], v[177:178]
	v_div_fixup_f64 v[168:169], v[171:172], v[168:169], 1.0
	ds_write_b64 v1, v[168:169]
.LBB55_134:
	s_or_b32 exec_lo, exec_lo, s1
	s_waitcnt lgkmcnt(0)
	s_barrier
	buffer_gl0_inv
	ds_read_b64 v[168:169], v1
	s_mov_b32 s1, exec_lo
	v_cmpx_lt_u32_e32 26, v0
	s_cbranch_execz .LBB55_136
; %bb.135:
	s_waitcnt lgkmcnt(0)
	v_mul_f64 v[102:103], v[168:169], v[102:103]
	ds_read_b64 v[170:171], v170 offset:216
	s_waitcnt lgkmcnt(0)
	v_fma_f64 v[106:107], -v[102:103], v[170:171], v[106:107]
.LBB55_136:
	s_or_b32 exec_lo, exec_lo, s1
	s_mov_b32 s1, exec_lo
	s_waitcnt lgkmcnt(0)
	s_barrier
	buffer_gl0_inv
	v_cmpx_eq_u32_e32 27, v0
	s_cbranch_execz .LBB55_139
; %bb.137:
	v_cmp_neq_f64_e32 vcc_lo, 0, v[106:107]
	ds_write_b64 v1, v[106:107]
	s_and_b32 exec_lo, exec_lo, vcc_lo
	s_cbranch_execz .LBB55_139
; %bb.138:
	v_div_scale_f64 v[170:171], null, v[106:107], v[106:107], 1.0
	v_rcp_f64_e32 v[172:173], v[170:171]
	v_fma_f64 v[174:175], -v[170:171], v[172:173], 1.0
	v_fma_f64 v[172:173], v[172:173], v[174:175], v[172:173]
	v_fma_f64 v[174:175], -v[170:171], v[172:173], 1.0
	v_fma_f64 v[172:173], v[172:173], v[174:175], v[172:173]
	v_div_scale_f64 v[174:175], vcc_lo, 1.0, v[106:107], 1.0
	v_mul_f64 v[176:177], v[174:175], v[172:173]
	v_fma_f64 v[170:171], -v[170:171], v[176:177], v[174:175]
	v_div_fmas_f64 v[170:171], v[170:171], v[172:173], v[176:177]
	v_div_fixup_f64 v[170:171], v[170:171], v[106:107], 1.0
	ds_write_b64 v1, v[170:171]
.LBB55_139:
	s_or_b32 exec_lo, exec_lo, s1
	s_waitcnt lgkmcnt(0)
	s_barrier
	buffer_gl0_inv
	ds_read_b64 v[170:171], v1
	s_waitcnt lgkmcnt(0)
	s_barrier
	buffer_gl0_inv
	s_and_saveexec_b32 s3, s0
	s_cbranch_execz .LBB55_142
; %bb.140:
	s_load_dwordx2 s[0:1], s[4:5], 0x28
	v_lshlrev_b64 v[1:2], 2, v[2:3]
	v_cmp_eq_f64_e64 s2, 0, v[122:123]
	s_waitcnt lgkmcnt(0)
	v_add_co_u32 v1, vcc_lo, s0, v1
	v_add_co_ci_u32_e64 v2, null, s1, v2, vcc_lo
	v_cmp_eq_f64_e32 vcc_lo, 0, v[116:117]
	v_cmp_neq_f64_e64 s0, 0, v[118:119]
	v_cmp_eq_f64_e64 s1, 0, v[120:121]
	global_load_dword v172, v[1:2], off
	v_cndmask_b32_e64 v3, 0, 1, vcc_lo
	s_or_b32 vcc_lo, s0, vcc_lo
	v_cmp_eq_f64_e64 s0, 0, v[124:125]
	v_cndmask_b32_e32 v3, 2, v3, vcc_lo
	v_cmp_eq_u32_e32 vcc_lo, 0, v3
	s_and_b32 s1, s1, vcc_lo
	v_cndmask_b32_e64 v3, v3, 3, s1
	v_cmp_eq_f64_e64 s1, 0, v[126:127]
	v_cmp_eq_u32_e32 vcc_lo, 0, v3
	s_and_b32 s2, s2, vcc_lo
	v_cndmask_b32_e64 v3, v3, 4, s2
	v_cmp_eq_f64_e64 s2, 0, v[128:129]
	;; [unrolled: 4-line block ×23, first 2 shown]
	v_cmp_eq_u32_e32 vcc_lo, 0, v3
	s_and_b32 s0, s0, vcc_lo
	v_cndmask_b32_e64 v3, v3, 26, s0
	v_cmp_eq_u32_e32 vcc_lo, 0, v3
	s_and_b32 s0, s1, vcc_lo
	v_cndmask_b32_e64 v3, v3, 27, s0
	v_cmp_eq_u32_e32 vcc_lo, 0, v3
	s_and_b32 s0, s2, vcc_lo
	s_waitcnt vmcnt(0)
	v_cmp_eq_u32_e32 vcc_lo, 0, v172
	v_cndmask_b32_e64 v3, v3, 28, s0
	v_cmp_ne_u32_e64 s0, 0, v3
	s_and_b32 s0, vcc_lo, s0
	s_and_b32 exec_lo, exec_lo, s0
	s_cbranch_execz .LBB55_142
; %bb.141:
	v_add_nc_u32_e32 v3, s9, v3
	global_store_dword v[1:2], v3, off
.LBB55_142:
	s_or_b32 exec_lo, exec_lo, s3
	v_mul_f64 v[1:2], v[170:171], v[106:107]
	v_cmp_lt_u32_e32 vcc_lo, 27, v0
	flat_store_dwordx2 v[56:57], v[108:109]
	flat_store_dwordx2 v[98:99], v[112:113]
	;; [unrolled: 1-line block ×19, first 2 shown]
	v_cndmask_b32_e32 v2, v107, v2, vcc_lo
	v_cndmask_b32_e32 v1, v106, v1, vcc_lo
	flat_store_dwordx2 v[36:37], v[62:63]
	flat_store_dwordx2 v[40:41], v[66:67]
	;; [unrolled: 1-line block ×9, first 2 shown]
.LBB55_143:
	s_endpgm
	.section	.rodata,"a",@progbits
	.p2align	6, 0x0
	.amdhsa_kernel _ZN9rocsolver6v33100L23getf2_npvt_small_kernelILi28EdiiPKPdEEvT1_T3_lS5_lPT2_S5_S5_
		.amdhsa_group_segment_fixed_size 0
		.amdhsa_private_segment_fixed_size 0
		.amdhsa_kernarg_size 312
		.amdhsa_user_sgpr_count 6
		.amdhsa_user_sgpr_private_segment_buffer 1
		.amdhsa_user_sgpr_dispatch_ptr 0
		.amdhsa_user_sgpr_queue_ptr 0
		.amdhsa_user_sgpr_kernarg_segment_ptr 1
		.amdhsa_user_sgpr_dispatch_id 0
		.amdhsa_user_sgpr_flat_scratch_init 0
		.amdhsa_user_sgpr_private_segment_size 0
		.amdhsa_wavefront_size32 1
		.amdhsa_uses_dynamic_stack 0
		.amdhsa_system_sgpr_private_segment_wavefront_offset 0
		.amdhsa_system_sgpr_workgroup_id_x 1
		.amdhsa_system_sgpr_workgroup_id_y 1
		.amdhsa_system_sgpr_workgroup_id_z 0
		.amdhsa_system_sgpr_workgroup_info 0
		.amdhsa_system_vgpr_workitem_id 1
		.amdhsa_next_free_vgpr 179
		.amdhsa_next_free_sgpr 11
		.amdhsa_reserve_vcc 1
		.amdhsa_reserve_flat_scratch 1
		.amdhsa_float_round_mode_32 0
		.amdhsa_float_round_mode_16_64 0
		.amdhsa_float_denorm_mode_32 3
		.amdhsa_float_denorm_mode_16_64 3
		.amdhsa_dx10_clamp 1
		.amdhsa_ieee_mode 1
		.amdhsa_fp16_overflow 0
		.amdhsa_workgroup_processor_mode 1
		.amdhsa_memory_ordered 1
		.amdhsa_forward_progress 1
		.amdhsa_shared_vgpr_count 0
		.amdhsa_exception_fp_ieee_invalid_op 0
		.amdhsa_exception_fp_denorm_src 0
		.amdhsa_exception_fp_ieee_div_zero 0
		.amdhsa_exception_fp_ieee_overflow 0
		.amdhsa_exception_fp_ieee_underflow 0
		.amdhsa_exception_fp_ieee_inexact 0
		.amdhsa_exception_int_div_zero 0
	.end_amdhsa_kernel
	.section	.text._ZN9rocsolver6v33100L23getf2_npvt_small_kernelILi28EdiiPKPdEEvT1_T3_lS5_lPT2_S5_S5_,"axG",@progbits,_ZN9rocsolver6v33100L23getf2_npvt_small_kernelILi28EdiiPKPdEEvT1_T3_lS5_lPT2_S5_S5_,comdat
.Lfunc_end55:
	.size	_ZN9rocsolver6v33100L23getf2_npvt_small_kernelILi28EdiiPKPdEEvT1_T3_lS5_lPT2_S5_S5_, .Lfunc_end55-_ZN9rocsolver6v33100L23getf2_npvt_small_kernelILi28EdiiPKPdEEvT1_T3_lS5_lPT2_S5_S5_
                                        ; -- End function
	.set _ZN9rocsolver6v33100L23getf2_npvt_small_kernelILi28EdiiPKPdEEvT1_T3_lS5_lPT2_S5_S5_.num_vgpr, 179
	.set _ZN9rocsolver6v33100L23getf2_npvt_small_kernelILi28EdiiPKPdEEvT1_T3_lS5_lPT2_S5_S5_.num_agpr, 0
	.set _ZN9rocsolver6v33100L23getf2_npvt_small_kernelILi28EdiiPKPdEEvT1_T3_lS5_lPT2_S5_S5_.numbered_sgpr, 11
	.set _ZN9rocsolver6v33100L23getf2_npvt_small_kernelILi28EdiiPKPdEEvT1_T3_lS5_lPT2_S5_S5_.num_named_barrier, 0
	.set _ZN9rocsolver6v33100L23getf2_npvt_small_kernelILi28EdiiPKPdEEvT1_T3_lS5_lPT2_S5_S5_.private_seg_size, 0
	.set _ZN9rocsolver6v33100L23getf2_npvt_small_kernelILi28EdiiPKPdEEvT1_T3_lS5_lPT2_S5_S5_.uses_vcc, 1
	.set _ZN9rocsolver6v33100L23getf2_npvt_small_kernelILi28EdiiPKPdEEvT1_T3_lS5_lPT2_S5_S5_.uses_flat_scratch, 1
	.set _ZN9rocsolver6v33100L23getf2_npvt_small_kernelILi28EdiiPKPdEEvT1_T3_lS5_lPT2_S5_S5_.has_dyn_sized_stack, 0
	.set _ZN9rocsolver6v33100L23getf2_npvt_small_kernelILi28EdiiPKPdEEvT1_T3_lS5_lPT2_S5_S5_.has_recursion, 0
	.set _ZN9rocsolver6v33100L23getf2_npvt_small_kernelILi28EdiiPKPdEEvT1_T3_lS5_lPT2_S5_S5_.has_indirect_call, 0
	.section	.AMDGPU.csdata,"",@progbits
; Kernel info:
; codeLenInByte = 16380
; TotalNumSgprs: 13
; NumVgprs: 179
; ScratchSize: 0
; MemoryBound: 0
; FloatMode: 240
; IeeeMode: 1
; LDSByteSize: 0 bytes/workgroup (compile time only)
; SGPRBlocks: 0
; VGPRBlocks: 22
; NumSGPRsForWavesPerEU: 13
; NumVGPRsForWavesPerEU: 179
; Occupancy: 5
; WaveLimiterHint : 1
; COMPUTE_PGM_RSRC2:SCRATCH_EN: 0
; COMPUTE_PGM_RSRC2:USER_SGPR: 6
; COMPUTE_PGM_RSRC2:TRAP_HANDLER: 0
; COMPUTE_PGM_RSRC2:TGID_X_EN: 1
; COMPUTE_PGM_RSRC2:TGID_Y_EN: 1
; COMPUTE_PGM_RSRC2:TGID_Z_EN: 0
; COMPUTE_PGM_RSRC2:TIDIG_COMP_CNT: 1
	.section	.text._ZN9rocsolver6v33100L18getf2_small_kernelILi29EdiiPKPdEEvT1_T3_lS5_lPS5_llPT2_S5_S5_S7_l,"axG",@progbits,_ZN9rocsolver6v33100L18getf2_small_kernelILi29EdiiPKPdEEvT1_T3_lS5_lPS5_llPT2_S5_S5_S7_l,comdat
	.globl	_ZN9rocsolver6v33100L18getf2_small_kernelILi29EdiiPKPdEEvT1_T3_lS5_lPS5_llPT2_S5_S5_S7_l ; -- Begin function _ZN9rocsolver6v33100L18getf2_small_kernelILi29EdiiPKPdEEvT1_T3_lS5_lPS5_llPT2_S5_S5_S7_l
	.p2align	8
	.type	_ZN9rocsolver6v33100L18getf2_small_kernelILi29EdiiPKPdEEvT1_T3_lS5_lPS5_llPT2_S5_S5_S7_l,@function
_ZN9rocsolver6v33100L18getf2_small_kernelILi29EdiiPKPdEEvT1_T3_lS5_lPS5_llPT2_S5_S5_S7_l: ; @_ZN9rocsolver6v33100L18getf2_small_kernelILi29EdiiPKPdEEvT1_T3_lS5_lPS5_llPT2_S5_S5_S7_l
; %bb.0:
	s_clause 0x1
	s_load_dword s0, s[4:5], 0x6c
	s_load_dwordx2 s[12:13], s[4:5], 0x48
	s_waitcnt lgkmcnt(0)
	s_lshr_b32 s0, s0, 16
	v_mad_u64_u32 v[2:3], null, s7, s0, v[1:2]
	s_mov_b32 s0, exec_lo
	v_cmpx_gt_i32_e64 s12, v2
	s_cbranch_execz .LBB56_490
; %bb.1:
	s_clause 0x1
	s_load_dwordx4 s[0:3], s[4:5], 0x8
	s_load_dwordx4 s[8:11], s[4:5], 0x50
	v_ashrrev_i32_e32 v3, 31, v2
	v_lshlrev_b64 v[4:5], 3, v[2:3]
	s_waitcnt lgkmcnt(0)
	v_add_co_u32 v4, vcc_lo, s0, v4
	v_add_co_ci_u32_e64 v5, null, s1, v5, vcc_lo
	s_cmp_eq_u64 s[8:9], 0
	s_cselect_b32 s6, -1, 0
	global_load_dwordx2 v[6:7], v[4:5], off
	v_mov_b32_e32 v4, 0
	v_mov_b32_e32 v5, 0
	s_and_b32 vcc_lo, exec_lo, s6
	s_cbranch_vccnz .LBB56_3
; %bb.2:
	v_mul_lo_u32 v8, s11, v2
	v_mul_lo_u32 v9, s10, v3
	v_mad_u64_u32 v[4:5], null, s10, v2, 0
	v_add3_u32 v5, v5, v9, v8
	v_lshlrev_b64 v[4:5], 2, v[4:5]
	v_add_co_u32 v4, vcc_lo, s8, v4
	v_add_co_ci_u32_e64 v5, null, s9, v5, vcc_lo
.LBB56_3:
	s_clause 0x1
	s_load_dword s8, s[4:5], 0x18
	s_load_dword s7, s[4:5], 0x0
	s_lshl_b64 s[0:1], s[2:3], 3
	v_lshlrev_b32_e32 v92, 3, v0
	s_waitcnt vmcnt(0)
	v_add_co_u32 v68, vcc_lo, v6, s0
	v_add_co_ci_u32_e64 v69, null, s1, v7, vcc_lo
	s_waitcnt lgkmcnt(0)
	v_add3_u32 v8, s8, s8, v0
	s_ashr_i32 s9, s8, 31
	s_max_i32 s0, s7, 29
	s_lshl_b64 s[10:11], s[8:9], 3
	v_mul_lo_u32 v1, s0, v1
	v_add_nc_u32_e32 v10, s8, v8
	v_ashrrev_i32_e32 v9, 31, v8
	s_cmp_lt_i32 s7, 2
	v_ashrrev_i32_e32 v11, 31, v10
	v_add_nc_u32_e32 v12, s8, v10
	v_lshlrev_b64 v[8:9], 3, v[8:9]
	v_lshlrev_b64 v[6:7], 3, v[10:11]
	v_add_nc_u32_e32 v10, s8, v12
	v_ashrrev_i32_e32 v13, 31, v12
	v_add_co_u32 v8, vcc_lo, v68, v8
	v_add_co_ci_u32_e64 v9, null, v69, v9, vcc_lo
	v_add_nc_u32_e32 v14, s8, v10
	v_ashrrev_i32_e32 v11, 31, v10
	v_lshlrev_b64 v[12:13], 3, v[12:13]
	v_add_co_u32 v6, vcc_lo, v68, v6
	v_add_nc_u32_e32 v16, s8, v14
	v_ashrrev_i32_e32 v15, 31, v14
	v_lshlrev_b64 v[10:11], 3, v[10:11]
	v_add_co_ci_u32_e64 v7, null, v69, v7, vcc_lo
	v_add_nc_u32_e32 v18, s8, v16
	v_ashrrev_i32_e32 v17, 31, v16
	v_lshlrev_b64 v[14:15], 3, v[14:15]
	v_add_co_u32 v12, vcc_lo, v68, v12
	v_add_nc_u32_e32 v20, s8, v18
	v_ashrrev_i32_e32 v19, 31, v18
	v_lshlrev_b64 v[16:17], 3, v[16:17]
	v_add_co_ci_u32_e64 v13, null, v69, v13, vcc_lo
	v_add_nc_u32_e32 v22, s8, v20
	v_ashrrev_i32_e32 v21, 31, v20
	v_add_co_u32 v10, vcc_lo, v68, v10
	v_lshlrev_b64 v[18:19], 3, v[18:19]
	v_add_nc_u32_e32 v24, s8, v22
	v_ashrrev_i32_e32 v23, 31, v22
	v_add_co_ci_u32_e64 v11, null, v69, v11, vcc_lo
	v_add_co_u32 v14, vcc_lo, v68, v14
	v_add_nc_u32_e32 v26, s8, v24
	v_ashrrev_i32_e32 v25, 31, v24
	v_lshlrev_b64 v[20:21], 3, v[20:21]
	v_add_co_ci_u32_e64 v15, null, v69, v15, vcc_lo
	v_add_nc_u32_e32 v28, s8, v26
	v_ashrrev_i32_e32 v27, 31, v26
	v_add_co_u32 v16, vcc_lo, v68, v16
	v_lshlrev_b64 v[22:23], 3, v[22:23]
	v_add_nc_u32_e32 v30, s8, v28
	v_ashrrev_i32_e32 v29, 31, v28
	v_add_co_ci_u32_e64 v17, null, v69, v17, vcc_lo
	v_add_co_u32 v18, vcc_lo, v68, v18
	v_add_nc_u32_e32 v32, s8, v30
	v_lshlrev_b64 v[24:25], 3, v[24:25]
	v_ashrrev_i32_e32 v31, 31, v30
	v_add_co_ci_u32_e64 v19, null, v69, v19, vcc_lo
	v_add_nc_u32_e32 v34, s8, v32
	v_add_co_u32 v20, vcc_lo, v68, v20
	v_lshlrev_b64 v[26:27], 3, v[26:27]
	v_ashrrev_i32_e32 v33, 31, v32
	v_add_co_ci_u32_e64 v21, null, v69, v21, vcc_lo
	v_add_co_u32 v22, vcc_lo, v68, v22
	v_lshlrev_b64 v[28:29], 3, v[28:29]
	v_add_co_ci_u32_e64 v23, null, v69, v23, vcc_lo
	v_add_co_u32 v24, vcc_lo, v68, v24
	v_lshlrev_b64 v[30:31], 3, v[30:31]
	v_add_nc_u32_e32 v36, s8, v34
	v_add_co_ci_u32_e64 v25, null, v69, v25, vcc_lo
	v_add_co_u32 v26, vcc_lo, v68, v26
	v_lshlrev_b64 v[32:33], 3, v[32:33]
	v_ashrrev_i32_e32 v35, 31, v34
	v_add_co_ci_u32_e64 v27, null, v69, v27, vcc_lo
	v_add_co_u32 v28, vcc_lo, v68, v28
	v_ashrrev_i32_e32 v37, 31, v36
	v_add_nc_u32_e32 v38, s8, v36
	v_add_co_ci_u32_e64 v29, null, v69, v29, vcc_lo
	v_add_co_u32 v30, vcc_lo, v68, v30
	v_lshlrev_b64 v[34:35], 3, v[34:35]
	v_add_co_ci_u32_e64 v31, null, v69, v31, vcc_lo
	v_add_co_u32 v62, vcc_lo, v68, v32
	v_add_co_ci_u32_e64 v63, null, v69, v33, vcc_lo
	v_lshlrev_b64 v[32:33], 3, v[36:37]
	v_ashrrev_i32_e32 v39, 31, v38
	v_add_nc_u32_e32 v36, s8, v38
	v_add_co_u32 v64, vcc_lo, v68, v34
	v_add_co_ci_u32_e64 v65, null, v69, v35, vcc_lo
	v_lshlrev_b64 v[34:35], 3, v[38:39]
	v_ashrrev_i32_e32 v37, 31, v36
	v_add_nc_u32_e32 v38, s8, v36
	;; [unrolled: 5-line block ×8, first 2 shown]
	v_add_co_u32 v80, vcc_lo, v68, v32
	v_add_co_ci_u32_e64 v81, null, v69, v33, vcc_lo
	v_lshlrev_b64 v[32:33], 3, v[36:37]
	v_add_nc_u32_e32 v36, s8, v38
	v_ashrrev_i32_e32 v39, 31, v38
	v_add_co_u32 v82, vcc_lo, v68, v34
	v_add_co_ci_u32_e64 v83, null, v69, v35, vcc_lo
	v_ashrrev_i32_e32 v37, 31, v36
	v_lshlrev_b64 v[34:35], 3, v[38:39]
	v_add_co_u32 v84, vcc_lo, v68, v32
	v_add_co_ci_u32_e64 v85, null, v69, v33, vcc_lo
	v_lshlrev_b64 v[32:33], 3, v[36:37]
	v_add_nc_u32_e32 v36, s8, v36
	v_add_co_u32 v86, vcc_lo, v68, v34
	v_add_co_ci_u32_e64 v87, null, v69, v35, vcc_lo
	v_ashrrev_i32_e32 v37, 31, v36
	v_add_co_u32 v88, vcc_lo, v68, v32
	v_add_co_ci_u32_e64 v89, null, v69, v33, vcc_lo
	v_add_co_u32 v34, vcc_lo, v68, v92
	v_add_co_ci_u32_e64 v35, null, 0, v69, vcc_lo
	v_lshlrev_b64 v[32:33], 3, v[36:37]
	v_add_co_u32 v36, vcc_lo, v34, s10
	v_add_co_ci_u32_e64 v37, null, s11, v35, vcc_lo
	v_add_co_u32 v90, vcc_lo, v68, v32
	v_add_co_ci_u32_e64 v91, null, v69, v33, vcc_lo
	s_clause 0x1c
	flat_load_dwordx2 v[60:61], v[34:35]
	flat_load_dwordx2 v[58:59], v[36:37]
	;; [unrolled: 1-line block ×29, first 2 shown]
	v_lshl_add_u32 v70, v1, 3, 0
	v_lshlrev_b32_e32 v71, 3, v1
	v_mov_b32_e32 v66, 0
	v_add_nc_u32_e32 v64, v70, v92
	s_waitcnt vmcnt(28) lgkmcnt(28)
	ds_write_b64 v64, v[60:61]
	s_waitcnt vmcnt(0) lgkmcnt(0)
	s_barrier
	buffer_gl0_inv
	ds_read_b64 v[64:65], v70
	s_cbranch_scc1 .LBB56_6
; %bb.4:
	v_add3_u32 v1, v71, 0, 8
	v_mov_b32_e32 v66, 0
	s_mov_b32 s0, 1
.LBB56_5:                               ; =>This Inner Loop Header: Depth=1
	ds_read_b64 v[72:73], v1
	v_add_nc_u32_e32 v1, 8, v1
	s_waitcnt lgkmcnt(0)
	v_cmp_lt_f64_e64 vcc_lo, |v[64:65]|, |v[72:73]|
	v_cndmask_b32_e32 v65, v65, v73, vcc_lo
	v_cndmask_b32_e32 v64, v64, v72, vcc_lo
	v_cndmask_b32_e64 v66, v66, s0, vcc_lo
	s_add_i32 s0, s0, 1
	s_cmp_eq_u32 s7, s0
	s_cbranch_scc0 .LBB56_5
.LBB56_6:
	s_mov_b32 s0, exec_lo
                                        ; implicit-def: $vgpr73
	v_cmpx_ne_u32_e64 v0, v66
	s_xor_b32 s0, exec_lo, s0
	s_cbranch_execz .LBB56_12
; %bb.7:
	s_mov_b32 s1, exec_lo
	v_cmpx_eq_u32_e32 0, v0
	s_cbranch_execz .LBB56_11
; %bb.8:
	v_cmp_ne_u32_e32 vcc_lo, 0, v66
	s_xor_b32 s2, s6, -1
	s_and_b32 s3, s2, vcc_lo
	s_and_saveexec_b32 s2, s3
	s_cbranch_execz .LBB56_10
; %bb.9:
	v_ashrrev_i32_e32 v67, 31, v66
	v_lshlrev_b64 v[0:1], 2, v[66:67]
	v_add_co_u32 v0, vcc_lo, v4, v0
	v_add_co_ci_u32_e64 v1, null, v5, v1, vcc_lo
	s_clause 0x1
	global_load_dword v67, v[0:1], off
	global_load_dword v72, v[4:5], off
	s_waitcnt vmcnt(1)
	global_store_dword v[4:5], v67, off
	s_waitcnt vmcnt(0)
	global_store_dword v[0:1], v72, off
.LBB56_10:
	s_or_b32 exec_lo, exec_lo, s2
	v_mov_b32_e32 v0, v66
.LBB56_11:
	s_or_b32 exec_lo, exec_lo, s1
	v_mov_b32_e32 v73, v0
                                        ; implicit-def: $vgpr0
.LBB56_12:
	s_or_saveexec_b32 s0, s0
	v_mov_b32_e32 v67, v73
	s_xor_b32 exec_lo, exec_lo, s0
	s_cbranch_execz .LBB56_14
; %bb.13:
	v_mov_b32_e32 v73, 0
	v_mov_b32_e32 v67, v0
	ds_write2_b64 v70, v[58:59], v[56:57] offset0:1 offset1:2
	ds_write2_b64 v70, v[54:55], v[52:53] offset0:3 offset1:4
	;; [unrolled: 1-line block ×14, first 2 shown]
.LBB56_14:
	s_or_b32 exec_lo, exec_lo, s0
	s_waitcnt lgkmcnt(0)
	v_cmp_eq_f64_e64 s0, 0, v[64:65]
	s_mov_b32 s1, exec_lo
	s_waitcnt_vscnt null, 0x0
	s_barrier
	buffer_gl0_inv
	v_cmpx_lt_i32_e32 0, v73
	s_cbranch_execz .LBB56_16
; %bb.15:
	v_div_scale_f64 v[0:1], null, v[64:65], v[64:65], 1.0
	v_div_scale_f64 v[78:79], vcc_lo, 1.0, v[64:65], 1.0
	v_rcp_f64_e32 v[74:75], v[0:1]
	v_fma_f64 v[76:77], -v[0:1], v[74:75], 1.0
	v_fma_f64 v[74:75], v[74:75], v[76:77], v[74:75]
	v_fma_f64 v[76:77], -v[0:1], v[74:75], 1.0
	v_fma_f64 v[74:75], v[74:75], v[76:77], v[74:75]
	v_mul_f64 v[76:77], v[78:79], v[74:75]
	v_fma_f64 v[0:1], -v[0:1], v[76:77], v[78:79]
	v_div_fmas_f64 v[0:1], v[0:1], v[74:75], v[76:77]
	ds_read2_b64 v[74:77], v70 offset0:1 offset1:2
	ds_read2_b64 v[78:81], v70 offset0:3 offset1:4
	;; [unrolled: 1-line block ×14, first 2 shown]
	v_div_fixup_f64 v[0:1], v[0:1], v[64:65], 1.0
	v_cndmask_b32_e64 v1, v1, v65, s0
	v_cndmask_b32_e64 v0, v0, v64, s0
	v_mul_f64 v[60:61], v[0:1], v[60:61]
	s_waitcnt lgkmcnt(13)
	v_fma_f64 v[58:59], -v[60:61], v[74:75], v[58:59]
	v_fma_f64 v[56:57], -v[60:61], v[76:77], v[56:57]
	s_waitcnt lgkmcnt(12)
	v_fma_f64 v[54:55], -v[60:61], v[78:79], v[54:55]
	v_fma_f64 v[52:53], -v[60:61], v[80:81], v[52:53]
	s_waitcnt lgkmcnt(11)
	v_fma_f64 v[48:49], -v[60:61], v[82:83], v[48:49]
	v_fma_f64 v[50:51], -v[60:61], v[84:85], v[50:51]
	s_waitcnt lgkmcnt(10)
	v_fma_f64 v[44:45], -v[60:61], v[86:87], v[44:45]
	v_fma_f64 v[46:47], -v[60:61], v[88:89], v[46:47]
	s_waitcnt lgkmcnt(9)
	v_fma_f64 v[42:43], -v[60:61], v[90:91], v[42:43]
	v_fma_f64 v[40:41], -v[60:61], v[92:93], v[40:41]
	s_waitcnt lgkmcnt(8)
	v_fma_f64 v[38:39], -v[60:61], v[94:95], v[38:39]
	v_fma_f64 v[36:37], -v[60:61], v[96:97], v[36:37]
	s_waitcnt lgkmcnt(7)
	v_fma_f64 v[34:35], -v[60:61], v[98:99], v[34:35]
	v_fma_f64 v[32:33], -v[60:61], v[100:101], v[32:33]
	s_waitcnt lgkmcnt(6)
	v_fma_f64 v[28:29], -v[60:61], v[102:103], v[28:29]
	v_fma_f64 v[30:31], -v[60:61], v[104:105], v[30:31]
	s_waitcnt lgkmcnt(5)
	v_fma_f64 v[24:25], -v[60:61], v[106:107], v[24:25]
	v_fma_f64 v[26:27], -v[60:61], v[108:109], v[26:27]
	s_waitcnt lgkmcnt(4)
	v_fma_f64 v[22:23], -v[60:61], v[110:111], v[22:23]
	v_fma_f64 v[20:21], -v[60:61], v[112:113], v[20:21]
	s_waitcnt lgkmcnt(3)
	v_fma_f64 v[18:19], -v[60:61], v[114:115], v[18:19]
	v_fma_f64 v[16:17], -v[60:61], v[116:117], v[16:17]
	s_waitcnt lgkmcnt(2)
	v_fma_f64 v[14:15], -v[60:61], v[118:119], v[14:15]
	v_fma_f64 v[12:13], -v[60:61], v[120:121], v[12:13]
	s_waitcnt lgkmcnt(1)
	v_fma_f64 v[8:9], -v[60:61], v[122:123], v[8:9]
	v_fma_f64 v[10:11], -v[60:61], v[124:125], v[10:11]
	s_waitcnt lgkmcnt(0)
	v_fma_f64 v[6:7], -v[60:61], v[126:127], v[6:7]
	v_fma_f64 v[62:63], -v[60:61], v[128:129], v[62:63]
.LBB56_16:
	s_or_b32 exec_lo, exec_lo, s1
	v_lshl_add_u32 v0, v73, 3, v70
	s_barrier
	buffer_gl0_inv
	v_mov_b32_e32 v64, 1
	ds_write_b64 v0, v[58:59]
	s_waitcnt lgkmcnt(0)
	s_barrier
	buffer_gl0_inv
	ds_read_b64 v[0:1], v70 offset:8
	s_cmp_lt_i32 s7, 3
	s_cbranch_scc1 .LBB56_19
; %bb.17:
	v_add3_u32 v65, v71, 0, 16
	v_mov_b32_e32 v64, 1
	s_mov_b32 s1, 2
.LBB56_18:                              ; =>This Inner Loop Header: Depth=1
	ds_read_b64 v[74:75], v65
	v_add_nc_u32_e32 v65, 8, v65
	s_waitcnt lgkmcnt(0)
	v_cmp_lt_f64_e64 vcc_lo, |v[0:1]|, |v[74:75]|
	v_cndmask_b32_e32 v1, v1, v75, vcc_lo
	v_cndmask_b32_e32 v0, v0, v74, vcc_lo
	v_cndmask_b32_e64 v64, v64, s1, vcc_lo
	s_add_i32 s1, s1, 1
	s_cmp_lg_u32 s7, s1
	s_cbranch_scc1 .LBB56_18
.LBB56_19:
	s_mov_b32 s1, exec_lo
	v_cmpx_ne_u32_e64 v73, v64
	s_xor_b32 s1, exec_lo, s1
	s_cbranch_execz .LBB56_25
; %bb.20:
	s_mov_b32 s2, exec_lo
	v_cmpx_eq_u32_e32 1, v73
	s_cbranch_execz .LBB56_24
; %bb.21:
	v_cmp_ne_u32_e32 vcc_lo, 1, v64
	s_xor_b32 s3, s6, -1
	s_and_b32 s9, s3, vcc_lo
	s_and_saveexec_b32 s3, s9
	s_cbranch_execz .LBB56_23
; %bb.22:
	v_ashrrev_i32_e32 v65, 31, v64
	v_lshlrev_b64 v[65:66], 2, v[64:65]
	v_add_co_u32 v65, vcc_lo, v4, v65
	v_add_co_ci_u32_e64 v66, null, v5, v66, vcc_lo
	s_clause 0x1
	global_load_dword v67, v[65:66], off
	global_load_dword v72, v[4:5], off offset:4
	s_waitcnt vmcnt(1)
	global_store_dword v[4:5], v67, off offset:4
	s_waitcnt vmcnt(0)
	global_store_dword v[65:66], v72, off
.LBB56_23:
	s_or_b32 exec_lo, exec_lo, s3
	v_mov_b32_e32 v67, v64
	v_mov_b32_e32 v73, v64
.LBB56_24:
	s_or_b32 exec_lo, exec_lo, s2
.LBB56_25:
	s_andn2_saveexec_b32 s1, s1
	s_cbranch_execz .LBB56_27
; %bb.26:
	v_mov_b32_e32 v64, v56
	v_mov_b32_e32 v65, v57
	;; [unrolled: 1-line block ×16, first 2 shown]
	ds_write2_b64 v70, v[64:65], v[72:73] offset0:2 offset1:3
	ds_write2_b64 v70, v[74:75], v[76:77] offset0:4 offset1:5
	;; [unrolled: 1-line block ×4, first 2 shown]
	v_mov_b32_e32 v64, v40
	v_mov_b32_e32 v65, v41
	;; [unrolled: 1-line block ×20, first 2 shown]
	ds_write2_b64 v70, v[64:65], v[72:73] offset0:10 offset1:11
	ds_write2_b64 v70, v[74:75], v[76:77] offset0:12 offset1:13
	;; [unrolled: 1-line block ×5, first 2 shown]
	v_mov_b32_e32 v64, v20
	v_mov_b32_e32 v65, v21
	;; [unrolled: 1-line block ×8, first 2 shown]
	ds_write2_b64 v70, v[64:65], v[72:73] offset0:20 offset1:21
	v_mov_b32_e32 v73, 1
	v_mov_b32_e32 v78, v12
	;; [unrolled: 1-line block ×9, first 2 shown]
	ds_write2_b64 v70, v[74:75], v[76:77] offset0:22 offset1:23
	ds_write2_b64 v70, v[78:79], v[80:81] offset0:24 offset1:25
	;; [unrolled: 1-line block ×3, first 2 shown]
	ds_write_b64 v70, v[62:63] offset:224
.LBB56_27:
	s_or_b32 exec_lo, exec_lo, s1
	s_waitcnt lgkmcnt(0)
	v_cmp_neq_f64_e64 s1, 0, v[0:1]
	s_mov_b32 s2, exec_lo
	s_waitcnt_vscnt null, 0x0
	s_barrier
	buffer_gl0_inv
	v_cmpx_lt_i32_e32 1, v73
	s_cbranch_execz .LBB56_29
; %bb.28:
	v_div_scale_f64 v[64:65], null, v[0:1], v[0:1], 1.0
	v_div_scale_f64 v[78:79], vcc_lo, 1.0, v[0:1], 1.0
	v_rcp_f64_e32 v[74:75], v[64:65]
	v_fma_f64 v[76:77], -v[64:65], v[74:75], 1.0
	v_fma_f64 v[74:75], v[74:75], v[76:77], v[74:75]
	v_fma_f64 v[76:77], -v[64:65], v[74:75], 1.0
	v_fma_f64 v[74:75], v[74:75], v[76:77], v[74:75]
	v_mul_f64 v[76:77], v[78:79], v[74:75]
	v_fma_f64 v[64:65], -v[64:65], v[76:77], v[78:79]
	v_div_fmas_f64 v[64:65], v[64:65], v[74:75], v[76:77]
	v_div_fixup_f64 v[64:65], v[64:65], v[0:1], 1.0
	v_cndmask_b32_e64 v1, v1, v65, s1
	v_cndmask_b32_e64 v0, v0, v64, s1
	v_mul_f64 v[58:59], v[0:1], v[58:59]
	ds_read2_b64 v[74:77], v70 offset0:2 offset1:3
	ds_read2_b64 v[78:81], v70 offset0:4 offset1:5
	;; [unrolled: 1-line block ×13, first 2 shown]
	ds_read_b64 v[0:1], v70 offset:224
	s_waitcnt lgkmcnt(13)
	v_fma_f64 v[56:57], -v[58:59], v[74:75], v[56:57]
	v_fma_f64 v[54:55], -v[58:59], v[76:77], v[54:55]
	s_waitcnt lgkmcnt(12)
	v_fma_f64 v[52:53], -v[58:59], v[78:79], v[52:53]
	v_fma_f64 v[48:49], -v[58:59], v[80:81], v[48:49]
	;; [unrolled: 3-line block ×13, first 2 shown]
	s_waitcnt lgkmcnt(0)
	v_fma_f64 v[62:63], -v[58:59], v[0:1], v[62:63]
.LBB56_29:
	s_or_b32 exec_lo, exec_lo, s2
	v_lshl_add_u32 v0, v73, 3, v70
	s_barrier
	buffer_gl0_inv
	v_mov_b32_e32 v64, 2
	ds_write_b64 v0, v[56:57]
	s_waitcnt lgkmcnt(0)
	s_barrier
	buffer_gl0_inv
	ds_read_b64 v[0:1], v70 offset:16
	s_cmp_lt_i32 s7, 4
	s_mov_b32 s2, 3
	s_cbranch_scc1 .LBB56_32
; %bb.30:
	v_add3_u32 v65, v71, 0, 24
	v_mov_b32_e32 v64, 2
.LBB56_31:                              ; =>This Inner Loop Header: Depth=1
	ds_read_b64 v[74:75], v65
	v_add_nc_u32_e32 v65, 8, v65
	s_waitcnt lgkmcnt(0)
	v_cmp_lt_f64_e64 vcc_lo, |v[0:1]|, |v[74:75]|
	v_cndmask_b32_e32 v1, v1, v75, vcc_lo
	v_cndmask_b32_e32 v0, v0, v74, vcc_lo
	v_cndmask_b32_e64 v64, v64, s2, vcc_lo
	s_add_i32 s2, s2, 1
	s_cmp_lg_u32 s7, s2
	s_cbranch_scc1 .LBB56_31
.LBB56_32:
	v_cndmask_b32_e64 v65, 2, 1, s0
	v_cndmask_b32_e64 v66, 0, 1, s0
	s_mov_b32 s0, exec_lo
	v_cndmask_b32_e64 v72, v65, v66, s1
	s_waitcnt lgkmcnt(0)
	v_cmpx_eq_f64_e32 0, v[0:1]
	s_xor_b32 s0, exec_lo, s0
; %bb.33:
	v_cmp_ne_u32_e32 vcc_lo, 0, v72
	v_cndmask_b32_e32 v72, 3, v72, vcc_lo
; %bb.34:
	s_andn2_saveexec_b32 s0, s0
	s_cbranch_execz .LBB56_36
; %bb.35:
	v_div_scale_f64 v[65:66], null, v[0:1], v[0:1], 1.0
	v_rcp_f64_e32 v[74:75], v[65:66]
	v_fma_f64 v[76:77], -v[65:66], v[74:75], 1.0
	v_fma_f64 v[74:75], v[74:75], v[76:77], v[74:75]
	v_fma_f64 v[76:77], -v[65:66], v[74:75], 1.0
	v_fma_f64 v[74:75], v[74:75], v[76:77], v[74:75]
	v_div_scale_f64 v[76:77], vcc_lo, 1.0, v[0:1], 1.0
	v_mul_f64 v[78:79], v[76:77], v[74:75]
	v_fma_f64 v[65:66], -v[65:66], v[78:79], v[76:77]
	v_div_fmas_f64 v[65:66], v[65:66], v[74:75], v[78:79]
	v_div_fixup_f64 v[0:1], v[65:66], v[0:1], 1.0
.LBB56_36:
	s_or_b32 exec_lo, exec_lo, s0
	s_mov_b32 s0, exec_lo
	v_cmpx_ne_u32_e64 v73, v64
	s_xor_b32 s0, exec_lo, s0
	s_cbranch_execz .LBB56_42
; %bb.37:
	s_mov_b32 s1, exec_lo
	v_cmpx_eq_u32_e32 2, v73
	s_cbranch_execz .LBB56_41
; %bb.38:
	v_cmp_ne_u32_e32 vcc_lo, 2, v64
	s_xor_b32 s2, s6, -1
	s_and_b32 s3, s2, vcc_lo
	s_and_saveexec_b32 s2, s3
	s_cbranch_execz .LBB56_40
; %bb.39:
	v_ashrrev_i32_e32 v65, 31, v64
	v_lshlrev_b64 v[65:66], 2, v[64:65]
	v_add_co_u32 v65, vcc_lo, v4, v65
	v_add_co_ci_u32_e64 v66, null, v5, v66, vcc_lo
	s_clause 0x1
	global_load_dword v67, v[65:66], off
	global_load_dword v73, v[4:5], off offset:8
	s_waitcnt vmcnt(1)
	global_store_dword v[4:5], v67, off offset:8
	s_waitcnt vmcnt(0)
	global_store_dword v[65:66], v73, off
.LBB56_40:
	s_or_b32 exec_lo, exec_lo, s2
	v_mov_b32_e32 v67, v64
	v_mov_b32_e32 v73, v64
.LBB56_41:
	s_or_b32 exec_lo, exec_lo, s1
.LBB56_42:
	s_andn2_saveexec_b32 s0, s0
	s_cbranch_execz .LBB56_44
; %bb.43:
	v_mov_b32_e32 v73, 2
	ds_write2_b64 v70, v[54:55], v[52:53] offset0:3 offset1:4
	ds_write2_b64 v70, v[48:49], v[50:51] offset0:5 offset1:6
	;; [unrolled: 1-line block ×13, first 2 shown]
.LBB56_44:
	s_or_b32 exec_lo, exec_lo, s0
	s_mov_b32 s0, exec_lo
	s_waitcnt lgkmcnt(0)
	s_waitcnt_vscnt null, 0x0
	s_barrier
	buffer_gl0_inv
	v_cmpx_lt_i32_e32 2, v73
	s_cbranch_execz .LBB56_46
; %bb.45:
	v_mul_f64 v[56:57], v[0:1], v[56:57]
	ds_read2_b64 v[74:77], v70 offset0:3 offset1:4
	ds_read2_b64 v[78:81], v70 offset0:5 offset1:6
	;; [unrolled: 1-line block ×13, first 2 shown]
	s_waitcnt lgkmcnt(12)
	v_fma_f64 v[54:55], -v[56:57], v[74:75], v[54:55]
	v_fma_f64 v[52:53], -v[56:57], v[76:77], v[52:53]
	s_waitcnt lgkmcnt(11)
	v_fma_f64 v[48:49], -v[56:57], v[78:79], v[48:49]
	v_fma_f64 v[50:51], -v[56:57], v[80:81], v[50:51]
	;; [unrolled: 3-line block ×13, first 2 shown]
.LBB56_46:
	s_or_b32 exec_lo, exec_lo, s0
	v_lshl_add_u32 v0, v73, 3, v70
	s_barrier
	buffer_gl0_inv
	v_mov_b32_e32 v64, 3
	ds_write_b64 v0, v[54:55]
	s_waitcnt lgkmcnt(0)
	s_barrier
	buffer_gl0_inv
	ds_read_b64 v[0:1], v70 offset:24
	s_cmp_lt_i32 s7, 5
	s_cbranch_scc1 .LBB56_49
; %bb.47:
	v_mov_b32_e32 v64, 3
	v_add3_u32 v65, v71, 0, 32
	s_mov_b32 s0, 4
.LBB56_48:                              ; =>This Inner Loop Header: Depth=1
	ds_read_b64 v[74:75], v65
	v_add_nc_u32_e32 v65, 8, v65
	s_waitcnt lgkmcnt(0)
	v_cmp_lt_f64_e64 vcc_lo, |v[0:1]|, |v[74:75]|
	v_cndmask_b32_e32 v1, v1, v75, vcc_lo
	v_cndmask_b32_e32 v0, v0, v74, vcc_lo
	v_cndmask_b32_e64 v64, v64, s0, vcc_lo
	s_add_i32 s0, s0, 1
	s_cmp_lg_u32 s7, s0
	s_cbranch_scc1 .LBB56_48
.LBB56_49:
	s_mov_b32 s0, exec_lo
	s_waitcnt lgkmcnt(0)
	v_cmpx_eq_f64_e32 0, v[0:1]
	s_xor_b32 s0, exec_lo, s0
; %bb.50:
	v_cmp_ne_u32_e32 vcc_lo, 0, v72
	v_cndmask_b32_e32 v72, 4, v72, vcc_lo
; %bb.51:
	s_andn2_saveexec_b32 s0, s0
	s_cbranch_execz .LBB56_53
; %bb.52:
	v_div_scale_f64 v[65:66], null, v[0:1], v[0:1], 1.0
	v_rcp_f64_e32 v[74:75], v[65:66]
	v_fma_f64 v[76:77], -v[65:66], v[74:75], 1.0
	v_fma_f64 v[74:75], v[74:75], v[76:77], v[74:75]
	v_fma_f64 v[76:77], -v[65:66], v[74:75], 1.0
	v_fma_f64 v[74:75], v[74:75], v[76:77], v[74:75]
	v_div_scale_f64 v[76:77], vcc_lo, 1.0, v[0:1], 1.0
	v_mul_f64 v[78:79], v[76:77], v[74:75]
	v_fma_f64 v[65:66], -v[65:66], v[78:79], v[76:77]
	v_div_fmas_f64 v[65:66], v[65:66], v[74:75], v[78:79]
	v_div_fixup_f64 v[0:1], v[65:66], v[0:1], 1.0
.LBB56_53:
	s_or_b32 exec_lo, exec_lo, s0
	s_mov_b32 s0, exec_lo
	v_cmpx_ne_u32_e64 v73, v64
	s_xor_b32 s0, exec_lo, s0
	s_cbranch_execz .LBB56_59
; %bb.54:
	s_mov_b32 s1, exec_lo
	v_cmpx_eq_u32_e32 3, v73
	s_cbranch_execz .LBB56_58
; %bb.55:
	v_cmp_ne_u32_e32 vcc_lo, 3, v64
	s_xor_b32 s2, s6, -1
	s_and_b32 s3, s2, vcc_lo
	s_and_saveexec_b32 s2, s3
	s_cbranch_execz .LBB56_57
; %bb.56:
	v_ashrrev_i32_e32 v65, 31, v64
	v_lshlrev_b64 v[65:66], 2, v[64:65]
	v_add_co_u32 v65, vcc_lo, v4, v65
	v_add_co_ci_u32_e64 v66, null, v5, v66, vcc_lo
	s_clause 0x1
	global_load_dword v67, v[65:66], off
	global_load_dword v73, v[4:5], off offset:12
	s_waitcnt vmcnt(1)
	global_store_dword v[4:5], v67, off offset:12
	s_waitcnt vmcnt(0)
	global_store_dword v[65:66], v73, off
.LBB56_57:
	s_or_b32 exec_lo, exec_lo, s2
	v_mov_b32_e32 v67, v64
	v_mov_b32_e32 v73, v64
.LBB56_58:
	s_or_b32 exec_lo, exec_lo, s1
.LBB56_59:
	s_andn2_saveexec_b32 s0, s0
	s_cbranch_execz .LBB56_61
; %bb.60:
	v_mov_b32_e32 v64, v52
	v_mov_b32_e32 v65, v53
	;; [unrolled: 1-line block ×12, first 2 shown]
	ds_write2_b64 v70, v[64:65], v[73:74] offset0:4 offset1:5
	ds_write2_b64 v70, v[75:76], v[77:78] offset0:6 offset1:7
	;; [unrolled: 1-line block ×3, first 2 shown]
	v_mov_b32_e32 v64, v40
	v_mov_b32_e32 v65, v41
	;; [unrolled: 1-line block ×20, first 2 shown]
	ds_write2_b64 v70, v[64:65], v[73:74] offset0:10 offset1:11
	ds_write2_b64 v70, v[75:76], v[77:78] offset0:12 offset1:13
	;; [unrolled: 1-line block ×5, first 2 shown]
	v_mov_b32_e32 v64, v20
	v_mov_b32_e32 v65, v21
	;; [unrolled: 1-line block ×8, first 2 shown]
	ds_write2_b64 v70, v[64:65], v[73:74] offset0:20 offset1:21
	v_mov_b32_e32 v73, 3
	v_mov_b32_e32 v79, v12
	;; [unrolled: 1-line block ×9, first 2 shown]
	ds_write2_b64 v70, v[75:76], v[77:78] offset0:22 offset1:23
	ds_write2_b64 v70, v[79:80], v[81:82] offset0:24 offset1:25
	;; [unrolled: 1-line block ×3, first 2 shown]
	ds_write_b64 v70, v[62:63] offset:224
.LBB56_61:
	s_or_b32 exec_lo, exec_lo, s0
	s_mov_b32 s0, exec_lo
	s_waitcnt lgkmcnt(0)
	s_waitcnt_vscnt null, 0x0
	s_barrier
	buffer_gl0_inv
	v_cmpx_lt_i32_e32 3, v73
	s_cbranch_execz .LBB56_63
; %bb.62:
	v_mul_f64 v[54:55], v[0:1], v[54:55]
	ds_read2_b64 v[74:77], v70 offset0:4 offset1:5
	ds_read2_b64 v[78:81], v70 offset0:6 offset1:7
	;; [unrolled: 1-line block ×12, first 2 shown]
	ds_read_b64 v[0:1], v70 offset:224
	s_waitcnt lgkmcnt(12)
	v_fma_f64 v[52:53], -v[54:55], v[74:75], v[52:53]
	v_fma_f64 v[48:49], -v[54:55], v[76:77], v[48:49]
	s_waitcnt lgkmcnt(11)
	v_fma_f64 v[50:51], -v[54:55], v[78:79], v[50:51]
	v_fma_f64 v[44:45], -v[54:55], v[80:81], v[44:45]
	;; [unrolled: 3-line block ×12, first 2 shown]
	s_waitcnt lgkmcnt(0)
	v_fma_f64 v[62:63], -v[54:55], v[0:1], v[62:63]
.LBB56_63:
	s_or_b32 exec_lo, exec_lo, s0
	v_lshl_add_u32 v0, v73, 3, v70
	s_barrier
	buffer_gl0_inv
	v_mov_b32_e32 v64, 4
	ds_write_b64 v0, v[52:53]
	s_waitcnt lgkmcnt(0)
	s_barrier
	buffer_gl0_inv
	ds_read_b64 v[0:1], v70 offset:32
	s_cmp_lt_i32 s7, 6
	s_cbranch_scc1 .LBB56_66
; %bb.64:
	v_add3_u32 v65, v71, 0, 40
	v_mov_b32_e32 v64, 4
	s_mov_b32 s0, 5
.LBB56_65:                              ; =>This Inner Loop Header: Depth=1
	ds_read_b64 v[74:75], v65
	v_add_nc_u32_e32 v65, 8, v65
	s_waitcnt lgkmcnt(0)
	v_cmp_lt_f64_e64 vcc_lo, |v[0:1]|, |v[74:75]|
	v_cndmask_b32_e32 v1, v1, v75, vcc_lo
	v_cndmask_b32_e32 v0, v0, v74, vcc_lo
	v_cndmask_b32_e64 v64, v64, s0, vcc_lo
	s_add_i32 s0, s0, 1
	s_cmp_lg_u32 s7, s0
	s_cbranch_scc1 .LBB56_65
.LBB56_66:
	s_mov_b32 s0, exec_lo
	s_waitcnt lgkmcnt(0)
	v_cmpx_eq_f64_e32 0, v[0:1]
	s_xor_b32 s0, exec_lo, s0
; %bb.67:
	v_cmp_ne_u32_e32 vcc_lo, 0, v72
	v_cndmask_b32_e32 v72, 5, v72, vcc_lo
; %bb.68:
	s_andn2_saveexec_b32 s0, s0
	s_cbranch_execz .LBB56_70
; %bb.69:
	v_div_scale_f64 v[65:66], null, v[0:1], v[0:1], 1.0
	v_rcp_f64_e32 v[74:75], v[65:66]
	v_fma_f64 v[76:77], -v[65:66], v[74:75], 1.0
	v_fma_f64 v[74:75], v[74:75], v[76:77], v[74:75]
	v_fma_f64 v[76:77], -v[65:66], v[74:75], 1.0
	v_fma_f64 v[74:75], v[74:75], v[76:77], v[74:75]
	v_div_scale_f64 v[76:77], vcc_lo, 1.0, v[0:1], 1.0
	v_mul_f64 v[78:79], v[76:77], v[74:75]
	v_fma_f64 v[65:66], -v[65:66], v[78:79], v[76:77]
	v_div_fmas_f64 v[65:66], v[65:66], v[74:75], v[78:79]
	v_div_fixup_f64 v[0:1], v[65:66], v[0:1], 1.0
.LBB56_70:
	s_or_b32 exec_lo, exec_lo, s0
	s_mov_b32 s0, exec_lo
	v_cmpx_ne_u32_e64 v73, v64
	s_xor_b32 s0, exec_lo, s0
	s_cbranch_execz .LBB56_76
; %bb.71:
	s_mov_b32 s1, exec_lo
	v_cmpx_eq_u32_e32 4, v73
	s_cbranch_execz .LBB56_75
; %bb.72:
	v_cmp_ne_u32_e32 vcc_lo, 4, v64
	s_xor_b32 s2, s6, -1
	s_and_b32 s3, s2, vcc_lo
	s_and_saveexec_b32 s2, s3
	s_cbranch_execz .LBB56_74
; %bb.73:
	v_ashrrev_i32_e32 v65, 31, v64
	v_lshlrev_b64 v[65:66], 2, v[64:65]
	v_add_co_u32 v65, vcc_lo, v4, v65
	v_add_co_ci_u32_e64 v66, null, v5, v66, vcc_lo
	s_clause 0x1
	global_load_dword v67, v[65:66], off
	global_load_dword v73, v[4:5], off offset:16
	s_waitcnt vmcnt(1)
	global_store_dword v[4:5], v67, off offset:16
	s_waitcnt vmcnt(0)
	global_store_dword v[65:66], v73, off
.LBB56_74:
	s_or_b32 exec_lo, exec_lo, s2
	v_mov_b32_e32 v67, v64
	v_mov_b32_e32 v73, v64
.LBB56_75:
	s_or_b32 exec_lo, exec_lo, s1
.LBB56_76:
	s_andn2_saveexec_b32 s0, s0
	s_cbranch_execz .LBB56_78
; %bb.77:
	v_mov_b32_e32 v73, 4
	ds_write2_b64 v70, v[48:49], v[50:51] offset0:5 offset1:6
	ds_write2_b64 v70, v[44:45], v[46:47] offset0:7 offset1:8
	;; [unrolled: 1-line block ×12, first 2 shown]
.LBB56_78:
	s_or_b32 exec_lo, exec_lo, s0
	s_mov_b32 s0, exec_lo
	s_waitcnt lgkmcnt(0)
	s_waitcnt_vscnt null, 0x0
	s_barrier
	buffer_gl0_inv
	v_cmpx_lt_i32_e32 4, v73
	s_cbranch_execz .LBB56_80
; %bb.79:
	v_mul_f64 v[52:53], v[0:1], v[52:53]
	ds_read2_b64 v[74:77], v70 offset0:5 offset1:6
	ds_read2_b64 v[78:81], v70 offset0:7 offset1:8
	;; [unrolled: 1-line block ×12, first 2 shown]
	s_waitcnt lgkmcnt(11)
	v_fma_f64 v[48:49], -v[52:53], v[74:75], v[48:49]
	v_fma_f64 v[50:51], -v[52:53], v[76:77], v[50:51]
	s_waitcnt lgkmcnt(10)
	v_fma_f64 v[44:45], -v[52:53], v[78:79], v[44:45]
	v_fma_f64 v[46:47], -v[52:53], v[80:81], v[46:47]
	;; [unrolled: 3-line block ×12, first 2 shown]
.LBB56_80:
	s_or_b32 exec_lo, exec_lo, s0
	v_lshl_add_u32 v0, v73, 3, v70
	s_barrier
	buffer_gl0_inv
	v_mov_b32_e32 v64, 5
	ds_write_b64 v0, v[48:49]
	s_waitcnt lgkmcnt(0)
	s_barrier
	buffer_gl0_inv
	ds_read_b64 v[0:1], v70 offset:40
	s_cmp_lt_i32 s7, 7
	s_cbranch_scc1 .LBB56_83
; %bb.81:
	v_add3_u32 v65, v71, 0, 48
	v_mov_b32_e32 v64, 5
	s_mov_b32 s0, 6
.LBB56_82:                              ; =>This Inner Loop Header: Depth=1
	ds_read_b64 v[74:75], v65
	v_add_nc_u32_e32 v65, 8, v65
	s_waitcnt lgkmcnt(0)
	v_cmp_lt_f64_e64 vcc_lo, |v[0:1]|, |v[74:75]|
	v_cndmask_b32_e32 v1, v1, v75, vcc_lo
	v_cndmask_b32_e32 v0, v0, v74, vcc_lo
	v_cndmask_b32_e64 v64, v64, s0, vcc_lo
	s_add_i32 s0, s0, 1
	s_cmp_lg_u32 s7, s0
	s_cbranch_scc1 .LBB56_82
.LBB56_83:
	s_mov_b32 s0, exec_lo
	s_waitcnt lgkmcnt(0)
	v_cmpx_eq_f64_e32 0, v[0:1]
	s_xor_b32 s0, exec_lo, s0
; %bb.84:
	v_cmp_ne_u32_e32 vcc_lo, 0, v72
	v_cndmask_b32_e32 v72, 6, v72, vcc_lo
; %bb.85:
	s_andn2_saveexec_b32 s0, s0
	s_cbranch_execz .LBB56_87
; %bb.86:
	v_div_scale_f64 v[65:66], null, v[0:1], v[0:1], 1.0
	v_rcp_f64_e32 v[74:75], v[65:66]
	v_fma_f64 v[76:77], -v[65:66], v[74:75], 1.0
	v_fma_f64 v[74:75], v[74:75], v[76:77], v[74:75]
	v_fma_f64 v[76:77], -v[65:66], v[74:75], 1.0
	v_fma_f64 v[74:75], v[74:75], v[76:77], v[74:75]
	v_div_scale_f64 v[76:77], vcc_lo, 1.0, v[0:1], 1.0
	v_mul_f64 v[78:79], v[76:77], v[74:75]
	v_fma_f64 v[65:66], -v[65:66], v[78:79], v[76:77]
	v_div_fmas_f64 v[65:66], v[65:66], v[74:75], v[78:79]
	v_div_fixup_f64 v[0:1], v[65:66], v[0:1], 1.0
.LBB56_87:
	s_or_b32 exec_lo, exec_lo, s0
	s_mov_b32 s0, exec_lo
	v_cmpx_ne_u32_e64 v73, v64
	s_xor_b32 s0, exec_lo, s0
	s_cbranch_execz .LBB56_93
; %bb.88:
	s_mov_b32 s1, exec_lo
	v_cmpx_eq_u32_e32 5, v73
	s_cbranch_execz .LBB56_92
; %bb.89:
	v_cmp_ne_u32_e32 vcc_lo, 5, v64
	s_xor_b32 s2, s6, -1
	s_and_b32 s3, s2, vcc_lo
	s_and_saveexec_b32 s2, s3
	s_cbranch_execz .LBB56_91
; %bb.90:
	v_ashrrev_i32_e32 v65, 31, v64
	v_lshlrev_b64 v[65:66], 2, v[64:65]
	v_add_co_u32 v65, vcc_lo, v4, v65
	v_add_co_ci_u32_e64 v66, null, v5, v66, vcc_lo
	s_clause 0x1
	global_load_dword v67, v[65:66], off
	global_load_dword v73, v[4:5], off offset:20
	s_waitcnt vmcnt(1)
	global_store_dword v[4:5], v67, off offset:20
	s_waitcnt vmcnt(0)
	global_store_dword v[65:66], v73, off
.LBB56_91:
	s_or_b32 exec_lo, exec_lo, s2
	v_mov_b32_e32 v67, v64
	v_mov_b32_e32 v73, v64
.LBB56_92:
	s_or_b32 exec_lo, exec_lo, s1
.LBB56_93:
	s_andn2_saveexec_b32 s0, s0
	s_cbranch_execz .LBB56_95
; %bb.94:
	v_mov_b32_e32 v64, v50
	v_mov_b32_e32 v65, v51
	v_mov_b32_e32 v73, v44
	v_mov_b32_e32 v74, v45
	v_mov_b32_e32 v75, v46
	v_mov_b32_e32 v76, v47
	v_mov_b32_e32 v77, v42
	v_mov_b32_e32 v78, v43
	ds_write2_b64 v70, v[64:65], v[73:74] offset0:6 offset1:7
	ds_write2_b64 v70, v[75:76], v[77:78] offset0:8 offset1:9
	v_mov_b32_e32 v64, v40
	v_mov_b32_e32 v65, v41
	;; [unrolled: 1-line block ×20, first 2 shown]
	ds_write2_b64 v70, v[64:65], v[73:74] offset0:10 offset1:11
	ds_write2_b64 v70, v[75:76], v[77:78] offset0:12 offset1:13
	ds_write2_b64 v70, v[79:80], v[81:82] offset0:14 offset1:15
	ds_write2_b64 v70, v[83:84], v[85:86] offset0:16 offset1:17
	ds_write2_b64 v70, v[87:88], v[89:90] offset0:18 offset1:19
	v_mov_b32_e32 v64, v20
	v_mov_b32_e32 v65, v21
	;; [unrolled: 1-line block ×8, first 2 shown]
	ds_write2_b64 v70, v[64:65], v[73:74] offset0:20 offset1:21
	v_mov_b32_e32 v73, 5
	v_mov_b32_e32 v79, v12
	;; [unrolled: 1-line block ×9, first 2 shown]
	ds_write2_b64 v70, v[75:76], v[77:78] offset0:22 offset1:23
	ds_write2_b64 v70, v[79:80], v[81:82] offset0:24 offset1:25
	;; [unrolled: 1-line block ×3, first 2 shown]
	ds_write_b64 v70, v[62:63] offset:224
.LBB56_95:
	s_or_b32 exec_lo, exec_lo, s0
	s_mov_b32 s0, exec_lo
	s_waitcnt lgkmcnt(0)
	s_waitcnt_vscnt null, 0x0
	s_barrier
	buffer_gl0_inv
	v_cmpx_lt_i32_e32 5, v73
	s_cbranch_execz .LBB56_97
; %bb.96:
	v_mul_f64 v[48:49], v[0:1], v[48:49]
	ds_read2_b64 v[74:77], v70 offset0:6 offset1:7
	ds_read2_b64 v[78:81], v70 offset0:8 offset1:9
	;; [unrolled: 1-line block ×11, first 2 shown]
	ds_read_b64 v[0:1], v70 offset:224
	s_waitcnt lgkmcnt(11)
	v_fma_f64 v[50:51], -v[48:49], v[74:75], v[50:51]
	v_fma_f64 v[44:45], -v[48:49], v[76:77], v[44:45]
	s_waitcnt lgkmcnt(10)
	v_fma_f64 v[46:47], -v[48:49], v[78:79], v[46:47]
	v_fma_f64 v[42:43], -v[48:49], v[80:81], v[42:43]
	s_waitcnt lgkmcnt(9)
	v_fma_f64 v[40:41], -v[48:49], v[82:83], v[40:41]
	v_fma_f64 v[38:39], -v[48:49], v[84:85], v[38:39]
	s_waitcnt lgkmcnt(8)
	v_fma_f64 v[36:37], -v[48:49], v[86:87], v[36:37]
	v_fma_f64 v[34:35], -v[48:49], v[88:89], v[34:35]
	s_waitcnt lgkmcnt(7)
	v_fma_f64 v[32:33], -v[48:49], v[90:91], v[32:33]
	v_fma_f64 v[28:29], -v[48:49], v[92:93], v[28:29]
	s_waitcnt lgkmcnt(6)
	v_fma_f64 v[30:31], -v[48:49], v[94:95], v[30:31]
	v_fma_f64 v[24:25], -v[48:49], v[96:97], v[24:25]
	s_waitcnt lgkmcnt(5)
	v_fma_f64 v[26:27], -v[48:49], v[98:99], v[26:27]
	v_fma_f64 v[22:23], -v[48:49], v[100:101], v[22:23]
	s_waitcnt lgkmcnt(4)
	v_fma_f64 v[20:21], -v[48:49], v[102:103], v[20:21]
	v_fma_f64 v[18:19], -v[48:49], v[104:105], v[18:19]
	s_waitcnt lgkmcnt(3)
	v_fma_f64 v[16:17], -v[48:49], v[106:107], v[16:17]
	v_fma_f64 v[14:15], -v[48:49], v[108:109], v[14:15]
	s_waitcnt lgkmcnt(2)
	v_fma_f64 v[12:13], -v[48:49], v[110:111], v[12:13]
	v_fma_f64 v[8:9], -v[48:49], v[112:113], v[8:9]
	s_waitcnt lgkmcnt(1)
	v_fma_f64 v[10:11], -v[48:49], v[114:115], v[10:11]
	v_fma_f64 v[6:7], -v[48:49], v[116:117], v[6:7]
	s_waitcnt lgkmcnt(0)
	v_fma_f64 v[62:63], -v[48:49], v[0:1], v[62:63]
.LBB56_97:
	s_or_b32 exec_lo, exec_lo, s0
	v_lshl_add_u32 v0, v73, 3, v70
	s_barrier
	buffer_gl0_inv
	v_mov_b32_e32 v64, 6
	ds_write_b64 v0, v[50:51]
	s_waitcnt lgkmcnt(0)
	s_barrier
	buffer_gl0_inv
	ds_read_b64 v[0:1], v70 offset:48
	s_cmp_lt_i32 s7, 8
	s_cbranch_scc1 .LBB56_100
; %bb.98:
	v_add3_u32 v65, v71, 0, 56
	v_mov_b32_e32 v64, 6
	s_mov_b32 s0, 7
.LBB56_99:                              ; =>This Inner Loop Header: Depth=1
	ds_read_b64 v[74:75], v65
	v_add_nc_u32_e32 v65, 8, v65
	s_waitcnt lgkmcnt(0)
	v_cmp_lt_f64_e64 vcc_lo, |v[0:1]|, |v[74:75]|
	v_cndmask_b32_e32 v1, v1, v75, vcc_lo
	v_cndmask_b32_e32 v0, v0, v74, vcc_lo
	v_cndmask_b32_e64 v64, v64, s0, vcc_lo
	s_add_i32 s0, s0, 1
	s_cmp_lg_u32 s7, s0
	s_cbranch_scc1 .LBB56_99
.LBB56_100:
	s_mov_b32 s0, exec_lo
	s_waitcnt lgkmcnt(0)
	v_cmpx_eq_f64_e32 0, v[0:1]
	s_xor_b32 s0, exec_lo, s0
; %bb.101:
	v_cmp_ne_u32_e32 vcc_lo, 0, v72
	v_cndmask_b32_e32 v72, 7, v72, vcc_lo
; %bb.102:
	s_andn2_saveexec_b32 s0, s0
	s_cbranch_execz .LBB56_104
; %bb.103:
	v_div_scale_f64 v[65:66], null, v[0:1], v[0:1], 1.0
	v_rcp_f64_e32 v[74:75], v[65:66]
	v_fma_f64 v[76:77], -v[65:66], v[74:75], 1.0
	v_fma_f64 v[74:75], v[74:75], v[76:77], v[74:75]
	v_fma_f64 v[76:77], -v[65:66], v[74:75], 1.0
	v_fma_f64 v[74:75], v[74:75], v[76:77], v[74:75]
	v_div_scale_f64 v[76:77], vcc_lo, 1.0, v[0:1], 1.0
	v_mul_f64 v[78:79], v[76:77], v[74:75]
	v_fma_f64 v[65:66], -v[65:66], v[78:79], v[76:77]
	v_div_fmas_f64 v[65:66], v[65:66], v[74:75], v[78:79]
	v_div_fixup_f64 v[0:1], v[65:66], v[0:1], 1.0
.LBB56_104:
	s_or_b32 exec_lo, exec_lo, s0
	s_mov_b32 s0, exec_lo
	v_cmpx_ne_u32_e64 v73, v64
	s_xor_b32 s0, exec_lo, s0
	s_cbranch_execz .LBB56_110
; %bb.105:
	s_mov_b32 s1, exec_lo
	v_cmpx_eq_u32_e32 6, v73
	s_cbranch_execz .LBB56_109
; %bb.106:
	v_cmp_ne_u32_e32 vcc_lo, 6, v64
	s_xor_b32 s2, s6, -1
	s_and_b32 s3, s2, vcc_lo
	s_and_saveexec_b32 s2, s3
	s_cbranch_execz .LBB56_108
; %bb.107:
	v_ashrrev_i32_e32 v65, 31, v64
	v_lshlrev_b64 v[65:66], 2, v[64:65]
	v_add_co_u32 v65, vcc_lo, v4, v65
	v_add_co_ci_u32_e64 v66, null, v5, v66, vcc_lo
	s_clause 0x1
	global_load_dword v67, v[65:66], off
	global_load_dword v73, v[4:5], off offset:24
	s_waitcnt vmcnt(1)
	global_store_dword v[4:5], v67, off offset:24
	s_waitcnt vmcnt(0)
	global_store_dword v[65:66], v73, off
.LBB56_108:
	s_or_b32 exec_lo, exec_lo, s2
	v_mov_b32_e32 v67, v64
	v_mov_b32_e32 v73, v64
.LBB56_109:
	s_or_b32 exec_lo, exec_lo, s1
.LBB56_110:
	s_andn2_saveexec_b32 s0, s0
	s_cbranch_execz .LBB56_112
; %bb.111:
	v_mov_b32_e32 v73, 6
	ds_write2_b64 v70, v[44:45], v[46:47] offset0:7 offset1:8
	ds_write2_b64 v70, v[42:43], v[40:41] offset0:9 offset1:10
	;; [unrolled: 1-line block ×11, first 2 shown]
.LBB56_112:
	s_or_b32 exec_lo, exec_lo, s0
	s_mov_b32 s0, exec_lo
	s_waitcnt lgkmcnt(0)
	s_waitcnt_vscnt null, 0x0
	s_barrier
	buffer_gl0_inv
	v_cmpx_lt_i32_e32 6, v73
	s_cbranch_execz .LBB56_114
; %bb.113:
	v_mul_f64 v[50:51], v[0:1], v[50:51]
	ds_read2_b64 v[74:77], v70 offset0:7 offset1:8
	ds_read2_b64 v[78:81], v70 offset0:9 offset1:10
	;; [unrolled: 1-line block ×11, first 2 shown]
	s_waitcnt lgkmcnt(10)
	v_fma_f64 v[44:45], -v[50:51], v[74:75], v[44:45]
	v_fma_f64 v[46:47], -v[50:51], v[76:77], v[46:47]
	s_waitcnt lgkmcnt(9)
	v_fma_f64 v[42:43], -v[50:51], v[78:79], v[42:43]
	v_fma_f64 v[40:41], -v[50:51], v[80:81], v[40:41]
	;; [unrolled: 3-line block ×11, first 2 shown]
.LBB56_114:
	s_or_b32 exec_lo, exec_lo, s0
	v_lshl_add_u32 v0, v73, 3, v70
	s_barrier
	buffer_gl0_inv
	v_mov_b32_e32 v64, 7
	ds_write_b64 v0, v[44:45]
	s_waitcnt lgkmcnt(0)
	s_barrier
	buffer_gl0_inv
	ds_read_b64 v[0:1], v70 offset:56
	s_cmp_lt_i32 s7, 9
	s_cbranch_scc1 .LBB56_117
; %bb.115:
	v_add3_u32 v65, v71, 0, 64
	v_mov_b32_e32 v64, 7
	s_mov_b32 s0, 8
.LBB56_116:                             ; =>This Inner Loop Header: Depth=1
	ds_read_b64 v[74:75], v65
	v_add_nc_u32_e32 v65, 8, v65
	s_waitcnt lgkmcnt(0)
	v_cmp_lt_f64_e64 vcc_lo, |v[0:1]|, |v[74:75]|
	v_cndmask_b32_e32 v1, v1, v75, vcc_lo
	v_cndmask_b32_e32 v0, v0, v74, vcc_lo
	v_cndmask_b32_e64 v64, v64, s0, vcc_lo
	s_add_i32 s0, s0, 1
	s_cmp_lg_u32 s7, s0
	s_cbranch_scc1 .LBB56_116
.LBB56_117:
	s_mov_b32 s0, exec_lo
	s_waitcnt lgkmcnt(0)
	v_cmpx_eq_f64_e32 0, v[0:1]
	s_xor_b32 s0, exec_lo, s0
; %bb.118:
	v_cmp_ne_u32_e32 vcc_lo, 0, v72
	v_cndmask_b32_e32 v72, 8, v72, vcc_lo
; %bb.119:
	s_andn2_saveexec_b32 s0, s0
	s_cbranch_execz .LBB56_121
; %bb.120:
	v_div_scale_f64 v[65:66], null, v[0:1], v[0:1], 1.0
	v_rcp_f64_e32 v[74:75], v[65:66]
	v_fma_f64 v[76:77], -v[65:66], v[74:75], 1.0
	v_fma_f64 v[74:75], v[74:75], v[76:77], v[74:75]
	v_fma_f64 v[76:77], -v[65:66], v[74:75], 1.0
	v_fma_f64 v[74:75], v[74:75], v[76:77], v[74:75]
	v_div_scale_f64 v[76:77], vcc_lo, 1.0, v[0:1], 1.0
	v_mul_f64 v[78:79], v[76:77], v[74:75]
	v_fma_f64 v[65:66], -v[65:66], v[78:79], v[76:77]
	v_div_fmas_f64 v[65:66], v[65:66], v[74:75], v[78:79]
	v_div_fixup_f64 v[0:1], v[65:66], v[0:1], 1.0
.LBB56_121:
	s_or_b32 exec_lo, exec_lo, s0
	s_mov_b32 s0, exec_lo
	v_cmpx_ne_u32_e64 v73, v64
	s_xor_b32 s0, exec_lo, s0
	s_cbranch_execz .LBB56_127
; %bb.122:
	s_mov_b32 s1, exec_lo
	v_cmpx_eq_u32_e32 7, v73
	s_cbranch_execz .LBB56_126
; %bb.123:
	v_cmp_ne_u32_e32 vcc_lo, 7, v64
	s_xor_b32 s2, s6, -1
	s_and_b32 s3, s2, vcc_lo
	s_and_saveexec_b32 s2, s3
	s_cbranch_execz .LBB56_125
; %bb.124:
	v_ashrrev_i32_e32 v65, 31, v64
	v_lshlrev_b64 v[65:66], 2, v[64:65]
	v_add_co_u32 v65, vcc_lo, v4, v65
	v_add_co_ci_u32_e64 v66, null, v5, v66, vcc_lo
	s_clause 0x1
	global_load_dword v67, v[65:66], off
	global_load_dword v73, v[4:5], off offset:28
	s_waitcnt vmcnt(1)
	global_store_dword v[4:5], v67, off offset:28
	s_waitcnt vmcnt(0)
	global_store_dword v[65:66], v73, off
.LBB56_125:
	s_or_b32 exec_lo, exec_lo, s2
	v_mov_b32_e32 v67, v64
	v_mov_b32_e32 v73, v64
.LBB56_126:
	s_or_b32 exec_lo, exec_lo, s1
.LBB56_127:
	s_andn2_saveexec_b32 s0, s0
	s_cbranch_execz .LBB56_129
; %bb.128:
	v_mov_b32_e32 v64, v46
	v_mov_b32_e32 v65, v47
	;; [unrolled: 1-line block ×8, first 2 shown]
	ds_write2_b64 v70, v[64:65], v[73:74] offset0:8 offset1:9
	v_mov_b32_e32 v64, v38
	v_mov_b32_e32 v65, v39
	;; [unrolled: 1-line block ×16, first 2 shown]
	ds_write2_b64 v70, v[75:76], v[64:65] offset0:10 offset1:11
	ds_write2_b64 v70, v[73:74], v[77:78] offset0:12 offset1:13
	;; [unrolled: 1-line block ×5, first 2 shown]
	v_mov_b32_e32 v64, v20
	v_mov_b32_e32 v65, v21
	;; [unrolled: 1-line block ×8, first 2 shown]
	ds_write2_b64 v70, v[64:65], v[73:74] offset0:20 offset1:21
	v_mov_b32_e32 v73, 7
	v_mov_b32_e32 v79, v12
	;; [unrolled: 1-line block ×9, first 2 shown]
	ds_write2_b64 v70, v[75:76], v[77:78] offset0:22 offset1:23
	ds_write2_b64 v70, v[79:80], v[81:82] offset0:24 offset1:25
	;; [unrolled: 1-line block ×3, first 2 shown]
	ds_write_b64 v70, v[62:63] offset:224
.LBB56_129:
	s_or_b32 exec_lo, exec_lo, s0
	s_mov_b32 s0, exec_lo
	s_waitcnt lgkmcnt(0)
	s_waitcnt_vscnt null, 0x0
	s_barrier
	buffer_gl0_inv
	v_cmpx_lt_i32_e32 7, v73
	s_cbranch_execz .LBB56_131
; %bb.130:
	v_mul_f64 v[44:45], v[0:1], v[44:45]
	ds_read2_b64 v[74:77], v70 offset0:8 offset1:9
	ds_read2_b64 v[78:81], v70 offset0:10 offset1:11
	;; [unrolled: 1-line block ×10, first 2 shown]
	ds_read_b64 v[0:1], v70 offset:224
	s_waitcnt lgkmcnt(10)
	v_fma_f64 v[46:47], -v[44:45], v[74:75], v[46:47]
	v_fma_f64 v[42:43], -v[44:45], v[76:77], v[42:43]
	s_waitcnt lgkmcnt(9)
	v_fma_f64 v[40:41], -v[44:45], v[78:79], v[40:41]
	v_fma_f64 v[38:39], -v[44:45], v[80:81], v[38:39]
	;; [unrolled: 3-line block ×10, first 2 shown]
	s_waitcnt lgkmcnt(0)
	v_fma_f64 v[62:63], -v[44:45], v[0:1], v[62:63]
.LBB56_131:
	s_or_b32 exec_lo, exec_lo, s0
	v_lshl_add_u32 v0, v73, 3, v70
	s_barrier
	buffer_gl0_inv
	v_mov_b32_e32 v64, 8
	ds_write_b64 v0, v[46:47]
	s_waitcnt lgkmcnt(0)
	s_barrier
	buffer_gl0_inv
	ds_read_b64 v[0:1], v70 offset:64
	s_cmp_lt_i32 s7, 10
	s_cbranch_scc1 .LBB56_134
; %bb.132:
	v_add3_u32 v65, v71, 0, 0x48
	v_mov_b32_e32 v64, 8
	s_mov_b32 s0, 9
.LBB56_133:                             ; =>This Inner Loop Header: Depth=1
	ds_read_b64 v[74:75], v65
	v_add_nc_u32_e32 v65, 8, v65
	s_waitcnt lgkmcnt(0)
	v_cmp_lt_f64_e64 vcc_lo, |v[0:1]|, |v[74:75]|
	v_cndmask_b32_e32 v1, v1, v75, vcc_lo
	v_cndmask_b32_e32 v0, v0, v74, vcc_lo
	v_cndmask_b32_e64 v64, v64, s0, vcc_lo
	s_add_i32 s0, s0, 1
	s_cmp_lg_u32 s7, s0
	s_cbranch_scc1 .LBB56_133
.LBB56_134:
	s_mov_b32 s0, exec_lo
	s_waitcnt lgkmcnt(0)
	v_cmpx_eq_f64_e32 0, v[0:1]
	s_xor_b32 s0, exec_lo, s0
; %bb.135:
	v_cmp_ne_u32_e32 vcc_lo, 0, v72
	v_cndmask_b32_e32 v72, 9, v72, vcc_lo
; %bb.136:
	s_andn2_saveexec_b32 s0, s0
	s_cbranch_execz .LBB56_138
; %bb.137:
	v_div_scale_f64 v[65:66], null, v[0:1], v[0:1], 1.0
	v_rcp_f64_e32 v[74:75], v[65:66]
	v_fma_f64 v[76:77], -v[65:66], v[74:75], 1.0
	v_fma_f64 v[74:75], v[74:75], v[76:77], v[74:75]
	v_fma_f64 v[76:77], -v[65:66], v[74:75], 1.0
	v_fma_f64 v[74:75], v[74:75], v[76:77], v[74:75]
	v_div_scale_f64 v[76:77], vcc_lo, 1.0, v[0:1], 1.0
	v_mul_f64 v[78:79], v[76:77], v[74:75]
	v_fma_f64 v[65:66], -v[65:66], v[78:79], v[76:77]
	v_div_fmas_f64 v[65:66], v[65:66], v[74:75], v[78:79]
	v_div_fixup_f64 v[0:1], v[65:66], v[0:1], 1.0
.LBB56_138:
	s_or_b32 exec_lo, exec_lo, s0
	s_mov_b32 s0, exec_lo
	v_cmpx_ne_u32_e64 v73, v64
	s_xor_b32 s0, exec_lo, s0
	s_cbranch_execz .LBB56_144
; %bb.139:
	s_mov_b32 s1, exec_lo
	v_cmpx_eq_u32_e32 8, v73
	s_cbranch_execz .LBB56_143
; %bb.140:
	v_cmp_ne_u32_e32 vcc_lo, 8, v64
	s_xor_b32 s2, s6, -1
	s_and_b32 s3, s2, vcc_lo
	s_and_saveexec_b32 s2, s3
	s_cbranch_execz .LBB56_142
; %bb.141:
	v_ashrrev_i32_e32 v65, 31, v64
	v_lshlrev_b64 v[65:66], 2, v[64:65]
	v_add_co_u32 v65, vcc_lo, v4, v65
	v_add_co_ci_u32_e64 v66, null, v5, v66, vcc_lo
	s_clause 0x1
	global_load_dword v67, v[65:66], off
	global_load_dword v73, v[4:5], off offset:32
	s_waitcnt vmcnt(1)
	global_store_dword v[4:5], v67, off offset:32
	s_waitcnt vmcnt(0)
	global_store_dword v[65:66], v73, off
.LBB56_142:
	s_or_b32 exec_lo, exec_lo, s2
	v_mov_b32_e32 v67, v64
	v_mov_b32_e32 v73, v64
.LBB56_143:
	s_or_b32 exec_lo, exec_lo, s1
.LBB56_144:
	s_andn2_saveexec_b32 s0, s0
	s_cbranch_execz .LBB56_146
; %bb.145:
	v_mov_b32_e32 v73, 8
	ds_write2_b64 v70, v[42:43], v[40:41] offset0:9 offset1:10
	ds_write2_b64 v70, v[38:39], v[36:37] offset0:11 offset1:12
	;; [unrolled: 1-line block ×10, first 2 shown]
.LBB56_146:
	s_or_b32 exec_lo, exec_lo, s0
	s_mov_b32 s0, exec_lo
	s_waitcnt lgkmcnt(0)
	s_waitcnt_vscnt null, 0x0
	s_barrier
	buffer_gl0_inv
	v_cmpx_lt_i32_e32 8, v73
	s_cbranch_execz .LBB56_148
; %bb.147:
	v_mul_f64 v[46:47], v[0:1], v[46:47]
	ds_read2_b64 v[74:77], v70 offset0:9 offset1:10
	ds_read2_b64 v[78:81], v70 offset0:11 offset1:12
	;; [unrolled: 1-line block ×10, first 2 shown]
	s_waitcnt lgkmcnt(9)
	v_fma_f64 v[42:43], -v[46:47], v[74:75], v[42:43]
	v_fma_f64 v[40:41], -v[46:47], v[76:77], v[40:41]
	s_waitcnt lgkmcnt(8)
	v_fma_f64 v[38:39], -v[46:47], v[78:79], v[38:39]
	v_fma_f64 v[36:37], -v[46:47], v[80:81], v[36:37]
	;; [unrolled: 3-line block ×10, first 2 shown]
.LBB56_148:
	s_or_b32 exec_lo, exec_lo, s0
	v_lshl_add_u32 v0, v73, 3, v70
	s_barrier
	buffer_gl0_inv
	v_mov_b32_e32 v64, 9
	ds_write_b64 v0, v[42:43]
	s_waitcnt lgkmcnt(0)
	s_barrier
	buffer_gl0_inv
	ds_read_b64 v[0:1], v70 offset:72
	s_cmp_lt_i32 s7, 11
	s_cbranch_scc1 .LBB56_151
; %bb.149:
	v_add3_u32 v65, v71, 0, 0x50
	v_mov_b32_e32 v64, 9
	s_mov_b32 s0, 10
.LBB56_150:                             ; =>This Inner Loop Header: Depth=1
	ds_read_b64 v[74:75], v65
	v_add_nc_u32_e32 v65, 8, v65
	s_waitcnt lgkmcnt(0)
	v_cmp_lt_f64_e64 vcc_lo, |v[0:1]|, |v[74:75]|
	v_cndmask_b32_e32 v1, v1, v75, vcc_lo
	v_cndmask_b32_e32 v0, v0, v74, vcc_lo
	v_cndmask_b32_e64 v64, v64, s0, vcc_lo
	s_add_i32 s0, s0, 1
	s_cmp_lg_u32 s7, s0
	s_cbranch_scc1 .LBB56_150
.LBB56_151:
	s_mov_b32 s0, exec_lo
	s_waitcnt lgkmcnt(0)
	v_cmpx_eq_f64_e32 0, v[0:1]
	s_xor_b32 s0, exec_lo, s0
; %bb.152:
	v_cmp_ne_u32_e32 vcc_lo, 0, v72
	v_cndmask_b32_e32 v72, 10, v72, vcc_lo
; %bb.153:
	s_andn2_saveexec_b32 s0, s0
	s_cbranch_execz .LBB56_155
; %bb.154:
	v_div_scale_f64 v[65:66], null, v[0:1], v[0:1], 1.0
	v_rcp_f64_e32 v[74:75], v[65:66]
	v_fma_f64 v[76:77], -v[65:66], v[74:75], 1.0
	v_fma_f64 v[74:75], v[74:75], v[76:77], v[74:75]
	v_fma_f64 v[76:77], -v[65:66], v[74:75], 1.0
	v_fma_f64 v[74:75], v[74:75], v[76:77], v[74:75]
	v_div_scale_f64 v[76:77], vcc_lo, 1.0, v[0:1], 1.0
	v_mul_f64 v[78:79], v[76:77], v[74:75]
	v_fma_f64 v[65:66], -v[65:66], v[78:79], v[76:77]
	v_div_fmas_f64 v[65:66], v[65:66], v[74:75], v[78:79]
	v_div_fixup_f64 v[0:1], v[65:66], v[0:1], 1.0
.LBB56_155:
	s_or_b32 exec_lo, exec_lo, s0
	s_mov_b32 s0, exec_lo
	v_cmpx_ne_u32_e64 v73, v64
	s_xor_b32 s0, exec_lo, s0
	s_cbranch_execz .LBB56_161
; %bb.156:
	s_mov_b32 s1, exec_lo
	v_cmpx_eq_u32_e32 9, v73
	s_cbranch_execz .LBB56_160
; %bb.157:
	v_cmp_ne_u32_e32 vcc_lo, 9, v64
	s_xor_b32 s2, s6, -1
	s_and_b32 s3, s2, vcc_lo
	s_and_saveexec_b32 s2, s3
	s_cbranch_execz .LBB56_159
; %bb.158:
	v_ashrrev_i32_e32 v65, 31, v64
	v_lshlrev_b64 v[65:66], 2, v[64:65]
	v_add_co_u32 v65, vcc_lo, v4, v65
	v_add_co_ci_u32_e64 v66, null, v5, v66, vcc_lo
	s_clause 0x1
	global_load_dword v67, v[65:66], off
	global_load_dword v73, v[4:5], off offset:36
	s_waitcnt vmcnt(1)
	global_store_dword v[4:5], v67, off offset:36
	s_waitcnt vmcnt(0)
	global_store_dword v[65:66], v73, off
.LBB56_159:
	s_or_b32 exec_lo, exec_lo, s2
	v_mov_b32_e32 v67, v64
	v_mov_b32_e32 v73, v64
.LBB56_160:
	s_or_b32 exec_lo, exec_lo, s1
.LBB56_161:
	s_andn2_saveexec_b32 s0, s0
	s_cbranch_execz .LBB56_163
; %bb.162:
	v_mov_b32_e32 v64, v40
	v_mov_b32_e32 v65, v41
	;; [unrolled: 1-line block ×20, first 2 shown]
	ds_write2_b64 v70, v[64:65], v[73:74] offset0:10 offset1:11
	ds_write2_b64 v70, v[75:76], v[77:78] offset0:12 offset1:13
	;; [unrolled: 1-line block ×5, first 2 shown]
	v_mov_b32_e32 v64, v20
	v_mov_b32_e32 v65, v21
	;; [unrolled: 1-line block ×8, first 2 shown]
	ds_write2_b64 v70, v[64:65], v[73:74] offset0:20 offset1:21
	v_mov_b32_e32 v73, 9
	v_mov_b32_e32 v79, v12
	;; [unrolled: 1-line block ×9, first 2 shown]
	ds_write2_b64 v70, v[75:76], v[77:78] offset0:22 offset1:23
	ds_write2_b64 v70, v[79:80], v[81:82] offset0:24 offset1:25
	;; [unrolled: 1-line block ×3, first 2 shown]
	ds_write_b64 v70, v[62:63] offset:224
.LBB56_163:
	s_or_b32 exec_lo, exec_lo, s0
	s_mov_b32 s0, exec_lo
	s_waitcnt lgkmcnt(0)
	s_waitcnt_vscnt null, 0x0
	s_barrier
	buffer_gl0_inv
	v_cmpx_lt_i32_e32 9, v73
	s_cbranch_execz .LBB56_165
; %bb.164:
	v_mul_f64 v[42:43], v[0:1], v[42:43]
	ds_read2_b64 v[74:77], v70 offset0:10 offset1:11
	ds_read2_b64 v[78:81], v70 offset0:12 offset1:13
	;; [unrolled: 1-line block ×9, first 2 shown]
	ds_read_b64 v[0:1], v70 offset:224
	s_waitcnt lgkmcnt(9)
	v_fma_f64 v[40:41], -v[42:43], v[74:75], v[40:41]
	v_fma_f64 v[38:39], -v[42:43], v[76:77], v[38:39]
	s_waitcnt lgkmcnt(8)
	v_fma_f64 v[36:37], -v[42:43], v[78:79], v[36:37]
	v_fma_f64 v[34:35], -v[42:43], v[80:81], v[34:35]
	;; [unrolled: 3-line block ×9, first 2 shown]
	s_waitcnt lgkmcnt(0)
	v_fma_f64 v[62:63], -v[42:43], v[0:1], v[62:63]
.LBB56_165:
	s_or_b32 exec_lo, exec_lo, s0
	v_lshl_add_u32 v0, v73, 3, v70
	s_barrier
	buffer_gl0_inv
	v_mov_b32_e32 v64, 10
	ds_write_b64 v0, v[40:41]
	s_waitcnt lgkmcnt(0)
	s_barrier
	buffer_gl0_inv
	ds_read_b64 v[0:1], v70 offset:80
	s_cmp_lt_i32 s7, 12
	s_cbranch_scc1 .LBB56_168
; %bb.166:
	v_add3_u32 v65, v71, 0, 0x58
	v_mov_b32_e32 v64, 10
	s_mov_b32 s0, 11
.LBB56_167:                             ; =>This Inner Loop Header: Depth=1
	ds_read_b64 v[74:75], v65
	v_add_nc_u32_e32 v65, 8, v65
	s_waitcnt lgkmcnt(0)
	v_cmp_lt_f64_e64 vcc_lo, |v[0:1]|, |v[74:75]|
	v_cndmask_b32_e32 v1, v1, v75, vcc_lo
	v_cndmask_b32_e32 v0, v0, v74, vcc_lo
	v_cndmask_b32_e64 v64, v64, s0, vcc_lo
	s_add_i32 s0, s0, 1
	s_cmp_lg_u32 s7, s0
	s_cbranch_scc1 .LBB56_167
.LBB56_168:
	s_mov_b32 s0, exec_lo
	s_waitcnt lgkmcnt(0)
	v_cmpx_eq_f64_e32 0, v[0:1]
	s_xor_b32 s0, exec_lo, s0
; %bb.169:
	v_cmp_ne_u32_e32 vcc_lo, 0, v72
	v_cndmask_b32_e32 v72, 11, v72, vcc_lo
; %bb.170:
	s_andn2_saveexec_b32 s0, s0
	s_cbranch_execz .LBB56_172
; %bb.171:
	v_div_scale_f64 v[65:66], null, v[0:1], v[0:1], 1.0
	v_rcp_f64_e32 v[74:75], v[65:66]
	v_fma_f64 v[76:77], -v[65:66], v[74:75], 1.0
	v_fma_f64 v[74:75], v[74:75], v[76:77], v[74:75]
	v_fma_f64 v[76:77], -v[65:66], v[74:75], 1.0
	v_fma_f64 v[74:75], v[74:75], v[76:77], v[74:75]
	v_div_scale_f64 v[76:77], vcc_lo, 1.0, v[0:1], 1.0
	v_mul_f64 v[78:79], v[76:77], v[74:75]
	v_fma_f64 v[65:66], -v[65:66], v[78:79], v[76:77]
	v_div_fmas_f64 v[65:66], v[65:66], v[74:75], v[78:79]
	v_div_fixup_f64 v[0:1], v[65:66], v[0:1], 1.0
.LBB56_172:
	s_or_b32 exec_lo, exec_lo, s0
	s_mov_b32 s0, exec_lo
	v_cmpx_ne_u32_e64 v73, v64
	s_xor_b32 s0, exec_lo, s0
	s_cbranch_execz .LBB56_178
; %bb.173:
	s_mov_b32 s1, exec_lo
	v_cmpx_eq_u32_e32 10, v73
	s_cbranch_execz .LBB56_177
; %bb.174:
	v_cmp_ne_u32_e32 vcc_lo, 10, v64
	s_xor_b32 s2, s6, -1
	s_and_b32 s3, s2, vcc_lo
	s_and_saveexec_b32 s2, s3
	s_cbranch_execz .LBB56_176
; %bb.175:
	v_ashrrev_i32_e32 v65, 31, v64
	v_lshlrev_b64 v[65:66], 2, v[64:65]
	v_add_co_u32 v65, vcc_lo, v4, v65
	v_add_co_ci_u32_e64 v66, null, v5, v66, vcc_lo
	s_clause 0x1
	global_load_dword v67, v[65:66], off
	global_load_dword v73, v[4:5], off offset:40
	s_waitcnt vmcnt(1)
	global_store_dword v[4:5], v67, off offset:40
	s_waitcnt vmcnt(0)
	global_store_dword v[65:66], v73, off
.LBB56_176:
	s_or_b32 exec_lo, exec_lo, s2
	v_mov_b32_e32 v67, v64
	v_mov_b32_e32 v73, v64
.LBB56_177:
	s_or_b32 exec_lo, exec_lo, s1
.LBB56_178:
	s_andn2_saveexec_b32 s0, s0
	s_cbranch_execz .LBB56_180
; %bb.179:
	v_mov_b32_e32 v73, 10
	ds_write2_b64 v70, v[38:39], v[36:37] offset0:11 offset1:12
	ds_write2_b64 v70, v[34:35], v[32:33] offset0:13 offset1:14
	;; [unrolled: 1-line block ×9, first 2 shown]
.LBB56_180:
	s_or_b32 exec_lo, exec_lo, s0
	s_mov_b32 s0, exec_lo
	s_waitcnt lgkmcnt(0)
	s_waitcnt_vscnt null, 0x0
	s_barrier
	buffer_gl0_inv
	v_cmpx_lt_i32_e32 10, v73
	s_cbranch_execz .LBB56_182
; %bb.181:
	v_mul_f64 v[40:41], v[0:1], v[40:41]
	ds_read2_b64 v[74:77], v70 offset0:11 offset1:12
	ds_read2_b64 v[78:81], v70 offset0:13 offset1:14
	;; [unrolled: 1-line block ×9, first 2 shown]
	s_waitcnt lgkmcnt(8)
	v_fma_f64 v[38:39], -v[40:41], v[74:75], v[38:39]
	v_fma_f64 v[36:37], -v[40:41], v[76:77], v[36:37]
	s_waitcnt lgkmcnt(7)
	v_fma_f64 v[34:35], -v[40:41], v[78:79], v[34:35]
	v_fma_f64 v[32:33], -v[40:41], v[80:81], v[32:33]
	;; [unrolled: 3-line block ×9, first 2 shown]
.LBB56_182:
	s_or_b32 exec_lo, exec_lo, s0
	v_lshl_add_u32 v0, v73, 3, v70
	s_barrier
	buffer_gl0_inv
	v_mov_b32_e32 v64, 11
	ds_write_b64 v0, v[38:39]
	s_waitcnt lgkmcnt(0)
	s_barrier
	buffer_gl0_inv
	ds_read_b64 v[0:1], v70 offset:88
	s_cmp_lt_i32 s7, 13
	s_cbranch_scc1 .LBB56_185
; %bb.183:
	v_add3_u32 v65, v71, 0, 0x60
	v_mov_b32_e32 v64, 11
	s_mov_b32 s0, 12
.LBB56_184:                             ; =>This Inner Loop Header: Depth=1
	ds_read_b64 v[74:75], v65
	v_add_nc_u32_e32 v65, 8, v65
	s_waitcnt lgkmcnt(0)
	v_cmp_lt_f64_e64 vcc_lo, |v[0:1]|, |v[74:75]|
	v_cndmask_b32_e32 v1, v1, v75, vcc_lo
	v_cndmask_b32_e32 v0, v0, v74, vcc_lo
	v_cndmask_b32_e64 v64, v64, s0, vcc_lo
	s_add_i32 s0, s0, 1
	s_cmp_lg_u32 s7, s0
	s_cbranch_scc1 .LBB56_184
.LBB56_185:
	s_mov_b32 s0, exec_lo
	s_waitcnt lgkmcnt(0)
	v_cmpx_eq_f64_e32 0, v[0:1]
	s_xor_b32 s0, exec_lo, s0
; %bb.186:
	v_cmp_ne_u32_e32 vcc_lo, 0, v72
	v_cndmask_b32_e32 v72, 12, v72, vcc_lo
; %bb.187:
	s_andn2_saveexec_b32 s0, s0
	s_cbranch_execz .LBB56_189
; %bb.188:
	v_div_scale_f64 v[65:66], null, v[0:1], v[0:1], 1.0
	v_rcp_f64_e32 v[74:75], v[65:66]
	v_fma_f64 v[76:77], -v[65:66], v[74:75], 1.0
	v_fma_f64 v[74:75], v[74:75], v[76:77], v[74:75]
	v_fma_f64 v[76:77], -v[65:66], v[74:75], 1.0
	v_fma_f64 v[74:75], v[74:75], v[76:77], v[74:75]
	v_div_scale_f64 v[76:77], vcc_lo, 1.0, v[0:1], 1.0
	v_mul_f64 v[78:79], v[76:77], v[74:75]
	v_fma_f64 v[65:66], -v[65:66], v[78:79], v[76:77]
	v_div_fmas_f64 v[65:66], v[65:66], v[74:75], v[78:79]
	v_div_fixup_f64 v[0:1], v[65:66], v[0:1], 1.0
.LBB56_189:
	s_or_b32 exec_lo, exec_lo, s0
	s_mov_b32 s0, exec_lo
	v_cmpx_ne_u32_e64 v73, v64
	s_xor_b32 s0, exec_lo, s0
	s_cbranch_execz .LBB56_195
; %bb.190:
	s_mov_b32 s1, exec_lo
	v_cmpx_eq_u32_e32 11, v73
	s_cbranch_execz .LBB56_194
; %bb.191:
	v_cmp_ne_u32_e32 vcc_lo, 11, v64
	s_xor_b32 s2, s6, -1
	s_and_b32 s3, s2, vcc_lo
	s_and_saveexec_b32 s2, s3
	s_cbranch_execz .LBB56_193
; %bb.192:
	v_ashrrev_i32_e32 v65, 31, v64
	v_lshlrev_b64 v[65:66], 2, v[64:65]
	v_add_co_u32 v65, vcc_lo, v4, v65
	v_add_co_ci_u32_e64 v66, null, v5, v66, vcc_lo
	s_clause 0x1
	global_load_dword v67, v[65:66], off
	global_load_dword v73, v[4:5], off offset:44
	s_waitcnt vmcnt(1)
	global_store_dword v[4:5], v67, off offset:44
	s_waitcnt vmcnt(0)
	global_store_dword v[65:66], v73, off
.LBB56_193:
	s_or_b32 exec_lo, exec_lo, s2
	v_mov_b32_e32 v67, v64
	v_mov_b32_e32 v73, v64
.LBB56_194:
	s_or_b32 exec_lo, exec_lo, s1
.LBB56_195:
	s_andn2_saveexec_b32 s0, s0
	s_cbranch_execz .LBB56_197
; %bb.196:
	v_mov_b32_e32 v64, v36
	v_mov_b32_e32 v65, v37
	;; [unrolled: 1-line block ×16, first 2 shown]
	ds_write2_b64 v70, v[64:65], v[73:74] offset0:12 offset1:13
	ds_write2_b64 v70, v[75:76], v[77:78] offset0:14 offset1:15
	;; [unrolled: 1-line block ×4, first 2 shown]
	v_mov_b32_e32 v64, v20
	v_mov_b32_e32 v65, v21
	;; [unrolled: 1-line block ×8, first 2 shown]
	ds_write2_b64 v70, v[64:65], v[73:74] offset0:20 offset1:21
	v_mov_b32_e32 v73, 11
	v_mov_b32_e32 v79, v12
	;; [unrolled: 1-line block ×9, first 2 shown]
	ds_write2_b64 v70, v[75:76], v[77:78] offset0:22 offset1:23
	ds_write2_b64 v70, v[79:80], v[81:82] offset0:24 offset1:25
	;; [unrolled: 1-line block ×3, first 2 shown]
	ds_write_b64 v70, v[62:63] offset:224
.LBB56_197:
	s_or_b32 exec_lo, exec_lo, s0
	s_mov_b32 s0, exec_lo
	s_waitcnt lgkmcnt(0)
	s_waitcnt_vscnt null, 0x0
	s_barrier
	buffer_gl0_inv
	v_cmpx_lt_i32_e32 11, v73
	s_cbranch_execz .LBB56_199
; %bb.198:
	v_mul_f64 v[38:39], v[0:1], v[38:39]
	ds_read2_b64 v[74:77], v70 offset0:12 offset1:13
	ds_read2_b64 v[78:81], v70 offset0:14 offset1:15
	;; [unrolled: 1-line block ×8, first 2 shown]
	ds_read_b64 v[0:1], v70 offset:224
	s_waitcnt lgkmcnt(8)
	v_fma_f64 v[36:37], -v[38:39], v[74:75], v[36:37]
	v_fma_f64 v[34:35], -v[38:39], v[76:77], v[34:35]
	s_waitcnt lgkmcnt(7)
	v_fma_f64 v[32:33], -v[38:39], v[78:79], v[32:33]
	v_fma_f64 v[28:29], -v[38:39], v[80:81], v[28:29]
	;; [unrolled: 3-line block ×8, first 2 shown]
	s_waitcnt lgkmcnt(0)
	v_fma_f64 v[62:63], -v[38:39], v[0:1], v[62:63]
.LBB56_199:
	s_or_b32 exec_lo, exec_lo, s0
	v_lshl_add_u32 v0, v73, 3, v70
	s_barrier
	buffer_gl0_inv
	v_mov_b32_e32 v64, 12
	ds_write_b64 v0, v[36:37]
	s_waitcnt lgkmcnt(0)
	s_barrier
	buffer_gl0_inv
	ds_read_b64 v[0:1], v70 offset:96
	s_cmp_lt_i32 s7, 14
	s_cbranch_scc1 .LBB56_202
; %bb.200:
	v_add3_u32 v65, v71, 0, 0x68
	v_mov_b32_e32 v64, 12
	s_mov_b32 s0, 13
.LBB56_201:                             ; =>This Inner Loop Header: Depth=1
	ds_read_b64 v[74:75], v65
	v_add_nc_u32_e32 v65, 8, v65
	s_waitcnt lgkmcnt(0)
	v_cmp_lt_f64_e64 vcc_lo, |v[0:1]|, |v[74:75]|
	v_cndmask_b32_e32 v1, v1, v75, vcc_lo
	v_cndmask_b32_e32 v0, v0, v74, vcc_lo
	v_cndmask_b32_e64 v64, v64, s0, vcc_lo
	s_add_i32 s0, s0, 1
	s_cmp_lg_u32 s7, s0
	s_cbranch_scc1 .LBB56_201
.LBB56_202:
	s_mov_b32 s0, exec_lo
	s_waitcnt lgkmcnt(0)
	v_cmpx_eq_f64_e32 0, v[0:1]
	s_xor_b32 s0, exec_lo, s0
; %bb.203:
	v_cmp_ne_u32_e32 vcc_lo, 0, v72
	v_cndmask_b32_e32 v72, 13, v72, vcc_lo
; %bb.204:
	s_andn2_saveexec_b32 s0, s0
	s_cbranch_execz .LBB56_206
; %bb.205:
	v_div_scale_f64 v[65:66], null, v[0:1], v[0:1], 1.0
	v_rcp_f64_e32 v[74:75], v[65:66]
	v_fma_f64 v[76:77], -v[65:66], v[74:75], 1.0
	v_fma_f64 v[74:75], v[74:75], v[76:77], v[74:75]
	v_fma_f64 v[76:77], -v[65:66], v[74:75], 1.0
	v_fma_f64 v[74:75], v[74:75], v[76:77], v[74:75]
	v_div_scale_f64 v[76:77], vcc_lo, 1.0, v[0:1], 1.0
	v_mul_f64 v[78:79], v[76:77], v[74:75]
	v_fma_f64 v[65:66], -v[65:66], v[78:79], v[76:77]
	v_div_fmas_f64 v[65:66], v[65:66], v[74:75], v[78:79]
	v_div_fixup_f64 v[0:1], v[65:66], v[0:1], 1.0
.LBB56_206:
	s_or_b32 exec_lo, exec_lo, s0
	s_mov_b32 s0, exec_lo
	v_cmpx_ne_u32_e64 v73, v64
	s_xor_b32 s0, exec_lo, s0
	s_cbranch_execz .LBB56_212
; %bb.207:
	s_mov_b32 s1, exec_lo
	v_cmpx_eq_u32_e32 12, v73
	s_cbranch_execz .LBB56_211
; %bb.208:
	v_cmp_ne_u32_e32 vcc_lo, 12, v64
	s_xor_b32 s2, s6, -1
	s_and_b32 s3, s2, vcc_lo
	s_and_saveexec_b32 s2, s3
	s_cbranch_execz .LBB56_210
; %bb.209:
	v_ashrrev_i32_e32 v65, 31, v64
	v_lshlrev_b64 v[65:66], 2, v[64:65]
	v_add_co_u32 v65, vcc_lo, v4, v65
	v_add_co_ci_u32_e64 v66, null, v5, v66, vcc_lo
	s_clause 0x1
	global_load_dword v67, v[65:66], off
	global_load_dword v73, v[4:5], off offset:48
	s_waitcnt vmcnt(1)
	global_store_dword v[4:5], v67, off offset:48
	s_waitcnt vmcnt(0)
	global_store_dword v[65:66], v73, off
.LBB56_210:
	s_or_b32 exec_lo, exec_lo, s2
	v_mov_b32_e32 v67, v64
	v_mov_b32_e32 v73, v64
.LBB56_211:
	s_or_b32 exec_lo, exec_lo, s1
.LBB56_212:
	s_andn2_saveexec_b32 s0, s0
	s_cbranch_execz .LBB56_214
; %bb.213:
	v_mov_b32_e32 v73, 12
	ds_write2_b64 v70, v[34:35], v[32:33] offset0:13 offset1:14
	ds_write2_b64 v70, v[28:29], v[30:31] offset0:15 offset1:16
	;; [unrolled: 1-line block ×8, first 2 shown]
.LBB56_214:
	s_or_b32 exec_lo, exec_lo, s0
	s_mov_b32 s0, exec_lo
	s_waitcnt lgkmcnt(0)
	s_waitcnt_vscnt null, 0x0
	s_barrier
	buffer_gl0_inv
	v_cmpx_lt_i32_e32 12, v73
	s_cbranch_execz .LBB56_216
; %bb.215:
	v_mul_f64 v[36:37], v[0:1], v[36:37]
	ds_read2_b64 v[74:77], v70 offset0:13 offset1:14
	ds_read2_b64 v[78:81], v70 offset0:15 offset1:16
	;; [unrolled: 1-line block ×8, first 2 shown]
	s_waitcnt lgkmcnt(7)
	v_fma_f64 v[34:35], -v[36:37], v[74:75], v[34:35]
	v_fma_f64 v[32:33], -v[36:37], v[76:77], v[32:33]
	s_waitcnt lgkmcnt(6)
	v_fma_f64 v[28:29], -v[36:37], v[78:79], v[28:29]
	v_fma_f64 v[30:31], -v[36:37], v[80:81], v[30:31]
	;; [unrolled: 3-line block ×8, first 2 shown]
.LBB56_216:
	s_or_b32 exec_lo, exec_lo, s0
	v_lshl_add_u32 v0, v73, 3, v70
	s_barrier
	buffer_gl0_inv
	v_mov_b32_e32 v64, 13
	ds_write_b64 v0, v[34:35]
	s_waitcnt lgkmcnt(0)
	s_barrier
	buffer_gl0_inv
	ds_read_b64 v[0:1], v70 offset:104
	s_cmp_lt_i32 s7, 15
	s_cbranch_scc1 .LBB56_219
; %bb.217:
	v_add3_u32 v65, v71, 0, 0x70
	v_mov_b32_e32 v64, 13
	s_mov_b32 s0, 14
.LBB56_218:                             ; =>This Inner Loop Header: Depth=1
	ds_read_b64 v[74:75], v65
	v_add_nc_u32_e32 v65, 8, v65
	s_waitcnt lgkmcnt(0)
	v_cmp_lt_f64_e64 vcc_lo, |v[0:1]|, |v[74:75]|
	v_cndmask_b32_e32 v1, v1, v75, vcc_lo
	v_cndmask_b32_e32 v0, v0, v74, vcc_lo
	v_cndmask_b32_e64 v64, v64, s0, vcc_lo
	s_add_i32 s0, s0, 1
	s_cmp_lg_u32 s7, s0
	s_cbranch_scc1 .LBB56_218
.LBB56_219:
	s_mov_b32 s0, exec_lo
	s_waitcnt lgkmcnt(0)
	v_cmpx_eq_f64_e32 0, v[0:1]
	s_xor_b32 s0, exec_lo, s0
; %bb.220:
	v_cmp_ne_u32_e32 vcc_lo, 0, v72
	v_cndmask_b32_e32 v72, 14, v72, vcc_lo
; %bb.221:
	s_andn2_saveexec_b32 s0, s0
	s_cbranch_execz .LBB56_223
; %bb.222:
	v_div_scale_f64 v[65:66], null, v[0:1], v[0:1], 1.0
	v_rcp_f64_e32 v[74:75], v[65:66]
	v_fma_f64 v[76:77], -v[65:66], v[74:75], 1.0
	v_fma_f64 v[74:75], v[74:75], v[76:77], v[74:75]
	v_fma_f64 v[76:77], -v[65:66], v[74:75], 1.0
	v_fma_f64 v[74:75], v[74:75], v[76:77], v[74:75]
	v_div_scale_f64 v[76:77], vcc_lo, 1.0, v[0:1], 1.0
	v_mul_f64 v[78:79], v[76:77], v[74:75]
	v_fma_f64 v[65:66], -v[65:66], v[78:79], v[76:77]
	v_div_fmas_f64 v[65:66], v[65:66], v[74:75], v[78:79]
	v_div_fixup_f64 v[0:1], v[65:66], v[0:1], 1.0
.LBB56_223:
	s_or_b32 exec_lo, exec_lo, s0
	s_mov_b32 s0, exec_lo
	v_cmpx_ne_u32_e64 v73, v64
	s_xor_b32 s0, exec_lo, s0
	s_cbranch_execz .LBB56_229
; %bb.224:
	s_mov_b32 s1, exec_lo
	v_cmpx_eq_u32_e32 13, v73
	s_cbranch_execz .LBB56_228
; %bb.225:
	v_cmp_ne_u32_e32 vcc_lo, 13, v64
	s_xor_b32 s2, s6, -1
	s_and_b32 s3, s2, vcc_lo
	s_and_saveexec_b32 s2, s3
	s_cbranch_execz .LBB56_227
; %bb.226:
	v_ashrrev_i32_e32 v65, 31, v64
	v_lshlrev_b64 v[65:66], 2, v[64:65]
	v_add_co_u32 v65, vcc_lo, v4, v65
	v_add_co_ci_u32_e64 v66, null, v5, v66, vcc_lo
	s_clause 0x1
	global_load_dword v67, v[65:66], off
	global_load_dword v73, v[4:5], off offset:52
	s_waitcnt vmcnt(1)
	global_store_dword v[4:5], v67, off offset:52
	s_waitcnt vmcnt(0)
	global_store_dword v[65:66], v73, off
.LBB56_227:
	s_or_b32 exec_lo, exec_lo, s2
	v_mov_b32_e32 v67, v64
	v_mov_b32_e32 v73, v64
.LBB56_228:
	s_or_b32 exec_lo, exec_lo, s1
.LBB56_229:
	s_andn2_saveexec_b32 s0, s0
	s_cbranch_execz .LBB56_231
; %bb.230:
	v_mov_b32_e32 v64, v32
	v_mov_b32_e32 v65, v33
	;; [unrolled: 1-line block ×12, first 2 shown]
	ds_write2_b64 v70, v[64:65], v[73:74] offset0:14 offset1:15
	ds_write2_b64 v70, v[75:76], v[77:78] offset0:16 offset1:17
	;; [unrolled: 1-line block ×3, first 2 shown]
	v_mov_b32_e32 v64, v20
	v_mov_b32_e32 v65, v21
	;; [unrolled: 1-line block ×8, first 2 shown]
	ds_write2_b64 v70, v[64:65], v[73:74] offset0:20 offset1:21
	v_mov_b32_e32 v73, 13
	v_mov_b32_e32 v79, v12
	;; [unrolled: 1-line block ×9, first 2 shown]
	ds_write2_b64 v70, v[75:76], v[77:78] offset0:22 offset1:23
	ds_write2_b64 v70, v[79:80], v[81:82] offset0:24 offset1:25
	;; [unrolled: 1-line block ×3, first 2 shown]
	ds_write_b64 v70, v[62:63] offset:224
.LBB56_231:
	s_or_b32 exec_lo, exec_lo, s0
	s_mov_b32 s0, exec_lo
	s_waitcnt lgkmcnt(0)
	s_waitcnt_vscnt null, 0x0
	s_barrier
	buffer_gl0_inv
	v_cmpx_lt_i32_e32 13, v73
	s_cbranch_execz .LBB56_233
; %bb.232:
	v_mul_f64 v[34:35], v[0:1], v[34:35]
	ds_read2_b64 v[74:77], v70 offset0:14 offset1:15
	ds_read2_b64 v[78:81], v70 offset0:16 offset1:17
	;; [unrolled: 1-line block ×7, first 2 shown]
	ds_read_b64 v[0:1], v70 offset:224
	s_waitcnt lgkmcnt(7)
	v_fma_f64 v[32:33], -v[34:35], v[74:75], v[32:33]
	v_fma_f64 v[28:29], -v[34:35], v[76:77], v[28:29]
	s_waitcnt lgkmcnt(6)
	v_fma_f64 v[30:31], -v[34:35], v[78:79], v[30:31]
	v_fma_f64 v[24:25], -v[34:35], v[80:81], v[24:25]
	;; [unrolled: 3-line block ×7, first 2 shown]
	s_waitcnt lgkmcnt(0)
	v_fma_f64 v[62:63], -v[34:35], v[0:1], v[62:63]
.LBB56_233:
	s_or_b32 exec_lo, exec_lo, s0
	v_lshl_add_u32 v0, v73, 3, v70
	s_barrier
	buffer_gl0_inv
	v_mov_b32_e32 v64, 14
	ds_write_b64 v0, v[32:33]
	s_waitcnt lgkmcnt(0)
	s_barrier
	buffer_gl0_inv
	ds_read_b64 v[0:1], v70 offset:112
	s_cmp_lt_i32 s7, 16
	s_cbranch_scc1 .LBB56_236
; %bb.234:
	v_add3_u32 v65, v71, 0, 0x78
	v_mov_b32_e32 v64, 14
	s_mov_b32 s0, 15
.LBB56_235:                             ; =>This Inner Loop Header: Depth=1
	ds_read_b64 v[74:75], v65
	v_add_nc_u32_e32 v65, 8, v65
	s_waitcnt lgkmcnt(0)
	v_cmp_lt_f64_e64 vcc_lo, |v[0:1]|, |v[74:75]|
	v_cndmask_b32_e32 v1, v1, v75, vcc_lo
	v_cndmask_b32_e32 v0, v0, v74, vcc_lo
	v_cndmask_b32_e64 v64, v64, s0, vcc_lo
	s_add_i32 s0, s0, 1
	s_cmp_lg_u32 s7, s0
	s_cbranch_scc1 .LBB56_235
.LBB56_236:
	s_mov_b32 s0, exec_lo
	s_waitcnt lgkmcnt(0)
	v_cmpx_eq_f64_e32 0, v[0:1]
	s_xor_b32 s0, exec_lo, s0
; %bb.237:
	v_cmp_ne_u32_e32 vcc_lo, 0, v72
	v_cndmask_b32_e32 v72, 15, v72, vcc_lo
; %bb.238:
	s_andn2_saveexec_b32 s0, s0
	s_cbranch_execz .LBB56_240
; %bb.239:
	v_div_scale_f64 v[65:66], null, v[0:1], v[0:1], 1.0
	v_rcp_f64_e32 v[74:75], v[65:66]
	v_fma_f64 v[76:77], -v[65:66], v[74:75], 1.0
	v_fma_f64 v[74:75], v[74:75], v[76:77], v[74:75]
	v_fma_f64 v[76:77], -v[65:66], v[74:75], 1.0
	v_fma_f64 v[74:75], v[74:75], v[76:77], v[74:75]
	v_div_scale_f64 v[76:77], vcc_lo, 1.0, v[0:1], 1.0
	v_mul_f64 v[78:79], v[76:77], v[74:75]
	v_fma_f64 v[65:66], -v[65:66], v[78:79], v[76:77]
	v_div_fmas_f64 v[65:66], v[65:66], v[74:75], v[78:79]
	v_div_fixup_f64 v[0:1], v[65:66], v[0:1], 1.0
.LBB56_240:
	s_or_b32 exec_lo, exec_lo, s0
	s_mov_b32 s0, exec_lo
	v_cmpx_ne_u32_e64 v73, v64
	s_xor_b32 s0, exec_lo, s0
	s_cbranch_execz .LBB56_246
; %bb.241:
	s_mov_b32 s1, exec_lo
	v_cmpx_eq_u32_e32 14, v73
	s_cbranch_execz .LBB56_245
; %bb.242:
	v_cmp_ne_u32_e32 vcc_lo, 14, v64
	s_xor_b32 s2, s6, -1
	s_and_b32 s3, s2, vcc_lo
	s_and_saveexec_b32 s2, s3
	s_cbranch_execz .LBB56_244
; %bb.243:
	v_ashrrev_i32_e32 v65, 31, v64
	v_lshlrev_b64 v[65:66], 2, v[64:65]
	v_add_co_u32 v65, vcc_lo, v4, v65
	v_add_co_ci_u32_e64 v66, null, v5, v66, vcc_lo
	s_clause 0x1
	global_load_dword v67, v[65:66], off
	global_load_dword v73, v[4:5], off offset:56
	s_waitcnt vmcnt(1)
	global_store_dword v[4:5], v67, off offset:56
	s_waitcnt vmcnt(0)
	global_store_dword v[65:66], v73, off
.LBB56_244:
	s_or_b32 exec_lo, exec_lo, s2
	v_mov_b32_e32 v67, v64
	v_mov_b32_e32 v73, v64
.LBB56_245:
	s_or_b32 exec_lo, exec_lo, s1
.LBB56_246:
	s_andn2_saveexec_b32 s0, s0
	s_cbranch_execz .LBB56_248
; %bb.247:
	v_mov_b32_e32 v73, 14
	ds_write2_b64 v70, v[28:29], v[30:31] offset0:15 offset1:16
	ds_write2_b64 v70, v[24:25], v[26:27] offset0:17 offset1:18
	;; [unrolled: 1-line block ×7, first 2 shown]
.LBB56_248:
	s_or_b32 exec_lo, exec_lo, s0
	s_mov_b32 s0, exec_lo
	s_waitcnt lgkmcnt(0)
	s_waitcnt_vscnt null, 0x0
	s_barrier
	buffer_gl0_inv
	v_cmpx_lt_i32_e32 14, v73
	s_cbranch_execz .LBB56_250
; %bb.249:
	v_mul_f64 v[32:33], v[0:1], v[32:33]
	ds_read2_b64 v[74:77], v70 offset0:15 offset1:16
	ds_read2_b64 v[78:81], v70 offset0:17 offset1:18
	;; [unrolled: 1-line block ×7, first 2 shown]
	s_waitcnt lgkmcnt(6)
	v_fma_f64 v[28:29], -v[32:33], v[74:75], v[28:29]
	v_fma_f64 v[30:31], -v[32:33], v[76:77], v[30:31]
	s_waitcnt lgkmcnt(5)
	v_fma_f64 v[24:25], -v[32:33], v[78:79], v[24:25]
	v_fma_f64 v[26:27], -v[32:33], v[80:81], v[26:27]
	;; [unrolled: 3-line block ×7, first 2 shown]
.LBB56_250:
	s_or_b32 exec_lo, exec_lo, s0
	v_lshl_add_u32 v0, v73, 3, v70
	s_barrier
	buffer_gl0_inv
	v_mov_b32_e32 v64, 15
	ds_write_b64 v0, v[28:29]
	s_waitcnt lgkmcnt(0)
	s_barrier
	buffer_gl0_inv
	ds_read_b64 v[0:1], v70 offset:120
	s_cmp_lt_i32 s7, 17
	s_cbranch_scc1 .LBB56_253
; %bb.251:
	v_add3_u32 v65, v71, 0, 0x80
	v_mov_b32_e32 v64, 15
	s_mov_b32 s0, 16
.LBB56_252:                             ; =>This Inner Loop Header: Depth=1
	ds_read_b64 v[74:75], v65
	v_add_nc_u32_e32 v65, 8, v65
	s_waitcnt lgkmcnt(0)
	v_cmp_lt_f64_e64 vcc_lo, |v[0:1]|, |v[74:75]|
	v_cndmask_b32_e32 v1, v1, v75, vcc_lo
	v_cndmask_b32_e32 v0, v0, v74, vcc_lo
	v_cndmask_b32_e64 v64, v64, s0, vcc_lo
	s_add_i32 s0, s0, 1
	s_cmp_lg_u32 s7, s0
	s_cbranch_scc1 .LBB56_252
.LBB56_253:
	s_mov_b32 s0, exec_lo
	s_waitcnt lgkmcnt(0)
	v_cmpx_eq_f64_e32 0, v[0:1]
	s_xor_b32 s0, exec_lo, s0
; %bb.254:
	v_cmp_ne_u32_e32 vcc_lo, 0, v72
	v_cndmask_b32_e32 v72, 16, v72, vcc_lo
; %bb.255:
	s_andn2_saveexec_b32 s0, s0
	s_cbranch_execz .LBB56_257
; %bb.256:
	v_div_scale_f64 v[65:66], null, v[0:1], v[0:1], 1.0
	v_rcp_f64_e32 v[74:75], v[65:66]
	v_fma_f64 v[76:77], -v[65:66], v[74:75], 1.0
	v_fma_f64 v[74:75], v[74:75], v[76:77], v[74:75]
	v_fma_f64 v[76:77], -v[65:66], v[74:75], 1.0
	v_fma_f64 v[74:75], v[74:75], v[76:77], v[74:75]
	v_div_scale_f64 v[76:77], vcc_lo, 1.0, v[0:1], 1.0
	v_mul_f64 v[78:79], v[76:77], v[74:75]
	v_fma_f64 v[65:66], -v[65:66], v[78:79], v[76:77]
	v_div_fmas_f64 v[65:66], v[65:66], v[74:75], v[78:79]
	v_div_fixup_f64 v[0:1], v[65:66], v[0:1], 1.0
.LBB56_257:
	s_or_b32 exec_lo, exec_lo, s0
	s_mov_b32 s0, exec_lo
	v_cmpx_ne_u32_e64 v73, v64
	s_xor_b32 s0, exec_lo, s0
	s_cbranch_execz .LBB56_263
; %bb.258:
	s_mov_b32 s1, exec_lo
	v_cmpx_eq_u32_e32 15, v73
	s_cbranch_execz .LBB56_262
; %bb.259:
	v_cmp_ne_u32_e32 vcc_lo, 15, v64
	s_xor_b32 s2, s6, -1
	s_and_b32 s3, s2, vcc_lo
	s_and_saveexec_b32 s2, s3
	s_cbranch_execz .LBB56_261
; %bb.260:
	v_ashrrev_i32_e32 v65, 31, v64
	v_lshlrev_b64 v[65:66], 2, v[64:65]
	v_add_co_u32 v65, vcc_lo, v4, v65
	v_add_co_ci_u32_e64 v66, null, v5, v66, vcc_lo
	s_clause 0x1
	global_load_dword v67, v[65:66], off
	global_load_dword v73, v[4:5], off offset:60
	s_waitcnt vmcnt(1)
	global_store_dword v[4:5], v67, off offset:60
	s_waitcnt vmcnt(0)
	global_store_dword v[65:66], v73, off
.LBB56_261:
	s_or_b32 exec_lo, exec_lo, s2
	v_mov_b32_e32 v67, v64
	v_mov_b32_e32 v73, v64
.LBB56_262:
	s_or_b32 exec_lo, exec_lo, s1
.LBB56_263:
	s_andn2_saveexec_b32 s0, s0
	s_cbranch_execz .LBB56_265
; %bb.264:
	v_mov_b32_e32 v64, v30
	v_mov_b32_e32 v65, v31
	;; [unrolled: 1-line block ×8, first 2 shown]
	ds_write2_b64 v70, v[64:65], v[73:74] offset0:16 offset1:17
	ds_write2_b64 v70, v[75:76], v[77:78] offset0:18 offset1:19
	v_mov_b32_e32 v64, v20
	v_mov_b32_e32 v65, v21
	;; [unrolled: 1-line block ×8, first 2 shown]
	ds_write2_b64 v70, v[64:65], v[73:74] offset0:20 offset1:21
	v_mov_b32_e32 v73, 15
	v_mov_b32_e32 v79, v12
	;; [unrolled: 1-line block ×9, first 2 shown]
	ds_write2_b64 v70, v[75:76], v[77:78] offset0:22 offset1:23
	ds_write2_b64 v70, v[79:80], v[81:82] offset0:24 offset1:25
	ds_write2_b64 v70, v[83:84], v[85:86] offset0:26 offset1:27
	ds_write_b64 v70, v[62:63] offset:224
.LBB56_265:
	s_or_b32 exec_lo, exec_lo, s0
	s_mov_b32 s0, exec_lo
	s_waitcnt lgkmcnt(0)
	s_waitcnt_vscnt null, 0x0
	s_barrier
	buffer_gl0_inv
	v_cmpx_lt_i32_e32 15, v73
	s_cbranch_execz .LBB56_267
; %bb.266:
	v_mul_f64 v[28:29], v[0:1], v[28:29]
	ds_read2_b64 v[74:77], v70 offset0:16 offset1:17
	ds_read2_b64 v[78:81], v70 offset0:18 offset1:19
	ds_read2_b64 v[82:85], v70 offset0:20 offset1:21
	ds_read2_b64 v[86:89], v70 offset0:22 offset1:23
	ds_read2_b64 v[90:93], v70 offset0:24 offset1:25
	ds_read2_b64 v[94:97], v70 offset0:26 offset1:27
	ds_read_b64 v[0:1], v70 offset:224
	s_waitcnt lgkmcnt(6)
	v_fma_f64 v[30:31], -v[28:29], v[74:75], v[30:31]
	v_fma_f64 v[24:25], -v[28:29], v[76:77], v[24:25]
	s_waitcnt lgkmcnt(5)
	v_fma_f64 v[26:27], -v[28:29], v[78:79], v[26:27]
	v_fma_f64 v[22:23], -v[28:29], v[80:81], v[22:23]
	s_waitcnt lgkmcnt(4)
	v_fma_f64 v[20:21], -v[28:29], v[82:83], v[20:21]
	v_fma_f64 v[18:19], -v[28:29], v[84:85], v[18:19]
	s_waitcnt lgkmcnt(3)
	v_fma_f64 v[16:17], -v[28:29], v[86:87], v[16:17]
	v_fma_f64 v[14:15], -v[28:29], v[88:89], v[14:15]
	s_waitcnt lgkmcnt(2)
	v_fma_f64 v[12:13], -v[28:29], v[90:91], v[12:13]
	v_fma_f64 v[8:9], -v[28:29], v[92:93], v[8:9]
	s_waitcnt lgkmcnt(1)
	v_fma_f64 v[10:11], -v[28:29], v[94:95], v[10:11]
	v_fma_f64 v[6:7], -v[28:29], v[96:97], v[6:7]
	s_waitcnt lgkmcnt(0)
	v_fma_f64 v[62:63], -v[28:29], v[0:1], v[62:63]
.LBB56_267:
	s_or_b32 exec_lo, exec_lo, s0
	v_lshl_add_u32 v0, v73, 3, v70
	s_barrier
	buffer_gl0_inv
	v_mov_b32_e32 v64, 16
	ds_write_b64 v0, v[30:31]
	s_waitcnt lgkmcnt(0)
	s_barrier
	buffer_gl0_inv
	ds_read_b64 v[0:1], v70 offset:128
	s_cmp_lt_i32 s7, 18
	s_cbranch_scc1 .LBB56_270
; %bb.268:
	v_add3_u32 v65, v71, 0, 0x88
	v_mov_b32_e32 v64, 16
	s_mov_b32 s0, 17
.LBB56_269:                             ; =>This Inner Loop Header: Depth=1
	ds_read_b64 v[74:75], v65
	v_add_nc_u32_e32 v65, 8, v65
	s_waitcnt lgkmcnt(0)
	v_cmp_lt_f64_e64 vcc_lo, |v[0:1]|, |v[74:75]|
	v_cndmask_b32_e32 v1, v1, v75, vcc_lo
	v_cndmask_b32_e32 v0, v0, v74, vcc_lo
	v_cndmask_b32_e64 v64, v64, s0, vcc_lo
	s_add_i32 s0, s0, 1
	s_cmp_lg_u32 s7, s0
	s_cbranch_scc1 .LBB56_269
.LBB56_270:
	s_mov_b32 s0, exec_lo
	s_waitcnt lgkmcnt(0)
	v_cmpx_eq_f64_e32 0, v[0:1]
	s_xor_b32 s0, exec_lo, s0
; %bb.271:
	v_cmp_ne_u32_e32 vcc_lo, 0, v72
	v_cndmask_b32_e32 v72, 17, v72, vcc_lo
; %bb.272:
	s_andn2_saveexec_b32 s0, s0
	s_cbranch_execz .LBB56_274
; %bb.273:
	v_div_scale_f64 v[65:66], null, v[0:1], v[0:1], 1.0
	v_rcp_f64_e32 v[74:75], v[65:66]
	v_fma_f64 v[76:77], -v[65:66], v[74:75], 1.0
	v_fma_f64 v[74:75], v[74:75], v[76:77], v[74:75]
	v_fma_f64 v[76:77], -v[65:66], v[74:75], 1.0
	v_fma_f64 v[74:75], v[74:75], v[76:77], v[74:75]
	v_div_scale_f64 v[76:77], vcc_lo, 1.0, v[0:1], 1.0
	v_mul_f64 v[78:79], v[76:77], v[74:75]
	v_fma_f64 v[65:66], -v[65:66], v[78:79], v[76:77]
	v_div_fmas_f64 v[65:66], v[65:66], v[74:75], v[78:79]
	v_div_fixup_f64 v[0:1], v[65:66], v[0:1], 1.0
.LBB56_274:
	s_or_b32 exec_lo, exec_lo, s0
	s_mov_b32 s0, exec_lo
	v_cmpx_ne_u32_e64 v73, v64
	s_xor_b32 s0, exec_lo, s0
	s_cbranch_execz .LBB56_280
; %bb.275:
	s_mov_b32 s1, exec_lo
	v_cmpx_eq_u32_e32 16, v73
	s_cbranch_execz .LBB56_279
; %bb.276:
	v_cmp_ne_u32_e32 vcc_lo, 16, v64
	s_xor_b32 s2, s6, -1
	s_and_b32 s3, s2, vcc_lo
	s_and_saveexec_b32 s2, s3
	s_cbranch_execz .LBB56_278
; %bb.277:
	v_ashrrev_i32_e32 v65, 31, v64
	v_lshlrev_b64 v[65:66], 2, v[64:65]
	v_add_co_u32 v65, vcc_lo, v4, v65
	v_add_co_ci_u32_e64 v66, null, v5, v66, vcc_lo
	s_clause 0x1
	global_load_dword v67, v[65:66], off
	global_load_dword v73, v[4:5], off offset:64
	s_waitcnt vmcnt(1)
	global_store_dword v[4:5], v67, off offset:64
	s_waitcnt vmcnt(0)
	global_store_dword v[65:66], v73, off
.LBB56_278:
	s_or_b32 exec_lo, exec_lo, s2
	v_mov_b32_e32 v67, v64
	v_mov_b32_e32 v73, v64
.LBB56_279:
	s_or_b32 exec_lo, exec_lo, s1
.LBB56_280:
	s_andn2_saveexec_b32 s0, s0
	s_cbranch_execz .LBB56_282
; %bb.281:
	v_mov_b32_e32 v73, 16
	ds_write2_b64 v70, v[24:25], v[26:27] offset0:17 offset1:18
	ds_write2_b64 v70, v[22:23], v[20:21] offset0:19 offset1:20
	;; [unrolled: 1-line block ×6, first 2 shown]
.LBB56_282:
	s_or_b32 exec_lo, exec_lo, s0
	s_mov_b32 s0, exec_lo
	s_waitcnt lgkmcnt(0)
	s_waitcnt_vscnt null, 0x0
	s_barrier
	buffer_gl0_inv
	v_cmpx_lt_i32_e32 16, v73
	s_cbranch_execz .LBB56_284
; %bb.283:
	v_mul_f64 v[30:31], v[0:1], v[30:31]
	ds_read2_b64 v[74:77], v70 offset0:17 offset1:18
	ds_read2_b64 v[78:81], v70 offset0:19 offset1:20
	;; [unrolled: 1-line block ×6, first 2 shown]
	s_waitcnt lgkmcnt(5)
	v_fma_f64 v[24:25], -v[30:31], v[74:75], v[24:25]
	v_fma_f64 v[26:27], -v[30:31], v[76:77], v[26:27]
	s_waitcnt lgkmcnt(4)
	v_fma_f64 v[22:23], -v[30:31], v[78:79], v[22:23]
	v_fma_f64 v[20:21], -v[30:31], v[80:81], v[20:21]
	;; [unrolled: 3-line block ×6, first 2 shown]
.LBB56_284:
	s_or_b32 exec_lo, exec_lo, s0
	v_lshl_add_u32 v0, v73, 3, v70
	s_barrier
	buffer_gl0_inv
	v_mov_b32_e32 v64, 17
	ds_write_b64 v0, v[24:25]
	s_waitcnt lgkmcnt(0)
	s_barrier
	buffer_gl0_inv
	ds_read_b64 v[0:1], v70 offset:136
	s_cmp_lt_i32 s7, 19
	s_cbranch_scc1 .LBB56_287
; %bb.285:
	v_add3_u32 v65, v71, 0, 0x90
	v_mov_b32_e32 v64, 17
	s_mov_b32 s0, 18
.LBB56_286:                             ; =>This Inner Loop Header: Depth=1
	ds_read_b64 v[74:75], v65
	v_add_nc_u32_e32 v65, 8, v65
	s_waitcnt lgkmcnt(0)
	v_cmp_lt_f64_e64 vcc_lo, |v[0:1]|, |v[74:75]|
	v_cndmask_b32_e32 v1, v1, v75, vcc_lo
	v_cndmask_b32_e32 v0, v0, v74, vcc_lo
	v_cndmask_b32_e64 v64, v64, s0, vcc_lo
	s_add_i32 s0, s0, 1
	s_cmp_lg_u32 s7, s0
	s_cbranch_scc1 .LBB56_286
.LBB56_287:
	s_mov_b32 s0, exec_lo
	s_waitcnt lgkmcnt(0)
	v_cmpx_eq_f64_e32 0, v[0:1]
	s_xor_b32 s0, exec_lo, s0
; %bb.288:
	v_cmp_ne_u32_e32 vcc_lo, 0, v72
	v_cndmask_b32_e32 v72, 18, v72, vcc_lo
; %bb.289:
	s_andn2_saveexec_b32 s0, s0
	s_cbranch_execz .LBB56_291
; %bb.290:
	v_div_scale_f64 v[65:66], null, v[0:1], v[0:1], 1.0
	v_rcp_f64_e32 v[74:75], v[65:66]
	v_fma_f64 v[76:77], -v[65:66], v[74:75], 1.0
	v_fma_f64 v[74:75], v[74:75], v[76:77], v[74:75]
	v_fma_f64 v[76:77], -v[65:66], v[74:75], 1.0
	v_fma_f64 v[74:75], v[74:75], v[76:77], v[74:75]
	v_div_scale_f64 v[76:77], vcc_lo, 1.0, v[0:1], 1.0
	v_mul_f64 v[78:79], v[76:77], v[74:75]
	v_fma_f64 v[65:66], -v[65:66], v[78:79], v[76:77]
	v_div_fmas_f64 v[65:66], v[65:66], v[74:75], v[78:79]
	v_div_fixup_f64 v[0:1], v[65:66], v[0:1], 1.0
.LBB56_291:
	s_or_b32 exec_lo, exec_lo, s0
	s_mov_b32 s0, exec_lo
	v_cmpx_ne_u32_e64 v73, v64
	s_xor_b32 s0, exec_lo, s0
	s_cbranch_execz .LBB56_297
; %bb.292:
	s_mov_b32 s1, exec_lo
	v_cmpx_eq_u32_e32 17, v73
	s_cbranch_execz .LBB56_296
; %bb.293:
	v_cmp_ne_u32_e32 vcc_lo, 17, v64
	s_xor_b32 s2, s6, -1
	s_and_b32 s3, s2, vcc_lo
	s_and_saveexec_b32 s2, s3
	s_cbranch_execz .LBB56_295
; %bb.294:
	v_ashrrev_i32_e32 v65, 31, v64
	v_lshlrev_b64 v[65:66], 2, v[64:65]
	v_add_co_u32 v65, vcc_lo, v4, v65
	v_add_co_ci_u32_e64 v66, null, v5, v66, vcc_lo
	s_clause 0x1
	global_load_dword v67, v[65:66], off
	global_load_dword v73, v[4:5], off offset:68
	s_waitcnt vmcnt(1)
	global_store_dword v[4:5], v67, off offset:68
	s_waitcnt vmcnt(0)
	global_store_dword v[65:66], v73, off
.LBB56_295:
	s_or_b32 exec_lo, exec_lo, s2
	v_mov_b32_e32 v67, v64
	v_mov_b32_e32 v73, v64
.LBB56_296:
	s_or_b32 exec_lo, exec_lo, s1
.LBB56_297:
	s_andn2_saveexec_b32 s0, s0
	s_cbranch_execz .LBB56_299
; %bb.298:
	v_mov_b32_e32 v64, v26
	v_mov_b32_e32 v65, v27
	;; [unrolled: 1-line block ×8, first 2 shown]
	ds_write2_b64 v70, v[64:65], v[73:74] offset0:18 offset1:19
	v_mov_b32_e32 v64, v18
	v_mov_b32_e32 v65, v19
	;; [unrolled: 1-line block ×13, first 2 shown]
	ds_write2_b64 v70, v[75:76], v[64:65] offset0:20 offset1:21
	ds_write2_b64 v70, v[77:78], v[79:80] offset0:22 offset1:23
	;; [unrolled: 1-line block ×4, first 2 shown]
	ds_write_b64 v70, v[62:63] offset:224
.LBB56_299:
	s_or_b32 exec_lo, exec_lo, s0
	s_mov_b32 s0, exec_lo
	s_waitcnt lgkmcnt(0)
	s_waitcnt_vscnt null, 0x0
	s_barrier
	buffer_gl0_inv
	v_cmpx_lt_i32_e32 17, v73
	s_cbranch_execz .LBB56_301
; %bb.300:
	v_mul_f64 v[24:25], v[0:1], v[24:25]
	ds_read2_b64 v[74:77], v70 offset0:18 offset1:19
	ds_read2_b64 v[78:81], v70 offset0:20 offset1:21
	;; [unrolled: 1-line block ×5, first 2 shown]
	ds_read_b64 v[0:1], v70 offset:224
	s_waitcnt lgkmcnt(5)
	v_fma_f64 v[26:27], -v[24:25], v[74:75], v[26:27]
	v_fma_f64 v[22:23], -v[24:25], v[76:77], v[22:23]
	s_waitcnt lgkmcnt(4)
	v_fma_f64 v[20:21], -v[24:25], v[78:79], v[20:21]
	v_fma_f64 v[18:19], -v[24:25], v[80:81], v[18:19]
	;; [unrolled: 3-line block ×5, first 2 shown]
	s_waitcnt lgkmcnt(0)
	v_fma_f64 v[62:63], -v[24:25], v[0:1], v[62:63]
.LBB56_301:
	s_or_b32 exec_lo, exec_lo, s0
	v_lshl_add_u32 v0, v73, 3, v70
	s_barrier
	buffer_gl0_inv
	v_mov_b32_e32 v64, 18
	ds_write_b64 v0, v[26:27]
	s_waitcnt lgkmcnt(0)
	s_barrier
	buffer_gl0_inv
	ds_read_b64 v[0:1], v70 offset:144
	s_cmp_lt_i32 s7, 20
	s_cbranch_scc1 .LBB56_304
; %bb.302:
	v_add3_u32 v65, v71, 0, 0x98
	v_mov_b32_e32 v64, 18
	s_mov_b32 s0, 19
.LBB56_303:                             ; =>This Inner Loop Header: Depth=1
	ds_read_b64 v[74:75], v65
	v_add_nc_u32_e32 v65, 8, v65
	s_waitcnt lgkmcnt(0)
	v_cmp_lt_f64_e64 vcc_lo, |v[0:1]|, |v[74:75]|
	v_cndmask_b32_e32 v1, v1, v75, vcc_lo
	v_cndmask_b32_e32 v0, v0, v74, vcc_lo
	v_cndmask_b32_e64 v64, v64, s0, vcc_lo
	s_add_i32 s0, s0, 1
	s_cmp_lg_u32 s7, s0
	s_cbranch_scc1 .LBB56_303
.LBB56_304:
	s_mov_b32 s0, exec_lo
	s_waitcnt lgkmcnt(0)
	v_cmpx_eq_f64_e32 0, v[0:1]
	s_xor_b32 s0, exec_lo, s0
; %bb.305:
	v_cmp_ne_u32_e32 vcc_lo, 0, v72
	v_cndmask_b32_e32 v72, 19, v72, vcc_lo
; %bb.306:
	s_andn2_saveexec_b32 s0, s0
	s_cbranch_execz .LBB56_308
; %bb.307:
	v_div_scale_f64 v[65:66], null, v[0:1], v[0:1], 1.0
	v_rcp_f64_e32 v[74:75], v[65:66]
	v_fma_f64 v[76:77], -v[65:66], v[74:75], 1.0
	v_fma_f64 v[74:75], v[74:75], v[76:77], v[74:75]
	v_fma_f64 v[76:77], -v[65:66], v[74:75], 1.0
	v_fma_f64 v[74:75], v[74:75], v[76:77], v[74:75]
	v_div_scale_f64 v[76:77], vcc_lo, 1.0, v[0:1], 1.0
	v_mul_f64 v[78:79], v[76:77], v[74:75]
	v_fma_f64 v[65:66], -v[65:66], v[78:79], v[76:77]
	v_div_fmas_f64 v[65:66], v[65:66], v[74:75], v[78:79]
	v_div_fixup_f64 v[0:1], v[65:66], v[0:1], 1.0
.LBB56_308:
	s_or_b32 exec_lo, exec_lo, s0
	s_mov_b32 s0, exec_lo
	v_cmpx_ne_u32_e64 v73, v64
	s_xor_b32 s0, exec_lo, s0
	s_cbranch_execz .LBB56_314
; %bb.309:
	s_mov_b32 s1, exec_lo
	v_cmpx_eq_u32_e32 18, v73
	s_cbranch_execz .LBB56_313
; %bb.310:
	v_cmp_ne_u32_e32 vcc_lo, 18, v64
	s_xor_b32 s2, s6, -1
	s_and_b32 s3, s2, vcc_lo
	s_and_saveexec_b32 s2, s3
	s_cbranch_execz .LBB56_312
; %bb.311:
	v_ashrrev_i32_e32 v65, 31, v64
	v_lshlrev_b64 v[65:66], 2, v[64:65]
	v_add_co_u32 v65, vcc_lo, v4, v65
	v_add_co_ci_u32_e64 v66, null, v5, v66, vcc_lo
	s_clause 0x1
	global_load_dword v67, v[65:66], off
	global_load_dword v73, v[4:5], off offset:72
	s_waitcnt vmcnt(1)
	global_store_dword v[4:5], v67, off offset:72
	s_waitcnt vmcnt(0)
	global_store_dword v[65:66], v73, off
.LBB56_312:
	s_or_b32 exec_lo, exec_lo, s2
	v_mov_b32_e32 v67, v64
	v_mov_b32_e32 v73, v64
.LBB56_313:
	s_or_b32 exec_lo, exec_lo, s1
.LBB56_314:
	s_andn2_saveexec_b32 s0, s0
	s_cbranch_execz .LBB56_316
; %bb.315:
	v_mov_b32_e32 v73, 18
	ds_write2_b64 v70, v[22:23], v[20:21] offset0:19 offset1:20
	ds_write2_b64 v70, v[18:19], v[16:17] offset0:21 offset1:22
	;; [unrolled: 1-line block ×5, first 2 shown]
.LBB56_316:
	s_or_b32 exec_lo, exec_lo, s0
	s_mov_b32 s0, exec_lo
	s_waitcnt lgkmcnt(0)
	s_waitcnt_vscnt null, 0x0
	s_barrier
	buffer_gl0_inv
	v_cmpx_lt_i32_e32 18, v73
	s_cbranch_execz .LBB56_318
; %bb.317:
	v_mul_f64 v[26:27], v[0:1], v[26:27]
	ds_read2_b64 v[74:77], v70 offset0:19 offset1:20
	ds_read2_b64 v[78:81], v70 offset0:21 offset1:22
	;; [unrolled: 1-line block ×5, first 2 shown]
	s_waitcnt lgkmcnt(4)
	v_fma_f64 v[22:23], -v[26:27], v[74:75], v[22:23]
	v_fma_f64 v[20:21], -v[26:27], v[76:77], v[20:21]
	s_waitcnt lgkmcnt(3)
	v_fma_f64 v[18:19], -v[26:27], v[78:79], v[18:19]
	v_fma_f64 v[16:17], -v[26:27], v[80:81], v[16:17]
	;; [unrolled: 3-line block ×5, first 2 shown]
.LBB56_318:
	s_or_b32 exec_lo, exec_lo, s0
	v_lshl_add_u32 v0, v73, 3, v70
	s_barrier
	buffer_gl0_inv
	v_mov_b32_e32 v64, 19
	ds_write_b64 v0, v[22:23]
	s_waitcnt lgkmcnt(0)
	s_barrier
	buffer_gl0_inv
	ds_read_b64 v[0:1], v70 offset:152
	s_cmp_lt_i32 s7, 21
	s_cbranch_scc1 .LBB56_321
; %bb.319:
	v_add3_u32 v65, v71, 0, 0xa0
	v_mov_b32_e32 v64, 19
	s_mov_b32 s0, 20
.LBB56_320:                             ; =>This Inner Loop Header: Depth=1
	ds_read_b64 v[74:75], v65
	v_add_nc_u32_e32 v65, 8, v65
	s_waitcnt lgkmcnt(0)
	v_cmp_lt_f64_e64 vcc_lo, |v[0:1]|, |v[74:75]|
	v_cndmask_b32_e32 v1, v1, v75, vcc_lo
	v_cndmask_b32_e32 v0, v0, v74, vcc_lo
	v_cndmask_b32_e64 v64, v64, s0, vcc_lo
	s_add_i32 s0, s0, 1
	s_cmp_lg_u32 s7, s0
	s_cbranch_scc1 .LBB56_320
.LBB56_321:
	s_mov_b32 s0, exec_lo
	s_waitcnt lgkmcnt(0)
	v_cmpx_eq_f64_e32 0, v[0:1]
	s_xor_b32 s0, exec_lo, s0
; %bb.322:
	v_cmp_ne_u32_e32 vcc_lo, 0, v72
	v_cndmask_b32_e32 v72, 20, v72, vcc_lo
; %bb.323:
	s_andn2_saveexec_b32 s0, s0
	s_cbranch_execz .LBB56_325
; %bb.324:
	v_div_scale_f64 v[65:66], null, v[0:1], v[0:1], 1.0
	v_rcp_f64_e32 v[74:75], v[65:66]
	v_fma_f64 v[76:77], -v[65:66], v[74:75], 1.0
	v_fma_f64 v[74:75], v[74:75], v[76:77], v[74:75]
	v_fma_f64 v[76:77], -v[65:66], v[74:75], 1.0
	v_fma_f64 v[74:75], v[74:75], v[76:77], v[74:75]
	v_div_scale_f64 v[76:77], vcc_lo, 1.0, v[0:1], 1.0
	v_mul_f64 v[78:79], v[76:77], v[74:75]
	v_fma_f64 v[65:66], -v[65:66], v[78:79], v[76:77]
	v_div_fmas_f64 v[65:66], v[65:66], v[74:75], v[78:79]
	v_div_fixup_f64 v[0:1], v[65:66], v[0:1], 1.0
.LBB56_325:
	s_or_b32 exec_lo, exec_lo, s0
	s_mov_b32 s0, exec_lo
	v_cmpx_ne_u32_e64 v73, v64
	s_xor_b32 s0, exec_lo, s0
	s_cbranch_execz .LBB56_331
; %bb.326:
	s_mov_b32 s1, exec_lo
	v_cmpx_eq_u32_e32 19, v73
	s_cbranch_execz .LBB56_330
; %bb.327:
	v_cmp_ne_u32_e32 vcc_lo, 19, v64
	s_xor_b32 s2, s6, -1
	s_and_b32 s3, s2, vcc_lo
	s_and_saveexec_b32 s2, s3
	s_cbranch_execz .LBB56_329
; %bb.328:
	v_ashrrev_i32_e32 v65, 31, v64
	v_lshlrev_b64 v[65:66], 2, v[64:65]
	v_add_co_u32 v65, vcc_lo, v4, v65
	v_add_co_ci_u32_e64 v66, null, v5, v66, vcc_lo
	s_clause 0x1
	global_load_dword v67, v[65:66], off
	global_load_dword v73, v[4:5], off offset:76
	s_waitcnt vmcnt(1)
	global_store_dword v[4:5], v67, off offset:76
	s_waitcnt vmcnt(0)
	global_store_dword v[65:66], v73, off
.LBB56_329:
	s_or_b32 exec_lo, exec_lo, s2
	v_mov_b32_e32 v67, v64
	v_mov_b32_e32 v73, v64
.LBB56_330:
	s_or_b32 exec_lo, exec_lo, s1
.LBB56_331:
	s_andn2_saveexec_b32 s0, s0
	s_cbranch_execz .LBB56_333
; %bb.332:
	v_mov_b32_e32 v64, v20
	v_mov_b32_e32 v65, v21
	;; [unrolled: 1-line block ×8, first 2 shown]
	ds_write2_b64 v70, v[64:65], v[73:74] offset0:20 offset1:21
	v_mov_b32_e32 v73, 19
	v_mov_b32_e32 v79, v12
	;; [unrolled: 1-line block ×9, first 2 shown]
	ds_write2_b64 v70, v[75:76], v[77:78] offset0:22 offset1:23
	ds_write2_b64 v70, v[79:80], v[81:82] offset0:24 offset1:25
	;; [unrolled: 1-line block ×3, first 2 shown]
	ds_write_b64 v70, v[62:63] offset:224
.LBB56_333:
	s_or_b32 exec_lo, exec_lo, s0
	s_mov_b32 s0, exec_lo
	s_waitcnt lgkmcnt(0)
	s_waitcnt_vscnt null, 0x0
	s_barrier
	buffer_gl0_inv
	v_cmpx_lt_i32_e32 19, v73
	s_cbranch_execz .LBB56_335
; %bb.334:
	v_mul_f64 v[22:23], v[0:1], v[22:23]
	ds_read2_b64 v[74:77], v70 offset0:20 offset1:21
	ds_read2_b64 v[78:81], v70 offset0:22 offset1:23
	;; [unrolled: 1-line block ×4, first 2 shown]
	ds_read_b64 v[0:1], v70 offset:224
	s_waitcnt lgkmcnt(4)
	v_fma_f64 v[20:21], -v[22:23], v[74:75], v[20:21]
	v_fma_f64 v[18:19], -v[22:23], v[76:77], v[18:19]
	s_waitcnt lgkmcnt(3)
	v_fma_f64 v[16:17], -v[22:23], v[78:79], v[16:17]
	v_fma_f64 v[14:15], -v[22:23], v[80:81], v[14:15]
	;; [unrolled: 3-line block ×4, first 2 shown]
	s_waitcnt lgkmcnt(0)
	v_fma_f64 v[62:63], -v[22:23], v[0:1], v[62:63]
.LBB56_335:
	s_or_b32 exec_lo, exec_lo, s0
	v_lshl_add_u32 v0, v73, 3, v70
	s_barrier
	buffer_gl0_inv
	v_mov_b32_e32 v64, 20
	ds_write_b64 v0, v[20:21]
	s_waitcnt lgkmcnt(0)
	s_barrier
	buffer_gl0_inv
	ds_read_b64 v[0:1], v70 offset:160
	s_cmp_lt_i32 s7, 22
	s_cbranch_scc1 .LBB56_338
; %bb.336:
	v_add3_u32 v65, v71, 0, 0xa8
	v_mov_b32_e32 v64, 20
	s_mov_b32 s0, 21
.LBB56_337:                             ; =>This Inner Loop Header: Depth=1
	ds_read_b64 v[74:75], v65
	v_add_nc_u32_e32 v65, 8, v65
	s_waitcnt lgkmcnt(0)
	v_cmp_lt_f64_e64 vcc_lo, |v[0:1]|, |v[74:75]|
	v_cndmask_b32_e32 v1, v1, v75, vcc_lo
	v_cndmask_b32_e32 v0, v0, v74, vcc_lo
	v_cndmask_b32_e64 v64, v64, s0, vcc_lo
	s_add_i32 s0, s0, 1
	s_cmp_lg_u32 s7, s0
	s_cbranch_scc1 .LBB56_337
.LBB56_338:
	s_mov_b32 s0, exec_lo
	s_waitcnt lgkmcnt(0)
	v_cmpx_eq_f64_e32 0, v[0:1]
	s_xor_b32 s0, exec_lo, s0
; %bb.339:
	v_cmp_ne_u32_e32 vcc_lo, 0, v72
	v_cndmask_b32_e32 v72, 21, v72, vcc_lo
; %bb.340:
	s_andn2_saveexec_b32 s0, s0
	s_cbranch_execz .LBB56_342
; %bb.341:
	v_div_scale_f64 v[65:66], null, v[0:1], v[0:1], 1.0
	v_rcp_f64_e32 v[74:75], v[65:66]
	v_fma_f64 v[76:77], -v[65:66], v[74:75], 1.0
	v_fma_f64 v[74:75], v[74:75], v[76:77], v[74:75]
	v_fma_f64 v[76:77], -v[65:66], v[74:75], 1.0
	v_fma_f64 v[74:75], v[74:75], v[76:77], v[74:75]
	v_div_scale_f64 v[76:77], vcc_lo, 1.0, v[0:1], 1.0
	v_mul_f64 v[78:79], v[76:77], v[74:75]
	v_fma_f64 v[65:66], -v[65:66], v[78:79], v[76:77]
	v_div_fmas_f64 v[65:66], v[65:66], v[74:75], v[78:79]
	v_div_fixup_f64 v[0:1], v[65:66], v[0:1], 1.0
.LBB56_342:
	s_or_b32 exec_lo, exec_lo, s0
	s_mov_b32 s0, exec_lo
	v_cmpx_ne_u32_e64 v73, v64
	s_xor_b32 s0, exec_lo, s0
	s_cbranch_execz .LBB56_348
; %bb.343:
	s_mov_b32 s1, exec_lo
	v_cmpx_eq_u32_e32 20, v73
	s_cbranch_execz .LBB56_347
; %bb.344:
	v_cmp_ne_u32_e32 vcc_lo, 20, v64
	s_xor_b32 s2, s6, -1
	s_and_b32 s3, s2, vcc_lo
	s_and_saveexec_b32 s2, s3
	s_cbranch_execz .LBB56_346
; %bb.345:
	v_ashrrev_i32_e32 v65, 31, v64
	v_lshlrev_b64 v[65:66], 2, v[64:65]
	v_add_co_u32 v65, vcc_lo, v4, v65
	v_add_co_ci_u32_e64 v66, null, v5, v66, vcc_lo
	s_clause 0x1
	global_load_dword v67, v[65:66], off
	global_load_dword v73, v[4:5], off offset:80
	s_waitcnt vmcnt(1)
	global_store_dword v[4:5], v67, off offset:80
	s_waitcnt vmcnt(0)
	global_store_dword v[65:66], v73, off
.LBB56_346:
	s_or_b32 exec_lo, exec_lo, s2
	v_mov_b32_e32 v67, v64
	v_mov_b32_e32 v73, v64
.LBB56_347:
	s_or_b32 exec_lo, exec_lo, s1
.LBB56_348:
	s_andn2_saveexec_b32 s0, s0
	s_cbranch_execz .LBB56_350
; %bb.349:
	v_mov_b32_e32 v73, 20
	ds_write2_b64 v70, v[18:19], v[16:17] offset0:21 offset1:22
	ds_write2_b64 v70, v[14:15], v[12:13] offset0:23 offset1:24
	;; [unrolled: 1-line block ×4, first 2 shown]
.LBB56_350:
	s_or_b32 exec_lo, exec_lo, s0
	s_mov_b32 s0, exec_lo
	s_waitcnt lgkmcnt(0)
	s_waitcnt_vscnt null, 0x0
	s_barrier
	buffer_gl0_inv
	v_cmpx_lt_i32_e32 20, v73
	s_cbranch_execz .LBB56_352
; %bb.351:
	v_mul_f64 v[20:21], v[0:1], v[20:21]
	ds_read2_b64 v[74:77], v70 offset0:21 offset1:22
	ds_read2_b64 v[78:81], v70 offset0:23 offset1:24
	ds_read2_b64 v[82:85], v70 offset0:25 offset1:26
	ds_read2_b64 v[86:89], v70 offset0:27 offset1:28
	s_waitcnt lgkmcnt(3)
	v_fma_f64 v[18:19], -v[20:21], v[74:75], v[18:19]
	v_fma_f64 v[16:17], -v[20:21], v[76:77], v[16:17]
	s_waitcnt lgkmcnt(2)
	v_fma_f64 v[14:15], -v[20:21], v[78:79], v[14:15]
	v_fma_f64 v[12:13], -v[20:21], v[80:81], v[12:13]
	;; [unrolled: 3-line block ×4, first 2 shown]
.LBB56_352:
	s_or_b32 exec_lo, exec_lo, s0
	v_lshl_add_u32 v0, v73, 3, v70
	s_barrier
	buffer_gl0_inv
	v_mov_b32_e32 v64, 21
	ds_write_b64 v0, v[18:19]
	s_waitcnt lgkmcnt(0)
	s_barrier
	buffer_gl0_inv
	ds_read_b64 v[0:1], v70 offset:168
	s_cmp_lt_i32 s7, 23
	s_cbranch_scc1 .LBB56_355
; %bb.353:
	v_add3_u32 v65, v71, 0, 0xb0
	v_mov_b32_e32 v64, 21
	s_mov_b32 s0, 22
.LBB56_354:                             ; =>This Inner Loop Header: Depth=1
	ds_read_b64 v[74:75], v65
	v_add_nc_u32_e32 v65, 8, v65
	s_waitcnt lgkmcnt(0)
	v_cmp_lt_f64_e64 vcc_lo, |v[0:1]|, |v[74:75]|
	v_cndmask_b32_e32 v1, v1, v75, vcc_lo
	v_cndmask_b32_e32 v0, v0, v74, vcc_lo
	v_cndmask_b32_e64 v64, v64, s0, vcc_lo
	s_add_i32 s0, s0, 1
	s_cmp_lg_u32 s7, s0
	s_cbranch_scc1 .LBB56_354
.LBB56_355:
	s_mov_b32 s0, exec_lo
	s_waitcnt lgkmcnt(0)
	v_cmpx_eq_f64_e32 0, v[0:1]
	s_xor_b32 s0, exec_lo, s0
; %bb.356:
	v_cmp_ne_u32_e32 vcc_lo, 0, v72
	v_cndmask_b32_e32 v72, 22, v72, vcc_lo
; %bb.357:
	s_andn2_saveexec_b32 s0, s0
	s_cbranch_execz .LBB56_359
; %bb.358:
	v_div_scale_f64 v[65:66], null, v[0:1], v[0:1], 1.0
	v_rcp_f64_e32 v[74:75], v[65:66]
	v_fma_f64 v[76:77], -v[65:66], v[74:75], 1.0
	v_fma_f64 v[74:75], v[74:75], v[76:77], v[74:75]
	v_fma_f64 v[76:77], -v[65:66], v[74:75], 1.0
	v_fma_f64 v[74:75], v[74:75], v[76:77], v[74:75]
	v_div_scale_f64 v[76:77], vcc_lo, 1.0, v[0:1], 1.0
	v_mul_f64 v[78:79], v[76:77], v[74:75]
	v_fma_f64 v[65:66], -v[65:66], v[78:79], v[76:77]
	v_div_fmas_f64 v[65:66], v[65:66], v[74:75], v[78:79]
	v_div_fixup_f64 v[0:1], v[65:66], v[0:1], 1.0
.LBB56_359:
	s_or_b32 exec_lo, exec_lo, s0
	s_mov_b32 s0, exec_lo
	v_cmpx_ne_u32_e64 v73, v64
	s_xor_b32 s0, exec_lo, s0
	s_cbranch_execz .LBB56_365
; %bb.360:
	s_mov_b32 s1, exec_lo
	v_cmpx_eq_u32_e32 21, v73
	s_cbranch_execz .LBB56_364
; %bb.361:
	v_cmp_ne_u32_e32 vcc_lo, 21, v64
	s_xor_b32 s2, s6, -1
	s_and_b32 s3, s2, vcc_lo
	s_and_saveexec_b32 s2, s3
	s_cbranch_execz .LBB56_363
; %bb.362:
	v_ashrrev_i32_e32 v65, 31, v64
	v_lshlrev_b64 v[65:66], 2, v[64:65]
	v_add_co_u32 v65, vcc_lo, v4, v65
	v_add_co_ci_u32_e64 v66, null, v5, v66, vcc_lo
	s_clause 0x1
	global_load_dword v67, v[65:66], off
	global_load_dword v73, v[4:5], off offset:84
	s_waitcnt vmcnt(1)
	global_store_dword v[4:5], v67, off offset:84
	s_waitcnt vmcnt(0)
	global_store_dword v[65:66], v73, off
.LBB56_363:
	s_or_b32 exec_lo, exec_lo, s2
	v_mov_b32_e32 v67, v64
	v_mov_b32_e32 v73, v64
.LBB56_364:
	s_or_b32 exec_lo, exec_lo, s1
.LBB56_365:
	s_andn2_saveexec_b32 s0, s0
	s_cbranch_execz .LBB56_367
; %bb.366:
	v_mov_b32_e32 v64, v16
	v_mov_b32_e32 v65, v17
	;; [unrolled: 1-line block ×13, first 2 shown]
	ds_write2_b64 v70, v[64:65], v[74:75] offset0:22 offset1:23
	ds_write2_b64 v70, v[76:77], v[78:79] offset0:24 offset1:25
	;; [unrolled: 1-line block ×3, first 2 shown]
	ds_write_b64 v70, v[62:63] offset:224
.LBB56_367:
	s_or_b32 exec_lo, exec_lo, s0
	s_mov_b32 s0, exec_lo
	s_waitcnt lgkmcnt(0)
	s_waitcnt_vscnt null, 0x0
	s_barrier
	buffer_gl0_inv
	v_cmpx_lt_i32_e32 21, v73
	s_cbranch_execz .LBB56_369
; %bb.368:
	v_mul_f64 v[18:19], v[0:1], v[18:19]
	ds_read2_b64 v[74:77], v70 offset0:22 offset1:23
	ds_read2_b64 v[78:81], v70 offset0:24 offset1:25
	;; [unrolled: 1-line block ×3, first 2 shown]
	ds_read_b64 v[0:1], v70 offset:224
	s_waitcnt lgkmcnt(3)
	v_fma_f64 v[16:17], -v[18:19], v[74:75], v[16:17]
	v_fma_f64 v[14:15], -v[18:19], v[76:77], v[14:15]
	s_waitcnt lgkmcnt(2)
	v_fma_f64 v[12:13], -v[18:19], v[78:79], v[12:13]
	v_fma_f64 v[8:9], -v[18:19], v[80:81], v[8:9]
	;; [unrolled: 3-line block ×3, first 2 shown]
	s_waitcnt lgkmcnt(0)
	v_fma_f64 v[62:63], -v[18:19], v[0:1], v[62:63]
.LBB56_369:
	s_or_b32 exec_lo, exec_lo, s0
	v_lshl_add_u32 v0, v73, 3, v70
	s_barrier
	buffer_gl0_inv
	v_mov_b32_e32 v64, 22
	ds_write_b64 v0, v[16:17]
	s_waitcnt lgkmcnt(0)
	s_barrier
	buffer_gl0_inv
	ds_read_b64 v[0:1], v70 offset:176
	s_cmp_lt_i32 s7, 24
	s_cbranch_scc1 .LBB56_372
; %bb.370:
	v_add3_u32 v65, v71, 0, 0xb8
	v_mov_b32_e32 v64, 22
	s_mov_b32 s0, 23
.LBB56_371:                             ; =>This Inner Loop Header: Depth=1
	ds_read_b64 v[74:75], v65
	v_add_nc_u32_e32 v65, 8, v65
	s_waitcnt lgkmcnt(0)
	v_cmp_lt_f64_e64 vcc_lo, |v[0:1]|, |v[74:75]|
	v_cndmask_b32_e32 v1, v1, v75, vcc_lo
	v_cndmask_b32_e32 v0, v0, v74, vcc_lo
	v_cndmask_b32_e64 v64, v64, s0, vcc_lo
	s_add_i32 s0, s0, 1
	s_cmp_lg_u32 s7, s0
	s_cbranch_scc1 .LBB56_371
.LBB56_372:
	s_mov_b32 s0, exec_lo
	s_waitcnt lgkmcnt(0)
	v_cmpx_eq_f64_e32 0, v[0:1]
	s_xor_b32 s0, exec_lo, s0
; %bb.373:
	v_cmp_ne_u32_e32 vcc_lo, 0, v72
	v_cndmask_b32_e32 v72, 23, v72, vcc_lo
; %bb.374:
	s_andn2_saveexec_b32 s0, s0
	s_cbranch_execz .LBB56_376
; %bb.375:
	v_div_scale_f64 v[65:66], null, v[0:1], v[0:1], 1.0
	v_rcp_f64_e32 v[74:75], v[65:66]
	v_fma_f64 v[76:77], -v[65:66], v[74:75], 1.0
	v_fma_f64 v[74:75], v[74:75], v[76:77], v[74:75]
	v_fma_f64 v[76:77], -v[65:66], v[74:75], 1.0
	v_fma_f64 v[74:75], v[74:75], v[76:77], v[74:75]
	v_div_scale_f64 v[76:77], vcc_lo, 1.0, v[0:1], 1.0
	v_mul_f64 v[78:79], v[76:77], v[74:75]
	v_fma_f64 v[65:66], -v[65:66], v[78:79], v[76:77]
	v_div_fmas_f64 v[65:66], v[65:66], v[74:75], v[78:79]
	v_div_fixup_f64 v[0:1], v[65:66], v[0:1], 1.0
.LBB56_376:
	s_or_b32 exec_lo, exec_lo, s0
	s_mov_b32 s0, exec_lo
	v_cmpx_ne_u32_e64 v73, v64
	s_xor_b32 s0, exec_lo, s0
	s_cbranch_execz .LBB56_382
; %bb.377:
	s_mov_b32 s1, exec_lo
	v_cmpx_eq_u32_e32 22, v73
	s_cbranch_execz .LBB56_381
; %bb.378:
	v_cmp_ne_u32_e32 vcc_lo, 22, v64
	s_xor_b32 s2, s6, -1
	s_and_b32 s3, s2, vcc_lo
	s_and_saveexec_b32 s2, s3
	s_cbranch_execz .LBB56_380
; %bb.379:
	v_ashrrev_i32_e32 v65, 31, v64
	v_lshlrev_b64 v[65:66], 2, v[64:65]
	v_add_co_u32 v65, vcc_lo, v4, v65
	v_add_co_ci_u32_e64 v66, null, v5, v66, vcc_lo
	s_clause 0x1
	global_load_dword v67, v[65:66], off
	global_load_dword v73, v[4:5], off offset:88
	s_waitcnt vmcnt(1)
	global_store_dword v[4:5], v67, off offset:88
	s_waitcnt vmcnt(0)
	global_store_dword v[65:66], v73, off
.LBB56_380:
	s_or_b32 exec_lo, exec_lo, s2
	v_mov_b32_e32 v67, v64
	v_mov_b32_e32 v73, v64
.LBB56_381:
	s_or_b32 exec_lo, exec_lo, s1
.LBB56_382:
	s_andn2_saveexec_b32 s0, s0
	s_cbranch_execz .LBB56_384
; %bb.383:
	v_mov_b32_e32 v73, 22
	ds_write2_b64 v70, v[14:15], v[12:13] offset0:23 offset1:24
	ds_write2_b64 v70, v[8:9], v[10:11] offset0:25 offset1:26
	;; [unrolled: 1-line block ×3, first 2 shown]
.LBB56_384:
	s_or_b32 exec_lo, exec_lo, s0
	s_mov_b32 s0, exec_lo
	s_waitcnt lgkmcnt(0)
	s_waitcnt_vscnt null, 0x0
	s_barrier
	buffer_gl0_inv
	v_cmpx_lt_i32_e32 22, v73
	s_cbranch_execz .LBB56_386
; %bb.385:
	v_mul_f64 v[16:17], v[0:1], v[16:17]
	ds_read2_b64 v[74:77], v70 offset0:23 offset1:24
	ds_read2_b64 v[78:81], v70 offset0:25 offset1:26
	;; [unrolled: 1-line block ×3, first 2 shown]
	s_waitcnt lgkmcnt(2)
	v_fma_f64 v[14:15], -v[16:17], v[74:75], v[14:15]
	v_fma_f64 v[12:13], -v[16:17], v[76:77], v[12:13]
	s_waitcnt lgkmcnt(1)
	v_fma_f64 v[8:9], -v[16:17], v[78:79], v[8:9]
	v_fma_f64 v[10:11], -v[16:17], v[80:81], v[10:11]
	;; [unrolled: 3-line block ×3, first 2 shown]
.LBB56_386:
	s_or_b32 exec_lo, exec_lo, s0
	v_lshl_add_u32 v0, v73, 3, v70
	s_barrier
	buffer_gl0_inv
	v_mov_b32_e32 v64, 23
	ds_write_b64 v0, v[14:15]
	s_waitcnt lgkmcnt(0)
	s_barrier
	buffer_gl0_inv
	ds_read_b64 v[0:1], v70 offset:184
	s_cmp_lt_i32 s7, 25
	s_cbranch_scc1 .LBB56_389
; %bb.387:
	v_add3_u32 v65, v71, 0, 0xc0
	v_mov_b32_e32 v64, 23
	s_mov_b32 s0, 24
.LBB56_388:                             ; =>This Inner Loop Header: Depth=1
	ds_read_b64 v[74:75], v65
	v_add_nc_u32_e32 v65, 8, v65
	s_waitcnt lgkmcnt(0)
	v_cmp_lt_f64_e64 vcc_lo, |v[0:1]|, |v[74:75]|
	v_cndmask_b32_e32 v1, v1, v75, vcc_lo
	v_cndmask_b32_e32 v0, v0, v74, vcc_lo
	v_cndmask_b32_e64 v64, v64, s0, vcc_lo
	s_add_i32 s0, s0, 1
	s_cmp_lg_u32 s7, s0
	s_cbranch_scc1 .LBB56_388
.LBB56_389:
	s_mov_b32 s0, exec_lo
	s_waitcnt lgkmcnt(0)
	v_cmpx_eq_f64_e32 0, v[0:1]
	s_xor_b32 s0, exec_lo, s0
; %bb.390:
	v_cmp_ne_u32_e32 vcc_lo, 0, v72
	v_cndmask_b32_e32 v72, 24, v72, vcc_lo
; %bb.391:
	s_andn2_saveexec_b32 s0, s0
	s_cbranch_execz .LBB56_393
; %bb.392:
	v_div_scale_f64 v[65:66], null, v[0:1], v[0:1], 1.0
	v_rcp_f64_e32 v[74:75], v[65:66]
	v_fma_f64 v[76:77], -v[65:66], v[74:75], 1.0
	v_fma_f64 v[74:75], v[74:75], v[76:77], v[74:75]
	v_fma_f64 v[76:77], -v[65:66], v[74:75], 1.0
	v_fma_f64 v[74:75], v[74:75], v[76:77], v[74:75]
	v_div_scale_f64 v[76:77], vcc_lo, 1.0, v[0:1], 1.0
	v_mul_f64 v[78:79], v[76:77], v[74:75]
	v_fma_f64 v[65:66], -v[65:66], v[78:79], v[76:77]
	v_div_fmas_f64 v[65:66], v[65:66], v[74:75], v[78:79]
	v_div_fixup_f64 v[0:1], v[65:66], v[0:1], 1.0
.LBB56_393:
	s_or_b32 exec_lo, exec_lo, s0
	s_mov_b32 s0, exec_lo
	v_cmpx_ne_u32_e64 v73, v64
	s_xor_b32 s0, exec_lo, s0
	s_cbranch_execz .LBB56_399
; %bb.394:
	s_mov_b32 s1, exec_lo
	v_cmpx_eq_u32_e32 23, v73
	s_cbranch_execz .LBB56_398
; %bb.395:
	v_cmp_ne_u32_e32 vcc_lo, 23, v64
	s_xor_b32 s2, s6, -1
	s_and_b32 s3, s2, vcc_lo
	s_and_saveexec_b32 s2, s3
	s_cbranch_execz .LBB56_397
; %bb.396:
	v_ashrrev_i32_e32 v65, 31, v64
	v_lshlrev_b64 v[65:66], 2, v[64:65]
	v_add_co_u32 v65, vcc_lo, v4, v65
	v_add_co_ci_u32_e64 v66, null, v5, v66, vcc_lo
	s_clause 0x1
	global_load_dword v67, v[65:66], off
	global_load_dword v73, v[4:5], off offset:92
	s_waitcnt vmcnt(1)
	global_store_dword v[4:5], v67, off offset:92
	s_waitcnt vmcnt(0)
	global_store_dword v[65:66], v73, off
.LBB56_397:
	s_or_b32 exec_lo, exec_lo, s2
	v_mov_b32_e32 v67, v64
	v_mov_b32_e32 v73, v64
.LBB56_398:
	s_or_b32 exec_lo, exec_lo, s1
.LBB56_399:
	s_andn2_saveexec_b32 s0, s0
	s_cbranch_execz .LBB56_401
; %bb.400:
	v_mov_b32_e32 v64, v12
	v_mov_b32_e32 v65, v13
	;; [unrolled: 1-line block ×9, first 2 shown]
	ds_write2_b64 v70, v[64:65], v[74:75] offset0:24 offset1:25
	ds_write2_b64 v70, v[76:77], v[78:79] offset0:26 offset1:27
	ds_write_b64 v70, v[62:63] offset:224
.LBB56_401:
	s_or_b32 exec_lo, exec_lo, s0
	s_mov_b32 s0, exec_lo
	s_waitcnt lgkmcnt(0)
	s_waitcnt_vscnt null, 0x0
	s_barrier
	buffer_gl0_inv
	v_cmpx_lt_i32_e32 23, v73
	s_cbranch_execz .LBB56_403
; %bb.402:
	v_mul_f64 v[14:15], v[0:1], v[14:15]
	ds_read2_b64 v[74:77], v70 offset0:24 offset1:25
	ds_read2_b64 v[78:81], v70 offset0:26 offset1:27
	ds_read_b64 v[0:1], v70 offset:224
	s_waitcnt lgkmcnt(2)
	v_fma_f64 v[12:13], -v[14:15], v[74:75], v[12:13]
	v_fma_f64 v[8:9], -v[14:15], v[76:77], v[8:9]
	s_waitcnt lgkmcnt(1)
	v_fma_f64 v[10:11], -v[14:15], v[78:79], v[10:11]
	v_fma_f64 v[6:7], -v[14:15], v[80:81], v[6:7]
	s_waitcnt lgkmcnt(0)
	v_fma_f64 v[62:63], -v[14:15], v[0:1], v[62:63]
.LBB56_403:
	s_or_b32 exec_lo, exec_lo, s0
	v_lshl_add_u32 v0, v73, 3, v70
	s_barrier
	buffer_gl0_inv
	v_mov_b32_e32 v64, 24
	ds_write_b64 v0, v[12:13]
	s_waitcnt lgkmcnt(0)
	s_barrier
	buffer_gl0_inv
	ds_read_b64 v[0:1], v70 offset:192
	s_cmp_lt_i32 s7, 26
	s_cbranch_scc1 .LBB56_406
; %bb.404:
	v_add3_u32 v65, v71, 0, 0xc8
	v_mov_b32_e32 v64, 24
	s_mov_b32 s0, 25
.LBB56_405:                             ; =>This Inner Loop Header: Depth=1
	ds_read_b64 v[74:75], v65
	v_add_nc_u32_e32 v65, 8, v65
	s_waitcnt lgkmcnt(0)
	v_cmp_lt_f64_e64 vcc_lo, |v[0:1]|, |v[74:75]|
	v_cndmask_b32_e32 v1, v1, v75, vcc_lo
	v_cndmask_b32_e32 v0, v0, v74, vcc_lo
	v_cndmask_b32_e64 v64, v64, s0, vcc_lo
	s_add_i32 s0, s0, 1
	s_cmp_lg_u32 s7, s0
	s_cbranch_scc1 .LBB56_405
.LBB56_406:
	s_mov_b32 s0, exec_lo
	s_waitcnt lgkmcnt(0)
	v_cmpx_eq_f64_e32 0, v[0:1]
	s_xor_b32 s0, exec_lo, s0
; %bb.407:
	v_cmp_ne_u32_e32 vcc_lo, 0, v72
	v_cndmask_b32_e32 v72, 25, v72, vcc_lo
; %bb.408:
	s_andn2_saveexec_b32 s0, s0
	s_cbranch_execz .LBB56_410
; %bb.409:
	v_div_scale_f64 v[65:66], null, v[0:1], v[0:1], 1.0
	v_rcp_f64_e32 v[74:75], v[65:66]
	v_fma_f64 v[76:77], -v[65:66], v[74:75], 1.0
	v_fma_f64 v[74:75], v[74:75], v[76:77], v[74:75]
	v_fma_f64 v[76:77], -v[65:66], v[74:75], 1.0
	v_fma_f64 v[74:75], v[74:75], v[76:77], v[74:75]
	v_div_scale_f64 v[76:77], vcc_lo, 1.0, v[0:1], 1.0
	v_mul_f64 v[78:79], v[76:77], v[74:75]
	v_fma_f64 v[65:66], -v[65:66], v[78:79], v[76:77]
	v_div_fmas_f64 v[65:66], v[65:66], v[74:75], v[78:79]
	v_div_fixup_f64 v[0:1], v[65:66], v[0:1], 1.0
.LBB56_410:
	s_or_b32 exec_lo, exec_lo, s0
	s_mov_b32 s0, exec_lo
	v_cmpx_ne_u32_e64 v73, v64
	s_xor_b32 s0, exec_lo, s0
	s_cbranch_execz .LBB56_416
; %bb.411:
	s_mov_b32 s1, exec_lo
	v_cmpx_eq_u32_e32 24, v73
	s_cbranch_execz .LBB56_415
; %bb.412:
	v_cmp_ne_u32_e32 vcc_lo, 24, v64
	s_xor_b32 s2, s6, -1
	s_and_b32 s3, s2, vcc_lo
	s_and_saveexec_b32 s2, s3
	s_cbranch_execz .LBB56_414
; %bb.413:
	v_ashrrev_i32_e32 v65, 31, v64
	v_lshlrev_b64 v[65:66], 2, v[64:65]
	v_add_co_u32 v65, vcc_lo, v4, v65
	v_add_co_ci_u32_e64 v66, null, v5, v66, vcc_lo
	s_clause 0x1
	global_load_dword v67, v[65:66], off
	global_load_dword v73, v[4:5], off offset:96
	s_waitcnt vmcnt(1)
	global_store_dword v[4:5], v67, off offset:96
	s_waitcnt vmcnt(0)
	global_store_dword v[65:66], v73, off
.LBB56_414:
	s_or_b32 exec_lo, exec_lo, s2
	v_mov_b32_e32 v67, v64
	v_mov_b32_e32 v73, v64
.LBB56_415:
	s_or_b32 exec_lo, exec_lo, s1
.LBB56_416:
	s_andn2_saveexec_b32 s0, s0
	s_cbranch_execz .LBB56_418
; %bb.417:
	v_mov_b32_e32 v73, 24
	ds_write2_b64 v70, v[8:9], v[10:11] offset0:25 offset1:26
	ds_write2_b64 v70, v[6:7], v[62:63] offset0:27 offset1:28
.LBB56_418:
	s_or_b32 exec_lo, exec_lo, s0
	s_mov_b32 s0, exec_lo
	s_waitcnt lgkmcnt(0)
	s_waitcnt_vscnt null, 0x0
	s_barrier
	buffer_gl0_inv
	v_cmpx_lt_i32_e32 24, v73
	s_cbranch_execz .LBB56_420
; %bb.419:
	v_mul_f64 v[12:13], v[0:1], v[12:13]
	ds_read2_b64 v[74:77], v70 offset0:25 offset1:26
	ds_read2_b64 v[78:81], v70 offset0:27 offset1:28
	s_waitcnt lgkmcnt(1)
	v_fma_f64 v[8:9], -v[12:13], v[74:75], v[8:9]
	v_fma_f64 v[10:11], -v[12:13], v[76:77], v[10:11]
	s_waitcnt lgkmcnt(0)
	v_fma_f64 v[6:7], -v[12:13], v[78:79], v[6:7]
	v_fma_f64 v[62:63], -v[12:13], v[80:81], v[62:63]
.LBB56_420:
	s_or_b32 exec_lo, exec_lo, s0
	v_lshl_add_u32 v0, v73, 3, v70
	s_barrier
	buffer_gl0_inv
	v_mov_b32_e32 v64, 25
	ds_write_b64 v0, v[8:9]
	s_waitcnt lgkmcnt(0)
	s_barrier
	buffer_gl0_inv
	ds_read_b64 v[0:1], v70 offset:200
	s_cmp_lt_i32 s7, 27
	s_cbranch_scc1 .LBB56_423
; %bb.421:
	v_add3_u32 v65, v71, 0, 0xd0
	v_mov_b32_e32 v64, 25
	s_mov_b32 s0, 26
.LBB56_422:                             ; =>This Inner Loop Header: Depth=1
	ds_read_b64 v[74:75], v65
	v_add_nc_u32_e32 v65, 8, v65
	s_waitcnt lgkmcnt(0)
	v_cmp_lt_f64_e64 vcc_lo, |v[0:1]|, |v[74:75]|
	v_cndmask_b32_e32 v1, v1, v75, vcc_lo
	v_cndmask_b32_e32 v0, v0, v74, vcc_lo
	v_cndmask_b32_e64 v64, v64, s0, vcc_lo
	s_add_i32 s0, s0, 1
	s_cmp_lg_u32 s7, s0
	s_cbranch_scc1 .LBB56_422
.LBB56_423:
	s_mov_b32 s0, exec_lo
	s_waitcnt lgkmcnt(0)
	v_cmpx_eq_f64_e32 0, v[0:1]
	s_xor_b32 s0, exec_lo, s0
; %bb.424:
	v_cmp_ne_u32_e32 vcc_lo, 0, v72
	v_cndmask_b32_e32 v72, 26, v72, vcc_lo
; %bb.425:
	s_andn2_saveexec_b32 s0, s0
	s_cbranch_execz .LBB56_427
; %bb.426:
	v_div_scale_f64 v[65:66], null, v[0:1], v[0:1], 1.0
	v_rcp_f64_e32 v[74:75], v[65:66]
	v_fma_f64 v[76:77], -v[65:66], v[74:75], 1.0
	v_fma_f64 v[74:75], v[74:75], v[76:77], v[74:75]
	v_fma_f64 v[76:77], -v[65:66], v[74:75], 1.0
	v_fma_f64 v[74:75], v[74:75], v[76:77], v[74:75]
	v_div_scale_f64 v[76:77], vcc_lo, 1.0, v[0:1], 1.0
	v_mul_f64 v[78:79], v[76:77], v[74:75]
	v_fma_f64 v[65:66], -v[65:66], v[78:79], v[76:77]
	v_div_fmas_f64 v[65:66], v[65:66], v[74:75], v[78:79]
	v_div_fixup_f64 v[0:1], v[65:66], v[0:1], 1.0
.LBB56_427:
	s_or_b32 exec_lo, exec_lo, s0
	s_mov_b32 s0, exec_lo
	v_cmpx_ne_u32_e64 v73, v64
	s_xor_b32 s0, exec_lo, s0
	s_cbranch_execz .LBB56_433
; %bb.428:
	s_mov_b32 s1, exec_lo
	v_cmpx_eq_u32_e32 25, v73
	s_cbranch_execz .LBB56_432
; %bb.429:
	v_cmp_ne_u32_e32 vcc_lo, 25, v64
	s_xor_b32 s2, s6, -1
	s_and_b32 s3, s2, vcc_lo
	s_and_saveexec_b32 s2, s3
	s_cbranch_execz .LBB56_431
; %bb.430:
	v_ashrrev_i32_e32 v65, 31, v64
	v_lshlrev_b64 v[65:66], 2, v[64:65]
	v_add_co_u32 v65, vcc_lo, v4, v65
	v_add_co_ci_u32_e64 v66, null, v5, v66, vcc_lo
	s_clause 0x1
	global_load_dword v67, v[65:66], off
	global_load_dword v73, v[4:5], off offset:100
	s_waitcnt vmcnt(1)
	global_store_dword v[4:5], v67, off offset:100
	s_waitcnt vmcnt(0)
	global_store_dword v[65:66], v73, off
.LBB56_431:
	s_or_b32 exec_lo, exec_lo, s2
	v_mov_b32_e32 v67, v64
	v_mov_b32_e32 v73, v64
.LBB56_432:
	s_or_b32 exec_lo, exec_lo, s1
.LBB56_433:
	s_andn2_saveexec_b32 s0, s0
	s_cbranch_execz .LBB56_435
; %bb.434:
	v_mov_b32_e32 v64, v10
	v_mov_b32_e32 v65, v11
	;; [unrolled: 1-line block ×5, first 2 shown]
	ds_write2_b64 v70, v[64:65], v[74:75] offset0:26 offset1:27
	ds_write_b64 v70, v[62:63] offset:224
.LBB56_435:
	s_or_b32 exec_lo, exec_lo, s0
	s_mov_b32 s0, exec_lo
	s_waitcnt lgkmcnt(0)
	s_waitcnt_vscnt null, 0x0
	s_barrier
	buffer_gl0_inv
	v_cmpx_lt_i32_e32 25, v73
	s_cbranch_execz .LBB56_437
; %bb.436:
	v_mul_f64 v[8:9], v[0:1], v[8:9]
	ds_read2_b64 v[74:77], v70 offset0:26 offset1:27
	ds_read_b64 v[0:1], v70 offset:224
	s_waitcnt lgkmcnt(1)
	v_fma_f64 v[10:11], -v[8:9], v[74:75], v[10:11]
	v_fma_f64 v[6:7], -v[8:9], v[76:77], v[6:7]
	s_waitcnt lgkmcnt(0)
	v_fma_f64 v[62:63], -v[8:9], v[0:1], v[62:63]
.LBB56_437:
	s_or_b32 exec_lo, exec_lo, s0
	v_lshl_add_u32 v0, v73, 3, v70
	s_barrier
	buffer_gl0_inv
	v_mov_b32_e32 v64, 26
	ds_write_b64 v0, v[10:11]
	s_waitcnt lgkmcnt(0)
	s_barrier
	buffer_gl0_inv
	ds_read_b64 v[0:1], v70 offset:208
	s_cmp_lt_i32 s7, 28
	s_cbranch_scc1 .LBB56_440
; %bb.438:
	v_add3_u32 v65, v71, 0, 0xd8
	v_mov_b32_e32 v64, 26
	s_mov_b32 s0, 27
.LBB56_439:                             ; =>This Inner Loop Header: Depth=1
	ds_read_b64 v[74:75], v65
	v_add_nc_u32_e32 v65, 8, v65
	s_waitcnt lgkmcnt(0)
	v_cmp_lt_f64_e64 vcc_lo, |v[0:1]|, |v[74:75]|
	v_cndmask_b32_e32 v1, v1, v75, vcc_lo
	v_cndmask_b32_e32 v0, v0, v74, vcc_lo
	v_cndmask_b32_e64 v64, v64, s0, vcc_lo
	s_add_i32 s0, s0, 1
	s_cmp_lg_u32 s7, s0
	s_cbranch_scc1 .LBB56_439
.LBB56_440:
	s_mov_b32 s0, exec_lo
	s_waitcnt lgkmcnt(0)
	v_cmpx_eq_f64_e32 0, v[0:1]
	s_xor_b32 s0, exec_lo, s0
; %bb.441:
	v_cmp_ne_u32_e32 vcc_lo, 0, v72
	v_cndmask_b32_e32 v72, 27, v72, vcc_lo
; %bb.442:
	s_andn2_saveexec_b32 s0, s0
	s_cbranch_execz .LBB56_444
; %bb.443:
	v_div_scale_f64 v[65:66], null, v[0:1], v[0:1], 1.0
	v_rcp_f64_e32 v[74:75], v[65:66]
	v_fma_f64 v[76:77], -v[65:66], v[74:75], 1.0
	v_fma_f64 v[74:75], v[74:75], v[76:77], v[74:75]
	v_fma_f64 v[76:77], -v[65:66], v[74:75], 1.0
	v_fma_f64 v[74:75], v[74:75], v[76:77], v[74:75]
	v_div_scale_f64 v[76:77], vcc_lo, 1.0, v[0:1], 1.0
	v_mul_f64 v[78:79], v[76:77], v[74:75]
	v_fma_f64 v[65:66], -v[65:66], v[78:79], v[76:77]
	v_div_fmas_f64 v[65:66], v[65:66], v[74:75], v[78:79]
	v_div_fixup_f64 v[0:1], v[65:66], v[0:1], 1.0
.LBB56_444:
	s_or_b32 exec_lo, exec_lo, s0
	s_mov_b32 s0, exec_lo
	v_cmpx_ne_u32_e64 v73, v64
	s_xor_b32 s0, exec_lo, s0
	s_cbranch_execz .LBB56_450
; %bb.445:
	s_mov_b32 s1, exec_lo
	v_cmpx_eq_u32_e32 26, v73
	s_cbranch_execz .LBB56_449
; %bb.446:
	v_cmp_ne_u32_e32 vcc_lo, 26, v64
	s_xor_b32 s2, s6, -1
	s_and_b32 s3, s2, vcc_lo
	s_and_saveexec_b32 s2, s3
	s_cbranch_execz .LBB56_448
; %bb.447:
	v_ashrrev_i32_e32 v65, 31, v64
	v_lshlrev_b64 v[65:66], 2, v[64:65]
	v_add_co_u32 v65, vcc_lo, v4, v65
	v_add_co_ci_u32_e64 v66, null, v5, v66, vcc_lo
	s_clause 0x1
	global_load_dword v67, v[65:66], off
	global_load_dword v73, v[4:5], off offset:104
	s_waitcnt vmcnt(1)
	global_store_dword v[4:5], v67, off offset:104
	s_waitcnt vmcnt(0)
	global_store_dword v[65:66], v73, off
.LBB56_448:
	s_or_b32 exec_lo, exec_lo, s2
	v_mov_b32_e32 v67, v64
	v_mov_b32_e32 v73, v64
.LBB56_449:
	s_or_b32 exec_lo, exec_lo, s1
.LBB56_450:
	s_andn2_saveexec_b32 s0, s0
; %bb.451:
	v_mov_b32_e32 v73, 26
	ds_write2_b64 v70, v[6:7], v[62:63] offset0:27 offset1:28
; %bb.452:
	s_or_b32 exec_lo, exec_lo, s0
	s_mov_b32 s0, exec_lo
	s_waitcnt lgkmcnt(0)
	s_waitcnt_vscnt null, 0x0
	s_barrier
	buffer_gl0_inv
	v_cmpx_lt_i32_e32 26, v73
	s_cbranch_execz .LBB56_454
; %bb.453:
	v_mul_f64 v[10:11], v[0:1], v[10:11]
	ds_read2_b64 v[74:77], v70 offset0:27 offset1:28
	s_waitcnt lgkmcnt(0)
	v_fma_f64 v[6:7], -v[10:11], v[74:75], v[6:7]
	v_fma_f64 v[62:63], -v[10:11], v[76:77], v[62:63]
.LBB56_454:
	s_or_b32 exec_lo, exec_lo, s0
	v_lshl_add_u32 v0, v73, 3, v70
	s_barrier
	buffer_gl0_inv
	v_mov_b32_e32 v64, 27
	ds_write_b64 v0, v[6:7]
	s_waitcnt lgkmcnt(0)
	s_barrier
	buffer_gl0_inv
	ds_read_b64 v[0:1], v70 offset:216
	s_cmp_lt_i32 s7, 29
	s_cbranch_scc1 .LBB56_457
; %bb.455:
	v_add3_u32 v65, v71, 0, 0xe0
	v_mov_b32_e32 v64, 27
	s_mov_b32 s0, 28
.LBB56_456:                             ; =>This Inner Loop Header: Depth=1
	ds_read_b64 v[74:75], v65
	v_add_nc_u32_e32 v65, 8, v65
	s_waitcnt lgkmcnt(0)
	v_cmp_lt_f64_e64 vcc_lo, |v[0:1]|, |v[74:75]|
	v_cndmask_b32_e32 v1, v1, v75, vcc_lo
	v_cndmask_b32_e32 v0, v0, v74, vcc_lo
	v_cndmask_b32_e64 v64, v64, s0, vcc_lo
	s_add_i32 s0, s0, 1
	s_cmp_lg_u32 s7, s0
	s_cbranch_scc1 .LBB56_456
.LBB56_457:
	s_mov_b32 s0, exec_lo
	s_waitcnt lgkmcnt(0)
	v_cmpx_eq_f64_e32 0, v[0:1]
	s_xor_b32 s0, exec_lo, s0
; %bb.458:
	v_cmp_ne_u32_e32 vcc_lo, 0, v72
	v_cndmask_b32_e32 v72, 28, v72, vcc_lo
; %bb.459:
	s_andn2_saveexec_b32 s0, s0
	s_cbranch_execz .LBB56_461
; %bb.460:
	v_div_scale_f64 v[65:66], null, v[0:1], v[0:1], 1.0
	v_rcp_f64_e32 v[74:75], v[65:66]
	v_fma_f64 v[76:77], -v[65:66], v[74:75], 1.0
	v_fma_f64 v[74:75], v[74:75], v[76:77], v[74:75]
	v_fma_f64 v[76:77], -v[65:66], v[74:75], 1.0
	v_fma_f64 v[74:75], v[74:75], v[76:77], v[74:75]
	v_div_scale_f64 v[76:77], vcc_lo, 1.0, v[0:1], 1.0
	v_mul_f64 v[78:79], v[76:77], v[74:75]
	v_fma_f64 v[65:66], -v[65:66], v[78:79], v[76:77]
	v_div_fmas_f64 v[65:66], v[65:66], v[74:75], v[78:79]
	v_div_fixup_f64 v[0:1], v[65:66], v[0:1], 1.0
.LBB56_461:
	s_or_b32 exec_lo, exec_lo, s0
	s_mov_b32 s0, exec_lo
	v_cmpx_ne_u32_e64 v73, v64
	s_xor_b32 s0, exec_lo, s0
	s_cbranch_execz .LBB56_467
; %bb.462:
	s_mov_b32 s1, exec_lo
	v_cmpx_eq_u32_e32 27, v73
	s_cbranch_execz .LBB56_466
; %bb.463:
	v_cmp_ne_u32_e32 vcc_lo, 27, v64
	s_xor_b32 s2, s6, -1
	s_and_b32 s3, s2, vcc_lo
	s_and_saveexec_b32 s2, s3
	s_cbranch_execz .LBB56_465
; %bb.464:
	v_ashrrev_i32_e32 v65, 31, v64
	v_lshlrev_b64 v[65:66], 2, v[64:65]
	v_add_co_u32 v65, vcc_lo, v4, v65
	v_add_co_ci_u32_e64 v66, null, v5, v66, vcc_lo
	s_clause 0x1
	global_load_dword v67, v[65:66], off
	global_load_dword v73, v[4:5], off offset:108
	s_waitcnt vmcnt(1)
	global_store_dword v[4:5], v67, off offset:108
	s_waitcnt vmcnt(0)
	global_store_dword v[65:66], v73, off
.LBB56_465:
	s_or_b32 exec_lo, exec_lo, s2
	v_mov_b32_e32 v67, v64
	v_mov_b32_e32 v73, v64
.LBB56_466:
	s_or_b32 exec_lo, exec_lo, s1
.LBB56_467:
	s_andn2_saveexec_b32 s0, s0
; %bb.468:
	v_mov_b32_e32 v73, 27
	ds_write_b64 v70, v[62:63] offset:224
; %bb.469:
	s_or_b32 exec_lo, exec_lo, s0
	s_mov_b32 s0, exec_lo
	s_waitcnt lgkmcnt(0)
	s_waitcnt_vscnt null, 0x0
	s_barrier
	buffer_gl0_inv
	v_cmpx_lt_i32_e32 27, v73
	s_cbranch_execz .LBB56_471
; %bb.470:
	v_mul_f64 v[6:7], v[0:1], v[6:7]
	ds_read_b64 v[0:1], v70 offset:224
	s_waitcnt lgkmcnt(0)
	v_fma_f64 v[62:63], -v[6:7], v[0:1], v[62:63]
.LBB56_471:
	s_or_b32 exec_lo, exec_lo, s0
	v_lshl_add_u32 v0, v73, 3, v70
	s_barrier
	buffer_gl0_inv
	v_mov_b32_e32 v64, 28
	ds_write_b64 v0, v[62:63]
	s_waitcnt lgkmcnt(0)
	s_barrier
	buffer_gl0_inv
	ds_read_b64 v[0:1], v70 offset:224
	s_cmp_lt_i32 s7, 30
	s_cbranch_scc1 .LBB56_474
; %bb.472:
	v_add3_u32 v65, v71, 0, 0xe8
	v_mov_b32_e32 v64, 28
	s_mov_b32 s0, 29
.LBB56_473:                             ; =>This Inner Loop Header: Depth=1
	ds_read_b64 v[70:71], v65
	v_add_nc_u32_e32 v65, 8, v65
	s_waitcnt lgkmcnt(0)
	v_cmp_lt_f64_e64 vcc_lo, |v[0:1]|, |v[70:71]|
	v_cndmask_b32_e32 v1, v1, v71, vcc_lo
	v_cndmask_b32_e32 v0, v0, v70, vcc_lo
	v_cndmask_b32_e64 v64, v64, s0, vcc_lo
	s_add_i32 s0, s0, 1
	s_cmp_lg_u32 s7, s0
	s_cbranch_scc1 .LBB56_473
.LBB56_474:
	s_mov_b32 s0, exec_lo
	s_waitcnt lgkmcnt(0)
	v_cmpx_eq_f64_e32 0, v[0:1]
	s_xor_b32 s0, exec_lo, s0
; %bb.475:
	v_cmp_ne_u32_e32 vcc_lo, 0, v72
	v_cndmask_b32_e32 v72, 29, v72, vcc_lo
; %bb.476:
	s_andn2_saveexec_b32 s0, s0
	s_cbranch_execz .LBB56_478
; %bb.477:
	v_div_scale_f64 v[65:66], null, v[0:1], v[0:1], 1.0
	v_rcp_f64_e32 v[70:71], v[65:66]
	v_fma_f64 v[74:75], -v[65:66], v[70:71], 1.0
	v_fma_f64 v[70:71], v[70:71], v[74:75], v[70:71]
	v_fma_f64 v[74:75], -v[65:66], v[70:71], 1.0
	v_fma_f64 v[70:71], v[70:71], v[74:75], v[70:71]
	v_div_scale_f64 v[74:75], vcc_lo, 1.0, v[0:1], 1.0
	v_mul_f64 v[76:77], v[74:75], v[70:71]
	v_fma_f64 v[65:66], -v[65:66], v[76:77], v[74:75]
	v_div_fmas_f64 v[65:66], v[65:66], v[70:71], v[76:77]
	v_div_fixup_f64 v[0:1], v[65:66], v[0:1], 1.0
.LBB56_478:
	s_or_b32 exec_lo, exec_lo, s0
	v_mov_b32_e32 v65, 28
	s_mov_b32 s0, exec_lo
	v_cmpx_ne_u32_e64 v73, v64
	s_cbranch_execz .LBB56_484
; %bb.479:
	s_mov_b32 s1, exec_lo
	v_cmpx_eq_u32_e32 28, v73
	s_cbranch_execz .LBB56_483
; %bb.480:
	v_cmp_ne_u32_e32 vcc_lo, 28, v64
	s_xor_b32 s2, s6, -1
	s_and_b32 s3, s2, vcc_lo
	s_and_saveexec_b32 s2, s3
	s_cbranch_execz .LBB56_482
; %bb.481:
	v_ashrrev_i32_e32 v65, 31, v64
	v_lshlrev_b64 v[65:66], 2, v[64:65]
	v_add_co_u32 v65, vcc_lo, v4, v65
	v_add_co_ci_u32_e64 v66, null, v5, v66, vcc_lo
	s_clause 0x1
	global_load_dword v67, v[65:66], off
	global_load_dword v70, v[4:5], off offset:112
	s_waitcnt vmcnt(1)
	global_store_dword v[4:5], v67, off offset:112
	s_waitcnt vmcnt(0)
	global_store_dword v[65:66], v70, off
.LBB56_482:
	s_or_b32 exec_lo, exec_lo, s2
	v_mov_b32_e32 v67, v64
	v_mov_b32_e32 v73, v64
.LBB56_483:
	s_or_b32 exec_lo, exec_lo, s1
	v_mov_b32_e32 v65, v73
.LBB56_484:
	s_or_b32 exec_lo, exec_lo, s0
	s_load_dwordx8 s[0:7], s[4:5], 0x28
	v_ashrrev_i32_e32 v66, 31, v65
	s_mov_b32 s9, exec_lo
	s_waitcnt lgkmcnt(0)
	s_waitcnt_vscnt null, 0x0
	s_barrier
	buffer_gl0_inv
	s_barrier
	buffer_gl0_inv
	v_cmpx_gt_i32_e32 29, v65
	s_cbranch_execz .LBB56_486
; %bb.485:
	v_mul_lo_u32 v64, s5, v2
	v_mul_lo_u32 v70, s4, v3
	v_mad_u64_u32 v[4:5], null, s4, v2, 0
	s_lshl_b64 s[2:3], s[2:3], 2
	v_add3_u32 v5, v5, v70, v64
	v_lshlrev_b64 v[4:5], 2, v[4:5]
	v_add_co_u32 v64, vcc_lo, s0, v4
	v_add_co_ci_u32_e64 v70, null, s1, v5, vcc_lo
	v_lshlrev_b64 v[4:5], 2, v[65:66]
	v_add_co_u32 v64, vcc_lo, v64, s2
	v_add_co_ci_u32_e64 v70, null, s3, v70, vcc_lo
	v_add_co_u32 v4, vcc_lo, v64, v4
	v_add_co_ci_u32_e64 v5, null, v70, v5, vcc_lo
	v_add3_u32 v64, v67, s13, 1
	global_store_dword v[4:5], v64, off
.LBB56_486:
	s_or_b32 exec_lo, exec_lo, s9
	s_mov_b32 s1, exec_lo
	v_cmpx_eq_u32_e32 0, v65
	s_cbranch_execz .LBB56_489
; %bb.487:
	v_lshlrev_b64 v[2:3], 2, v[2:3]
	v_cmp_ne_u32_e64 s0, 0, v72
	v_add_co_u32 v2, vcc_lo, s6, v2
	v_add_co_ci_u32_e64 v3, null, s7, v3, vcc_lo
	global_load_dword v4, v[2:3], off
	s_waitcnt vmcnt(0)
	v_cmp_eq_u32_e32 vcc_lo, 0, v4
	s_and_b32 s0, vcc_lo, s0
	s_and_b32 exec_lo, exec_lo, s0
	s_cbranch_execz .LBB56_489
; %bb.488:
	v_add_nc_u32_e32 v4, s13, v72
	global_store_dword v[2:3], v4, off
.LBB56_489:
	s_or_b32 exec_lo, exec_lo, s1
	v_lshlrev_b64 v[4:5], 3, v[65:66]
	v_mul_f64 v[0:1], v[0:1], v[62:63]
	v_add3_u32 v2, s8, s8, v65
	v_cmp_lt_i32_e32 vcc_lo, 28, v65
	v_add_co_u32 v4, s0, v68, v4
	v_add_nc_u32_e32 v64, s8, v2
	v_add_co_ci_u32_e64 v5, null, v69, v5, s0
	v_add_co_u32 v66, s0, v4, s10
	v_ashrrev_i32_e32 v3, 31, v2
	v_add_co_ci_u32_e64 v67, null, s11, v5, s0
	v_add_nc_u32_e32 v70, s8, v64
	v_ashrrev_i32_e32 v65, 31, v64
	v_lshlrev_b64 v[2:3], 3, v[2:3]
	flat_store_dwordx2 v[4:5], v[60:61]
	flat_store_dwordx2 v[66:67], v[58:59]
	v_add_nc_u32_e32 v58, s8, v70
	v_lshlrev_b64 v[4:5], 3, v[64:65]
	v_cndmask_b32_e32 v1, v63, v1, vcc_lo
	v_cndmask_b32_e32 v0, v62, v0, vcc_lo
	v_add_co_u32 v2, vcc_lo, v68, v2
	v_add_nc_u32_e32 v60, s8, v58
	v_ashrrev_i32_e32 v71, 31, v70
	v_add_co_ci_u32_e64 v3, null, v69, v3, vcc_lo
	v_add_co_u32 v4, vcc_lo, v68, v4
	v_ashrrev_i32_e32 v59, 31, v58
	v_add_co_ci_u32_e64 v5, null, v69, v5, vcc_lo
	v_ashrrev_i32_e32 v61, 31, v60
	v_lshlrev_b64 v[62:63], 3, v[70:71]
	flat_store_dwordx2 v[2:3], v[56:57]
	flat_store_dwordx2 v[4:5], v[54:55]
	v_lshlrev_b64 v[2:3], 3, v[58:59]
	v_add_nc_u32_e32 v56, s8, v60
	v_lshlrev_b64 v[54:55], 3, v[60:61]
	v_add_co_u32 v4, vcc_lo, v68, v62
	v_add_co_ci_u32_e64 v5, null, v69, v63, vcc_lo
	v_add_co_u32 v2, vcc_lo, v68, v2
	v_add_co_ci_u32_e64 v3, null, v69, v3, vcc_lo
	v_add_co_u32 v54, vcc_lo, v68, v54
	v_add_nc_u32_e32 v58, s8, v56
	v_add_co_ci_u32_e64 v55, null, v69, v55, vcc_lo
	v_ashrrev_i32_e32 v57, 31, v56
	flat_store_dwordx2 v[4:5], v[52:53]
	flat_store_dwordx2 v[2:3], v[48:49]
	flat_store_dwordx2 v[54:55], v[50:51]
	v_add_nc_u32_e32 v48, s8, v58
	v_ashrrev_i32_e32 v59, 31, v58
	v_lshlrev_b64 v[4:5], 3, v[56:57]
	v_add_nc_u32_e32 v50, s8, v48
	v_lshlrev_b64 v[2:3], 3, v[58:59]
	v_ashrrev_i32_e32 v49, 31, v48
	v_add_co_u32 v4, vcc_lo, v68, v4
	v_add_nc_u32_e32 v52, s8, v50
	v_add_co_ci_u32_e64 v5, null, v69, v5, vcc_lo
	v_add_co_u32 v2, vcc_lo, v68, v2
	v_ashrrev_i32_e32 v51, 31, v50
	v_add_co_ci_u32_e64 v3, null, v69, v3, vcc_lo
	v_ashrrev_i32_e32 v53, 31, v52
	v_lshlrev_b64 v[48:49], 3, v[48:49]
	flat_store_dwordx2 v[4:5], v[44:45]
	flat_store_dwordx2 v[2:3], v[46:47]
	v_lshlrev_b64 v[2:3], 3, v[50:51]
	v_add_nc_u32_e32 v46, s8, v52
	v_lshlrev_b64 v[44:45], 3, v[52:53]
	v_add_co_u32 v4, vcc_lo, v68, v48
	v_add_co_ci_u32_e64 v5, null, v69, v49, vcc_lo
	v_add_co_u32 v2, vcc_lo, v68, v2
	v_add_co_ci_u32_e64 v3, null, v69, v3, vcc_lo
	v_add_co_u32 v44, vcc_lo, v68, v44
	v_add_nc_u32_e32 v48, s8, v46
	v_add_co_ci_u32_e64 v45, null, v69, v45, vcc_lo
	v_ashrrev_i32_e32 v47, 31, v46
	flat_store_dwordx2 v[4:5], v[42:43]
	flat_store_dwordx2 v[2:3], v[40:41]
	flat_store_dwordx2 v[44:45], v[38:39]
	v_add_nc_u32_e32 v38, s8, v48
	v_ashrrev_i32_e32 v49, 31, v48
	v_lshlrev_b64 v[4:5], 3, v[46:47]
	v_add_nc_u32_e32 v40, s8, v38
	v_lshlrev_b64 v[2:3], 3, v[48:49]
	v_ashrrev_i32_e32 v39, 31, v38
	v_add_co_u32 v4, vcc_lo, v68, v4
	v_add_nc_u32_e32 v42, s8, v40
	;; [unrolled: 30-line block ×3, first 2 shown]
	v_add_co_ci_u32_e64 v5, null, v69, v5, vcc_lo
	v_add_co_u32 v2, vcc_lo, v68, v2
	v_ashrrev_i32_e32 v31, 31, v30
	v_add_co_ci_u32_e64 v3, null, v69, v3, vcc_lo
	v_ashrrev_i32_e32 v33, 31, v32
	v_lshlrev_b64 v[28:29], 3, v[28:29]
	flat_store_dwordx2 v[4:5], v[24:25]
	flat_store_dwordx2 v[2:3], v[26:27]
	v_lshlrev_b64 v[2:3], 3, v[30:31]
	v_add_nc_u32_e32 v26, s8, v32
	v_lshlrev_b64 v[24:25], 3, v[32:33]
	v_add_co_u32 v4, vcc_lo, v68, v28
	v_add_co_ci_u32_e64 v5, null, v69, v29, vcc_lo
	v_add_co_u32 v2, vcc_lo, v68, v2
	v_add_nc_u32_e32 v28, s8, v26
	v_add_co_ci_u32_e64 v3, null, v69, v3, vcc_lo
	v_add_co_u32 v24, vcc_lo, v68, v24
	v_ashrrev_i32_e32 v27, 31, v26
	v_add_co_ci_u32_e64 v25, null, v69, v25, vcc_lo
	v_ashrrev_i32_e32 v29, 31, v28
	flat_store_dwordx2 v[4:5], v[22:23]
	v_lshlrev_b64 v[4:5], 3, v[26:27]
	flat_store_dwordx2 v[2:3], v[20:21]
	flat_store_dwordx2 v[24:25], v[18:19]
	v_add_nc_u32_e32 v18, s8, v28
	v_lshlrev_b64 v[2:3], 3, v[28:29]
	v_add_co_u32 v4, vcc_lo, v68, v4
	v_add_nc_u32_e32 v20, s8, v18
	v_add_co_ci_u32_e64 v5, null, v69, v5, vcc_lo
	v_add_co_u32 v2, vcc_lo, v68, v2
	v_add_co_ci_u32_e64 v3, null, v69, v3, vcc_lo
	v_add_nc_u32_e32 v22, s8, v20
	v_ashrrev_i32_e32 v19, 31, v18
	flat_store_dwordx2 v[4:5], v[16:17]
	flat_store_dwordx2 v[2:3], v[14:15]
	v_ashrrev_i32_e32 v21, 31, v20
	v_add_nc_u32_e32 v14, s8, v22
	v_lshlrev_b64 v[4:5], 3, v[18:19]
	v_ashrrev_i32_e32 v23, 31, v22
	v_lshlrev_b64 v[2:3], 3, v[20:21]
	v_add_nc_u32_e32 v18, s8, v14
	v_ashrrev_i32_e32 v15, 31, v14
	v_lshlrev_b64 v[16:17], 3, v[22:23]
	v_add_co_u32 v4, vcc_lo, v68, v4
	v_ashrrev_i32_e32 v19, 31, v18
	v_lshlrev_b64 v[14:15], 3, v[14:15]
	v_add_co_ci_u32_e64 v5, null, v69, v5, vcc_lo
	v_add_co_u32 v2, vcc_lo, v68, v2
	v_lshlrev_b64 v[18:19], 3, v[18:19]
	v_add_co_ci_u32_e64 v3, null, v69, v3, vcc_lo
	v_add_co_u32 v16, vcc_lo, v68, v16
	v_add_co_ci_u32_e64 v17, null, v69, v17, vcc_lo
	v_add_co_u32 v14, vcc_lo, v68, v14
	;; [unrolled: 2-line block ×3, first 2 shown]
	v_add_co_ci_u32_e64 v19, null, v69, v19, vcc_lo
	flat_store_dwordx2 v[4:5], v[12:13]
	flat_store_dwordx2 v[2:3], v[8:9]
	;; [unrolled: 1-line block ×5, first 2 shown]
.LBB56_490:
	s_endpgm
	.section	.rodata,"a",@progbits
	.p2align	6, 0x0
	.amdhsa_kernel _ZN9rocsolver6v33100L18getf2_small_kernelILi29EdiiPKPdEEvT1_T3_lS5_lPS5_llPT2_S5_S5_S7_l
		.amdhsa_group_segment_fixed_size 0
		.amdhsa_private_segment_fixed_size 0
		.amdhsa_kernarg_size 352
		.amdhsa_user_sgpr_count 6
		.amdhsa_user_sgpr_private_segment_buffer 1
		.amdhsa_user_sgpr_dispatch_ptr 0
		.amdhsa_user_sgpr_queue_ptr 0
		.amdhsa_user_sgpr_kernarg_segment_ptr 1
		.amdhsa_user_sgpr_dispatch_id 0
		.amdhsa_user_sgpr_flat_scratch_init 0
		.amdhsa_user_sgpr_private_segment_size 0
		.amdhsa_wavefront_size32 1
		.amdhsa_uses_dynamic_stack 0
		.amdhsa_system_sgpr_private_segment_wavefront_offset 0
		.amdhsa_system_sgpr_workgroup_id_x 1
		.amdhsa_system_sgpr_workgroup_id_y 1
		.amdhsa_system_sgpr_workgroup_id_z 0
		.amdhsa_system_sgpr_workgroup_info 0
		.amdhsa_system_vgpr_workitem_id 1
		.amdhsa_next_free_vgpr 130
		.amdhsa_next_free_sgpr 14
		.amdhsa_reserve_vcc 1
		.amdhsa_reserve_flat_scratch 1
		.amdhsa_float_round_mode_32 0
		.amdhsa_float_round_mode_16_64 0
		.amdhsa_float_denorm_mode_32 3
		.amdhsa_float_denorm_mode_16_64 3
		.amdhsa_dx10_clamp 1
		.amdhsa_ieee_mode 1
		.amdhsa_fp16_overflow 0
		.amdhsa_workgroup_processor_mode 1
		.amdhsa_memory_ordered 1
		.amdhsa_forward_progress 1
		.amdhsa_shared_vgpr_count 0
		.amdhsa_exception_fp_ieee_invalid_op 0
		.amdhsa_exception_fp_denorm_src 0
		.amdhsa_exception_fp_ieee_div_zero 0
		.amdhsa_exception_fp_ieee_overflow 0
		.amdhsa_exception_fp_ieee_underflow 0
		.amdhsa_exception_fp_ieee_inexact 0
		.amdhsa_exception_int_div_zero 0
	.end_amdhsa_kernel
	.section	.text._ZN9rocsolver6v33100L18getf2_small_kernelILi29EdiiPKPdEEvT1_T3_lS5_lPS5_llPT2_S5_S5_S7_l,"axG",@progbits,_ZN9rocsolver6v33100L18getf2_small_kernelILi29EdiiPKPdEEvT1_T3_lS5_lPS5_llPT2_S5_S5_S7_l,comdat
.Lfunc_end56:
	.size	_ZN9rocsolver6v33100L18getf2_small_kernelILi29EdiiPKPdEEvT1_T3_lS5_lPS5_llPT2_S5_S5_S7_l, .Lfunc_end56-_ZN9rocsolver6v33100L18getf2_small_kernelILi29EdiiPKPdEEvT1_T3_lS5_lPS5_llPT2_S5_S5_S7_l
                                        ; -- End function
	.set _ZN9rocsolver6v33100L18getf2_small_kernelILi29EdiiPKPdEEvT1_T3_lS5_lPS5_llPT2_S5_S5_S7_l.num_vgpr, 130
	.set _ZN9rocsolver6v33100L18getf2_small_kernelILi29EdiiPKPdEEvT1_T3_lS5_lPS5_llPT2_S5_S5_S7_l.num_agpr, 0
	.set _ZN9rocsolver6v33100L18getf2_small_kernelILi29EdiiPKPdEEvT1_T3_lS5_lPS5_llPT2_S5_S5_S7_l.numbered_sgpr, 14
	.set _ZN9rocsolver6v33100L18getf2_small_kernelILi29EdiiPKPdEEvT1_T3_lS5_lPS5_llPT2_S5_S5_S7_l.num_named_barrier, 0
	.set _ZN9rocsolver6v33100L18getf2_small_kernelILi29EdiiPKPdEEvT1_T3_lS5_lPS5_llPT2_S5_S5_S7_l.private_seg_size, 0
	.set _ZN9rocsolver6v33100L18getf2_small_kernelILi29EdiiPKPdEEvT1_T3_lS5_lPS5_llPT2_S5_S5_S7_l.uses_vcc, 1
	.set _ZN9rocsolver6v33100L18getf2_small_kernelILi29EdiiPKPdEEvT1_T3_lS5_lPS5_llPT2_S5_S5_S7_l.uses_flat_scratch, 1
	.set _ZN9rocsolver6v33100L18getf2_small_kernelILi29EdiiPKPdEEvT1_T3_lS5_lPS5_llPT2_S5_S5_S7_l.has_dyn_sized_stack, 0
	.set _ZN9rocsolver6v33100L18getf2_small_kernelILi29EdiiPKPdEEvT1_T3_lS5_lPS5_llPT2_S5_S5_S7_l.has_recursion, 0
	.set _ZN9rocsolver6v33100L18getf2_small_kernelILi29EdiiPKPdEEvT1_T3_lS5_lPS5_llPT2_S5_S5_S7_l.has_indirect_call, 0
	.section	.AMDGPU.csdata,"",@progbits
; Kernel info:
; codeLenInByte = 24876
; TotalNumSgprs: 16
; NumVgprs: 130
; ScratchSize: 0
; MemoryBound: 0
; FloatMode: 240
; IeeeMode: 1
; LDSByteSize: 0 bytes/workgroup (compile time only)
; SGPRBlocks: 0
; VGPRBlocks: 16
; NumSGPRsForWavesPerEU: 16
; NumVGPRsForWavesPerEU: 130
; Occupancy: 7
; WaveLimiterHint : 1
; COMPUTE_PGM_RSRC2:SCRATCH_EN: 0
; COMPUTE_PGM_RSRC2:USER_SGPR: 6
; COMPUTE_PGM_RSRC2:TRAP_HANDLER: 0
; COMPUTE_PGM_RSRC2:TGID_X_EN: 1
; COMPUTE_PGM_RSRC2:TGID_Y_EN: 1
; COMPUTE_PGM_RSRC2:TGID_Z_EN: 0
; COMPUTE_PGM_RSRC2:TIDIG_COMP_CNT: 1
	.section	.text._ZN9rocsolver6v33100L23getf2_npvt_small_kernelILi29EdiiPKPdEEvT1_T3_lS5_lPT2_S5_S5_,"axG",@progbits,_ZN9rocsolver6v33100L23getf2_npvt_small_kernelILi29EdiiPKPdEEvT1_T3_lS5_lPT2_S5_S5_,comdat
	.globl	_ZN9rocsolver6v33100L23getf2_npvt_small_kernelILi29EdiiPKPdEEvT1_T3_lS5_lPT2_S5_S5_ ; -- Begin function _ZN9rocsolver6v33100L23getf2_npvt_small_kernelILi29EdiiPKPdEEvT1_T3_lS5_lPT2_S5_S5_
	.p2align	8
	.type	_ZN9rocsolver6v33100L23getf2_npvt_small_kernelILi29EdiiPKPdEEvT1_T3_lS5_lPT2_S5_S5_,@function
_ZN9rocsolver6v33100L23getf2_npvt_small_kernelILi29EdiiPKPdEEvT1_T3_lS5_lPT2_S5_S5_: ; @_ZN9rocsolver6v33100L23getf2_npvt_small_kernelILi29EdiiPKPdEEvT1_T3_lS5_lPT2_S5_S5_
; %bb.0:
	s_clause 0x1
	s_load_dword s0, s[4:5], 0x44
	s_load_dwordx2 s[8:9], s[4:5], 0x30
	s_waitcnt lgkmcnt(0)
	s_lshr_b32 s10, s0, 16
	s_mov_b32 s0, exec_lo
	v_mad_u64_u32 v[2:3], null, s7, s10, v[1:2]
	v_cmpx_gt_i32_e64 s8, v2
	s_cbranch_execz .LBB57_148
; %bb.1:
	s_clause 0x1
	s_load_dwordx4 s[0:3], s[4:5], 0x8
	s_load_dword s6, s[4:5], 0x18
	v_ashrrev_i32_e32 v3, 31, v2
	v_lshlrev_b32_e32 v62, 3, v0
	v_lshlrev_b32_e32 v120, 3, v1
	s_mulk_i32 s10, 0xe8
	v_mad_u32_u24 v176, 0xe8, v1, 0
	v_lshlrev_b64 v[4:5], 3, v[2:3]
	v_add3_u32 v1, 0, s10, v120
	s_waitcnt lgkmcnt(0)
	v_add_co_u32 v4, vcc_lo, s0, v4
	v_add_co_ci_u32_e64 v5, null, s1, v5, vcc_lo
	v_add3_u32 v6, s6, s6, v0
	s_lshl_b64 s[2:3], s[2:3], 3
	s_ashr_i32 s7, s6, 31
	global_load_dwordx2 v[4:5], v[4:5], off
	s_lshl_b64 s[0:1], s[6:7], 3
	v_add_nc_u32_e32 v8, s6, v6
	v_ashrrev_i32_e32 v7, 31, v6
	v_add_nc_u32_e32 v10, s6, v8
	v_ashrrev_i32_e32 v9, 31, v8
	v_lshlrev_b64 v[6:7], 3, v[6:7]
	v_add_nc_u32_e32 v12, s6, v10
	v_ashrrev_i32_e32 v11, 31, v10
	v_lshlrev_b64 v[8:9], 3, v[8:9]
	;; [unrolled: 3-line block ×24, first 2 shown]
	v_ashrrev_i32_e32 v57, 31, v56
	v_add_nc_u32_e32 v58, s6, v56
	v_lshlrev_b64 v[54:55], 3, v[54:55]
	v_lshlrev_b64 v[56:57], 3, v[56:57]
	v_ashrrev_i32_e32 v59, 31, v58
	v_lshlrev_b64 v[60:61], 3, v[58:59]
	s_waitcnt vmcnt(0)
	v_add_co_u32 v63, vcc_lo, v4, s2
	v_add_co_ci_u32_e64 v64, null, s3, v5, vcc_lo
	v_add_co_u32 v4, vcc_lo, v63, v6
	v_add_co_ci_u32_e64 v5, null, v64, v7, vcc_lo
	;; [unrolled: 2-line block ×30, first 2 shown]
	s_clause 0x1c
	flat_load_dwordx2 v[106:107], v[8:9]
	flat_load_dwordx2 v[90:91], v[10:11]
	;; [unrolled: 1-line block ×29, first 2 shown]
	v_cmp_ne_u32_e64 s1, 0, v0
	v_cmp_eq_u32_e64 s0, 0, v0
	s_and_saveexec_b32 s2, s0
	s_cbranch_execz .LBB57_4
; %bb.2:
	s_waitcnt vmcnt(4) lgkmcnt(4)
	ds_write_b64 v1, v[112:113]
	s_waitcnt vmcnt(2) lgkmcnt(3)
	ds_write2_b64 v176, v[116:117], v[118:119] offset0:1 offset1:2
	s_waitcnt vmcnt(1) lgkmcnt(3)
	ds_write2_b64 v176, v[114:115], v[106:107] offset0:3 offset1:4
	ds_write2_b64 v176, v[90:91], v[104:105] offset0:5 offset1:6
	;; [unrolled: 1-line block ×12, first 2 shown]
	s_waitcnt vmcnt(0) lgkmcnt(14)
	ds_write2_b64 v176, v[60:61], v[110:111] offset0:27 offset1:28
	ds_read_b64 v[120:121], v1
	s_waitcnt lgkmcnt(0)
	v_cmp_neq_f64_e32 vcc_lo, 0, v[120:121]
	s_and_b32 exec_lo, exec_lo, vcc_lo
	s_cbranch_execz .LBB57_4
; %bb.3:
	v_div_scale_f64 v[122:123], null, v[120:121], v[120:121], 1.0
	v_rcp_f64_e32 v[124:125], v[122:123]
	v_fma_f64 v[126:127], -v[122:123], v[124:125], 1.0
	v_fma_f64 v[124:125], v[124:125], v[126:127], v[124:125]
	v_fma_f64 v[126:127], -v[122:123], v[124:125], 1.0
	v_fma_f64 v[124:125], v[124:125], v[126:127], v[124:125]
	v_div_scale_f64 v[126:127], vcc_lo, 1.0, v[120:121], 1.0
	v_mul_f64 v[128:129], v[126:127], v[124:125]
	v_fma_f64 v[122:123], -v[122:123], v[128:129], v[126:127]
	v_div_fmas_f64 v[122:123], v[122:123], v[124:125], v[128:129]
	v_div_fixup_f64 v[120:121], v[122:123], v[120:121], 1.0
	ds_write_b64 v1, v[120:121]
.LBB57_4:
	s_or_b32 exec_lo, exec_lo, s2
	s_waitcnt vmcnt(0) lgkmcnt(0)
	s_barrier
	buffer_gl0_inv
	ds_read_b64 v[120:121], v1
	s_and_saveexec_b32 s2, s1
	s_cbranch_execz .LBB57_6
; %bb.5:
	s_waitcnt lgkmcnt(0)
	v_mul_f64 v[112:113], v[120:121], v[112:113]
	ds_read2_b64 v[122:125], v176 offset0:1 offset1:2
	ds_read2_b64 v[126:129], v176 offset0:3 offset1:4
	;; [unrolled: 1-line block ×14, first 2 shown]
	s_waitcnt lgkmcnt(13)
	v_fma_f64 v[116:117], -v[112:113], v[122:123], v[116:117]
	v_fma_f64 v[118:119], -v[112:113], v[124:125], v[118:119]
	s_waitcnt lgkmcnt(12)
	v_fma_f64 v[114:115], -v[112:113], v[126:127], v[114:115]
	v_fma_f64 v[106:107], -v[112:113], v[128:129], v[106:107]
	;; [unrolled: 3-line block ×14, first 2 shown]
.LBB57_6:
	s_or_b32 exec_lo, exec_lo, s2
	s_mov_b32 s1, exec_lo
	s_waitcnt lgkmcnt(0)
	s_barrier
	buffer_gl0_inv
	v_cmpx_eq_u32_e32 1, v0
	s_cbranch_execz .LBB57_9
; %bb.7:
	v_mov_b32_e32 v122, v118
	v_mov_b32_e32 v123, v119
	;; [unrolled: 1-line block ×12, first 2 shown]
	ds_write_b64 v1, v[116:117]
	ds_write2_b64 v176, v[122:123], v[124:125] offset0:2 offset1:3
	ds_write2_b64 v176, v[126:127], v[128:129] offset0:4 offset1:5
	;; [unrolled: 1-line block ×3, first 2 shown]
	v_mov_b32_e32 v122, v102
	v_mov_b32_e32 v123, v103
	v_mov_b32_e32 v124, v86
	v_mov_b32_e32 v125, v87
	v_mov_b32_e32 v126, v100
	v_mov_b32_e32 v127, v101
	v_mov_b32_e32 v128, v84
	v_mov_b32_e32 v129, v85
	v_mov_b32_e32 v130, v98
	v_mov_b32_e32 v131, v99
	v_mov_b32_e32 v132, v82
	v_mov_b32_e32 v133, v83
	v_mov_b32_e32 v134, v96
	v_mov_b32_e32 v135, v97
	v_mov_b32_e32 v136, v80
	v_mov_b32_e32 v137, v81
	v_mov_b32_e32 v138, v94
	v_mov_b32_e32 v139, v95
	v_mov_b32_e32 v140, v78
	v_mov_b32_e32 v141, v79
	ds_write2_b64 v176, v[122:123], v[124:125] offset0:8 offset1:9
	ds_write2_b64 v176, v[126:127], v[128:129] offset0:10 offset1:11
	ds_write2_b64 v176, v[130:131], v[132:133] offset0:12 offset1:13
	ds_write2_b64 v176, v[134:135], v[136:137] offset0:14 offset1:15
	ds_write2_b64 v176, v[138:139], v[140:141] offset0:16 offset1:17
	v_mov_b32_e32 v122, v92
	v_mov_b32_e32 v123, v93
	v_mov_b32_e32 v124, v68
	v_mov_b32_e32 v125, v69
	v_mov_b32_e32 v126, v76
	v_mov_b32_e32 v127, v77
	v_mov_b32_e32 v128, v66
	v_mov_b32_e32 v129, v67
	v_mov_b32_e32 v130, v74
	v_mov_b32_e32 v131, v75
	v_mov_b32_e32 v132, v64
	v_mov_b32_e32 v133, v65
	v_mov_b32_e32 v134, v72
	v_mov_b32_e32 v135, v73
	v_mov_b32_e32 v136, v62
	v_mov_b32_e32 v137, v63
	v_mov_b32_e32 v138, v70
	v_mov_b32_e32 v139, v71
	v_mov_b32_e32 v140, v60
	v_mov_b32_e32 v141, v61
	ds_write2_b64 v176, v[122:123], v[124:125] offset0:18 offset1:19
	ds_write2_b64 v176, v[126:127], v[128:129] offset0:20 offset1:21
	;; [unrolled: 1-line block ×5, first 2 shown]
	ds_write_b64 v176, v[110:111] offset:224
	ds_read_b64 v[122:123], v1
	s_waitcnt lgkmcnt(0)
	v_cmp_neq_f64_e32 vcc_lo, 0, v[122:123]
	s_and_b32 exec_lo, exec_lo, vcc_lo
	s_cbranch_execz .LBB57_9
; %bb.8:
	v_div_scale_f64 v[124:125], null, v[122:123], v[122:123], 1.0
	v_rcp_f64_e32 v[126:127], v[124:125]
	v_fma_f64 v[128:129], -v[124:125], v[126:127], 1.0
	v_fma_f64 v[126:127], v[126:127], v[128:129], v[126:127]
	v_fma_f64 v[128:129], -v[124:125], v[126:127], 1.0
	v_fma_f64 v[126:127], v[126:127], v[128:129], v[126:127]
	v_div_scale_f64 v[128:129], vcc_lo, 1.0, v[122:123], 1.0
	v_mul_f64 v[130:131], v[128:129], v[126:127]
	v_fma_f64 v[124:125], -v[124:125], v[130:131], v[128:129]
	v_div_fmas_f64 v[124:125], v[124:125], v[126:127], v[130:131]
	v_div_fixup_f64 v[122:123], v[124:125], v[122:123], 1.0
	ds_write_b64 v1, v[122:123]
.LBB57_9:
	s_or_b32 exec_lo, exec_lo, s1
	s_waitcnt lgkmcnt(0)
	s_barrier
	buffer_gl0_inv
	ds_read_b64 v[122:123], v1
	s_mov_b32 s1, exec_lo
	v_cmpx_lt_u32_e32 1, v0
	s_cbranch_execz .LBB57_11
; %bb.10:
	s_waitcnt lgkmcnt(0)
	v_mul_f64 v[116:117], v[122:123], v[116:117]
	ds_read2_b64 v[124:127], v176 offset0:2 offset1:3
	ds_read2_b64 v[128:131], v176 offset0:4 offset1:5
	;; [unrolled: 1-line block ×13, first 2 shown]
	ds_read_b64 v[177:178], v176 offset:224
	s_waitcnt lgkmcnt(13)
	v_fma_f64 v[118:119], -v[116:117], v[124:125], v[118:119]
	v_fma_f64 v[114:115], -v[116:117], v[126:127], v[114:115]
	s_waitcnt lgkmcnt(12)
	v_fma_f64 v[106:107], -v[116:117], v[128:129], v[106:107]
	v_fma_f64 v[90:91], -v[116:117], v[130:131], v[90:91]
	;; [unrolled: 3-line block ×13, first 2 shown]
	s_waitcnt lgkmcnt(0)
	v_fma_f64 v[110:111], -v[116:117], v[177:178], v[110:111]
.LBB57_11:
	s_or_b32 exec_lo, exec_lo, s1
	s_mov_b32 s1, exec_lo
	s_waitcnt lgkmcnt(0)
	s_barrier
	buffer_gl0_inv
	v_cmpx_eq_u32_e32 2, v0
	s_cbranch_execz .LBB57_14
; %bb.12:
	ds_write_b64 v1, v[118:119]
	ds_write2_b64 v176, v[114:115], v[106:107] offset0:3 offset1:4
	ds_write2_b64 v176, v[90:91], v[104:105] offset0:5 offset1:6
	;; [unrolled: 1-line block ×13, first 2 shown]
	ds_read_b64 v[124:125], v1
	s_waitcnt lgkmcnt(0)
	v_cmp_neq_f64_e32 vcc_lo, 0, v[124:125]
	s_and_b32 exec_lo, exec_lo, vcc_lo
	s_cbranch_execz .LBB57_14
; %bb.13:
	v_div_scale_f64 v[126:127], null, v[124:125], v[124:125], 1.0
	v_rcp_f64_e32 v[128:129], v[126:127]
	v_fma_f64 v[130:131], -v[126:127], v[128:129], 1.0
	v_fma_f64 v[128:129], v[128:129], v[130:131], v[128:129]
	v_fma_f64 v[130:131], -v[126:127], v[128:129], 1.0
	v_fma_f64 v[128:129], v[128:129], v[130:131], v[128:129]
	v_div_scale_f64 v[130:131], vcc_lo, 1.0, v[124:125], 1.0
	v_mul_f64 v[132:133], v[130:131], v[128:129]
	v_fma_f64 v[126:127], -v[126:127], v[132:133], v[130:131]
	v_div_fmas_f64 v[126:127], v[126:127], v[128:129], v[132:133]
	v_div_fixup_f64 v[124:125], v[126:127], v[124:125], 1.0
	ds_write_b64 v1, v[124:125]
.LBB57_14:
	s_or_b32 exec_lo, exec_lo, s1
	s_waitcnt lgkmcnt(0)
	s_barrier
	buffer_gl0_inv
	ds_read_b64 v[124:125], v1
	s_mov_b32 s1, exec_lo
	v_cmpx_lt_u32_e32 2, v0
	s_cbranch_execz .LBB57_16
; %bb.15:
	s_waitcnt lgkmcnt(0)
	v_mul_f64 v[118:119], v[124:125], v[118:119]
	ds_read2_b64 v[126:129], v176 offset0:3 offset1:4
	ds_read2_b64 v[130:133], v176 offset0:5 offset1:6
	;; [unrolled: 1-line block ×13, first 2 shown]
	s_waitcnt lgkmcnt(12)
	v_fma_f64 v[114:115], -v[118:119], v[126:127], v[114:115]
	v_fma_f64 v[106:107], -v[118:119], v[128:129], v[106:107]
	s_waitcnt lgkmcnt(11)
	v_fma_f64 v[90:91], -v[118:119], v[130:131], v[90:91]
	v_fma_f64 v[104:105], -v[118:119], v[132:133], v[104:105]
	;; [unrolled: 3-line block ×13, first 2 shown]
.LBB57_16:
	s_or_b32 exec_lo, exec_lo, s1
	s_mov_b32 s1, exec_lo
	s_waitcnt lgkmcnt(0)
	s_barrier
	buffer_gl0_inv
	v_cmpx_eq_u32_e32 3, v0
	s_cbranch_execz .LBB57_19
; %bb.17:
	v_mov_b32_e32 v126, v106
	v_mov_b32_e32 v127, v107
	;; [unrolled: 1-line block ×8, first 2 shown]
	ds_write_b64 v1, v[114:115]
	ds_write2_b64 v176, v[126:127], v[128:129] offset0:4 offset1:5
	ds_write2_b64 v176, v[130:131], v[132:133] offset0:6 offset1:7
	v_mov_b32_e32 v126, v102
	v_mov_b32_e32 v127, v103
	;; [unrolled: 1-line block ×20, first 2 shown]
	ds_write2_b64 v176, v[126:127], v[128:129] offset0:8 offset1:9
	ds_write2_b64 v176, v[130:131], v[132:133] offset0:10 offset1:11
	;; [unrolled: 1-line block ×5, first 2 shown]
	v_mov_b32_e32 v126, v92
	v_mov_b32_e32 v127, v93
	;; [unrolled: 1-line block ×20, first 2 shown]
	ds_write2_b64 v176, v[126:127], v[128:129] offset0:18 offset1:19
	ds_write2_b64 v176, v[130:131], v[132:133] offset0:20 offset1:21
	;; [unrolled: 1-line block ×5, first 2 shown]
	ds_write_b64 v176, v[110:111] offset:224
	ds_read_b64 v[126:127], v1
	s_waitcnt lgkmcnt(0)
	v_cmp_neq_f64_e32 vcc_lo, 0, v[126:127]
	s_and_b32 exec_lo, exec_lo, vcc_lo
	s_cbranch_execz .LBB57_19
; %bb.18:
	v_div_scale_f64 v[128:129], null, v[126:127], v[126:127], 1.0
	v_rcp_f64_e32 v[130:131], v[128:129]
	v_fma_f64 v[132:133], -v[128:129], v[130:131], 1.0
	v_fma_f64 v[130:131], v[130:131], v[132:133], v[130:131]
	v_fma_f64 v[132:133], -v[128:129], v[130:131], 1.0
	v_fma_f64 v[130:131], v[130:131], v[132:133], v[130:131]
	v_div_scale_f64 v[132:133], vcc_lo, 1.0, v[126:127], 1.0
	v_mul_f64 v[134:135], v[132:133], v[130:131]
	v_fma_f64 v[128:129], -v[128:129], v[134:135], v[132:133]
	v_div_fmas_f64 v[128:129], v[128:129], v[130:131], v[134:135]
	v_div_fixup_f64 v[126:127], v[128:129], v[126:127], 1.0
	ds_write_b64 v1, v[126:127]
.LBB57_19:
	s_or_b32 exec_lo, exec_lo, s1
	s_waitcnt lgkmcnt(0)
	s_barrier
	buffer_gl0_inv
	ds_read_b64 v[126:127], v1
	s_mov_b32 s1, exec_lo
	v_cmpx_lt_u32_e32 3, v0
	s_cbranch_execz .LBB57_21
; %bb.20:
	s_waitcnt lgkmcnt(0)
	v_mul_f64 v[114:115], v[126:127], v[114:115]
	ds_read2_b64 v[128:131], v176 offset0:4 offset1:5
	ds_read2_b64 v[132:135], v176 offset0:6 offset1:7
	;; [unrolled: 1-line block ×12, first 2 shown]
	ds_read_b64 v[177:178], v176 offset:224
	s_waitcnt lgkmcnt(12)
	v_fma_f64 v[106:107], -v[114:115], v[128:129], v[106:107]
	v_fma_f64 v[90:91], -v[114:115], v[130:131], v[90:91]
	s_waitcnt lgkmcnt(11)
	v_fma_f64 v[104:105], -v[114:115], v[132:133], v[104:105]
	v_fma_f64 v[88:89], -v[114:115], v[134:135], v[88:89]
	;; [unrolled: 3-line block ×12, first 2 shown]
	s_waitcnt lgkmcnt(0)
	v_fma_f64 v[110:111], -v[114:115], v[177:178], v[110:111]
.LBB57_21:
	s_or_b32 exec_lo, exec_lo, s1
	s_mov_b32 s1, exec_lo
	s_waitcnt lgkmcnt(0)
	s_barrier
	buffer_gl0_inv
	v_cmpx_eq_u32_e32 4, v0
	s_cbranch_execz .LBB57_24
; %bb.22:
	ds_write_b64 v1, v[106:107]
	ds_write2_b64 v176, v[90:91], v[104:105] offset0:5 offset1:6
	ds_write2_b64 v176, v[88:89], v[102:103] offset0:7 offset1:8
	;; [unrolled: 1-line block ×12, first 2 shown]
	ds_read_b64 v[128:129], v1
	s_waitcnt lgkmcnt(0)
	v_cmp_neq_f64_e32 vcc_lo, 0, v[128:129]
	s_and_b32 exec_lo, exec_lo, vcc_lo
	s_cbranch_execz .LBB57_24
; %bb.23:
	v_div_scale_f64 v[130:131], null, v[128:129], v[128:129], 1.0
	v_rcp_f64_e32 v[132:133], v[130:131]
	v_fma_f64 v[134:135], -v[130:131], v[132:133], 1.0
	v_fma_f64 v[132:133], v[132:133], v[134:135], v[132:133]
	v_fma_f64 v[134:135], -v[130:131], v[132:133], 1.0
	v_fma_f64 v[132:133], v[132:133], v[134:135], v[132:133]
	v_div_scale_f64 v[134:135], vcc_lo, 1.0, v[128:129], 1.0
	v_mul_f64 v[136:137], v[134:135], v[132:133]
	v_fma_f64 v[130:131], -v[130:131], v[136:137], v[134:135]
	v_div_fmas_f64 v[130:131], v[130:131], v[132:133], v[136:137]
	v_div_fixup_f64 v[128:129], v[130:131], v[128:129], 1.0
	ds_write_b64 v1, v[128:129]
.LBB57_24:
	s_or_b32 exec_lo, exec_lo, s1
	s_waitcnt lgkmcnt(0)
	s_barrier
	buffer_gl0_inv
	ds_read_b64 v[128:129], v1
	s_mov_b32 s1, exec_lo
	v_cmpx_lt_u32_e32 4, v0
	s_cbranch_execz .LBB57_26
; %bb.25:
	s_waitcnt lgkmcnt(0)
	v_mul_f64 v[106:107], v[128:129], v[106:107]
	ds_read2_b64 v[130:133], v176 offset0:5 offset1:6
	ds_read2_b64 v[134:137], v176 offset0:7 offset1:8
	;; [unrolled: 1-line block ×12, first 2 shown]
	s_waitcnt lgkmcnt(11)
	v_fma_f64 v[90:91], -v[106:107], v[130:131], v[90:91]
	v_fma_f64 v[104:105], -v[106:107], v[132:133], v[104:105]
	s_waitcnt lgkmcnt(10)
	v_fma_f64 v[88:89], -v[106:107], v[134:135], v[88:89]
	v_fma_f64 v[102:103], -v[106:107], v[136:137], v[102:103]
	;; [unrolled: 3-line block ×12, first 2 shown]
.LBB57_26:
	s_or_b32 exec_lo, exec_lo, s1
	s_mov_b32 s1, exec_lo
	s_waitcnt lgkmcnt(0)
	s_barrier
	buffer_gl0_inv
	v_cmpx_eq_u32_e32 5, v0
	s_cbranch_execz .LBB57_29
; %bb.27:
	v_mov_b32_e32 v130, v104
	v_mov_b32_e32 v131, v105
	;; [unrolled: 1-line block ×4, first 2 shown]
	ds_write_b64 v1, v[90:91]
	ds_write2_b64 v176, v[130:131], v[132:133] offset0:6 offset1:7
	v_mov_b32_e32 v130, v102
	v_mov_b32_e32 v131, v103
	;; [unrolled: 1-line block ×20, first 2 shown]
	ds_write2_b64 v176, v[130:131], v[132:133] offset0:8 offset1:9
	ds_write2_b64 v176, v[134:135], v[136:137] offset0:10 offset1:11
	;; [unrolled: 1-line block ×5, first 2 shown]
	v_mov_b32_e32 v130, v92
	v_mov_b32_e32 v131, v93
	;; [unrolled: 1-line block ×20, first 2 shown]
	ds_write2_b64 v176, v[130:131], v[132:133] offset0:18 offset1:19
	ds_write2_b64 v176, v[134:135], v[136:137] offset0:20 offset1:21
	ds_write2_b64 v176, v[138:139], v[140:141] offset0:22 offset1:23
	ds_write2_b64 v176, v[142:143], v[144:145] offset0:24 offset1:25
	ds_write2_b64 v176, v[146:147], v[148:149] offset0:26 offset1:27
	ds_write_b64 v176, v[110:111] offset:224
	ds_read_b64 v[130:131], v1
	s_waitcnt lgkmcnt(0)
	v_cmp_neq_f64_e32 vcc_lo, 0, v[130:131]
	s_and_b32 exec_lo, exec_lo, vcc_lo
	s_cbranch_execz .LBB57_29
; %bb.28:
	v_div_scale_f64 v[132:133], null, v[130:131], v[130:131], 1.0
	v_rcp_f64_e32 v[134:135], v[132:133]
	v_fma_f64 v[136:137], -v[132:133], v[134:135], 1.0
	v_fma_f64 v[134:135], v[134:135], v[136:137], v[134:135]
	v_fma_f64 v[136:137], -v[132:133], v[134:135], 1.0
	v_fma_f64 v[134:135], v[134:135], v[136:137], v[134:135]
	v_div_scale_f64 v[136:137], vcc_lo, 1.0, v[130:131], 1.0
	v_mul_f64 v[138:139], v[136:137], v[134:135]
	v_fma_f64 v[132:133], -v[132:133], v[138:139], v[136:137]
	v_div_fmas_f64 v[132:133], v[132:133], v[134:135], v[138:139]
	v_div_fixup_f64 v[130:131], v[132:133], v[130:131], 1.0
	ds_write_b64 v1, v[130:131]
.LBB57_29:
	s_or_b32 exec_lo, exec_lo, s1
	s_waitcnt lgkmcnt(0)
	s_barrier
	buffer_gl0_inv
	ds_read_b64 v[130:131], v1
	s_mov_b32 s1, exec_lo
	v_cmpx_lt_u32_e32 5, v0
	s_cbranch_execz .LBB57_31
; %bb.30:
	s_waitcnt lgkmcnt(0)
	v_mul_f64 v[90:91], v[130:131], v[90:91]
	ds_read2_b64 v[132:135], v176 offset0:6 offset1:7
	ds_read2_b64 v[136:139], v176 offset0:8 offset1:9
	;; [unrolled: 1-line block ×11, first 2 shown]
	ds_read_b64 v[177:178], v176 offset:224
	s_waitcnt lgkmcnt(11)
	v_fma_f64 v[104:105], -v[90:91], v[132:133], v[104:105]
	v_fma_f64 v[88:89], -v[90:91], v[134:135], v[88:89]
	s_waitcnt lgkmcnt(10)
	v_fma_f64 v[102:103], -v[90:91], v[136:137], v[102:103]
	v_fma_f64 v[86:87], -v[90:91], v[138:139], v[86:87]
	;; [unrolled: 3-line block ×11, first 2 shown]
	s_waitcnt lgkmcnt(0)
	v_fma_f64 v[110:111], -v[90:91], v[177:178], v[110:111]
.LBB57_31:
	s_or_b32 exec_lo, exec_lo, s1
	s_mov_b32 s1, exec_lo
	s_waitcnt lgkmcnt(0)
	s_barrier
	buffer_gl0_inv
	v_cmpx_eq_u32_e32 6, v0
	s_cbranch_execz .LBB57_34
; %bb.32:
	ds_write_b64 v1, v[104:105]
	ds_write2_b64 v176, v[88:89], v[102:103] offset0:7 offset1:8
	ds_write2_b64 v176, v[86:87], v[100:101] offset0:9 offset1:10
	;; [unrolled: 1-line block ×11, first 2 shown]
	ds_read_b64 v[132:133], v1
	s_waitcnt lgkmcnt(0)
	v_cmp_neq_f64_e32 vcc_lo, 0, v[132:133]
	s_and_b32 exec_lo, exec_lo, vcc_lo
	s_cbranch_execz .LBB57_34
; %bb.33:
	v_div_scale_f64 v[134:135], null, v[132:133], v[132:133], 1.0
	v_rcp_f64_e32 v[136:137], v[134:135]
	v_fma_f64 v[138:139], -v[134:135], v[136:137], 1.0
	v_fma_f64 v[136:137], v[136:137], v[138:139], v[136:137]
	v_fma_f64 v[138:139], -v[134:135], v[136:137], 1.0
	v_fma_f64 v[136:137], v[136:137], v[138:139], v[136:137]
	v_div_scale_f64 v[138:139], vcc_lo, 1.0, v[132:133], 1.0
	v_mul_f64 v[140:141], v[138:139], v[136:137]
	v_fma_f64 v[134:135], -v[134:135], v[140:141], v[138:139]
	v_div_fmas_f64 v[134:135], v[134:135], v[136:137], v[140:141]
	v_div_fixup_f64 v[132:133], v[134:135], v[132:133], 1.0
	ds_write_b64 v1, v[132:133]
.LBB57_34:
	s_or_b32 exec_lo, exec_lo, s1
	s_waitcnt lgkmcnt(0)
	s_barrier
	buffer_gl0_inv
	ds_read_b64 v[132:133], v1
	s_mov_b32 s1, exec_lo
	v_cmpx_lt_u32_e32 6, v0
	s_cbranch_execz .LBB57_36
; %bb.35:
	s_waitcnt lgkmcnt(0)
	v_mul_f64 v[104:105], v[132:133], v[104:105]
	ds_read2_b64 v[134:137], v176 offset0:7 offset1:8
	ds_read2_b64 v[138:141], v176 offset0:9 offset1:10
	;; [unrolled: 1-line block ×11, first 2 shown]
	s_waitcnt lgkmcnt(10)
	v_fma_f64 v[88:89], -v[104:105], v[134:135], v[88:89]
	v_fma_f64 v[102:103], -v[104:105], v[136:137], v[102:103]
	s_waitcnt lgkmcnt(9)
	v_fma_f64 v[86:87], -v[104:105], v[138:139], v[86:87]
	v_fma_f64 v[100:101], -v[104:105], v[140:141], v[100:101]
	;; [unrolled: 3-line block ×11, first 2 shown]
.LBB57_36:
	s_or_b32 exec_lo, exec_lo, s1
	s_mov_b32 s1, exec_lo
	s_waitcnt lgkmcnt(0)
	s_barrier
	buffer_gl0_inv
	v_cmpx_eq_u32_e32 7, v0
	s_cbranch_execz .LBB57_39
; %bb.37:
	v_mov_b32_e32 v134, v102
	v_mov_b32_e32 v135, v103
	;; [unrolled: 1-line block ×20, first 2 shown]
	ds_write_b64 v1, v[88:89]
	ds_write2_b64 v176, v[134:135], v[136:137] offset0:8 offset1:9
	ds_write2_b64 v176, v[138:139], v[140:141] offset0:10 offset1:11
	;; [unrolled: 1-line block ×5, first 2 shown]
	v_mov_b32_e32 v134, v92
	v_mov_b32_e32 v135, v93
	;; [unrolled: 1-line block ×20, first 2 shown]
	ds_write2_b64 v176, v[134:135], v[136:137] offset0:18 offset1:19
	ds_write2_b64 v176, v[138:139], v[140:141] offset0:20 offset1:21
	;; [unrolled: 1-line block ×5, first 2 shown]
	ds_write_b64 v176, v[110:111] offset:224
	ds_read_b64 v[134:135], v1
	s_waitcnt lgkmcnt(0)
	v_cmp_neq_f64_e32 vcc_lo, 0, v[134:135]
	s_and_b32 exec_lo, exec_lo, vcc_lo
	s_cbranch_execz .LBB57_39
; %bb.38:
	v_div_scale_f64 v[136:137], null, v[134:135], v[134:135], 1.0
	v_rcp_f64_e32 v[138:139], v[136:137]
	v_fma_f64 v[140:141], -v[136:137], v[138:139], 1.0
	v_fma_f64 v[138:139], v[138:139], v[140:141], v[138:139]
	v_fma_f64 v[140:141], -v[136:137], v[138:139], 1.0
	v_fma_f64 v[138:139], v[138:139], v[140:141], v[138:139]
	v_div_scale_f64 v[140:141], vcc_lo, 1.0, v[134:135], 1.0
	v_mul_f64 v[142:143], v[140:141], v[138:139]
	v_fma_f64 v[136:137], -v[136:137], v[142:143], v[140:141]
	v_div_fmas_f64 v[136:137], v[136:137], v[138:139], v[142:143]
	v_div_fixup_f64 v[134:135], v[136:137], v[134:135], 1.0
	ds_write_b64 v1, v[134:135]
.LBB57_39:
	s_or_b32 exec_lo, exec_lo, s1
	s_waitcnt lgkmcnt(0)
	s_barrier
	buffer_gl0_inv
	ds_read_b64 v[134:135], v1
	s_mov_b32 s1, exec_lo
	v_cmpx_lt_u32_e32 7, v0
	s_cbranch_execz .LBB57_41
; %bb.40:
	s_waitcnt lgkmcnt(0)
	v_mul_f64 v[88:89], v[134:135], v[88:89]
	ds_read2_b64 v[136:139], v176 offset0:8 offset1:9
	ds_read2_b64 v[140:143], v176 offset0:10 offset1:11
	;; [unrolled: 1-line block ×10, first 2 shown]
	ds_read_b64 v[177:178], v176 offset:224
	s_waitcnt lgkmcnt(10)
	v_fma_f64 v[102:103], -v[88:89], v[136:137], v[102:103]
	v_fma_f64 v[86:87], -v[88:89], v[138:139], v[86:87]
	s_waitcnt lgkmcnt(9)
	v_fma_f64 v[100:101], -v[88:89], v[140:141], v[100:101]
	v_fma_f64 v[84:85], -v[88:89], v[142:143], v[84:85]
	;; [unrolled: 3-line block ×10, first 2 shown]
	s_waitcnt lgkmcnt(0)
	v_fma_f64 v[110:111], -v[88:89], v[177:178], v[110:111]
.LBB57_41:
	s_or_b32 exec_lo, exec_lo, s1
	s_mov_b32 s1, exec_lo
	s_waitcnt lgkmcnt(0)
	s_barrier
	buffer_gl0_inv
	v_cmpx_eq_u32_e32 8, v0
	s_cbranch_execz .LBB57_44
; %bb.42:
	ds_write_b64 v1, v[102:103]
	ds_write2_b64 v176, v[86:87], v[100:101] offset0:9 offset1:10
	ds_write2_b64 v176, v[84:85], v[98:99] offset0:11 offset1:12
	;; [unrolled: 1-line block ×10, first 2 shown]
	ds_read_b64 v[136:137], v1
	s_waitcnt lgkmcnt(0)
	v_cmp_neq_f64_e32 vcc_lo, 0, v[136:137]
	s_and_b32 exec_lo, exec_lo, vcc_lo
	s_cbranch_execz .LBB57_44
; %bb.43:
	v_div_scale_f64 v[138:139], null, v[136:137], v[136:137], 1.0
	v_rcp_f64_e32 v[140:141], v[138:139]
	v_fma_f64 v[142:143], -v[138:139], v[140:141], 1.0
	v_fma_f64 v[140:141], v[140:141], v[142:143], v[140:141]
	v_fma_f64 v[142:143], -v[138:139], v[140:141], 1.0
	v_fma_f64 v[140:141], v[140:141], v[142:143], v[140:141]
	v_div_scale_f64 v[142:143], vcc_lo, 1.0, v[136:137], 1.0
	v_mul_f64 v[144:145], v[142:143], v[140:141]
	v_fma_f64 v[138:139], -v[138:139], v[144:145], v[142:143]
	v_div_fmas_f64 v[138:139], v[138:139], v[140:141], v[144:145]
	v_div_fixup_f64 v[136:137], v[138:139], v[136:137], 1.0
	ds_write_b64 v1, v[136:137]
.LBB57_44:
	s_or_b32 exec_lo, exec_lo, s1
	s_waitcnt lgkmcnt(0)
	s_barrier
	buffer_gl0_inv
	ds_read_b64 v[136:137], v1
	s_mov_b32 s1, exec_lo
	v_cmpx_lt_u32_e32 8, v0
	s_cbranch_execz .LBB57_46
; %bb.45:
	s_waitcnt lgkmcnt(0)
	v_mul_f64 v[102:103], v[136:137], v[102:103]
	ds_read2_b64 v[138:141], v176 offset0:9 offset1:10
	ds_read2_b64 v[142:145], v176 offset0:11 offset1:12
	;; [unrolled: 1-line block ×10, first 2 shown]
	s_waitcnt lgkmcnt(9)
	v_fma_f64 v[86:87], -v[102:103], v[138:139], v[86:87]
	v_fma_f64 v[100:101], -v[102:103], v[140:141], v[100:101]
	s_waitcnt lgkmcnt(8)
	v_fma_f64 v[84:85], -v[102:103], v[142:143], v[84:85]
	v_fma_f64 v[98:99], -v[102:103], v[144:145], v[98:99]
	;; [unrolled: 3-line block ×10, first 2 shown]
.LBB57_46:
	s_or_b32 exec_lo, exec_lo, s1
	s_mov_b32 s1, exec_lo
	s_waitcnt lgkmcnt(0)
	s_barrier
	buffer_gl0_inv
	v_cmpx_eq_u32_e32 9, v0
	s_cbranch_execz .LBB57_49
; %bb.47:
	v_mov_b32_e32 v138, v100
	v_mov_b32_e32 v139, v101
	;; [unrolled: 1-line block ×16, first 2 shown]
	ds_write_b64 v1, v[86:87]
	ds_write2_b64 v176, v[138:139], v[140:141] offset0:10 offset1:11
	ds_write2_b64 v176, v[142:143], v[144:145] offset0:12 offset1:13
	;; [unrolled: 1-line block ×4, first 2 shown]
	v_mov_b32_e32 v138, v92
	v_mov_b32_e32 v139, v93
	;; [unrolled: 1-line block ×20, first 2 shown]
	ds_write2_b64 v176, v[138:139], v[140:141] offset0:18 offset1:19
	ds_write2_b64 v176, v[142:143], v[144:145] offset0:20 offset1:21
	;; [unrolled: 1-line block ×5, first 2 shown]
	ds_write_b64 v176, v[110:111] offset:224
	ds_read_b64 v[138:139], v1
	s_waitcnt lgkmcnt(0)
	v_cmp_neq_f64_e32 vcc_lo, 0, v[138:139]
	s_and_b32 exec_lo, exec_lo, vcc_lo
	s_cbranch_execz .LBB57_49
; %bb.48:
	v_div_scale_f64 v[140:141], null, v[138:139], v[138:139], 1.0
	v_rcp_f64_e32 v[142:143], v[140:141]
	v_fma_f64 v[144:145], -v[140:141], v[142:143], 1.0
	v_fma_f64 v[142:143], v[142:143], v[144:145], v[142:143]
	v_fma_f64 v[144:145], -v[140:141], v[142:143], 1.0
	v_fma_f64 v[142:143], v[142:143], v[144:145], v[142:143]
	v_div_scale_f64 v[144:145], vcc_lo, 1.0, v[138:139], 1.0
	v_mul_f64 v[146:147], v[144:145], v[142:143]
	v_fma_f64 v[140:141], -v[140:141], v[146:147], v[144:145]
	v_div_fmas_f64 v[140:141], v[140:141], v[142:143], v[146:147]
	v_div_fixup_f64 v[138:139], v[140:141], v[138:139], 1.0
	ds_write_b64 v1, v[138:139]
.LBB57_49:
	s_or_b32 exec_lo, exec_lo, s1
	s_waitcnt lgkmcnt(0)
	s_barrier
	buffer_gl0_inv
	ds_read_b64 v[138:139], v1
	s_mov_b32 s1, exec_lo
	v_cmpx_lt_u32_e32 9, v0
	s_cbranch_execz .LBB57_51
; %bb.50:
	s_waitcnt lgkmcnt(0)
	v_mul_f64 v[86:87], v[138:139], v[86:87]
	ds_read2_b64 v[140:143], v176 offset0:10 offset1:11
	ds_read2_b64 v[144:147], v176 offset0:12 offset1:13
	;; [unrolled: 1-line block ×9, first 2 shown]
	ds_read_b64 v[177:178], v176 offset:224
	s_waitcnt lgkmcnt(9)
	v_fma_f64 v[100:101], -v[86:87], v[140:141], v[100:101]
	v_fma_f64 v[84:85], -v[86:87], v[142:143], v[84:85]
	s_waitcnt lgkmcnt(8)
	v_fma_f64 v[98:99], -v[86:87], v[144:145], v[98:99]
	v_fma_f64 v[82:83], -v[86:87], v[146:147], v[82:83]
	;; [unrolled: 3-line block ×9, first 2 shown]
	s_waitcnt lgkmcnt(0)
	v_fma_f64 v[110:111], -v[86:87], v[177:178], v[110:111]
.LBB57_51:
	s_or_b32 exec_lo, exec_lo, s1
	s_mov_b32 s1, exec_lo
	s_waitcnt lgkmcnt(0)
	s_barrier
	buffer_gl0_inv
	v_cmpx_eq_u32_e32 10, v0
	s_cbranch_execz .LBB57_54
; %bb.52:
	ds_write_b64 v1, v[100:101]
	ds_write2_b64 v176, v[84:85], v[98:99] offset0:11 offset1:12
	ds_write2_b64 v176, v[82:83], v[96:97] offset0:13 offset1:14
	;; [unrolled: 1-line block ×9, first 2 shown]
	ds_read_b64 v[140:141], v1
	s_waitcnt lgkmcnt(0)
	v_cmp_neq_f64_e32 vcc_lo, 0, v[140:141]
	s_and_b32 exec_lo, exec_lo, vcc_lo
	s_cbranch_execz .LBB57_54
; %bb.53:
	v_div_scale_f64 v[142:143], null, v[140:141], v[140:141], 1.0
	v_rcp_f64_e32 v[144:145], v[142:143]
	v_fma_f64 v[146:147], -v[142:143], v[144:145], 1.0
	v_fma_f64 v[144:145], v[144:145], v[146:147], v[144:145]
	v_fma_f64 v[146:147], -v[142:143], v[144:145], 1.0
	v_fma_f64 v[144:145], v[144:145], v[146:147], v[144:145]
	v_div_scale_f64 v[146:147], vcc_lo, 1.0, v[140:141], 1.0
	v_mul_f64 v[148:149], v[146:147], v[144:145]
	v_fma_f64 v[142:143], -v[142:143], v[148:149], v[146:147]
	v_div_fmas_f64 v[142:143], v[142:143], v[144:145], v[148:149]
	v_div_fixup_f64 v[140:141], v[142:143], v[140:141], 1.0
	ds_write_b64 v1, v[140:141]
.LBB57_54:
	s_or_b32 exec_lo, exec_lo, s1
	s_waitcnt lgkmcnt(0)
	s_barrier
	buffer_gl0_inv
	ds_read_b64 v[140:141], v1
	s_mov_b32 s1, exec_lo
	v_cmpx_lt_u32_e32 10, v0
	s_cbranch_execz .LBB57_56
; %bb.55:
	s_waitcnt lgkmcnt(0)
	v_mul_f64 v[100:101], v[140:141], v[100:101]
	ds_read2_b64 v[142:145], v176 offset0:11 offset1:12
	ds_read2_b64 v[146:149], v176 offset0:13 offset1:14
	ds_read2_b64 v[150:153], v176 offset0:15 offset1:16
	ds_read2_b64 v[154:157], v176 offset0:17 offset1:18
	ds_read2_b64 v[158:161], v176 offset0:19 offset1:20
	ds_read2_b64 v[162:165], v176 offset0:21 offset1:22
	ds_read2_b64 v[166:169], v176 offset0:23 offset1:24
	ds_read2_b64 v[170:173], v176 offset0:25 offset1:26
	ds_read2_b64 v[177:180], v176 offset0:27 offset1:28
	s_waitcnt lgkmcnt(8)
	v_fma_f64 v[84:85], -v[100:101], v[142:143], v[84:85]
	v_fma_f64 v[98:99], -v[100:101], v[144:145], v[98:99]
	s_waitcnt lgkmcnt(7)
	v_fma_f64 v[82:83], -v[100:101], v[146:147], v[82:83]
	v_fma_f64 v[96:97], -v[100:101], v[148:149], v[96:97]
	;; [unrolled: 3-line block ×9, first 2 shown]
.LBB57_56:
	s_or_b32 exec_lo, exec_lo, s1
	s_mov_b32 s1, exec_lo
	s_waitcnt lgkmcnt(0)
	s_barrier
	buffer_gl0_inv
	v_cmpx_eq_u32_e32 11, v0
	s_cbranch_execz .LBB57_59
; %bb.57:
	v_mov_b32_e32 v142, v98
	v_mov_b32_e32 v143, v99
	;; [unrolled: 1-line block ×12, first 2 shown]
	ds_write_b64 v1, v[84:85]
	ds_write2_b64 v176, v[142:143], v[144:145] offset0:12 offset1:13
	ds_write2_b64 v176, v[146:147], v[148:149] offset0:14 offset1:15
	;; [unrolled: 1-line block ×3, first 2 shown]
	v_mov_b32_e32 v142, v92
	v_mov_b32_e32 v143, v93
	;; [unrolled: 1-line block ×20, first 2 shown]
	ds_write2_b64 v176, v[142:143], v[144:145] offset0:18 offset1:19
	ds_write2_b64 v176, v[146:147], v[148:149] offset0:20 offset1:21
	;; [unrolled: 1-line block ×5, first 2 shown]
	ds_write_b64 v176, v[110:111] offset:224
	ds_read_b64 v[142:143], v1
	s_waitcnt lgkmcnt(0)
	v_cmp_neq_f64_e32 vcc_lo, 0, v[142:143]
	s_and_b32 exec_lo, exec_lo, vcc_lo
	s_cbranch_execz .LBB57_59
; %bb.58:
	v_div_scale_f64 v[144:145], null, v[142:143], v[142:143], 1.0
	v_rcp_f64_e32 v[146:147], v[144:145]
	v_fma_f64 v[148:149], -v[144:145], v[146:147], 1.0
	v_fma_f64 v[146:147], v[146:147], v[148:149], v[146:147]
	v_fma_f64 v[148:149], -v[144:145], v[146:147], 1.0
	v_fma_f64 v[146:147], v[146:147], v[148:149], v[146:147]
	v_div_scale_f64 v[148:149], vcc_lo, 1.0, v[142:143], 1.0
	v_mul_f64 v[150:151], v[148:149], v[146:147]
	v_fma_f64 v[144:145], -v[144:145], v[150:151], v[148:149]
	v_div_fmas_f64 v[144:145], v[144:145], v[146:147], v[150:151]
	v_div_fixup_f64 v[142:143], v[144:145], v[142:143], 1.0
	ds_write_b64 v1, v[142:143]
.LBB57_59:
	s_or_b32 exec_lo, exec_lo, s1
	s_waitcnt lgkmcnt(0)
	s_barrier
	buffer_gl0_inv
	ds_read_b64 v[142:143], v1
	s_mov_b32 s1, exec_lo
	v_cmpx_lt_u32_e32 11, v0
	s_cbranch_execz .LBB57_61
; %bb.60:
	s_waitcnt lgkmcnt(0)
	v_mul_f64 v[84:85], v[142:143], v[84:85]
	ds_read2_b64 v[144:147], v176 offset0:12 offset1:13
	ds_read2_b64 v[148:151], v176 offset0:14 offset1:15
	;; [unrolled: 1-line block ×8, first 2 shown]
	ds_read_b64 v[177:178], v176 offset:224
	s_waitcnt lgkmcnt(8)
	v_fma_f64 v[98:99], -v[84:85], v[144:145], v[98:99]
	v_fma_f64 v[82:83], -v[84:85], v[146:147], v[82:83]
	s_waitcnt lgkmcnt(7)
	v_fma_f64 v[96:97], -v[84:85], v[148:149], v[96:97]
	v_fma_f64 v[80:81], -v[84:85], v[150:151], v[80:81]
	;; [unrolled: 3-line block ×8, first 2 shown]
	s_waitcnt lgkmcnt(0)
	v_fma_f64 v[110:111], -v[84:85], v[177:178], v[110:111]
.LBB57_61:
	s_or_b32 exec_lo, exec_lo, s1
	s_mov_b32 s1, exec_lo
	s_waitcnt lgkmcnt(0)
	s_barrier
	buffer_gl0_inv
	v_cmpx_eq_u32_e32 12, v0
	s_cbranch_execz .LBB57_64
; %bb.62:
	ds_write_b64 v1, v[98:99]
	ds_write2_b64 v176, v[82:83], v[96:97] offset0:13 offset1:14
	ds_write2_b64 v176, v[80:81], v[94:95] offset0:15 offset1:16
	;; [unrolled: 1-line block ×8, first 2 shown]
	ds_read_b64 v[144:145], v1
	s_waitcnt lgkmcnt(0)
	v_cmp_neq_f64_e32 vcc_lo, 0, v[144:145]
	s_and_b32 exec_lo, exec_lo, vcc_lo
	s_cbranch_execz .LBB57_64
; %bb.63:
	v_div_scale_f64 v[146:147], null, v[144:145], v[144:145], 1.0
	v_rcp_f64_e32 v[148:149], v[146:147]
	v_fma_f64 v[150:151], -v[146:147], v[148:149], 1.0
	v_fma_f64 v[148:149], v[148:149], v[150:151], v[148:149]
	v_fma_f64 v[150:151], -v[146:147], v[148:149], 1.0
	v_fma_f64 v[148:149], v[148:149], v[150:151], v[148:149]
	v_div_scale_f64 v[150:151], vcc_lo, 1.0, v[144:145], 1.0
	v_mul_f64 v[152:153], v[150:151], v[148:149]
	v_fma_f64 v[146:147], -v[146:147], v[152:153], v[150:151]
	v_div_fmas_f64 v[146:147], v[146:147], v[148:149], v[152:153]
	v_div_fixup_f64 v[144:145], v[146:147], v[144:145], 1.0
	ds_write_b64 v1, v[144:145]
.LBB57_64:
	s_or_b32 exec_lo, exec_lo, s1
	s_waitcnt lgkmcnt(0)
	s_barrier
	buffer_gl0_inv
	ds_read_b64 v[144:145], v1
	s_mov_b32 s1, exec_lo
	v_cmpx_lt_u32_e32 12, v0
	s_cbranch_execz .LBB57_66
; %bb.65:
	s_waitcnt lgkmcnt(0)
	v_mul_f64 v[98:99], v[144:145], v[98:99]
	ds_read2_b64 v[146:149], v176 offset0:13 offset1:14
	ds_read2_b64 v[150:153], v176 offset0:15 offset1:16
	;; [unrolled: 1-line block ×8, first 2 shown]
	s_waitcnt lgkmcnt(7)
	v_fma_f64 v[82:83], -v[98:99], v[146:147], v[82:83]
	v_fma_f64 v[96:97], -v[98:99], v[148:149], v[96:97]
	s_waitcnt lgkmcnt(6)
	v_fma_f64 v[80:81], -v[98:99], v[150:151], v[80:81]
	v_fma_f64 v[94:95], -v[98:99], v[152:153], v[94:95]
	;; [unrolled: 3-line block ×8, first 2 shown]
.LBB57_66:
	s_or_b32 exec_lo, exec_lo, s1
	s_mov_b32 s1, exec_lo
	s_waitcnt lgkmcnt(0)
	s_barrier
	buffer_gl0_inv
	v_cmpx_eq_u32_e32 13, v0
	s_cbranch_execz .LBB57_69
; %bb.67:
	v_mov_b32_e32 v146, v96
	v_mov_b32_e32 v147, v97
	;; [unrolled: 1-line block ×8, first 2 shown]
	ds_write_b64 v1, v[82:83]
	ds_write2_b64 v176, v[146:147], v[148:149] offset0:14 offset1:15
	ds_write2_b64 v176, v[150:151], v[152:153] offset0:16 offset1:17
	v_mov_b32_e32 v146, v92
	v_mov_b32_e32 v147, v93
	;; [unrolled: 1-line block ×20, first 2 shown]
	ds_write2_b64 v176, v[146:147], v[148:149] offset0:18 offset1:19
	ds_write2_b64 v176, v[150:151], v[152:153] offset0:20 offset1:21
	;; [unrolled: 1-line block ×5, first 2 shown]
	ds_write_b64 v176, v[110:111] offset:224
	ds_read_b64 v[146:147], v1
	s_waitcnt lgkmcnt(0)
	v_cmp_neq_f64_e32 vcc_lo, 0, v[146:147]
	s_and_b32 exec_lo, exec_lo, vcc_lo
	s_cbranch_execz .LBB57_69
; %bb.68:
	v_div_scale_f64 v[148:149], null, v[146:147], v[146:147], 1.0
	v_rcp_f64_e32 v[150:151], v[148:149]
	v_fma_f64 v[152:153], -v[148:149], v[150:151], 1.0
	v_fma_f64 v[150:151], v[150:151], v[152:153], v[150:151]
	v_fma_f64 v[152:153], -v[148:149], v[150:151], 1.0
	v_fma_f64 v[150:151], v[150:151], v[152:153], v[150:151]
	v_div_scale_f64 v[152:153], vcc_lo, 1.0, v[146:147], 1.0
	v_mul_f64 v[154:155], v[152:153], v[150:151]
	v_fma_f64 v[148:149], -v[148:149], v[154:155], v[152:153]
	v_div_fmas_f64 v[148:149], v[148:149], v[150:151], v[154:155]
	v_div_fixup_f64 v[146:147], v[148:149], v[146:147], 1.0
	ds_write_b64 v1, v[146:147]
.LBB57_69:
	s_or_b32 exec_lo, exec_lo, s1
	s_waitcnt lgkmcnt(0)
	s_barrier
	buffer_gl0_inv
	ds_read_b64 v[146:147], v1
	s_mov_b32 s1, exec_lo
	v_cmpx_lt_u32_e32 13, v0
	s_cbranch_execz .LBB57_71
; %bb.70:
	s_waitcnt lgkmcnt(0)
	v_mul_f64 v[82:83], v[146:147], v[82:83]
	ds_read2_b64 v[148:151], v176 offset0:14 offset1:15
	ds_read2_b64 v[152:155], v176 offset0:16 offset1:17
	;; [unrolled: 1-line block ×7, first 2 shown]
	ds_read_b64 v[177:178], v176 offset:224
	s_waitcnt lgkmcnt(7)
	v_fma_f64 v[96:97], -v[82:83], v[148:149], v[96:97]
	v_fma_f64 v[80:81], -v[82:83], v[150:151], v[80:81]
	s_waitcnt lgkmcnt(6)
	v_fma_f64 v[94:95], -v[82:83], v[152:153], v[94:95]
	v_fma_f64 v[78:79], -v[82:83], v[154:155], v[78:79]
	s_waitcnt lgkmcnt(5)
	v_fma_f64 v[92:93], -v[82:83], v[156:157], v[92:93]
	v_fma_f64 v[68:69], -v[82:83], v[158:159], v[68:69]
	s_waitcnt lgkmcnt(4)
	v_fma_f64 v[76:77], -v[82:83], v[160:161], v[76:77]
	v_fma_f64 v[66:67], -v[82:83], v[162:163], v[66:67]
	s_waitcnt lgkmcnt(3)
	v_fma_f64 v[74:75], -v[82:83], v[164:165], v[74:75]
	v_fma_f64 v[64:65], -v[82:83], v[166:167], v[64:65]
	s_waitcnt lgkmcnt(2)
	v_fma_f64 v[72:73], -v[82:83], v[168:169], v[72:73]
	v_fma_f64 v[62:63], -v[82:83], v[170:171], v[62:63]
	s_waitcnt lgkmcnt(1)
	v_fma_f64 v[70:71], -v[82:83], v[172:173], v[70:71]
	v_fma_f64 v[60:61], -v[82:83], v[174:175], v[60:61]
	s_waitcnt lgkmcnt(0)
	v_fma_f64 v[110:111], -v[82:83], v[177:178], v[110:111]
.LBB57_71:
	s_or_b32 exec_lo, exec_lo, s1
	s_mov_b32 s1, exec_lo
	s_waitcnt lgkmcnt(0)
	s_barrier
	buffer_gl0_inv
	v_cmpx_eq_u32_e32 14, v0
	s_cbranch_execz .LBB57_74
; %bb.72:
	ds_write_b64 v1, v[96:97]
	ds_write2_b64 v176, v[80:81], v[94:95] offset0:15 offset1:16
	ds_write2_b64 v176, v[78:79], v[92:93] offset0:17 offset1:18
	;; [unrolled: 1-line block ×7, first 2 shown]
	ds_read_b64 v[148:149], v1
	s_waitcnt lgkmcnt(0)
	v_cmp_neq_f64_e32 vcc_lo, 0, v[148:149]
	s_and_b32 exec_lo, exec_lo, vcc_lo
	s_cbranch_execz .LBB57_74
; %bb.73:
	v_div_scale_f64 v[150:151], null, v[148:149], v[148:149], 1.0
	v_rcp_f64_e32 v[152:153], v[150:151]
	v_fma_f64 v[154:155], -v[150:151], v[152:153], 1.0
	v_fma_f64 v[152:153], v[152:153], v[154:155], v[152:153]
	v_fma_f64 v[154:155], -v[150:151], v[152:153], 1.0
	v_fma_f64 v[152:153], v[152:153], v[154:155], v[152:153]
	v_div_scale_f64 v[154:155], vcc_lo, 1.0, v[148:149], 1.0
	v_mul_f64 v[156:157], v[154:155], v[152:153]
	v_fma_f64 v[150:151], -v[150:151], v[156:157], v[154:155]
	v_div_fmas_f64 v[150:151], v[150:151], v[152:153], v[156:157]
	v_div_fixup_f64 v[148:149], v[150:151], v[148:149], 1.0
	ds_write_b64 v1, v[148:149]
.LBB57_74:
	s_or_b32 exec_lo, exec_lo, s1
	s_waitcnt lgkmcnt(0)
	s_barrier
	buffer_gl0_inv
	ds_read_b64 v[148:149], v1
	s_mov_b32 s1, exec_lo
	v_cmpx_lt_u32_e32 14, v0
	s_cbranch_execz .LBB57_76
; %bb.75:
	s_waitcnt lgkmcnt(0)
	v_mul_f64 v[96:97], v[148:149], v[96:97]
	ds_read2_b64 v[150:153], v176 offset0:15 offset1:16
	ds_read2_b64 v[154:157], v176 offset0:17 offset1:18
	ds_read2_b64 v[158:161], v176 offset0:19 offset1:20
	ds_read2_b64 v[162:165], v176 offset0:21 offset1:22
	ds_read2_b64 v[166:169], v176 offset0:23 offset1:24
	ds_read2_b64 v[170:173], v176 offset0:25 offset1:26
	ds_read2_b64 v[177:180], v176 offset0:27 offset1:28
	s_waitcnt lgkmcnt(6)
	v_fma_f64 v[80:81], -v[96:97], v[150:151], v[80:81]
	v_fma_f64 v[94:95], -v[96:97], v[152:153], v[94:95]
	s_waitcnt lgkmcnt(5)
	v_fma_f64 v[78:79], -v[96:97], v[154:155], v[78:79]
	v_fma_f64 v[92:93], -v[96:97], v[156:157], v[92:93]
	;; [unrolled: 3-line block ×7, first 2 shown]
.LBB57_76:
	s_or_b32 exec_lo, exec_lo, s1
	s_mov_b32 s1, exec_lo
	s_waitcnt lgkmcnt(0)
	s_barrier
	buffer_gl0_inv
	v_cmpx_eq_u32_e32 15, v0
	s_cbranch_execz .LBB57_79
; %bb.77:
	v_mov_b32_e32 v150, v94
	v_mov_b32_e32 v151, v95
	;; [unrolled: 1-line block ×4, first 2 shown]
	ds_write_b64 v1, v[80:81]
	ds_write2_b64 v176, v[150:151], v[152:153] offset0:16 offset1:17
	v_mov_b32_e32 v150, v92
	v_mov_b32_e32 v151, v93
	;; [unrolled: 1-line block ×20, first 2 shown]
	ds_write2_b64 v176, v[150:151], v[152:153] offset0:18 offset1:19
	ds_write2_b64 v176, v[154:155], v[156:157] offset0:20 offset1:21
	;; [unrolled: 1-line block ×5, first 2 shown]
	ds_write_b64 v176, v[110:111] offset:224
	ds_read_b64 v[150:151], v1
	s_waitcnt lgkmcnt(0)
	v_cmp_neq_f64_e32 vcc_lo, 0, v[150:151]
	s_and_b32 exec_lo, exec_lo, vcc_lo
	s_cbranch_execz .LBB57_79
; %bb.78:
	v_div_scale_f64 v[152:153], null, v[150:151], v[150:151], 1.0
	v_rcp_f64_e32 v[154:155], v[152:153]
	v_fma_f64 v[156:157], -v[152:153], v[154:155], 1.0
	v_fma_f64 v[154:155], v[154:155], v[156:157], v[154:155]
	v_fma_f64 v[156:157], -v[152:153], v[154:155], 1.0
	v_fma_f64 v[154:155], v[154:155], v[156:157], v[154:155]
	v_div_scale_f64 v[156:157], vcc_lo, 1.0, v[150:151], 1.0
	v_mul_f64 v[158:159], v[156:157], v[154:155]
	v_fma_f64 v[152:153], -v[152:153], v[158:159], v[156:157]
	v_div_fmas_f64 v[152:153], v[152:153], v[154:155], v[158:159]
	v_div_fixup_f64 v[150:151], v[152:153], v[150:151], 1.0
	ds_write_b64 v1, v[150:151]
.LBB57_79:
	s_or_b32 exec_lo, exec_lo, s1
	s_waitcnt lgkmcnt(0)
	s_barrier
	buffer_gl0_inv
	ds_read_b64 v[150:151], v1
	s_mov_b32 s1, exec_lo
	v_cmpx_lt_u32_e32 15, v0
	s_cbranch_execz .LBB57_81
; %bb.80:
	s_waitcnt lgkmcnt(0)
	v_mul_f64 v[80:81], v[150:151], v[80:81]
	ds_read2_b64 v[152:155], v176 offset0:16 offset1:17
	ds_read2_b64 v[156:159], v176 offset0:18 offset1:19
	;; [unrolled: 1-line block ×6, first 2 shown]
	ds_read_b64 v[177:178], v176 offset:224
	s_waitcnt lgkmcnt(6)
	v_fma_f64 v[94:95], -v[80:81], v[152:153], v[94:95]
	v_fma_f64 v[78:79], -v[80:81], v[154:155], v[78:79]
	s_waitcnt lgkmcnt(5)
	v_fma_f64 v[92:93], -v[80:81], v[156:157], v[92:93]
	v_fma_f64 v[68:69], -v[80:81], v[158:159], v[68:69]
	;; [unrolled: 3-line block ×6, first 2 shown]
	s_waitcnt lgkmcnt(0)
	v_fma_f64 v[110:111], -v[80:81], v[177:178], v[110:111]
.LBB57_81:
	s_or_b32 exec_lo, exec_lo, s1
	s_mov_b32 s1, exec_lo
	s_waitcnt lgkmcnt(0)
	s_barrier
	buffer_gl0_inv
	v_cmpx_eq_u32_e32 16, v0
	s_cbranch_execz .LBB57_84
; %bb.82:
	ds_write_b64 v1, v[94:95]
	ds_write2_b64 v176, v[78:79], v[92:93] offset0:17 offset1:18
	ds_write2_b64 v176, v[68:69], v[76:77] offset0:19 offset1:20
	;; [unrolled: 1-line block ×6, first 2 shown]
	ds_read_b64 v[152:153], v1
	s_waitcnt lgkmcnt(0)
	v_cmp_neq_f64_e32 vcc_lo, 0, v[152:153]
	s_and_b32 exec_lo, exec_lo, vcc_lo
	s_cbranch_execz .LBB57_84
; %bb.83:
	v_div_scale_f64 v[154:155], null, v[152:153], v[152:153], 1.0
	v_rcp_f64_e32 v[156:157], v[154:155]
	v_fma_f64 v[158:159], -v[154:155], v[156:157], 1.0
	v_fma_f64 v[156:157], v[156:157], v[158:159], v[156:157]
	v_fma_f64 v[158:159], -v[154:155], v[156:157], 1.0
	v_fma_f64 v[156:157], v[156:157], v[158:159], v[156:157]
	v_div_scale_f64 v[158:159], vcc_lo, 1.0, v[152:153], 1.0
	v_mul_f64 v[160:161], v[158:159], v[156:157]
	v_fma_f64 v[154:155], -v[154:155], v[160:161], v[158:159]
	v_div_fmas_f64 v[154:155], v[154:155], v[156:157], v[160:161]
	v_div_fixup_f64 v[152:153], v[154:155], v[152:153], 1.0
	ds_write_b64 v1, v[152:153]
.LBB57_84:
	s_or_b32 exec_lo, exec_lo, s1
	s_waitcnt lgkmcnt(0)
	s_barrier
	buffer_gl0_inv
	ds_read_b64 v[152:153], v1
	s_mov_b32 s1, exec_lo
	v_cmpx_lt_u32_e32 16, v0
	s_cbranch_execz .LBB57_86
; %bb.85:
	s_waitcnt lgkmcnt(0)
	v_mul_f64 v[94:95], v[152:153], v[94:95]
	ds_read2_b64 v[154:157], v176 offset0:17 offset1:18
	ds_read2_b64 v[158:161], v176 offset0:19 offset1:20
	;; [unrolled: 1-line block ×6, first 2 shown]
	s_waitcnt lgkmcnt(5)
	v_fma_f64 v[78:79], -v[94:95], v[154:155], v[78:79]
	v_fma_f64 v[92:93], -v[94:95], v[156:157], v[92:93]
	s_waitcnt lgkmcnt(4)
	v_fma_f64 v[68:69], -v[94:95], v[158:159], v[68:69]
	v_fma_f64 v[76:77], -v[94:95], v[160:161], v[76:77]
	;; [unrolled: 3-line block ×6, first 2 shown]
.LBB57_86:
	s_or_b32 exec_lo, exec_lo, s1
	s_mov_b32 s1, exec_lo
	s_waitcnt lgkmcnt(0)
	s_barrier
	buffer_gl0_inv
	v_cmpx_eq_u32_e32 17, v0
	s_cbranch_execz .LBB57_89
; %bb.87:
	v_mov_b32_e32 v154, v92
	v_mov_b32_e32 v155, v93
	;; [unrolled: 1-line block ×20, first 2 shown]
	ds_write_b64 v1, v[78:79]
	ds_write2_b64 v176, v[154:155], v[156:157] offset0:18 offset1:19
	ds_write2_b64 v176, v[158:159], v[160:161] offset0:20 offset1:21
	;; [unrolled: 1-line block ×5, first 2 shown]
	ds_write_b64 v176, v[110:111] offset:224
	ds_read_b64 v[154:155], v1
	s_waitcnt lgkmcnt(0)
	v_cmp_neq_f64_e32 vcc_lo, 0, v[154:155]
	s_and_b32 exec_lo, exec_lo, vcc_lo
	s_cbranch_execz .LBB57_89
; %bb.88:
	v_div_scale_f64 v[156:157], null, v[154:155], v[154:155], 1.0
	v_rcp_f64_e32 v[158:159], v[156:157]
	v_fma_f64 v[160:161], -v[156:157], v[158:159], 1.0
	v_fma_f64 v[158:159], v[158:159], v[160:161], v[158:159]
	v_fma_f64 v[160:161], -v[156:157], v[158:159], 1.0
	v_fma_f64 v[158:159], v[158:159], v[160:161], v[158:159]
	v_div_scale_f64 v[160:161], vcc_lo, 1.0, v[154:155], 1.0
	v_mul_f64 v[162:163], v[160:161], v[158:159]
	v_fma_f64 v[156:157], -v[156:157], v[162:163], v[160:161]
	v_div_fmas_f64 v[156:157], v[156:157], v[158:159], v[162:163]
	v_div_fixup_f64 v[154:155], v[156:157], v[154:155], 1.0
	ds_write_b64 v1, v[154:155]
.LBB57_89:
	s_or_b32 exec_lo, exec_lo, s1
	s_waitcnt lgkmcnt(0)
	s_barrier
	buffer_gl0_inv
	ds_read_b64 v[154:155], v1
	s_mov_b32 s1, exec_lo
	v_cmpx_lt_u32_e32 17, v0
	s_cbranch_execz .LBB57_91
; %bb.90:
	s_waitcnt lgkmcnt(0)
	v_mul_f64 v[78:79], v[154:155], v[78:79]
	ds_read2_b64 v[156:159], v176 offset0:18 offset1:19
	ds_read2_b64 v[160:163], v176 offset0:20 offset1:21
	;; [unrolled: 1-line block ×5, first 2 shown]
	ds_read_b64 v[177:178], v176 offset:224
	s_waitcnt lgkmcnt(5)
	v_fma_f64 v[92:93], -v[78:79], v[156:157], v[92:93]
	v_fma_f64 v[68:69], -v[78:79], v[158:159], v[68:69]
	s_waitcnt lgkmcnt(4)
	v_fma_f64 v[76:77], -v[78:79], v[160:161], v[76:77]
	v_fma_f64 v[66:67], -v[78:79], v[162:163], v[66:67]
	;; [unrolled: 3-line block ×5, first 2 shown]
	s_waitcnt lgkmcnt(0)
	v_fma_f64 v[110:111], -v[78:79], v[177:178], v[110:111]
.LBB57_91:
	s_or_b32 exec_lo, exec_lo, s1
	s_mov_b32 s1, exec_lo
	s_waitcnt lgkmcnt(0)
	s_barrier
	buffer_gl0_inv
	v_cmpx_eq_u32_e32 18, v0
	s_cbranch_execz .LBB57_94
; %bb.92:
	ds_write_b64 v1, v[92:93]
	ds_write2_b64 v176, v[68:69], v[76:77] offset0:19 offset1:20
	ds_write2_b64 v176, v[66:67], v[74:75] offset0:21 offset1:22
	;; [unrolled: 1-line block ×5, first 2 shown]
	ds_read_b64 v[156:157], v1
	s_waitcnt lgkmcnt(0)
	v_cmp_neq_f64_e32 vcc_lo, 0, v[156:157]
	s_and_b32 exec_lo, exec_lo, vcc_lo
	s_cbranch_execz .LBB57_94
; %bb.93:
	v_div_scale_f64 v[158:159], null, v[156:157], v[156:157], 1.0
	v_rcp_f64_e32 v[160:161], v[158:159]
	v_fma_f64 v[162:163], -v[158:159], v[160:161], 1.0
	v_fma_f64 v[160:161], v[160:161], v[162:163], v[160:161]
	v_fma_f64 v[162:163], -v[158:159], v[160:161], 1.0
	v_fma_f64 v[160:161], v[160:161], v[162:163], v[160:161]
	v_div_scale_f64 v[162:163], vcc_lo, 1.0, v[156:157], 1.0
	v_mul_f64 v[164:165], v[162:163], v[160:161]
	v_fma_f64 v[158:159], -v[158:159], v[164:165], v[162:163]
	v_div_fmas_f64 v[158:159], v[158:159], v[160:161], v[164:165]
	v_div_fixup_f64 v[156:157], v[158:159], v[156:157], 1.0
	ds_write_b64 v1, v[156:157]
.LBB57_94:
	s_or_b32 exec_lo, exec_lo, s1
	s_waitcnt lgkmcnt(0)
	s_barrier
	buffer_gl0_inv
	ds_read_b64 v[156:157], v1
	s_mov_b32 s1, exec_lo
	v_cmpx_lt_u32_e32 18, v0
	s_cbranch_execz .LBB57_96
; %bb.95:
	s_waitcnt lgkmcnt(0)
	v_mul_f64 v[92:93], v[156:157], v[92:93]
	ds_read2_b64 v[158:161], v176 offset0:19 offset1:20
	ds_read2_b64 v[162:165], v176 offset0:21 offset1:22
	;; [unrolled: 1-line block ×5, first 2 shown]
	s_waitcnt lgkmcnt(4)
	v_fma_f64 v[68:69], -v[92:93], v[158:159], v[68:69]
	v_fma_f64 v[76:77], -v[92:93], v[160:161], v[76:77]
	s_waitcnt lgkmcnt(3)
	v_fma_f64 v[66:67], -v[92:93], v[162:163], v[66:67]
	v_fma_f64 v[74:75], -v[92:93], v[164:165], v[74:75]
	;; [unrolled: 3-line block ×5, first 2 shown]
.LBB57_96:
	s_or_b32 exec_lo, exec_lo, s1
	s_mov_b32 s1, exec_lo
	s_waitcnt lgkmcnt(0)
	s_barrier
	buffer_gl0_inv
	v_cmpx_eq_u32_e32 19, v0
	s_cbranch_execz .LBB57_99
; %bb.97:
	v_mov_b32_e32 v158, v76
	v_mov_b32_e32 v159, v77
	;; [unrolled: 1-line block ×16, first 2 shown]
	ds_write_b64 v1, v[68:69]
	ds_write2_b64 v176, v[158:159], v[160:161] offset0:20 offset1:21
	ds_write2_b64 v176, v[162:163], v[164:165] offset0:22 offset1:23
	;; [unrolled: 1-line block ×4, first 2 shown]
	ds_write_b64 v176, v[110:111] offset:224
	ds_read_b64 v[158:159], v1
	s_waitcnt lgkmcnt(0)
	v_cmp_neq_f64_e32 vcc_lo, 0, v[158:159]
	s_and_b32 exec_lo, exec_lo, vcc_lo
	s_cbranch_execz .LBB57_99
; %bb.98:
	v_div_scale_f64 v[160:161], null, v[158:159], v[158:159], 1.0
	v_rcp_f64_e32 v[162:163], v[160:161]
	v_fma_f64 v[164:165], -v[160:161], v[162:163], 1.0
	v_fma_f64 v[162:163], v[162:163], v[164:165], v[162:163]
	v_fma_f64 v[164:165], -v[160:161], v[162:163], 1.0
	v_fma_f64 v[162:163], v[162:163], v[164:165], v[162:163]
	v_div_scale_f64 v[164:165], vcc_lo, 1.0, v[158:159], 1.0
	v_mul_f64 v[166:167], v[164:165], v[162:163]
	v_fma_f64 v[160:161], -v[160:161], v[166:167], v[164:165]
	v_div_fmas_f64 v[160:161], v[160:161], v[162:163], v[166:167]
	v_div_fixup_f64 v[158:159], v[160:161], v[158:159], 1.0
	ds_write_b64 v1, v[158:159]
.LBB57_99:
	s_or_b32 exec_lo, exec_lo, s1
	s_waitcnt lgkmcnt(0)
	s_barrier
	buffer_gl0_inv
	ds_read_b64 v[158:159], v1
	s_mov_b32 s1, exec_lo
	v_cmpx_lt_u32_e32 19, v0
	s_cbranch_execz .LBB57_101
; %bb.100:
	s_waitcnt lgkmcnt(0)
	v_mul_f64 v[68:69], v[158:159], v[68:69]
	ds_read2_b64 v[160:163], v176 offset0:20 offset1:21
	ds_read2_b64 v[164:167], v176 offset0:22 offset1:23
	;; [unrolled: 1-line block ×4, first 2 shown]
	ds_read_b64 v[177:178], v176 offset:224
	s_waitcnt lgkmcnt(4)
	v_fma_f64 v[76:77], -v[68:69], v[160:161], v[76:77]
	v_fma_f64 v[66:67], -v[68:69], v[162:163], v[66:67]
	s_waitcnt lgkmcnt(3)
	v_fma_f64 v[74:75], -v[68:69], v[164:165], v[74:75]
	v_fma_f64 v[64:65], -v[68:69], v[166:167], v[64:65]
	;; [unrolled: 3-line block ×4, first 2 shown]
	s_waitcnt lgkmcnt(0)
	v_fma_f64 v[110:111], -v[68:69], v[177:178], v[110:111]
.LBB57_101:
	s_or_b32 exec_lo, exec_lo, s1
	s_mov_b32 s1, exec_lo
	s_waitcnt lgkmcnt(0)
	s_barrier
	buffer_gl0_inv
	v_cmpx_eq_u32_e32 20, v0
	s_cbranch_execz .LBB57_104
; %bb.102:
	ds_write_b64 v1, v[76:77]
	ds_write2_b64 v176, v[66:67], v[74:75] offset0:21 offset1:22
	ds_write2_b64 v176, v[64:65], v[72:73] offset0:23 offset1:24
	;; [unrolled: 1-line block ×4, first 2 shown]
	ds_read_b64 v[160:161], v1
	s_waitcnt lgkmcnt(0)
	v_cmp_neq_f64_e32 vcc_lo, 0, v[160:161]
	s_and_b32 exec_lo, exec_lo, vcc_lo
	s_cbranch_execz .LBB57_104
; %bb.103:
	v_div_scale_f64 v[162:163], null, v[160:161], v[160:161], 1.0
	v_rcp_f64_e32 v[164:165], v[162:163]
	v_fma_f64 v[166:167], -v[162:163], v[164:165], 1.0
	v_fma_f64 v[164:165], v[164:165], v[166:167], v[164:165]
	v_fma_f64 v[166:167], -v[162:163], v[164:165], 1.0
	v_fma_f64 v[164:165], v[164:165], v[166:167], v[164:165]
	v_div_scale_f64 v[166:167], vcc_lo, 1.0, v[160:161], 1.0
	v_mul_f64 v[168:169], v[166:167], v[164:165]
	v_fma_f64 v[162:163], -v[162:163], v[168:169], v[166:167]
	v_div_fmas_f64 v[162:163], v[162:163], v[164:165], v[168:169]
	v_div_fixup_f64 v[160:161], v[162:163], v[160:161], 1.0
	ds_write_b64 v1, v[160:161]
.LBB57_104:
	s_or_b32 exec_lo, exec_lo, s1
	s_waitcnt lgkmcnt(0)
	s_barrier
	buffer_gl0_inv
	ds_read_b64 v[160:161], v1
	s_mov_b32 s1, exec_lo
	v_cmpx_lt_u32_e32 20, v0
	s_cbranch_execz .LBB57_106
; %bb.105:
	s_waitcnt lgkmcnt(0)
	v_mul_f64 v[76:77], v[160:161], v[76:77]
	ds_read2_b64 v[162:165], v176 offset0:21 offset1:22
	ds_read2_b64 v[166:169], v176 offset0:23 offset1:24
	;; [unrolled: 1-line block ×4, first 2 shown]
	s_waitcnt lgkmcnt(3)
	v_fma_f64 v[66:67], -v[76:77], v[162:163], v[66:67]
	v_fma_f64 v[74:75], -v[76:77], v[164:165], v[74:75]
	s_waitcnt lgkmcnt(2)
	v_fma_f64 v[64:65], -v[76:77], v[166:167], v[64:65]
	v_fma_f64 v[72:73], -v[76:77], v[168:169], v[72:73]
	;; [unrolled: 3-line block ×4, first 2 shown]
.LBB57_106:
	s_or_b32 exec_lo, exec_lo, s1
	s_mov_b32 s1, exec_lo
	s_waitcnt lgkmcnt(0)
	s_barrier
	buffer_gl0_inv
	v_cmpx_eq_u32_e32 21, v0
	s_cbranch_execz .LBB57_109
; %bb.107:
	v_mov_b32_e32 v162, v74
	v_mov_b32_e32 v163, v75
	;; [unrolled: 1-line block ×12, first 2 shown]
	ds_write_b64 v1, v[66:67]
	ds_write2_b64 v176, v[162:163], v[164:165] offset0:22 offset1:23
	ds_write2_b64 v176, v[166:167], v[168:169] offset0:24 offset1:25
	;; [unrolled: 1-line block ×3, first 2 shown]
	ds_write_b64 v176, v[110:111] offset:224
	ds_read_b64 v[162:163], v1
	s_waitcnt lgkmcnt(0)
	v_cmp_neq_f64_e32 vcc_lo, 0, v[162:163]
	s_and_b32 exec_lo, exec_lo, vcc_lo
	s_cbranch_execz .LBB57_109
; %bb.108:
	v_div_scale_f64 v[164:165], null, v[162:163], v[162:163], 1.0
	v_rcp_f64_e32 v[166:167], v[164:165]
	v_fma_f64 v[168:169], -v[164:165], v[166:167], 1.0
	v_fma_f64 v[166:167], v[166:167], v[168:169], v[166:167]
	v_fma_f64 v[168:169], -v[164:165], v[166:167], 1.0
	v_fma_f64 v[166:167], v[166:167], v[168:169], v[166:167]
	v_div_scale_f64 v[168:169], vcc_lo, 1.0, v[162:163], 1.0
	v_mul_f64 v[170:171], v[168:169], v[166:167]
	v_fma_f64 v[164:165], -v[164:165], v[170:171], v[168:169]
	v_div_fmas_f64 v[164:165], v[164:165], v[166:167], v[170:171]
	v_div_fixup_f64 v[162:163], v[164:165], v[162:163], 1.0
	ds_write_b64 v1, v[162:163]
.LBB57_109:
	s_or_b32 exec_lo, exec_lo, s1
	s_waitcnt lgkmcnt(0)
	s_barrier
	buffer_gl0_inv
	ds_read_b64 v[162:163], v1
	s_mov_b32 s1, exec_lo
	v_cmpx_lt_u32_e32 21, v0
	s_cbranch_execz .LBB57_111
; %bb.110:
	s_waitcnt lgkmcnt(0)
	v_mul_f64 v[66:67], v[162:163], v[66:67]
	ds_read2_b64 v[164:167], v176 offset0:22 offset1:23
	ds_read2_b64 v[168:171], v176 offset0:24 offset1:25
	;; [unrolled: 1-line block ×3, first 2 shown]
	ds_read_b64 v[177:178], v176 offset:224
	s_waitcnt lgkmcnt(3)
	v_fma_f64 v[74:75], -v[66:67], v[164:165], v[74:75]
	v_fma_f64 v[64:65], -v[66:67], v[166:167], v[64:65]
	s_waitcnt lgkmcnt(2)
	v_fma_f64 v[72:73], -v[66:67], v[168:169], v[72:73]
	v_fma_f64 v[62:63], -v[66:67], v[170:171], v[62:63]
	;; [unrolled: 3-line block ×3, first 2 shown]
	s_waitcnt lgkmcnt(0)
	v_fma_f64 v[110:111], -v[66:67], v[177:178], v[110:111]
.LBB57_111:
	s_or_b32 exec_lo, exec_lo, s1
	s_mov_b32 s1, exec_lo
	s_waitcnt lgkmcnt(0)
	s_barrier
	buffer_gl0_inv
	v_cmpx_eq_u32_e32 22, v0
	s_cbranch_execz .LBB57_114
; %bb.112:
	ds_write_b64 v1, v[74:75]
	ds_write2_b64 v176, v[64:65], v[72:73] offset0:23 offset1:24
	ds_write2_b64 v176, v[62:63], v[70:71] offset0:25 offset1:26
	;; [unrolled: 1-line block ×3, first 2 shown]
	ds_read_b64 v[164:165], v1
	s_waitcnt lgkmcnt(0)
	v_cmp_neq_f64_e32 vcc_lo, 0, v[164:165]
	s_and_b32 exec_lo, exec_lo, vcc_lo
	s_cbranch_execz .LBB57_114
; %bb.113:
	v_div_scale_f64 v[166:167], null, v[164:165], v[164:165], 1.0
	v_rcp_f64_e32 v[168:169], v[166:167]
	v_fma_f64 v[170:171], -v[166:167], v[168:169], 1.0
	v_fma_f64 v[168:169], v[168:169], v[170:171], v[168:169]
	v_fma_f64 v[170:171], -v[166:167], v[168:169], 1.0
	v_fma_f64 v[168:169], v[168:169], v[170:171], v[168:169]
	v_div_scale_f64 v[170:171], vcc_lo, 1.0, v[164:165], 1.0
	v_mul_f64 v[172:173], v[170:171], v[168:169]
	v_fma_f64 v[166:167], -v[166:167], v[172:173], v[170:171]
	v_div_fmas_f64 v[166:167], v[166:167], v[168:169], v[172:173]
	v_div_fixup_f64 v[164:165], v[166:167], v[164:165], 1.0
	ds_write_b64 v1, v[164:165]
.LBB57_114:
	s_or_b32 exec_lo, exec_lo, s1
	s_waitcnt lgkmcnt(0)
	s_barrier
	buffer_gl0_inv
	ds_read_b64 v[164:165], v1
	s_mov_b32 s1, exec_lo
	v_cmpx_lt_u32_e32 22, v0
	s_cbranch_execz .LBB57_116
; %bb.115:
	s_waitcnt lgkmcnt(0)
	v_mul_f64 v[74:75], v[164:165], v[74:75]
	ds_read2_b64 v[166:169], v176 offset0:23 offset1:24
	ds_read2_b64 v[170:173], v176 offset0:25 offset1:26
	;; [unrolled: 1-line block ×3, first 2 shown]
	s_waitcnt lgkmcnt(2)
	v_fma_f64 v[64:65], -v[74:75], v[166:167], v[64:65]
	v_fma_f64 v[72:73], -v[74:75], v[168:169], v[72:73]
	s_waitcnt lgkmcnt(1)
	v_fma_f64 v[62:63], -v[74:75], v[170:171], v[62:63]
	v_fma_f64 v[70:71], -v[74:75], v[172:173], v[70:71]
	;; [unrolled: 3-line block ×3, first 2 shown]
.LBB57_116:
	s_or_b32 exec_lo, exec_lo, s1
	s_mov_b32 s1, exec_lo
	s_waitcnt lgkmcnt(0)
	s_barrier
	buffer_gl0_inv
	v_cmpx_eq_u32_e32 23, v0
	s_cbranch_execz .LBB57_119
; %bb.117:
	v_mov_b32_e32 v166, v72
	v_mov_b32_e32 v167, v73
	;; [unrolled: 1-line block ×8, first 2 shown]
	ds_write_b64 v1, v[64:65]
	ds_write2_b64 v176, v[166:167], v[168:169] offset0:24 offset1:25
	ds_write2_b64 v176, v[170:171], v[172:173] offset0:26 offset1:27
	ds_write_b64 v176, v[110:111] offset:224
	ds_read_b64 v[166:167], v1
	s_waitcnt lgkmcnt(0)
	v_cmp_neq_f64_e32 vcc_lo, 0, v[166:167]
	s_and_b32 exec_lo, exec_lo, vcc_lo
	s_cbranch_execz .LBB57_119
; %bb.118:
	v_div_scale_f64 v[168:169], null, v[166:167], v[166:167], 1.0
	v_rcp_f64_e32 v[170:171], v[168:169]
	v_fma_f64 v[172:173], -v[168:169], v[170:171], 1.0
	v_fma_f64 v[170:171], v[170:171], v[172:173], v[170:171]
	v_fma_f64 v[172:173], -v[168:169], v[170:171], 1.0
	v_fma_f64 v[170:171], v[170:171], v[172:173], v[170:171]
	v_div_scale_f64 v[172:173], vcc_lo, 1.0, v[166:167], 1.0
	v_mul_f64 v[174:175], v[172:173], v[170:171]
	v_fma_f64 v[168:169], -v[168:169], v[174:175], v[172:173]
	v_div_fmas_f64 v[168:169], v[168:169], v[170:171], v[174:175]
	v_div_fixup_f64 v[166:167], v[168:169], v[166:167], 1.0
	ds_write_b64 v1, v[166:167]
.LBB57_119:
	s_or_b32 exec_lo, exec_lo, s1
	s_waitcnt lgkmcnt(0)
	s_barrier
	buffer_gl0_inv
	ds_read_b64 v[166:167], v1
	s_mov_b32 s1, exec_lo
	v_cmpx_lt_u32_e32 23, v0
	s_cbranch_execz .LBB57_121
; %bb.120:
	s_waitcnt lgkmcnt(0)
	v_mul_f64 v[64:65], v[166:167], v[64:65]
	ds_read2_b64 v[168:171], v176 offset0:24 offset1:25
	ds_read2_b64 v[172:175], v176 offset0:26 offset1:27
	ds_read_b64 v[177:178], v176 offset:224
	s_waitcnt lgkmcnt(2)
	v_fma_f64 v[72:73], -v[64:65], v[168:169], v[72:73]
	v_fma_f64 v[62:63], -v[64:65], v[170:171], v[62:63]
	s_waitcnt lgkmcnt(1)
	v_fma_f64 v[70:71], -v[64:65], v[172:173], v[70:71]
	v_fma_f64 v[60:61], -v[64:65], v[174:175], v[60:61]
	s_waitcnt lgkmcnt(0)
	v_fma_f64 v[110:111], -v[64:65], v[177:178], v[110:111]
.LBB57_121:
	s_or_b32 exec_lo, exec_lo, s1
	s_mov_b32 s1, exec_lo
	s_waitcnt lgkmcnt(0)
	s_barrier
	buffer_gl0_inv
	v_cmpx_eq_u32_e32 24, v0
	s_cbranch_execz .LBB57_124
; %bb.122:
	ds_write_b64 v1, v[72:73]
	ds_write2_b64 v176, v[62:63], v[70:71] offset0:25 offset1:26
	ds_write2_b64 v176, v[60:61], v[110:111] offset0:27 offset1:28
	ds_read_b64 v[168:169], v1
	s_waitcnt lgkmcnt(0)
	v_cmp_neq_f64_e32 vcc_lo, 0, v[168:169]
	s_and_b32 exec_lo, exec_lo, vcc_lo
	s_cbranch_execz .LBB57_124
; %bb.123:
	v_div_scale_f64 v[170:171], null, v[168:169], v[168:169], 1.0
	v_rcp_f64_e32 v[172:173], v[170:171]
	v_fma_f64 v[174:175], -v[170:171], v[172:173], 1.0
	v_fma_f64 v[172:173], v[172:173], v[174:175], v[172:173]
	v_fma_f64 v[174:175], -v[170:171], v[172:173], 1.0
	v_fma_f64 v[172:173], v[172:173], v[174:175], v[172:173]
	v_div_scale_f64 v[174:175], vcc_lo, 1.0, v[168:169], 1.0
	v_mul_f64 v[177:178], v[174:175], v[172:173]
	v_fma_f64 v[170:171], -v[170:171], v[177:178], v[174:175]
	v_div_fmas_f64 v[170:171], v[170:171], v[172:173], v[177:178]
	v_div_fixup_f64 v[168:169], v[170:171], v[168:169], 1.0
	ds_write_b64 v1, v[168:169]
.LBB57_124:
	s_or_b32 exec_lo, exec_lo, s1
	s_waitcnt lgkmcnt(0)
	s_barrier
	buffer_gl0_inv
	ds_read_b64 v[168:169], v1
	s_mov_b32 s1, exec_lo
	v_cmpx_lt_u32_e32 24, v0
	s_cbranch_execz .LBB57_126
; %bb.125:
	s_waitcnt lgkmcnt(0)
	v_mul_f64 v[72:73], v[168:169], v[72:73]
	ds_read2_b64 v[170:173], v176 offset0:25 offset1:26
	ds_read2_b64 v[177:180], v176 offset0:27 offset1:28
	s_waitcnt lgkmcnt(1)
	v_fma_f64 v[62:63], -v[72:73], v[170:171], v[62:63]
	v_fma_f64 v[70:71], -v[72:73], v[172:173], v[70:71]
	s_waitcnt lgkmcnt(0)
	v_fma_f64 v[60:61], -v[72:73], v[177:178], v[60:61]
	v_fma_f64 v[110:111], -v[72:73], v[179:180], v[110:111]
.LBB57_126:
	s_or_b32 exec_lo, exec_lo, s1
	s_mov_b32 s1, exec_lo
	s_waitcnt lgkmcnt(0)
	s_barrier
	buffer_gl0_inv
	v_cmpx_eq_u32_e32 25, v0
	s_cbranch_execz .LBB57_129
; %bb.127:
	v_mov_b32_e32 v170, v70
	v_mov_b32_e32 v171, v71
	;; [unrolled: 1-line block ×4, first 2 shown]
	ds_write_b64 v1, v[62:63]
	ds_write2_b64 v176, v[170:171], v[172:173] offset0:26 offset1:27
	ds_write_b64 v176, v[110:111] offset:224
	ds_read_b64 v[170:171], v1
	s_waitcnt lgkmcnt(0)
	v_cmp_neq_f64_e32 vcc_lo, 0, v[170:171]
	s_and_b32 exec_lo, exec_lo, vcc_lo
	s_cbranch_execz .LBB57_129
; %bb.128:
	v_div_scale_f64 v[172:173], null, v[170:171], v[170:171], 1.0
	v_rcp_f64_e32 v[174:175], v[172:173]
	v_fma_f64 v[177:178], -v[172:173], v[174:175], 1.0
	v_fma_f64 v[174:175], v[174:175], v[177:178], v[174:175]
	v_fma_f64 v[177:178], -v[172:173], v[174:175], 1.0
	v_fma_f64 v[174:175], v[174:175], v[177:178], v[174:175]
	v_div_scale_f64 v[177:178], vcc_lo, 1.0, v[170:171], 1.0
	v_mul_f64 v[179:180], v[177:178], v[174:175]
	v_fma_f64 v[172:173], -v[172:173], v[179:180], v[177:178]
	v_div_fmas_f64 v[172:173], v[172:173], v[174:175], v[179:180]
	v_div_fixup_f64 v[170:171], v[172:173], v[170:171], 1.0
	ds_write_b64 v1, v[170:171]
.LBB57_129:
	s_or_b32 exec_lo, exec_lo, s1
	s_waitcnt lgkmcnt(0)
	s_barrier
	buffer_gl0_inv
	ds_read_b64 v[170:171], v1
	s_mov_b32 s1, exec_lo
	v_cmpx_lt_u32_e32 25, v0
	s_cbranch_execz .LBB57_131
; %bb.130:
	s_waitcnt lgkmcnt(0)
	v_mul_f64 v[62:63], v[170:171], v[62:63]
	ds_read2_b64 v[172:175], v176 offset0:26 offset1:27
	ds_read_b64 v[177:178], v176 offset:224
	s_waitcnt lgkmcnt(1)
	v_fma_f64 v[70:71], -v[62:63], v[172:173], v[70:71]
	v_fma_f64 v[60:61], -v[62:63], v[174:175], v[60:61]
	s_waitcnt lgkmcnt(0)
	v_fma_f64 v[110:111], -v[62:63], v[177:178], v[110:111]
.LBB57_131:
	s_or_b32 exec_lo, exec_lo, s1
	s_mov_b32 s1, exec_lo
	s_waitcnt lgkmcnt(0)
	s_barrier
	buffer_gl0_inv
	v_cmpx_eq_u32_e32 26, v0
	s_cbranch_execz .LBB57_134
; %bb.132:
	ds_write_b64 v1, v[70:71]
	ds_write2_b64 v176, v[60:61], v[110:111] offset0:27 offset1:28
	ds_read_b64 v[172:173], v1
	s_waitcnt lgkmcnt(0)
	v_cmp_neq_f64_e32 vcc_lo, 0, v[172:173]
	s_and_b32 exec_lo, exec_lo, vcc_lo
	s_cbranch_execz .LBB57_134
; %bb.133:
	v_div_scale_f64 v[174:175], null, v[172:173], v[172:173], 1.0
	v_rcp_f64_e32 v[177:178], v[174:175]
	v_fma_f64 v[179:180], -v[174:175], v[177:178], 1.0
	v_fma_f64 v[177:178], v[177:178], v[179:180], v[177:178]
	v_fma_f64 v[179:180], -v[174:175], v[177:178], 1.0
	v_fma_f64 v[177:178], v[177:178], v[179:180], v[177:178]
	v_div_scale_f64 v[179:180], vcc_lo, 1.0, v[172:173], 1.0
	v_mul_f64 v[181:182], v[179:180], v[177:178]
	v_fma_f64 v[174:175], -v[174:175], v[181:182], v[179:180]
	v_div_fmas_f64 v[174:175], v[174:175], v[177:178], v[181:182]
	v_div_fixup_f64 v[172:173], v[174:175], v[172:173], 1.0
	ds_write_b64 v1, v[172:173]
.LBB57_134:
	s_or_b32 exec_lo, exec_lo, s1
	s_waitcnt lgkmcnt(0)
	s_barrier
	buffer_gl0_inv
	ds_read_b64 v[172:173], v1
	s_mov_b32 s1, exec_lo
	v_cmpx_lt_u32_e32 26, v0
	s_cbranch_execz .LBB57_136
; %bb.135:
	s_waitcnt lgkmcnt(0)
	v_mul_f64 v[70:71], v[172:173], v[70:71]
	ds_read2_b64 v[177:180], v176 offset0:27 offset1:28
	s_waitcnt lgkmcnt(0)
	v_fma_f64 v[60:61], -v[70:71], v[177:178], v[60:61]
	v_fma_f64 v[110:111], -v[70:71], v[179:180], v[110:111]
.LBB57_136:
	s_or_b32 exec_lo, exec_lo, s1
	s_mov_b32 s1, exec_lo
	s_waitcnt lgkmcnt(0)
	s_barrier
	buffer_gl0_inv
	v_cmpx_eq_u32_e32 27, v0
	s_cbranch_execz .LBB57_139
; %bb.137:
	ds_write_b64 v1, v[60:61]
	ds_write_b64 v176, v[110:111] offset:224
	ds_read_b64 v[174:175], v1
	s_waitcnt lgkmcnt(0)
	v_cmp_neq_f64_e32 vcc_lo, 0, v[174:175]
	s_and_b32 exec_lo, exec_lo, vcc_lo
	s_cbranch_execz .LBB57_139
; %bb.138:
	v_div_scale_f64 v[177:178], null, v[174:175], v[174:175], 1.0
	v_rcp_f64_e32 v[179:180], v[177:178]
	v_fma_f64 v[181:182], -v[177:178], v[179:180], 1.0
	v_fma_f64 v[179:180], v[179:180], v[181:182], v[179:180]
	v_fma_f64 v[181:182], -v[177:178], v[179:180], 1.0
	v_fma_f64 v[179:180], v[179:180], v[181:182], v[179:180]
	v_div_scale_f64 v[181:182], vcc_lo, 1.0, v[174:175], 1.0
	v_mul_f64 v[183:184], v[181:182], v[179:180]
	v_fma_f64 v[177:178], -v[177:178], v[183:184], v[181:182]
	v_div_fmas_f64 v[177:178], v[177:178], v[179:180], v[183:184]
	v_div_fixup_f64 v[174:175], v[177:178], v[174:175], 1.0
	ds_write_b64 v1, v[174:175]
.LBB57_139:
	s_or_b32 exec_lo, exec_lo, s1
	s_waitcnt lgkmcnt(0)
	s_barrier
	buffer_gl0_inv
	ds_read_b64 v[174:175], v1
	s_mov_b32 s1, exec_lo
	v_cmpx_lt_u32_e32 27, v0
	s_cbranch_execz .LBB57_141
; %bb.140:
	s_waitcnt lgkmcnt(0)
	v_mul_f64 v[60:61], v[174:175], v[60:61]
	ds_read_b64 v[176:177], v176 offset:224
	s_waitcnt lgkmcnt(0)
	v_fma_f64 v[110:111], -v[60:61], v[176:177], v[110:111]
.LBB57_141:
	s_or_b32 exec_lo, exec_lo, s1
	s_mov_b32 s1, exec_lo
	s_waitcnt lgkmcnt(0)
	s_barrier
	buffer_gl0_inv
	v_cmpx_eq_u32_e32 28, v0
	s_cbranch_execz .LBB57_144
; %bb.142:
	v_cmp_neq_f64_e32 vcc_lo, 0, v[110:111]
	ds_write_b64 v1, v[110:111]
	s_and_b32 exec_lo, exec_lo, vcc_lo
	s_cbranch_execz .LBB57_144
; %bb.143:
	v_div_scale_f64 v[176:177], null, v[110:111], v[110:111], 1.0
	v_rcp_f64_e32 v[178:179], v[176:177]
	v_fma_f64 v[180:181], -v[176:177], v[178:179], 1.0
	v_fma_f64 v[178:179], v[178:179], v[180:181], v[178:179]
	v_fma_f64 v[180:181], -v[176:177], v[178:179], 1.0
	v_fma_f64 v[178:179], v[178:179], v[180:181], v[178:179]
	v_div_scale_f64 v[180:181], vcc_lo, 1.0, v[110:111], 1.0
	v_mul_f64 v[182:183], v[180:181], v[178:179]
	v_fma_f64 v[176:177], -v[176:177], v[182:183], v[180:181]
	v_div_fmas_f64 v[176:177], v[176:177], v[178:179], v[182:183]
	v_div_fixup_f64 v[176:177], v[176:177], v[110:111], 1.0
	ds_write_b64 v1, v[176:177]
.LBB57_144:
	s_or_b32 exec_lo, exec_lo, s1
	s_waitcnt lgkmcnt(0)
	s_barrier
	buffer_gl0_inv
	ds_read_b64 v[176:177], v1
	s_waitcnt lgkmcnt(0)
	s_barrier
	buffer_gl0_inv
	s_and_saveexec_b32 s3, s0
	s_cbranch_execz .LBB57_147
; %bb.145:
	s_load_dwordx2 s[0:1], s[4:5], 0x28
	v_lshlrev_b64 v[1:2], 2, v[2:3]
	v_cmp_eq_f64_e32 vcc_lo, 0, v[120:121]
	v_cmp_eq_f64_e64 s2, 0, v[126:127]
	s_waitcnt lgkmcnt(0)
	v_add_co_u32 v1, s0, s0, v1
	v_add_co_ci_u32_e64 v2, null, s1, v2, s0
	v_cmp_neq_f64_e64 s0, 0, v[122:123]
	v_cmp_eq_f64_e64 s1, 0, v[124:125]
	v_cndmask_b32_e64 v3, 0, 1, vcc_lo
	global_load_dword v120, v[1:2], off
	s_or_b32 vcc_lo, s0, vcc_lo
	v_cmp_eq_f64_e64 s0, 0, v[128:129]
	v_cndmask_b32_e32 v3, 2, v3, vcc_lo
	v_cmp_eq_u32_e32 vcc_lo, 0, v3
	s_and_b32 s1, s1, vcc_lo
	v_cndmask_b32_e64 v3, v3, 3, s1
	v_cmp_eq_f64_e64 s1, 0, v[130:131]
	v_cmp_eq_u32_e32 vcc_lo, 0, v3
	s_and_b32 s2, s2, vcc_lo
	v_cndmask_b32_e64 v3, v3, 4, s2
	v_cmp_eq_f64_e64 s2, 0, v[132:133]
	;; [unrolled: 4-line block ×24, first 2 shown]
	v_cmp_eq_u32_e32 vcc_lo, 0, v3
	s_and_b32 s1, s1, vcc_lo
	v_cndmask_b32_e64 v3, v3, 27, s1
	v_cmp_eq_u32_e32 vcc_lo, 0, v3
	s_and_b32 s1, s2, vcc_lo
	v_cndmask_b32_e64 v3, v3, 28, s1
	v_cmp_eq_u32_e32 vcc_lo, 0, v3
	s_and_b32 s0, s0, vcc_lo
	s_waitcnt vmcnt(0)
	v_cmp_eq_u32_e32 vcc_lo, 0, v120
	v_cndmask_b32_e64 v3, v3, 29, s0
	v_cmp_ne_u32_e64 s0, 0, v3
	s_and_b32 s0, vcc_lo, s0
	s_and_b32 exec_lo, exec_lo, s0
	s_cbranch_execz .LBB57_147
; %bb.146:
	v_add_nc_u32_e32 v3, s9, v3
	global_store_dword v[1:2], v3, off
.LBB57_147:
	s_or_b32 exec_lo, exec_lo, s3
	v_mul_f64 v[1:2], v[176:177], v[110:111]
	v_cmp_lt_u32_e32 vcc_lo, 28, v0
	flat_store_dwordx2 v[58:59], v[112:113]
	flat_store_dwordx2 v[108:109], v[116:117]
	;; [unrolled: 1-line block ×19, first 2 shown]
	v_cndmask_b32_e32 v2, v111, v2, vcc_lo
	v_cndmask_b32_e32 v1, v110, v1, vcc_lo
	flat_store_dwordx2 v[36:37], v[68:69]
	flat_store_dwordx2 v[40:41], v[76:77]
	;; [unrolled: 1-line block ×10, first 2 shown]
.LBB57_148:
	s_endpgm
	.section	.rodata,"a",@progbits
	.p2align	6, 0x0
	.amdhsa_kernel _ZN9rocsolver6v33100L23getf2_npvt_small_kernelILi29EdiiPKPdEEvT1_T3_lS5_lPT2_S5_S5_
		.amdhsa_group_segment_fixed_size 0
		.amdhsa_private_segment_fixed_size 0
		.amdhsa_kernarg_size 312
		.amdhsa_user_sgpr_count 6
		.amdhsa_user_sgpr_private_segment_buffer 1
		.amdhsa_user_sgpr_dispatch_ptr 0
		.amdhsa_user_sgpr_queue_ptr 0
		.amdhsa_user_sgpr_kernarg_segment_ptr 1
		.amdhsa_user_sgpr_dispatch_id 0
		.amdhsa_user_sgpr_flat_scratch_init 0
		.amdhsa_user_sgpr_private_segment_size 0
		.amdhsa_wavefront_size32 1
		.amdhsa_uses_dynamic_stack 0
		.amdhsa_system_sgpr_private_segment_wavefront_offset 0
		.amdhsa_system_sgpr_workgroup_id_x 1
		.amdhsa_system_sgpr_workgroup_id_y 1
		.amdhsa_system_sgpr_workgroup_id_z 0
		.amdhsa_system_sgpr_workgroup_info 0
		.amdhsa_system_vgpr_workitem_id 1
		.amdhsa_next_free_vgpr 185
		.amdhsa_next_free_sgpr 11
		.amdhsa_reserve_vcc 1
		.amdhsa_reserve_flat_scratch 1
		.amdhsa_float_round_mode_32 0
		.amdhsa_float_round_mode_16_64 0
		.amdhsa_float_denorm_mode_32 3
		.amdhsa_float_denorm_mode_16_64 3
		.amdhsa_dx10_clamp 1
		.amdhsa_ieee_mode 1
		.amdhsa_fp16_overflow 0
		.amdhsa_workgroup_processor_mode 1
		.amdhsa_memory_ordered 1
		.amdhsa_forward_progress 1
		.amdhsa_shared_vgpr_count 0
		.amdhsa_exception_fp_ieee_invalid_op 0
		.amdhsa_exception_fp_denorm_src 0
		.amdhsa_exception_fp_ieee_div_zero 0
		.amdhsa_exception_fp_ieee_overflow 0
		.amdhsa_exception_fp_ieee_underflow 0
		.amdhsa_exception_fp_ieee_inexact 0
		.amdhsa_exception_int_div_zero 0
	.end_amdhsa_kernel
	.section	.text._ZN9rocsolver6v33100L23getf2_npvt_small_kernelILi29EdiiPKPdEEvT1_T3_lS5_lPT2_S5_S5_,"axG",@progbits,_ZN9rocsolver6v33100L23getf2_npvt_small_kernelILi29EdiiPKPdEEvT1_T3_lS5_lPT2_S5_S5_,comdat
.Lfunc_end57:
	.size	_ZN9rocsolver6v33100L23getf2_npvt_small_kernelILi29EdiiPKPdEEvT1_T3_lS5_lPT2_S5_S5_, .Lfunc_end57-_ZN9rocsolver6v33100L23getf2_npvt_small_kernelILi29EdiiPKPdEEvT1_T3_lS5_lPT2_S5_S5_
                                        ; -- End function
	.set _ZN9rocsolver6v33100L23getf2_npvt_small_kernelILi29EdiiPKPdEEvT1_T3_lS5_lPT2_S5_S5_.num_vgpr, 185
	.set _ZN9rocsolver6v33100L23getf2_npvt_small_kernelILi29EdiiPKPdEEvT1_T3_lS5_lPT2_S5_S5_.num_agpr, 0
	.set _ZN9rocsolver6v33100L23getf2_npvt_small_kernelILi29EdiiPKPdEEvT1_T3_lS5_lPT2_S5_S5_.numbered_sgpr, 11
	.set _ZN9rocsolver6v33100L23getf2_npvt_small_kernelILi29EdiiPKPdEEvT1_T3_lS5_lPT2_S5_S5_.num_named_barrier, 0
	.set _ZN9rocsolver6v33100L23getf2_npvt_small_kernelILi29EdiiPKPdEEvT1_T3_lS5_lPT2_S5_S5_.private_seg_size, 0
	.set _ZN9rocsolver6v33100L23getf2_npvt_small_kernelILi29EdiiPKPdEEvT1_T3_lS5_lPT2_S5_S5_.uses_vcc, 1
	.set _ZN9rocsolver6v33100L23getf2_npvt_small_kernelILi29EdiiPKPdEEvT1_T3_lS5_lPT2_S5_S5_.uses_flat_scratch, 1
	.set _ZN9rocsolver6v33100L23getf2_npvt_small_kernelILi29EdiiPKPdEEvT1_T3_lS5_lPT2_S5_S5_.has_dyn_sized_stack, 0
	.set _ZN9rocsolver6v33100L23getf2_npvt_small_kernelILi29EdiiPKPdEEvT1_T3_lS5_lPT2_S5_S5_.has_recursion, 0
	.set _ZN9rocsolver6v33100L23getf2_npvt_small_kernelILi29EdiiPKPdEEvT1_T3_lS5_lPT2_S5_S5_.has_indirect_call, 0
	.section	.AMDGPU.csdata,"",@progbits
; Kernel info:
; codeLenInByte = 17260
; TotalNumSgprs: 13
; NumVgprs: 185
; ScratchSize: 0
; MemoryBound: 0
; FloatMode: 240
; IeeeMode: 1
; LDSByteSize: 0 bytes/workgroup (compile time only)
; SGPRBlocks: 0
; VGPRBlocks: 23
; NumSGPRsForWavesPerEU: 13
; NumVGPRsForWavesPerEU: 185
; Occupancy: 5
; WaveLimiterHint : 1
; COMPUTE_PGM_RSRC2:SCRATCH_EN: 0
; COMPUTE_PGM_RSRC2:USER_SGPR: 6
; COMPUTE_PGM_RSRC2:TRAP_HANDLER: 0
; COMPUTE_PGM_RSRC2:TGID_X_EN: 1
; COMPUTE_PGM_RSRC2:TGID_Y_EN: 1
; COMPUTE_PGM_RSRC2:TGID_Z_EN: 0
; COMPUTE_PGM_RSRC2:TIDIG_COMP_CNT: 1
	.section	.text._ZN9rocsolver6v33100L18getf2_small_kernelILi30EdiiPKPdEEvT1_T3_lS5_lPS5_llPT2_S5_S5_S7_l,"axG",@progbits,_ZN9rocsolver6v33100L18getf2_small_kernelILi30EdiiPKPdEEvT1_T3_lS5_lPS5_llPT2_S5_S5_S7_l,comdat
	.globl	_ZN9rocsolver6v33100L18getf2_small_kernelILi30EdiiPKPdEEvT1_T3_lS5_lPS5_llPT2_S5_S5_S7_l ; -- Begin function _ZN9rocsolver6v33100L18getf2_small_kernelILi30EdiiPKPdEEvT1_T3_lS5_lPS5_llPT2_S5_S5_S7_l
	.p2align	8
	.type	_ZN9rocsolver6v33100L18getf2_small_kernelILi30EdiiPKPdEEvT1_T3_lS5_lPS5_llPT2_S5_S5_S7_l,@function
_ZN9rocsolver6v33100L18getf2_small_kernelILi30EdiiPKPdEEvT1_T3_lS5_lPS5_llPT2_S5_S5_S7_l: ; @_ZN9rocsolver6v33100L18getf2_small_kernelILi30EdiiPKPdEEvT1_T3_lS5_lPS5_llPT2_S5_S5_S7_l
; %bb.0:
	s_clause 0x1
	s_load_dword s0, s[4:5], 0x6c
	s_load_dwordx2 s[12:13], s[4:5], 0x48
	s_waitcnt lgkmcnt(0)
	s_lshr_b32 s0, s0, 16
	v_mad_u64_u32 v[2:3], null, s7, s0, v[1:2]
	s_mov_b32 s0, exec_lo
	v_cmpx_gt_i32_e64 s12, v2
	s_cbranch_execz .LBB58_507
; %bb.1:
	s_clause 0x1
	s_load_dwordx4 s[0:3], s[4:5], 0x8
	s_load_dwordx4 s[8:11], s[4:5], 0x50
	v_ashrrev_i32_e32 v3, 31, v2
	v_lshlrev_b64 v[4:5], 3, v[2:3]
	s_waitcnt lgkmcnt(0)
	v_add_co_u32 v4, vcc_lo, s0, v4
	v_add_co_ci_u32_e64 v5, null, s1, v5, vcc_lo
	s_cmp_eq_u64 s[8:9], 0
	s_cselect_b32 s6, -1, 0
	global_load_dwordx2 v[6:7], v[4:5], off
	v_mov_b32_e32 v4, 0
	v_mov_b32_e32 v5, 0
	s_and_b32 vcc_lo, exec_lo, s6
	s_cbranch_vccnz .LBB58_3
; %bb.2:
	v_mul_lo_u32 v8, s11, v2
	v_mul_lo_u32 v9, s10, v3
	v_mad_u64_u32 v[4:5], null, s10, v2, 0
	v_add3_u32 v5, v5, v9, v8
	v_lshlrev_b64 v[4:5], 2, v[4:5]
	v_add_co_u32 v4, vcc_lo, s8, v4
	v_add_co_ci_u32_e64 v5, null, s9, v5, vcc_lo
.LBB58_3:
	s_clause 0x1
	s_load_dword s8, s[4:5], 0x18
	s_load_dword s7, s[4:5], 0x0
	s_lshl_b64 s[0:1], s[2:3], 3
	v_lshlrev_b32_e32 v94, 3, v0
	s_waitcnt vmcnt(0)
	v_add_co_u32 v70, vcc_lo, v6, s0
	v_add_co_ci_u32_e64 v71, null, s1, v7, vcc_lo
	s_waitcnt lgkmcnt(0)
	v_add3_u32 v8, s8, s8, v0
	s_ashr_i32 s9, s8, 31
	s_max_i32 s0, s7, 30
	s_lshl_b64 s[10:11], s[8:9], 3
	v_mul_lo_u32 v1, s0, v1
	v_add_nc_u32_e32 v10, s8, v8
	v_ashrrev_i32_e32 v9, 31, v8
	s_cmp_lt_i32 s7, 2
	v_ashrrev_i32_e32 v11, 31, v10
	v_add_nc_u32_e32 v12, s8, v10
	v_lshlrev_b64 v[8:9], 3, v[8:9]
	v_lshlrev_b64 v[6:7], 3, v[10:11]
	v_add_nc_u32_e32 v10, s8, v12
	v_ashrrev_i32_e32 v13, 31, v12
	v_add_co_u32 v8, vcc_lo, v70, v8
	v_add_co_ci_u32_e64 v9, null, v71, v9, vcc_lo
	v_add_nc_u32_e32 v14, s8, v10
	v_ashrrev_i32_e32 v11, 31, v10
	v_lshlrev_b64 v[12:13], 3, v[12:13]
	v_add_co_u32 v6, vcc_lo, v70, v6
	v_add_nc_u32_e32 v16, s8, v14
	v_ashrrev_i32_e32 v15, 31, v14
	v_lshlrev_b64 v[10:11], 3, v[10:11]
	v_add_co_ci_u32_e64 v7, null, v71, v7, vcc_lo
	v_add_nc_u32_e32 v18, s8, v16
	v_ashrrev_i32_e32 v17, 31, v16
	v_lshlrev_b64 v[14:15], 3, v[14:15]
	v_add_co_u32 v12, vcc_lo, v70, v12
	v_add_nc_u32_e32 v20, s8, v18
	v_ashrrev_i32_e32 v19, 31, v18
	v_lshlrev_b64 v[16:17], 3, v[16:17]
	v_add_co_ci_u32_e64 v13, null, v71, v13, vcc_lo
	v_add_nc_u32_e32 v22, s8, v20
	v_ashrrev_i32_e32 v21, 31, v20
	v_add_co_u32 v10, vcc_lo, v70, v10
	v_lshlrev_b64 v[18:19], 3, v[18:19]
	v_add_nc_u32_e32 v24, s8, v22
	v_ashrrev_i32_e32 v23, 31, v22
	v_add_co_ci_u32_e64 v11, null, v71, v11, vcc_lo
	v_add_co_u32 v14, vcc_lo, v70, v14
	v_add_nc_u32_e32 v26, s8, v24
	v_ashrrev_i32_e32 v25, 31, v24
	v_lshlrev_b64 v[20:21], 3, v[20:21]
	v_add_co_ci_u32_e64 v15, null, v71, v15, vcc_lo
	v_add_nc_u32_e32 v28, s8, v26
	v_ashrrev_i32_e32 v27, 31, v26
	v_add_co_u32 v16, vcc_lo, v70, v16
	v_lshlrev_b64 v[22:23], 3, v[22:23]
	v_add_nc_u32_e32 v30, s8, v28
	v_ashrrev_i32_e32 v29, 31, v28
	v_add_co_ci_u32_e64 v17, null, v71, v17, vcc_lo
	v_add_co_u32 v18, vcc_lo, v70, v18
	v_add_nc_u32_e32 v32, s8, v30
	v_lshlrev_b64 v[24:25], 3, v[24:25]
	v_ashrrev_i32_e32 v31, 31, v30
	v_add_co_ci_u32_e64 v19, null, v71, v19, vcc_lo
	v_add_nc_u32_e32 v34, s8, v32
	v_add_co_u32 v20, vcc_lo, v70, v20
	v_lshlrev_b64 v[26:27], 3, v[26:27]
	v_ashrrev_i32_e32 v33, 31, v32
	v_add_nc_u32_e32 v36, s8, v34
	v_add_co_ci_u32_e64 v21, null, v71, v21, vcc_lo
	v_add_co_u32 v22, vcc_lo, v70, v22
	v_lshlrev_b64 v[28:29], 3, v[28:29]
	v_ashrrev_i32_e32 v35, 31, v34
	v_add_co_ci_u32_e64 v23, null, v71, v23, vcc_lo
	v_add_co_u32 v24, vcc_lo, v70, v24
	v_lshlrev_b64 v[30:31], 3, v[30:31]
	v_add_co_ci_u32_e64 v25, null, v71, v25, vcc_lo
	v_add_co_u32 v26, vcc_lo, v70, v26
	v_lshlrev_b64 v[32:33], 3, v[32:33]
	v_add_nc_u32_e32 v38, s8, v36
	v_add_co_ci_u32_e64 v27, null, v71, v27, vcc_lo
	v_add_co_u32 v28, vcc_lo, v70, v28
	v_lshlrev_b64 v[34:35], 3, v[34:35]
	v_ashrrev_i32_e32 v37, 31, v36
	v_add_co_ci_u32_e64 v29, null, v71, v29, vcc_lo
	v_add_co_u32 v30, vcc_lo, v70, v30
	v_ashrrev_i32_e32 v39, 31, v38
	v_add_nc_u32_e32 v40, s8, v38
	v_add_co_ci_u32_e64 v31, null, v71, v31, vcc_lo
	v_add_co_u32 v32, vcc_lo, v70, v32
	v_lshlrev_b64 v[36:37], 3, v[36:37]
	v_add_co_ci_u32_e64 v33, null, v71, v33, vcc_lo
	v_add_co_u32 v64, vcc_lo, v70, v34
	v_add_co_ci_u32_e64 v65, null, v71, v35, vcc_lo
	v_lshlrev_b64 v[34:35], 3, v[38:39]
	v_ashrrev_i32_e32 v41, 31, v40
	v_add_nc_u32_e32 v38, s8, v40
	v_add_co_u32 v66, vcc_lo, v70, v36
	v_add_co_ci_u32_e64 v67, null, v71, v37, vcc_lo
	v_lshlrev_b64 v[36:37], 3, v[40:41]
	v_ashrrev_i32_e32 v39, 31, v38
	v_add_nc_u32_e32 v40, s8, v38
	v_add_co_u32 v68, vcc_lo, v70, v34
	v_add_co_ci_u32_e64 v69, null, v71, v35, vcc_lo
	v_lshlrev_b64 v[34:35], 3, v[38:39]
	v_ashrrev_i32_e32 v41, 31, v40
	v_add_nc_u32_e32 v38, s8, v40
	v_add_co_u32 v72, vcc_lo, v70, v36
	v_add_co_ci_u32_e64 v73, null, v71, v37, vcc_lo
	v_lshlrev_b64 v[36:37], 3, v[40:41]
	v_ashrrev_i32_e32 v39, 31, v38
	v_add_nc_u32_e32 v40, s8, v38
	v_add_co_u32 v74, vcc_lo, v70, v34
	v_add_co_ci_u32_e64 v75, null, v71, v35, vcc_lo
	v_lshlrev_b64 v[34:35], 3, v[38:39]
	v_ashrrev_i32_e32 v41, 31, v40
	v_add_nc_u32_e32 v38, s8, v40
	v_add_co_u32 v76, vcc_lo, v70, v36
	v_add_co_ci_u32_e64 v77, null, v71, v37, vcc_lo
	v_lshlrev_b64 v[36:37], 3, v[40:41]
	v_ashrrev_i32_e32 v39, 31, v38
	v_add_nc_u32_e32 v40, s8, v38
	v_add_co_u32 v78, vcc_lo, v70, v34
	v_add_co_ci_u32_e64 v79, null, v71, v35, vcc_lo
	v_lshlrev_b64 v[34:35], 3, v[38:39]
	v_ashrrev_i32_e32 v41, 31, v40
	v_add_nc_u32_e32 v38, s8, v40
	v_add_co_u32 v80, vcc_lo, v70, v36
	v_add_co_ci_u32_e64 v81, null, v71, v37, vcc_lo
	v_lshlrev_b64 v[36:37], 3, v[40:41]
	v_ashrrev_i32_e32 v39, 31, v38
	v_add_nc_u32_e32 v40, s8, v38
	v_add_co_u32 v82, vcc_lo, v70, v34
	v_add_co_ci_u32_e64 v83, null, v71, v35, vcc_lo
	v_lshlrev_b64 v[34:35], 3, v[38:39]
	v_add_nc_u32_e32 v38, s8, v40
	v_ashrrev_i32_e32 v41, 31, v40
	v_add_co_u32 v84, vcc_lo, v70, v36
	v_add_co_ci_u32_e64 v85, null, v71, v37, vcc_lo
	v_ashrrev_i32_e32 v39, 31, v38
	v_lshlrev_b64 v[36:37], 3, v[40:41]
	v_add_co_u32 v86, vcc_lo, v70, v34
	v_add_co_ci_u32_e64 v87, null, v71, v35, vcc_lo
	v_lshlrev_b64 v[34:35], 3, v[38:39]
	v_add_nc_u32_e32 v38, s8, v38
	v_add_co_u32 v88, vcc_lo, v70, v36
	v_add_co_ci_u32_e64 v89, null, v71, v37, vcc_lo
	v_ashrrev_i32_e32 v39, 31, v38
	v_add_co_u32 v90, vcc_lo, v70, v34
	v_add_co_ci_u32_e64 v91, null, v71, v35, vcc_lo
	v_add_co_u32 v36, vcc_lo, v70, v94
	v_add_co_ci_u32_e64 v37, null, 0, v71, vcc_lo
	v_lshlrev_b64 v[34:35], 3, v[38:39]
	v_add_co_u32 v38, vcc_lo, v36, s10
	v_add_co_ci_u32_e64 v39, null, s11, v37, vcc_lo
	v_add_co_u32 v92, vcc_lo, v70, v34
	v_add_co_ci_u32_e64 v93, null, v71, v35, vcc_lo
	s_clause 0x1d
	flat_load_dwordx2 v[62:63], v[36:37]
	flat_load_dwordx2 v[58:59], v[38:39]
	;; [unrolled: 1-line block ×30, first 2 shown]
	v_lshl_add_u32 v72, v1, 3, 0
	v_lshlrev_b32_e32 v73, 3, v1
	v_mov_b32_e32 v68, 0
	v_add_nc_u32_e32 v66, v72, v94
	s_waitcnt vmcnt(29) lgkmcnt(29)
	ds_write_b64 v66, v[62:63]
	s_waitcnt vmcnt(0) lgkmcnt(0)
	s_barrier
	buffer_gl0_inv
	ds_read_b64 v[66:67], v72
	s_cbranch_scc1 .LBB58_6
; %bb.4:
	v_add3_u32 v1, v73, 0, 8
	v_mov_b32_e32 v68, 0
	s_mov_b32 s0, 1
.LBB58_5:                               ; =>This Inner Loop Header: Depth=1
	ds_read_b64 v[74:75], v1
	v_add_nc_u32_e32 v1, 8, v1
	s_waitcnt lgkmcnt(0)
	v_cmp_lt_f64_e64 vcc_lo, |v[66:67]|, |v[74:75]|
	v_cndmask_b32_e32 v67, v67, v75, vcc_lo
	v_cndmask_b32_e32 v66, v66, v74, vcc_lo
	v_cndmask_b32_e64 v68, v68, s0, vcc_lo
	s_add_i32 s0, s0, 1
	s_cmp_eq_u32 s7, s0
	s_cbranch_scc0 .LBB58_5
.LBB58_6:
	s_mov_b32 s0, exec_lo
                                        ; implicit-def: $vgpr75
	v_cmpx_ne_u32_e64 v0, v68
	s_xor_b32 s0, exec_lo, s0
	s_cbranch_execz .LBB58_12
; %bb.7:
	s_mov_b32 s1, exec_lo
	v_cmpx_eq_u32_e32 0, v0
	s_cbranch_execz .LBB58_11
; %bb.8:
	v_cmp_ne_u32_e32 vcc_lo, 0, v68
	s_xor_b32 s2, s6, -1
	s_and_b32 s3, s2, vcc_lo
	s_and_saveexec_b32 s2, s3
	s_cbranch_execz .LBB58_10
; %bb.9:
	v_ashrrev_i32_e32 v69, 31, v68
	v_lshlrev_b64 v[0:1], 2, v[68:69]
	v_add_co_u32 v0, vcc_lo, v4, v0
	v_add_co_ci_u32_e64 v1, null, v5, v1, vcc_lo
	s_clause 0x1
	global_load_dword v69, v[0:1], off
	global_load_dword v74, v[4:5], off
	s_waitcnt vmcnt(1)
	global_store_dword v[4:5], v69, off
	s_waitcnt vmcnt(0)
	global_store_dword v[0:1], v74, off
.LBB58_10:
	s_or_b32 exec_lo, exec_lo, s2
	v_mov_b32_e32 v0, v68
.LBB58_11:
	s_or_b32 exec_lo, exec_lo, s1
	v_mov_b32_e32 v75, v0
                                        ; implicit-def: $vgpr0
.LBB58_12:
	s_or_saveexec_b32 s0, s0
	v_mov_b32_e32 v69, v75
	s_xor_b32 exec_lo, exec_lo, s0
	s_cbranch_execz .LBB58_14
; %bb.13:
	v_mov_b32_e32 v75, 0
	v_mov_b32_e32 v69, v0
	ds_write2_b64 v72, v[58:59], v[60:61] offset0:1 offset1:2
	ds_write2_b64 v72, v[54:55], v[56:57] offset0:3 offset1:4
	;; [unrolled: 1-line block ×14, first 2 shown]
	ds_write_b64 v72, v[64:65] offset:232
.LBB58_14:
	s_or_b32 exec_lo, exec_lo, s0
	s_waitcnt lgkmcnt(0)
	v_cmp_eq_f64_e64 s0, 0, v[66:67]
	s_mov_b32 s1, exec_lo
	s_waitcnt_vscnt null, 0x0
	s_barrier
	buffer_gl0_inv
	v_cmpx_lt_i32_e32 0, v75
	s_cbranch_execz .LBB58_16
; %bb.15:
	v_div_scale_f64 v[0:1], null, v[66:67], v[66:67], 1.0
	v_div_scale_f64 v[80:81], vcc_lo, 1.0, v[66:67], 1.0
	v_rcp_f64_e32 v[76:77], v[0:1]
	v_fma_f64 v[78:79], -v[0:1], v[76:77], 1.0
	v_fma_f64 v[76:77], v[76:77], v[78:79], v[76:77]
	v_fma_f64 v[78:79], -v[0:1], v[76:77], 1.0
	v_fma_f64 v[76:77], v[76:77], v[78:79], v[76:77]
	v_mul_f64 v[78:79], v[80:81], v[76:77]
	v_fma_f64 v[0:1], -v[0:1], v[78:79], v[80:81]
	v_div_fmas_f64 v[0:1], v[0:1], v[76:77], v[78:79]
	v_div_fixup_f64 v[0:1], v[0:1], v[66:67], 1.0
	v_cndmask_b32_e64 v1, v1, v67, s0
	v_cndmask_b32_e64 v0, v0, v66, s0
	v_mul_f64 v[62:63], v[0:1], v[62:63]
	ds_read2_b64 v[76:79], v72 offset0:1 offset1:2
	ds_read2_b64 v[80:83], v72 offset0:3 offset1:4
	;; [unrolled: 1-line block ×14, first 2 shown]
	ds_read_b64 v[0:1], v72 offset:232
	s_waitcnt lgkmcnt(14)
	v_fma_f64 v[58:59], -v[62:63], v[76:77], v[58:59]
	v_fma_f64 v[60:61], -v[62:63], v[78:79], v[60:61]
	s_waitcnt lgkmcnt(13)
	v_fma_f64 v[54:55], -v[62:63], v[80:81], v[54:55]
	v_fma_f64 v[56:57], -v[62:63], v[82:83], v[56:57]
	;; [unrolled: 3-line block ×14, first 2 shown]
	s_waitcnt lgkmcnt(0)
	v_fma_f64 v[64:65], -v[62:63], v[0:1], v[64:65]
.LBB58_16:
	s_or_b32 exec_lo, exec_lo, s1
	v_lshl_add_u32 v0, v75, 3, v72
	s_barrier
	buffer_gl0_inv
	v_mov_b32_e32 v66, 1
	ds_write_b64 v0, v[58:59]
	s_waitcnt lgkmcnt(0)
	s_barrier
	buffer_gl0_inv
	ds_read_b64 v[0:1], v72 offset:8
	s_cmp_lt_i32 s7, 3
	s_cbranch_scc1 .LBB58_19
; %bb.17:
	v_add3_u32 v67, v73, 0, 16
	v_mov_b32_e32 v66, 1
	s_mov_b32 s1, 2
.LBB58_18:                              ; =>This Inner Loop Header: Depth=1
	ds_read_b64 v[76:77], v67
	v_add_nc_u32_e32 v67, 8, v67
	s_waitcnt lgkmcnt(0)
	v_cmp_lt_f64_e64 vcc_lo, |v[0:1]|, |v[76:77]|
	v_cndmask_b32_e32 v1, v1, v77, vcc_lo
	v_cndmask_b32_e32 v0, v0, v76, vcc_lo
	v_cndmask_b32_e64 v66, v66, s1, vcc_lo
	s_add_i32 s1, s1, 1
	s_cmp_lg_u32 s7, s1
	s_cbranch_scc1 .LBB58_18
.LBB58_19:
	s_mov_b32 s1, exec_lo
	v_cmpx_ne_u32_e64 v75, v66
	s_xor_b32 s1, exec_lo, s1
	s_cbranch_execz .LBB58_25
; %bb.20:
	s_mov_b32 s2, exec_lo
	v_cmpx_eq_u32_e32 1, v75
	s_cbranch_execz .LBB58_24
; %bb.21:
	v_cmp_ne_u32_e32 vcc_lo, 1, v66
	s_xor_b32 s3, s6, -1
	s_and_b32 s9, s3, vcc_lo
	s_and_saveexec_b32 s3, s9
	s_cbranch_execz .LBB58_23
; %bb.22:
	v_ashrrev_i32_e32 v67, 31, v66
	v_lshlrev_b64 v[67:68], 2, v[66:67]
	v_add_co_u32 v67, vcc_lo, v4, v67
	v_add_co_ci_u32_e64 v68, null, v5, v68, vcc_lo
	s_clause 0x1
	global_load_dword v69, v[67:68], off
	global_load_dword v74, v[4:5], off offset:4
	s_waitcnt vmcnt(1)
	global_store_dword v[4:5], v69, off offset:4
	s_waitcnt vmcnt(0)
	global_store_dword v[67:68], v74, off
.LBB58_23:
	s_or_b32 exec_lo, exec_lo, s3
	v_mov_b32_e32 v69, v66
	v_mov_b32_e32 v75, v66
.LBB58_24:
	s_or_b32 exec_lo, exec_lo, s2
.LBB58_25:
	s_andn2_saveexec_b32 s1, s1
	s_cbranch_execz .LBB58_27
; %bb.26:
	v_mov_b32_e32 v66, v60
	v_mov_b32_e32 v67, v61
	;; [unrolled: 1-line block ×20, first 2 shown]
	ds_write2_b64 v72, v[66:67], v[74:75] offset0:2 offset1:3
	ds_write2_b64 v72, v[76:77], v[78:79] offset0:4 offset1:5
	;; [unrolled: 1-line block ×5, first 2 shown]
	v_mov_b32_e32 v66, v40
	v_mov_b32_e32 v67, v41
	;; [unrolled: 1-line block ×20, first 2 shown]
	ds_write2_b64 v72, v[66:67], v[74:75] offset0:12 offset1:13
	ds_write2_b64 v72, v[76:77], v[78:79] offset0:14 offset1:15
	;; [unrolled: 1-line block ×5, first 2 shown]
	v_mov_b32_e32 v66, v20
	v_mov_b32_e32 v67, v21
	v_mov_b32_e32 v76, v16
	v_mov_b32_e32 v77, v17
	v_mov_b32_e32 v75, 1
	v_mov_b32_e32 v78, v14
	v_mov_b32_e32 v79, v15
	v_mov_b32_e32 v80, v8
	v_mov_b32_e32 v81, v9
	v_mov_b32_e32 v82, v12
	v_mov_b32_e32 v83, v13
	v_mov_b32_e32 v84, v6
	v_mov_b32_e32 v85, v7
	v_mov_b32_e32 v86, v10
	v_mov_b32_e32 v87, v11
	ds_write2_b64 v72, v[66:67], v[76:77] offset0:22 offset1:23
	ds_write2_b64 v72, v[78:79], v[80:81] offset0:24 offset1:25
	;; [unrolled: 1-line block ×4, first 2 shown]
.LBB58_27:
	s_or_b32 exec_lo, exec_lo, s1
	s_waitcnt lgkmcnt(0)
	v_cmp_neq_f64_e64 s1, 0, v[0:1]
	s_mov_b32 s2, exec_lo
	s_waitcnt_vscnt null, 0x0
	s_barrier
	buffer_gl0_inv
	v_cmpx_lt_i32_e32 1, v75
	s_cbranch_execz .LBB58_29
; %bb.28:
	v_div_scale_f64 v[66:67], null, v[0:1], v[0:1], 1.0
	v_div_scale_f64 v[80:81], vcc_lo, 1.0, v[0:1], 1.0
	v_rcp_f64_e32 v[76:77], v[66:67]
	v_fma_f64 v[78:79], -v[66:67], v[76:77], 1.0
	v_fma_f64 v[76:77], v[76:77], v[78:79], v[76:77]
	v_fma_f64 v[78:79], -v[66:67], v[76:77], 1.0
	v_fma_f64 v[76:77], v[76:77], v[78:79], v[76:77]
	v_mul_f64 v[78:79], v[80:81], v[76:77]
	v_fma_f64 v[66:67], -v[66:67], v[78:79], v[80:81]
	v_div_fmas_f64 v[66:67], v[66:67], v[76:77], v[78:79]
	ds_read2_b64 v[76:79], v72 offset0:2 offset1:3
	ds_read2_b64 v[80:83], v72 offset0:4 offset1:5
	;; [unrolled: 1-line block ×14, first 2 shown]
	v_div_fixup_f64 v[66:67], v[66:67], v[0:1], 1.0
	v_cndmask_b32_e64 v1, v1, v67, s1
	v_cndmask_b32_e64 v0, v0, v66, s1
	v_mul_f64 v[58:59], v[0:1], v[58:59]
	s_waitcnt lgkmcnt(13)
	v_fma_f64 v[60:61], -v[58:59], v[76:77], v[60:61]
	v_fma_f64 v[54:55], -v[58:59], v[78:79], v[54:55]
	s_waitcnt lgkmcnt(12)
	v_fma_f64 v[56:57], -v[58:59], v[80:81], v[56:57]
	v_fma_f64 v[52:53], -v[58:59], v[82:83], v[52:53]
	;; [unrolled: 3-line block ×14, first 2 shown]
.LBB58_29:
	s_or_b32 exec_lo, exec_lo, s2
	v_lshl_add_u32 v0, v75, 3, v72
	s_barrier
	buffer_gl0_inv
	v_mov_b32_e32 v66, 2
	ds_write_b64 v0, v[60:61]
	s_waitcnt lgkmcnt(0)
	s_barrier
	buffer_gl0_inv
	ds_read_b64 v[0:1], v72 offset:16
	s_cmp_lt_i32 s7, 4
	s_mov_b32 s2, 3
	s_cbranch_scc1 .LBB58_32
; %bb.30:
	v_add3_u32 v67, v73, 0, 24
	v_mov_b32_e32 v66, 2
.LBB58_31:                              ; =>This Inner Loop Header: Depth=1
	ds_read_b64 v[76:77], v67
	v_add_nc_u32_e32 v67, 8, v67
	s_waitcnt lgkmcnt(0)
	v_cmp_lt_f64_e64 vcc_lo, |v[0:1]|, |v[76:77]|
	v_cndmask_b32_e32 v1, v1, v77, vcc_lo
	v_cndmask_b32_e32 v0, v0, v76, vcc_lo
	v_cndmask_b32_e64 v66, v66, s2, vcc_lo
	s_add_i32 s2, s2, 1
	s_cmp_lg_u32 s7, s2
	s_cbranch_scc1 .LBB58_31
.LBB58_32:
	v_cndmask_b32_e64 v67, 2, 1, s0
	v_cndmask_b32_e64 v68, 0, 1, s0
	s_mov_b32 s0, exec_lo
	v_cndmask_b32_e64 v74, v67, v68, s1
	s_waitcnt lgkmcnt(0)
	v_cmpx_eq_f64_e32 0, v[0:1]
	s_xor_b32 s0, exec_lo, s0
; %bb.33:
	v_cmp_ne_u32_e32 vcc_lo, 0, v74
	v_cndmask_b32_e32 v74, 3, v74, vcc_lo
; %bb.34:
	s_andn2_saveexec_b32 s0, s0
	s_cbranch_execz .LBB58_36
; %bb.35:
	v_div_scale_f64 v[67:68], null, v[0:1], v[0:1], 1.0
	v_rcp_f64_e32 v[76:77], v[67:68]
	v_fma_f64 v[78:79], -v[67:68], v[76:77], 1.0
	v_fma_f64 v[76:77], v[76:77], v[78:79], v[76:77]
	v_fma_f64 v[78:79], -v[67:68], v[76:77], 1.0
	v_fma_f64 v[76:77], v[76:77], v[78:79], v[76:77]
	v_div_scale_f64 v[78:79], vcc_lo, 1.0, v[0:1], 1.0
	v_mul_f64 v[80:81], v[78:79], v[76:77]
	v_fma_f64 v[67:68], -v[67:68], v[80:81], v[78:79]
	v_div_fmas_f64 v[67:68], v[67:68], v[76:77], v[80:81]
	v_div_fixup_f64 v[0:1], v[67:68], v[0:1], 1.0
.LBB58_36:
	s_or_b32 exec_lo, exec_lo, s0
	s_mov_b32 s0, exec_lo
	v_cmpx_ne_u32_e64 v75, v66
	s_xor_b32 s0, exec_lo, s0
	s_cbranch_execz .LBB58_42
; %bb.37:
	s_mov_b32 s1, exec_lo
	v_cmpx_eq_u32_e32 2, v75
	s_cbranch_execz .LBB58_41
; %bb.38:
	v_cmp_ne_u32_e32 vcc_lo, 2, v66
	s_xor_b32 s2, s6, -1
	s_and_b32 s3, s2, vcc_lo
	s_and_saveexec_b32 s2, s3
	s_cbranch_execz .LBB58_40
; %bb.39:
	v_ashrrev_i32_e32 v67, 31, v66
	v_lshlrev_b64 v[67:68], 2, v[66:67]
	v_add_co_u32 v67, vcc_lo, v4, v67
	v_add_co_ci_u32_e64 v68, null, v5, v68, vcc_lo
	s_clause 0x1
	global_load_dword v69, v[67:68], off
	global_load_dword v75, v[4:5], off offset:8
	s_waitcnt vmcnt(1)
	global_store_dword v[4:5], v69, off offset:8
	s_waitcnt vmcnt(0)
	global_store_dword v[67:68], v75, off
.LBB58_40:
	s_or_b32 exec_lo, exec_lo, s2
	v_mov_b32_e32 v69, v66
	v_mov_b32_e32 v75, v66
.LBB58_41:
	s_or_b32 exec_lo, exec_lo, s1
.LBB58_42:
	s_andn2_saveexec_b32 s0, s0
	s_cbranch_execz .LBB58_44
; %bb.43:
	v_mov_b32_e32 v75, 2
	ds_write2_b64 v72, v[54:55], v[56:57] offset0:3 offset1:4
	ds_write2_b64 v72, v[52:53], v[50:51] offset0:5 offset1:6
	;; [unrolled: 1-line block ×13, first 2 shown]
	ds_write_b64 v72, v[64:65] offset:232
.LBB58_44:
	s_or_b32 exec_lo, exec_lo, s0
	s_mov_b32 s0, exec_lo
	s_waitcnt lgkmcnt(0)
	s_waitcnt_vscnt null, 0x0
	s_barrier
	buffer_gl0_inv
	v_cmpx_lt_i32_e32 2, v75
	s_cbranch_execz .LBB58_46
; %bb.45:
	v_mul_f64 v[60:61], v[0:1], v[60:61]
	ds_read2_b64 v[76:79], v72 offset0:3 offset1:4
	ds_read2_b64 v[80:83], v72 offset0:5 offset1:6
	;; [unrolled: 1-line block ×13, first 2 shown]
	ds_read_b64 v[0:1], v72 offset:232
	s_waitcnt lgkmcnt(13)
	v_fma_f64 v[54:55], -v[60:61], v[76:77], v[54:55]
	v_fma_f64 v[56:57], -v[60:61], v[78:79], v[56:57]
	s_waitcnt lgkmcnt(12)
	v_fma_f64 v[52:53], -v[60:61], v[80:81], v[52:53]
	v_fma_f64 v[50:51], -v[60:61], v[82:83], v[50:51]
	;; [unrolled: 3-line block ×13, first 2 shown]
	s_waitcnt lgkmcnt(0)
	v_fma_f64 v[64:65], -v[60:61], v[0:1], v[64:65]
.LBB58_46:
	s_or_b32 exec_lo, exec_lo, s0
	v_lshl_add_u32 v0, v75, 3, v72
	s_barrier
	buffer_gl0_inv
	v_mov_b32_e32 v66, 3
	ds_write_b64 v0, v[54:55]
	s_waitcnt lgkmcnt(0)
	s_barrier
	buffer_gl0_inv
	ds_read_b64 v[0:1], v72 offset:24
	s_cmp_lt_i32 s7, 5
	s_cbranch_scc1 .LBB58_49
; %bb.47:
	v_mov_b32_e32 v66, 3
	v_add3_u32 v67, v73, 0, 32
	s_mov_b32 s0, 4
.LBB58_48:                              ; =>This Inner Loop Header: Depth=1
	ds_read_b64 v[76:77], v67
	v_add_nc_u32_e32 v67, 8, v67
	s_waitcnt lgkmcnt(0)
	v_cmp_lt_f64_e64 vcc_lo, |v[0:1]|, |v[76:77]|
	v_cndmask_b32_e32 v1, v1, v77, vcc_lo
	v_cndmask_b32_e32 v0, v0, v76, vcc_lo
	v_cndmask_b32_e64 v66, v66, s0, vcc_lo
	s_add_i32 s0, s0, 1
	s_cmp_lg_u32 s7, s0
	s_cbranch_scc1 .LBB58_48
.LBB58_49:
	s_mov_b32 s0, exec_lo
	s_waitcnt lgkmcnt(0)
	v_cmpx_eq_f64_e32 0, v[0:1]
	s_xor_b32 s0, exec_lo, s0
; %bb.50:
	v_cmp_ne_u32_e32 vcc_lo, 0, v74
	v_cndmask_b32_e32 v74, 4, v74, vcc_lo
; %bb.51:
	s_andn2_saveexec_b32 s0, s0
	s_cbranch_execz .LBB58_53
; %bb.52:
	v_div_scale_f64 v[67:68], null, v[0:1], v[0:1], 1.0
	v_rcp_f64_e32 v[76:77], v[67:68]
	v_fma_f64 v[78:79], -v[67:68], v[76:77], 1.0
	v_fma_f64 v[76:77], v[76:77], v[78:79], v[76:77]
	v_fma_f64 v[78:79], -v[67:68], v[76:77], 1.0
	v_fma_f64 v[76:77], v[76:77], v[78:79], v[76:77]
	v_div_scale_f64 v[78:79], vcc_lo, 1.0, v[0:1], 1.0
	v_mul_f64 v[80:81], v[78:79], v[76:77]
	v_fma_f64 v[67:68], -v[67:68], v[80:81], v[78:79]
	v_div_fmas_f64 v[67:68], v[67:68], v[76:77], v[80:81]
	v_div_fixup_f64 v[0:1], v[67:68], v[0:1], 1.0
.LBB58_53:
	s_or_b32 exec_lo, exec_lo, s0
	s_mov_b32 s0, exec_lo
	v_cmpx_ne_u32_e64 v75, v66
	s_xor_b32 s0, exec_lo, s0
	s_cbranch_execz .LBB58_59
; %bb.54:
	s_mov_b32 s1, exec_lo
	v_cmpx_eq_u32_e32 3, v75
	s_cbranch_execz .LBB58_58
; %bb.55:
	v_cmp_ne_u32_e32 vcc_lo, 3, v66
	s_xor_b32 s2, s6, -1
	s_and_b32 s3, s2, vcc_lo
	s_and_saveexec_b32 s2, s3
	s_cbranch_execz .LBB58_57
; %bb.56:
	v_ashrrev_i32_e32 v67, 31, v66
	v_lshlrev_b64 v[67:68], 2, v[66:67]
	v_add_co_u32 v67, vcc_lo, v4, v67
	v_add_co_ci_u32_e64 v68, null, v5, v68, vcc_lo
	s_clause 0x1
	global_load_dword v69, v[67:68], off
	global_load_dword v75, v[4:5], off offset:12
	s_waitcnt vmcnt(1)
	global_store_dword v[4:5], v69, off offset:12
	s_waitcnt vmcnt(0)
	global_store_dword v[67:68], v75, off
.LBB58_57:
	s_or_b32 exec_lo, exec_lo, s2
	v_mov_b32_e32 v69, v66
	v_mov_b32_e32 v75, v66
.LBB58_58:
	s_or_b32 exec_lo, exec_lo, s1
.LBB58_59:
	s_andn2_saveexec_b32 s0, s0
	s_cbranch_execz .LBB58_61
; %bb.60:
	v_mov_b32_e32 v66, v56
	v_mov_b32_e32 v67, v57
	;; [unrolled: 1-line block ×16, first 2 shown]
	ds_write2_b64 v72, v[66:67], v[75:76] offset0:4 offset1:5
	ds_write2_b64 v72, v[77:78], v[79:80] offset0:6 offset1:7
	ds_write2_b64 v72, v[81:82], v[83:84] offset0:8 offset1:9
	ds_write2_b64 v72, v[85:86], v[87:88] offset0:10 offset1:11
	v_mov_b32_e32 v66, v40
	v_mov_b32_e32 v67, v41
	;; [unrolled: 1-line block ×20, first 2 shown]
	ds_write2_b64 v72, v[66:67], v[75:76] offset0:12 offset1:13
	ds_write2_b64 v72, v[77:78], v[79:80] offset0:14 offset1:15
	;; [unrolled: 1-line block ×5, first 2 shown]
	v_mov_b32_e32 v66, v20
	v_mov_b32_e32 v67, v21
	v_mov_b32_e32 v76, v16
	v_mov_b32_e32 v77, v17
	v_mov_b32_e32 v75, 3
	v_mov_b32_e32 v78, v14
	v_mov_b32_e32 v79, v15
	v_mov_b32_e32 v80, v8
	v_mov_b32_e32 v81, v9
	v_mov_b32_e32 v82, v12
	v_mov_b32_e32 v83, v13
	v_mov_b32_e32 v84, v6
	v_mov_b32_e32 v85, v7
	v_mov_b32_e32 v86, v10
	v_mov_b32_e32 v87, v11
	ds_write2_b64 v72, v[66:67], v[76:77] offset0:22 offset1:23
	ds_write2_b64 v72, v[78:79], v[80:81] offset0:24 offset1:25
	;; [unrolled: 1-line block ×4, first 2 shown]
.LBB58_61:
	s_or_b32 exec_lo, exec_lo, s0
	s_mov_b32 s0, exec_lo
	s_waitcnt lgkmcnt(0)
	s_waitcnt_vscnt null, 0x0
	s_barrier
	buffer_gl0_inv
	v_cmpx_lt_i32_e32 3, v75
	s_cbranch_execz .LBB58_63
; %bb.62:
	v_mul_f64 v[54:55], v[0:1], v[54:55]
	ds_read2_b64 v[76:79], v72 offset0:4 offset1:5
	ds_read2_b64 v[80:83], v72 offset0:6 offset1:7
	ds_read2_b64 v[84:87], v72 offset0:8 offset1:9
	ds_read2_b64 v[88:91], v72 offset0:10 offset1:11
	ds_read2_b64 v[92:95], v72 offset0:12 offset1:13
	ds_read2_b64 v[96:99], v72 offset0:14 offset1:15
	ds_read2_b64 v[100:103], v72 offset0:16 offset1:17
	ds_read2_b64 v[104:107], v72 offset0:18 offset1:19
	ds_read2_b64 v[108:111], v72 offset0:20 offset1:21
	ds_read2_b64 v[112:115], v72 offset0:22 offset1:23
	ds_read2_b64 v[116:119], v72 offset0:24 offset1:25
	ds_read2_b64 v[120:123], v72 offset0:26 offset1:27
	ds_read2_b64 v[124:127], v72 offset0:28 offset1:29
	s_waitcnt lgkmcnt(12)
	v_fma_f64 v[56:57], -v[54:55], v[76:77], v[56:57]
	v_fma_f64 v[52:53], -v[54:55], v[78:79], v[52:53]
	s_waitcnt lgkmcnt(11)
	v_fma_f64 v[50:51], -v[54:55], v[80:81], v[50:51]
	v_fma_f64 v[48:49], -v[54:55], v[82:83], v[48:49]
	;; [unrolled: 3-line block ×13, first 2 shown]
.LBB58_63:
	s_or_b32 exec_lo, exec_lo, s0
	v_lshl_add_u32 v0, v75, 3, v72
	s_barrier
	buffer_gl0_inv
	v_mov_b32_e32 v66, 4
	ds_write_b64 v0, v[56:57]
	s_waitcnt lgkmcnt(0)
	s_barrier
	buffer_gl0_inv
	ds_read_b64 v[0:1], v72 offset:32
	s_cmp_lt_i32 s7, 6
	s_cbranch_scc1 .LBB58_66
; %bb.64:
	v_add3_u32 v67, v73, 0, 40
	v_mov_b32_e32 v66, 4
	s_mov_b32 s0, 5
.LBB58_65:                              ; =>This Inner Loop Header: Depth=1
	ds_read_b64 v[76:77], v67
	v_add_nc_u32_e32 v67, 8, v67
	s_waitcnt lgkmcnt(0)
	v_cmp_lt_f64_e64 vcc_lo, |v[0:1]|, |v[76:77]|
	v_cndmask_b32_e32 v1, v1, v77, vcc_lo
	v_cndmask_b32_e32 v0, v0, v76, vcc_lo
	v_cndmask_b32_e64 v66, v66, s0, vcc_lo
	s_add_i32 s0, s0, 1
	s_cmp_lg_u32 s7, s0
	s_cbranch_scc1 .LBB58_65
.LBB58_66:
	s_mov_b32 s0, exec_lo
	s_waitcnt lgkmcnt(0)
	v_cmpx_eq_f64_e32 0, v[0:1]
	s_xor_b32 s0, exec_lo, s0
; %bb.67:
	v_cmp_ne_u32_e32 vcc_lo, 0, v74
	v_cndmask_b32_e32 v74, 5, v74, vcc_lo
; %bb.68:
	s_andn2_saveexec_b32 s0, s0
	s_cbranch_execz .LBB58_70
; %bb.69:
	v_div_scale_f64 v[67:68], null, v[0:1], v[0:1], 1.0
	v_rcp_f64_e32 v[76:77], v[67:68]
	v_fma_f64 v[78:79], -v[67:68], v[76:77], 1.0
	v_fma_f64 v[76:77], v[76:77], v[78:79], v[76:77]
	v_fma_f64 v[78:79], -v[67:68], v[76:77], 1.0
	v_fma_f64 v[76:77], v[76:77], v[78:79], v[76:77]
	v_div_scale_f64 v[78:79], vcc_lo, 1.0, v[0:1], 1.0
	v_mul_f64 v[80:81], v[78:79], v[76:77]
	v_fma_f64 v[67:68], -v[67:68], v[80:81], v[78:79]
	v_div_fmas_f64 v[67:68], v[67:68], v[76:77], v[80:81]
	v_div_fixup_f64 v[0:1], v[67:68], v[0:1], 1.0
.LBB58_70:
	s_or_b32 exec_lo, exec_lo, s0
	s_mov_b32 s0, exec_lo
	v_cmpx_ne_u32_e64 v75, v66
	s_xor_b32 s0, exec_lo, s0
	s_cbranch_execz .LBB58_76
; %bb.71:
	s_mov_b32 s1, exec_lo
	v_cmpx_eq_u32_e32 4, v75
	s_cbranch_execz .LBB58_75
; %bb.72:
	v_cmp_ne_u32_e32 vcc_lo, 4, v66
	s_xor_b32 s2, s6, -1
	s_and_b32 s3, s2, vcc_lo
	s_and_saveexec_b32 s2, s3
	s_cbranch_execz .LBB58_74
; %bb.73:
	v_ashrrev_i32_e32 v67, 31, v66
	v_lshlrev_b64 v[67:68], 2, v[66:67]
	v_add_co_u32 v67, vcc_lo, v4, v67
	v_add_co_ci_u32_e64 v68, null, v5, v68, vcc_lo
	s_clause 0x1
	global_load_dword v69, v[67:68], off
	global_load_dword v75, v[4:5], off offset:16
	s_waitcnt vmcnt(1)
	global_store_dword v[4:5], v69, off offset:16
	s_waitcnt vmcnt(0)
	global_store_dword v[67:68], v75, off
.LBB58_74:
	s_or_b32 exec_lo, exec_lo, s2
	v_mov_b32_e32 v69, v66
	v_mov_b32_e32 v75, v66
.LBB58_75:
	s_or_b32 exec_lo, exec_lo, s1
.LBB58_76:
	s_andn2_saveexec_b32 s0, s0
	s_cbranch_execz .LBB58_78
; %bb.77:
	v_mov_b32_e32 v75, 4
	ds_write2_b64 v72, v[52:53], v[50:51] offset0:5 offset1:6
	ds_write2_b64 v72, v[48:49], v[46:47] offset0:7 offset1:8
	;; [unrolled: 1-line block ×12, first 2 shown]
	ds_write_b64 v72, v[64:65] offset:232
.LBB58_78:
	s_or_b32 exec_lo, exec_lo, s0
	s_mov_b32 s0, exec_lo
	s_waitcnt lgkmcnt(0)
	s_waitcnt_vscnt null, 0x0
	s_barrier
	buffer_gl0_inv
	v_cmpx_lt_i32_e32 4, v75
	s_cbranch_execz .LBB58_80
; %bb.79:
	v_mul_f64 v[56:57], v[0:1], v[56:57]
	ds_read2_b64 v[76:79], v72 offset0:5 offset1:6
	ds_read2_b64 v[80:83], v72 offset0:7 offset1:8
	;; [unrolled: 1-line block ×12, first 2 shown]
	ds_read_b64 v[0:1], v72 offset:232
	s_waitcnt lgkmcnt(12)
	v_fma_f64 v[52:53], -v[56:57], v[76:77], v[52:53]
	v_fma_f64 v[50:51], -v[56:57], v[78:79], v[50:51]
	s_waitcnt lgkmcnt(11)
	v_fma_f64 v[48:49], -v[56:57], v[80:81], v[48:49]
	v_fma_f64 v[46:47], -v[56:57], v[82:83], v[46:47]
	;; [unrolled: 3-line block ×12, first 2 shown]
	s_waitcnt lgkmcnt(0)
	v_fma_f64 v[64:65], -v[56:57], v[0:1], v[64:65]
.LBB58_80:
	s_or_b32 exec_lo, exec_lo, s0
	v_lshl_add_u32 v0, v75, 3, v72
	s_barrier
	buffer_gl0_inv
	v_mov_b32_e32 v66, 5
	ds_write_b64 v0, v[52:53]
	s_waitcnt lgkmcnt(0)
	s_barrier
	buffer_gl0_inv
	ds_read_b64 v[0:1], v72 offset:40
	s_cmp_lt_i32 s7, 7
	s_cbranch_scc1 .LBB58_83
; %bb.81:
	v_add3_u32 v67, v73, 0, 48
	v_mov_b32_e32 v66, 5
	s_mov_b32 s0, 6
.LBB58_82:                              ; =>This Inner Loop Header: Depth=1
	ds_read_b64 v[76:77], v67
	v_add_nc_u32_e32 v67, 8, v67
	s_waitcnt lgkmcnt(0)
	v_cmp_lt_f64_e64 vcc_lo, |v[0:1]|, |v[76:77]|
	v_cndmask_b32_e32 v1, v1, v77, vcc_lo
	v_cndmask_b32_e32 v0, v0, v76, vcc_lo
	v_cndmask_b32_e64 v66, v66, s0, vcc_lo
	s_add_i32 s0, s0, 1
	s_cmp_lg_u32 s7, s0
	s_cbranch_scc1 .LBB58_82
.LBB58_83:
	s_mov_b32 s0, exec_lo
	s_waitcnt lgkmcnt(0)
	v_cmpx_eq_f64_e32 0, v[0:1]
	s_xor_b32 s0, exec_lo, s0
; %bb.84:
	v_cmp_ne_u32_e32 vcc_lo, 0, v74
	v_cndmask_b32_e32 v74, 6, v74, vcc_lo
; %bb.85:
	s_andn2_saveexec_b32 s0, s0
	s_cbranch_execz .LBB58_87
; %bb.86:
	v_div_scale_f64 v[67:68], null, v[0:1], v[0:1], 1.0
	v_rcp_f64_e32 v[76:77], v[67:68]
	v_fma_f64 v[78:79], -v[67:68], v[76:77], 1.0
	v_fma_f64 v[76:77], v[76:77], v[78:79], v[76:77]
	v_fma_f64 v[78:79], -v[67:68], v[76:77], 1.0
	v_fma_f64 v[76:77], v[76:77], v[78:79], v[76:77]
	v_div_scale_f64 v[78:79], vcc_lo, 1.0, v[0:1], 1.0
	v_mul_f64 v[80:81], v[78:79], v[76:77]
	v_fma_f64 v[67:68], -v[67:68], v[80:81], v[78:79]
	v_div_fmas_f64 v[67:68], v[67:68], v[76:77], v[80:81]
	v_div_fixup_f64 v[0:1], v[67:68], v[0:1], 1.0
.LBB58_87:
	s_or_b32 exec_lo, exec_lo, s0
	s_mov_b32 s0, exec_lo
	v_cmpx_ne_u32_e64 v75, v66
	s_xor_b32 s0, exec_lo, s0
	s_cbranch_execz .LBB58_93
; %bb.88:
	s_mov_b32 s1, exec_lo
	v_cmpx_eq_u32_e32 5, v75
	s_cbranch_execz .LBB58_92
; %bb.89:
	v_cmp_ne_u32_e32 vcc_lo, 5, v66
	s_xor_b32 s2, s6, -1
	s_and_b32 s3, s2, vcc_lo
	s_and_saveexec_b32 s2, s3
	s_cbranch_execz .LBB58_91
; %bb.90:
	v_ashrrev_i32_e32 v67, 31, v66
	v_lshlrev_b64 v[67:68], 2, v[66:67]
	v_add_co_u32 v67, vcc_lo, v4, v67
	v_add_co_ci_u32_e64 v68, null, v5, v68, vcc_lo
	s_clause 0x1
	global_load_dword v69, v[67:68], off
	global_load_dword v75, v[4:5], off offset:20
	s_waitcnt vmcnt(1)
	global_store_dword v[4:5], v69, off offset:20
	s_waitcnt vmcnt(0)
	global_store_dword v[67:68], v75, off
.LBB58_91:
	s_or_b32 exec_lo, exec_lo, s2
	v_mov_b32_e32 v69, v66
	v_mov_b32_e32 v75, v66
.LBB58_92:
	s_or_b32 exec_lo, exec_lo, s1
.LBB58_93:
	s_andn2_saveexec_b32 s0, s0
	s_cbranch_execz .LBB58_95
; %bb.94:
	v_mov_b32_e32 v66, v50
	v_mov_b32_e32 v67, v51
	;; [unrolled: 1-line block ×12, first 2 shown]
	ds_write2_b64 v72, v[66:67], v[75:76] offset0:6 offset1:7
	ds_write2_b64 v72, v[77:78], v[79:80] offset0:8 offset1:9
	;; [unrolled: 1-line block ×3, first 2 shown]
	v_mov_b32_e32 v66, v40
	v_mov_b32_e32 v67, v41
	;; [unrolled: 1-line block ×20, first 2 shown]
	ds_write2_b64 v72, v[66:67], v[75:76] offset0:12 offset1:13
	ds_write2_b64 v72, v[77:78], v[79:80] offset0:14 offset1:15
	;; [unrolled: 1-line block ×5, first 2 shown]
	v_mov_b32_e32 v66, v20
	v_mov_b32_e32 v67, v21
	;; [unrolled: 1-line block ×15, first 2 shown]
	ds_write2_b64 v72, v[66:67], v[76:77] offset0:22 offset1:23
	ds_write2_b64 v72, v[78:79], v[80:81] offset0:24 offset1:25
	;; [unrolled: 1-line block ×4, first 2 shown]
.LBB58_95:
	s_or_b32 exec_lo, exec_lo, s0
	s_mov_b32 s0, exec_lo
	s_waitcnt lgkmcnt(0)
	s_waitcnt_vscnt null, 0x0
	s_barrier
	buffer_gl0_inv
	v_cmpx_lt_i32_e32 5, v75
	s_cbranch_execz .LBB58_97
; %bb.96:
	v_mul_f64 v[52:53], v[0:1], v[52:53]
	ds_read2_b64 v[76:79], v72 offset0:6 offset1:7
	ds_read2_b64 v[80:83], v72 offset0:8 offset1:9
	ds_read2_b64 v[84:87], v72 offset0:10 offset1:11
	ds_read2_b64 v[88:91], v72 offset0:12 offset1:13
	ds_read2_b64 v[92:95], v72 offset0:14 offset1:15
	ds_read2_b64 v[96:99], v72 offset0:16 offset1:17
	ds_read2_b64 v[100:103], v72 offset0:18 offset1:19
	ds_read2_b64 v[104:107], v72 offset0:20 offset1:21
	ds_read2_b64 v[108:111], v72 offset0:22 offset1:23
	ds_read2_b64 v[112:115], v72 offset0:24 offset1:25
	ds_read2_b64 v[116:119], v72 offset0:26 offset1:27
	ds_read2_b64 v[120:123], v72 offset0:28 offset1:29
	s_waitcnt lgkmcnt(11)
	v_fma_f64 v[50:51], -v[52:53], v[76:77], v[50:51]
	v_fma_f64 v[48:49], -v[52:53], v[78:79], v[48:49]
	s_waitcnt lgkmcnt(10)
	v_fma_f64 v[46:47], -v[52:53], v[80:81], v[46:47]
	v_fma_f64 v[44:45], -v[52:53], v[82:83], v[44:45]
	;; [unrolled: 3-line block ×12, first 2 shown]
.LBB58_97:
	s_or_b32 exec_lo, exec_lo, s0
	v_lshl_add_u32 v0, v75, 3, v72
	s_barrier
	buffer_gl0_inv
	v_mov_b32_e32 v66, 6
	ds_write_b64 v0, v[50:51]
	s_waitcnt lgkmcnt(0)
	s_barrier
	buffer_gl0_inv
	ds_read_b64 v[0:1], v72 offset:48
	s_cmp_lt_i32 s7, 8
	s_cbranch_scc1 .LBB58_100
; %bb.98:
	v_add3_u32 v67, v73, 0, 56
	v_mov_b32_e32 v66, 6
	s_mov_b32 s0, 7
.LBB58_99:                              ; =>This Inner Loop Header: Depth=1
	ds_read_b64 v[76:77], v67
	v_add_nc_u32_e32 v67, 8, v67
	s_waitcnt lgkmcnt(0)
	v_cmp_lt_f64_e64 vcc_lo, |v[0:1]|, |v[76:77]|
	v_cndmask_b32_e32 v1, v1, v77, vcc_lo
	v_cndmask_b32_e32 v0, v0, v76, vcc_lo
	v_cndmask_b32_e64 v66, v66, s0, vcc_lo
	s_add_i32 s0, s0, 1
	s_cmp_lg_u32 s7, s0
	s_cbranch_scc1 .LBB58_99
.LBB58_100:
	s_mov_b32 s0, exec_lo
	s_waitcnt lgkmcnt(0)
	v_cmpx_eq_f64_e32 0, v[0:1]
	s_xor_b32 s0, exec_lo, s0
; %bb.101:
	v_cmp_ne_u32_e32 vcc_lo, 0, v74
	v_cndmask_b32_e32 v74, 7, v74, vcc_lo
; %bb.102:
	s_andn2_saveexec_b32 s0, s0
	s_cbranch_execz .LBB58_104
; %bb.103:
	v_div_scale_f64 v[67:68], null, v[0:1], v[0:1], 1.0
	v_rcp_f64_e32 v[76:77], v[67:68]
	v_fma_f64 v[78:79], -v[67:68], v[76:77], 1.0
	v_fma_f64 v[76:77], v[76:77], v[78:79], v[76:77]
	v_fma_f64 v[78:79], -v[67:68], v[76:77], 1.0
	v_fma_f64 v[76:77], v[76:77], v[78:79], v[76:77]
	v_div_scale_f64 v[78:79], vcc_lo, 1.0, v[0:1], 1.0
	v_mul_f64 v[80:81], v[78:79], v[76:77]
	v_fma_f64 v[67:68], -v[67:68], v[80:81], v[78:79]
	v_div_fmas_f64 v[67:68], v[67:68], v[76:77], v[80:81]
	v_div_fixup_f64 v[0:1], v[67:68], v[0:1], 1.0
.LBB58_104:
	s_or_b32 exec_lo, exec_lo, s0
	s_mov_b32 s0, exec_lo
	v_cmpx_ne_u32_e64 v75, v66
	s_xor_b32 s0, exec_lo, s0
	s_cbranch_execz .LBB58_110
; %bb.105:
	s_mov_b32 s1, exec_lo
	v_cmpx_eq_u32_e32 6, v75
	s_cbranch_execz .LBB58_109
; %bb.106:
	v_cmp_ne_u32_e32 vcc_lo, 6, v66
	s_xor_b32 s2, s6, -1
	s_and_b32 s3, s2, vcc_lo
	s_and_saveexec_b32 s2, s3
	s_cbranch_execz .LBB58_108
; %bb.107:
	v_ashrrev_i32_e32 v67, 31, v66
	v_lshlrev_b64 v[67:68], 2, v[66:67]
	v_add_co_u32 v67, vcc_lo, v4, v67
	v_add_co_ci_u32_e64 v68, null, v5, v68, vcc_lo
	s_clause 0x1
	global_load_dword v69, v[67:68], off
	global_load_dword v75, v[4:5], off offset:24
	s_waitcnt vmcnt(1)
	global_store_dword v[4:5], v69, off offset:24
	s_waitcnt vmcnt(0)
	global_store_dword v[67:68], v75, off
.LBB58_108:
	s_or_b32 exec_lo, exec_lo, s2
	v_mov_b32_e32 v69, v66
	v_mov_b32_e32 v75, v66
.LBB58_109:
	s_or_b32 exec_lo, exec_lo, s1
.LBB58_110:
	s_andn2_saveexec_b32 s0, s0
	s_cbranch_execz .LBB58_112
; %bb.111:
	v_mov_b32_e32 v75, 6
	ds_write2_b64 v72, v[48:49], v[46:47] offset0:7 offset1:8
	ds_write2_b64 v72, v[44:45], v[42:43] offset0:9 offset1:10
	;; [unrolled: 1-line block ×11, first 2 shown]
	ds_write_b64 v72, v[64:65] offset:232
.LBB58_112:
	s_or_b32 exec_lo, exec_lo, s0
	s_mov_b32 s0, exec_lo
	s_waitcnt lgkmcnt(0)
	s_waitcnt_vscnt null, 0x0
	s_barrier
	buffer_gl0_inv
	v_cmpx_lt_i32_e32 6, v75
	s_cbranch_execz .LBB58_114
; %bb.113:
	v_mul_f64 v[50:51], v[0:1], v[50:51]
	ds_read2_b64 v[76:79], v72 offset0:7 offset1:8
	ds_read2_b64 v[80:83], v72 offset0:9 offset1:10
	;; [unrolled: 1-line block ×11, first 2 shown]
	ds_read_b64 v[0:1], v72 offset:232
	s_waitcnt lgkmcnt(11)
	v_fma_f64 v[48:49], -v[50:51], v[76:77], v[48:49]
	v_fma_f64 v[46:47], -v[50:51], v[78:79], v[46:47]
	s_waitcnt lgkmcnt(10)
	v_fma_f64 v[44:45], -v[50:51], v[80:81], v[44:45]
	v_fma_f64 v[42:43], -v[50:51], v[82:83], v[42:43]
	;; [unrolled: 3-line block ×11, first 2 shown]
	s_waitcnt lgkmcnt(0)
	v_fma_f64 v[64:65], -v[50:51], v[0:1], v[64:65]
.LBB58_114:
	s_or_b32 exec_lo, exec_lo, s0
	v_lshl_add_u32 v0, v75, 3, v72
	s_barrier
	buffer_gl0_inv
	v_mov_b32_e32 v66, 7
	ds_write_b64 v0, v[48:49]
	s_waitcnt lgkmcnt(0)
	s_barrier
	buffer_gl0_inv
	ds_read_b64 v[0:1], v72 offset:56
	s_cmp_lt_i32 s7, 9
	s_cbranch_scc1 .LBB58_117
; %bb.115:
	v_add3_u32 v67, v73, 0, 64
	v_mov_b32_e32 v66, 7
	s_mov_b32 s0, 8
.LBB58_116:                             ; =>This Inner Loop Header: Depth=1
	ds_read_b64 v[76:77], v67
	v_add_nc_u32_e32 v67, 8, v67
	s_waitcnt lgkmcnt(0)
	v_cmp_lt_f64_e64 vcc_lo, |v[0:1]|, |v[76:77]|
	v_cndmask_b32_e32 v1, v1, v77, vcc_lo
	v_cndmask_b32_e32 v0, v0, v76, vcc_lo
	v_cndmask_b32_e64 v66, v66, s0, vcc_lo
	s_add_i32 s0, s0, 1
	s_cmp_lg_u32 s7, s0
	s_cbranch_scc1 .LBB58_116
.LBB58_117:
	s_mov_b32 s0, exec_lo
	s_waitcnt lgkmcnt(0)
	v_cmpx_eq_f64_e32 0, v[0:1]
	s_xor_b32 s0, exec_lo, s0
; %bb.118:
	v_cmp_ne_u32_e32 vcc_lo, 0, v74
	v_cndmask_b32_e32 v74, 8, v74, vcc_lo
; %bb.119:
	s_andn2_saveexec_b32 s0, s0
	s_cbranch_execz .LBB58_121
; %bb.120:
	v_div_scale_f64 v[67:68], null, v[0:1], v[0:1], 1.0
	v_rcp_f64_e32 v[76:77], v[67:68]
	v_fma_f64 v[78:79], -v[67:68], v[76:77], 1.0
	v_fma_f64 v[76:77], v[76:77], v[78:79], v[76:77]
	v_fma_f64 v[78:79], -v[67:68], v[76:77], 1.0
	v_fma_f64 v[76:77], v[76:77], v[78:79], v[76:77]
	v_div_scale_f64 v[78:79], vcc_lo, 1.0, v[0:1], 1.0
	v_mul_f64 v[80:81], v[78:79], v[76:77]
	v_fma_f64 v[67:68], -v[67:68], v[80:81], v[78:79]
	v_div_fmas_f64 v[67:68], v[67:68], v[76:77], v[80:81]
	v_div_fixup_f64 v[0:1], v[67:68], v[0:1], 1.0
.LBB58_121:
	s_or_b32 exec_lo, exec_lo, s0
	s_mov_b32 s0, exec_lo
	v_cmpx_ne_u32_e64 v75, v66
	s_xor_b32 s0, exec_lo, s0
	s_cbranch_execz .LBB58_127
; %bb.122:
	s_mov_b32 s1, exec_lo
	v_cmpx_eq_u32_e32 7, v75
	s_cbranch_execz .LBB58_126
; %bb.123:
	v_cmp_ne_u32_e32 vcc_lo, 7, v66
	s_xor_b32 s2, s6, -1
	s_and_b32 s3, s2, vcc_lo
	s_and_saveexec_b32 s2, s3
	s_cbranch_execz .LBB58_125
; %bb.124:
	v_ashrrev_i32_e32 v67, 31, v66
	v_lshlrev_b64 v[67:68], 2, v[66:67]
	v_add_co_u32 v67, vcc_lo, v4, v67
	v_add_co_ci_u32_e64 v68, null, v5, v68, vcc_lo
	s_clause 0x1
	global_load_dword v69, v[67:68], off
	global_load_dword v75, v[4:5], off offset:28
	s_waitcnt vmcnt(1)
	global_store_dword v[4:5], v69, off offset:28
	s_waitcnt vmcnt(0)
	global_store_dword v[67:68], v75, off
.LBB58_125:
	s_or_b32 exec_lo, exec_lo, s2
	v_mov_b32_e32 v69, v66
	v_mov_b32_e32 v75, v66
.LBB58_126:
	s_or_b32 exec_lo, exec_lo, s1
.LBB58_127:
	s_andn2_saveexec_b32 s0, s0
	s_cbranch_execz .LBB58_129
; %bb.128:
	v_mov_b32_e32 v66, v46
	v_mov_b32_e32 v67, v47
	;; [unrolled: 1-line block ×8, first 2 shown]
	ds_write2_b64 v72, v[66:67], v[75:76] offset0:8 offset1:9
	ds_write2_b64 v72, v[77:78], v[79:80] offset0:10 offset1:11
	v_mov_b32_e32 v66, v40
	v_mov_b32_e32 v67, v41
	;; [unrolled: 1-line block ×20, first 2 shown]
	ds_write2_b64 v72, v[66:67], v[75:76] offset0:12 offset1:13
	ds_write2_b64 v72, v[77:78], v[79:80] offset0:14 offset1:15
	;; [unrolled: 1-line block ×5, first 2 shown]
	v_mov_b32_e32 v66, v20
	v_mov_b32_e32 v67, v21
	;; [unrolled: 1-line block ×15, first 2 shown]
	ds_write2_b64 v72, v[66:67], v[76:77] offset0:22 offset1:23
	ds_write2_b64 v72, v[78:79], v[80:81] offset0:24 offset1:25
	;; [unrolled: 1-line block ×4, first 2 shown]
.LBB58_129:
	s_or_b32 exec_lo, exec_lo, s0
	s_mov_b32 s0, exec_lo
	s_waitcnt lgkmcnt(0)
	s_waitcnt_vscnt null, 0x0
	s_barrier
	buffer_gl0_inv
	v_cmpx_lt_i32_e32 7, v75
	s_cbranch_execz .LBB58_131
; %bb.130:
	v_mul_f64 v[48:49], v[0:1], v[48:49]
	ds_read2_b64 v[76:79], v72 offset0:8 offset1:9
	ds_read2_b64 v[80:83], v72 offset0:10 offset1:11
	;; [unrolled: 1-line block ×11, first 2 shown]
	s_waitcnt lgkmcnt(10)
	v_fma_f64 v[46:47], -v[48:49], v[76:77], v[46:47]
	v_fma_f64 v[44:45], -v[48:49], v[78:79], v[44:45]
	s_waitcnt lgkmcnt(9)
	v_fma_f64 v[42:43], -v[48:49], v[80:81], v[42:43]
	v_fma_f64 v[38:39], -v[48:49], v[82:83], v[38:39]
	;; [unrolled: 3-line block ×11, first 2 shown]
.LBB58_131:
	s_or_b32 exec_lo, exec_lo, s0
	v_lshl_add_u32 v0, v75, 3, v72
	s_barrier
	buffer_gl0_inv
	v_mov_b32_e32 v66, 8
	ds_write_b64 v0, v[46:47]
	s_waitcnt lgkmcnt(0)
	s_barrier
	buffer_gl0_inv
	ds_read_b64 v[0:1], v72 offset:64
	s_cmp_lt_i32 s7, 10
	s_cbranch_scc1 .LBB58_134
; %bb.132:
	v_add3_u32 v67, v73, 0, 0x48
	v_mov_b32_e32 v66, 8
	s_mov_b32 s0, 9
.LBB58_133:                             ; =>This Inner Loop Header: Depth=1
	ds_read_b64 v[76:77], v67
	v_add_nc_u32_e32 v67, 8, v67
	s_waitcnt lgkmcnt(0)
	v_cmp_lt_f64_e64 vcc_lo, |v[0:1]|, |v[76:77]|
	v_cndmask_b32_e32 v1, v1, v77, vcc_lo
	v_cndmask_b32_e32 v0, v0, v76, vcc_lo
	v_cndmask_b32_e64 v66, v66, s0, vcc_lo
	s_add_i32 s0, s0, 1
	s_cmp_lg_u32 s7, s0
	s_cbranch_scc1 .LBB58_133
.LBB58_134:
	s_mov_b32 s0, exec_lo
	s_waitcnt lgkmcnt(0)
	v_cmpx_eq_f64_e32 0, v[0:1]
	s_xor_b32 s0, exec_lo, s0
; %bb.135:
	v_cmp_ne_u32_e32 vcc_lo, 0, v74
	v_cndmask_b32_e32 v74, 9, v74, vcc_lo
; %bb.136:
	s_andn2_saveexec_b32 s0, s0
	s_cbranch_execz .LBB58_138
; %bb.137:
	v_div_scale_f64 v[67:68], null, v[0:1], v[0:1], 1.0
	v_rcp_f64_e32 v[76:77], v[67:68]
	v_fma_f64 v[78:79], -v[67:68], v[76:77], 1.0
	v_fma_f64 v[76:77], v[76:77], v[78:79], v[76:77]
	v_fma_f64 v[78:79], -v[67:68], v[76:77], 1.0
	v_fma_f64 v[76:77], v[76:77], v[78:79], v[76:77]
	v_div_scale_f64 v[78:79], vcc_lo, 1.0, v[0:1], 1.0
	v_mul_f64 v[80:81], v[78:79], v[76:77]
	v_fma_f64 v[67:68], -v[67:68], v[80:81], v[78:79]
	v_div_fmas_f64 v[67:68], v[67:68], v[76:77], v[80:81]
	v_div_fixup_f64 v[0:1], v[67:68], v[0:1], 1.0
.LBB58_138:
	s_or_b32 exec_lo, exec_lo, s0
	s_mov_b32 s0, exec_lo
	v_cmpx_ne_u32_e64 v75, v66
	s_xor_b32 s0, exec_lo, s0
	s_cbranch_execz .LBB58_144
; %bb.139:
	s_mov_b32 s1, exec_lo
	v_cmpx_eq_u32_e32 8, v75
	s_cbranch_execz .LBB58_143
; %bb.140:
	v_cmp_ne_u32_e32 vcc_lo, 8, v66
	s_xor_b32 s2, s6, -1
	s_and_b32 s3, s2, vcc_lo
	s_and_saveexec_b32 s2, s3
	s_cbranch_execz .LBB58_142
; %bb.141:
	v_ashrrev_i32_e32 v67, 31, v66
	v_lshlrev_b64 v[67:68], 2, v[66:67]
	v_add_co_u32 v67, vcc_lo, v4, v67
	v_add_co_ci_u32_e64 v68, null, v5, v68, vcc_lo
	s_clause 0x1
	global_load_dword v69, v[67:68], off
	global_load_dword v75, v[4:5], off offset:32
	s_waitcnt vmcnt(1)
	global_store_dword v[4:5], v69, off offset:32
	s_waitcnt vmcnt(0)
	global_store_dword v[67:68], v75, off
.LBB58_142:
	s_or_b32 exec_lo, exec_lo, s2
	v_mov_b32_e32 v69, v66
	v_mov_b32_e32 v75, v66
.LBB58_143:
	s_or_b32 exec_lo, exec_lo, s1
.LBB58_144:
	s_andn2_saveexec_b32 s0, s0
	s_cbranch_execz .LBB58_146
; %bb.145:
	v_mov_b32_e32 v75, 8
	ds_write2_b64 v72, v[44:45], v[42:43] offset0:9 offset1:10
	ds_write2_b64 v72, v[38:39], v[40:41] offset0:11 offset1:12
	;; [unrolled: 1-line block ×10, first 2 shown]
	ds_write_b64 v72, v[64:65] offset:232
.LBB58_146:
	s_or_b32 exec_lo, exec_lo, s0
	s_mov_b32 s0, exec_lo
	s_waitcnt lgkmcnt(0)
	s_waitcnt_vscnt null, 0x0
	s_barrier
	buffer_gl0_inv
	v_cmpx_lt_i32_e32 8, v75
	s_cbranch_execz .LBB58_148
; %bb.147:
	v_mul_f64 v[46:47], v[0:1], v[46:47]
	ds_read2_b64 v[76:79], v72 offset0:9 offset1:10
	ds_read2_b64 v[80:83], v72 offset0:11 offset1:12
	;; [unrolled: 1-line block ×10, first 2 shown]
	ds_read_b64 v[0:1], v72 offset:232
	s_waitcnt lgkmcnt(10)
	v_fma_f64 v[44:45], -v[46:47], v[76:77], v[44:45]
	v_fma_f64 v[42:43], -v[46:47], v[78:79], v[42:43]
	s_waitcnt lgkmcnt(9)
	v_fma_f64 v[38:39], -v[46:47], v[80:81], v[38:39]
	v_fma_f64 v[40:41], -v[46:47], v[82:83], v[40:41]
	;; [unrolled: 3-line block ×10, first 2 shown]
	s_waitcnt lgkmcnt(0)
	v_fma_f64 v[64:65], -v[46:47], v[0:1], v[64:65]
.LBB58_148:
	s_or_b32 exec_lo, exec_lo, s0
	v_lshl_add_u32 v0, v75, 3, v72
	s_barrier
	buffer_gl0_inv
	v_mov_b32_e32 v66, 9
	ds_write_b64 v0, v[44:45]
	s_waitcnt lgkmcnt(0)
	s_barrier
	buffer_gl0_inv
	ds_read_b64 v[0:1], v72 offset:72
	s_cmp_lt_i32 s7, 11
	s_cbranch_scc1 .LBB58_151
; %bb.149:
	v_add3_u32 v67, v73, 0, 0x50
	v_mov_b32_e32 v66, 9
	s_mov_b32 s0, 10
.LBB58_150:                             ; =>This Inner Loop Header: Depth=1
	ds_read_b64 v[76:77], v67
	v_add_nc_u32_e32 v67, 8, v67
	s_waitcnt lgkmcnt(0)
	v_cmp_lt_f64_e64 vcc_lo, |v[0:1]|, |v[76:77]|
	v_cndmask_b32_e32 v1, v1, v77, vcc_lo
	v_cndmask_b32_e32 v0, v0, v76, vcc_lo
	v_cndmask_b32_e64 v66, v66, s0, vcc_lo
	s_add_i32 s0, s0, 1
	s_cmp_lg_u32 s7, s0
	s_cbranch_scc1 .LBB58_150
.LBB58_151:
	s_mov_b32 s0, exec_lo
	s_waitcnt lgkmcnt(0)
	v_cmpx_eq_f64_e32 0, v[0:1]
	s_xor_b32 s0, exec_lo, s0
; %bb.152:
	v_cmp_ne_u32_e32 vcc_lo, 0, v74
	v_cndmask_b32_e32 v74, 10, v74, vcc_lo
; %bb.153:
	s_andn2_saveexec_b32 s0, s0
	s_cbranch_execz .LBB58_155
; %bb.154:
	v_div_scale_f64 v[67:68], null, v[0:1], v[0:1], 1.0
	v_rcp_f64_e32 v[76:77], v[67:68]
	v_fma_f64 v[78:79], -v[67:68], v[76:77], 1.0
	v_fma_f64 v[76:77], v[76:77], v[78:79], v[76:77]
	v_fma_f64 v[78:79], -v[67:68], v[76:77], 1.0
	v_fma_f64 v[76:77], v[76:77], v[78:79], v[76:77]
	v_div_scale_f64 v[78:79], vcc_lo, 1.0, v[0:1], 1.0
	v_mul_f64 v[80:81], v[78:79], v[76:77]
	v_fma_f64 v[67:68], -v[67:68], v[80:81], v[78:79]
	v_div_fmas_f64 v[67:68], v[67:68], v[76:77], v[80:81]
	v_div_fixup_f64 v[0:1], v[67:68], v[0:1], 1.0
.LBB58_155:
	s_or_b32 exec_lo, exec_lo, s0
	s_mov_b32 s0, exec_lo
	v_cmpx_ne_u32_e64 v75, v66
	s_xor_b32 s0, exec_lo, s0
	s_cbranch_execz .LBB58_161
; %bb.156:
	s_mov_b32 s1, exec_lo
	v_cmpx_eq_u32_e32 9, v75
	s_cbranch_execz .LBB58_160
; %bb.157:
	v_cmp_ne_u32_e32 vcc_lo, 9, v66
	s_xor_b32 s2, s6, -1
	s_and_b32 s3, s2, vcc_lo
	s_and_saveexec_b32 s2, s3
	s_cbranch_execz .LBB58_159
; %bb.158:
	v_ashrrev_i32_e32 v67, 31, v66
	v_lshlrev_b64 v[67:68], 2, v[66:67]
	v_add_co_u32 v67, vcc_lo, v4, v67
	v_add_co_ci_u32_e64 v68, null, v5, v68, vcc_lo
	s_clause 0x1
	global_load_dword v69, v[67:68], off
	global_load_dword v75, v[4:5], off offset:36
	s_waitcnt vmcnt(1)
	global_store_dword v[4:5], v69, off offset:36
	s_waitcnt vmcnt(0)
	global_store_dword v[67:68], v75, off
.LBB58_159:
	s_or_b32 exec_lo, exec_lo, s2
	v_mov_b32_e32 v69, v66
	v_mov_b32_e32 v75, v66
.LBB58_160:
	s_or_b32 exec_lo, exec_lo, s1
.LBB58_161:
	s_andn2_saveexec_b32 s0, s0
	s_cbranch_execz .LBB58_163
; %bb.162:
	v_mov_b32_e32 v66, v42
	v_mov_b32_e32 v67, v43
	;; [unrolled: 1-line block ×8, first 2 shown]
	ds_write2_b64 v72, v[66:67], v[75:76] offset0:10 offset1:11
	v_mov_b32_e32 v66, v34
	v_mov_b32_e32 v67, v35
	;; [unrolled: 1-line block ×16, first 2 shown]
	ds_write2_b64 v72, v[77:78], v[66:67] offset0:12 offset1:13
	ds_write2_b64 v72, v[75:76], v[79:80] offset0:14 offset1:15
	ds_write2_b64 v72, v[81:82], v[83:84] offset0:16 offset1:17
	ds_write2_b64 v72, v[85:86], v[87:88] offset0:18 offset1:19
	ds_write2_b64 v72, v[89:90], v[91:92] offset0:20 offset1:21
	v_mov_b32_e32 v66, v20
	v_mov_b32_e32 v67, v21
	;; [unrolled: 1-line block ×15, first 2 shown]
	ds_write2_b64 v72, v[66:67], v[76:77] offset0:22 offset1:23
	ds_write2_b64 v72, v[78:79], v[80:81] offset0:24 offset1:25
	;; [unrolled: 1-line block ×4, first 2 shown]
.LBB58_163:
	s_or_b32 exec_lo, exec_lo, s0
	s_mov_b32 s0, exec_lo
	s_waitcnt lgkmcnt(0)
	s_waitcnt_vscnt null, 0x0
	s_barrier
	buffer_gl0_inv
	v_cmpx_lt_i32_e32 9, v75
	s_cbranch_execz .LBB58_165
; %bb.164:
	v_mul_f64 v[44:45], v[0:1], v[44:45]
	ds_read2_b64 v[76:79], v72 offset0:10 offset1:11
	ds_read2_b64 v[80:83], v72 offset0:12 offset1:13
	;; [unrolled: 1-line block ×10, first 2 shown]
	s_waitcnt lgkmcnt(9)
	v_fma_f64 v[42:43], -v[44:45], v[76:77], v[42:43]
	v_fma_f64 v[38:39], -v[44:45], v[78:79], v[38:39]
	s_waitcnt lgkmcnt(8)
	v_fma_f64 v[40:41], -v[44:45], v[80:81], v[40:41]
	v_fma_f64 v[34:35], -v[44:45], v[82:83], v[34:35]
	;; [unrolled: 3-line block ×10, first 2 shown]
.LBB58_165:
	s_or_b32 exec_lo, exec_lo, s0
	v_lshl_add_u32 v0, v75, 3, v72
	s_barrier
	buffer_gl0_inv
	v_mov_b32_e32 v66, 10
	ds_write_b64 v0, v[42:43]
	s_waitcnt lgkmcnt(0)
	s_barrier
	buffer_gl0_inv
	ds_read_b64 v[0:1], v72 offset:80
	s_cmp_lt_i32 s7, 12
	s_cbranch_scc1 .LBB58_168
; %bb.166:
	v_add3_u32 v67, v73, 0, 0x58
	v_mov_b32_e32 v66, 10
	s_mov_b32 s0, 11
.LBB58_167:                             ; =>This Inner Loop Header: Depth=1
	ds_read_b64 v[76:77], v67
	v_add_nc_u32_e32 v67, 8, v67
	s_waitcnt lgkmcnt(0)
	v_cmp_lt_f64_e64 vcc_lo, |v[0:1]|, |v[76:77]|
	v_cndmask_b32_e32 v1, v1, v77, vcc_lo
	v_cndmask_b32_e32 v0, v0, v76, vcc_lo
	v_cndmask_b32_e64 v66, v66, s0, vcc_lo
	s_add_i32 s0, s0, 1
	s_cmp_lg_u32 s7, s0
	s_cbranch_scc1 .LBB58_167
.LBB58_168:
	s_mov_b32 s0, exec_lo
	s_waitcnt lgkmcnt(0)
	v_cmpx_eq_f64_e32 0, v[0:1]
	s_xor_b32 s0, exec_lo, s0
; %bb.169:
	v_cmp_ne_u32_e32 vcc_lo, 0, v74
	v_cndmask_b32_e32 v74, 11, v74, vcc_lo
; %bb.170:
	s_andn2_saveexec_b32 s0, s0
	s_cbranch_execz .LBB58_172
; %bb.171:
	v_div_scale_f64 v[67:68], null, v[0:1], v[0:1], 1.0
	v_rcp_f64_e32 v[76:77], v[67:68]
	v_fma_f64 v[78:79], -v[67:68], v[76:77], 1.0
	v_fma_f64 v[76:77], v[76:77], v[78:79], v[76:77]
	v_fma_f64 v[78:79], -v[67:68], v[76:77], 1.0
	v_fma_f64 v[76:77], v[76:77], v[78:79], v[76:77]
	v_div_scale_f64 v[78:79], vcc_lo, 1.0, v[0:1], 1.0
	v_mul_f64 v[80:81], v[78:79], v[76:77]
	v_fma_f64 v[67:68], -v[67:68], v[80:81], v[78:79]
	v_div_fmas_f64 v[67:68], v[67:68], v[76:77], v[80:81]
	v_div_fixup_f64 v[0:1], v[67:68], v[0:1], 1.0
.LBB58_172:
	s_or_b32 exec_lo, exec_lo, s0
	s_mov_b32 s0, exec_lo
	v_cmpx_ne_u32_e64 v75, v66
	s_xor_b32 s0, exec_lo, s0
	s_cbranch_execz .LBB58_178
; %bb.173:
	s_mov_b32 s1, exec_lo
	v_cmpx_eq_u32_e32 10, v75
	s_cbranch_execz .LBB58_177
; %bb.174:
	v_cmp_ne_u32_e32 vcc_lo, 10, v66
	s_xor_b32 s2, s6, -1
	s_and_b32 s3, s2, vcc_lo
	s_and_saveexec_b32 s2, s3
	s_cbranch_execz .LBB58_176
; %bb.175:
	v_ashrrev_i32_e32 v67, 31, v66
	v_lshlrev_b64 v[67:68], 2, v[66:67]
	v_add_co_u32 v67, vcc_lo, v4, v67
	v_add_co_ci_u32_e64 v68, null, v5, v68, vcc_lo
	s_clause 0x1
	global_load_dword v69, v[67:68], off
	global_load_dword v75, v[4:5], off offset:40
	s_waitcnt vmcnt(1)
	global_store_dword v[4:5], v69, off offset:40
	s_waitcnt vmcnt(0)
	global_store_dword v[67:68], v75, off
.LBB58_176:
	s_or_b32 exec_lo, exec_lo, s2
	v_mov_b32_e32 v69, v66
	v_mov_b32_e32 v75, v66
.LBB58_177:
	s_or_b32 exec_lo, exec_lo, s1
.LBB58_178:
	s_andn2_saveexec_b32 s0, s0
	s_cbranch_execz .LBB58_180
; %bb.179:
	v_mov_b32_e32 v75, 10
	ds_write2_b64 v72, v[38:39], v[40:41] offset0:11 offset1:12
	ds_write2_b64 v72, v[34:35], v[36:37] offset0:13 offset1:14
	;; [unrolled: 1-line block ×9, first 2 shown]
	ds_write_b64 v72, v[64:65] offset:232
.LBB58_180:
	s_or_b32 exec_lo, exec_lo, s0
	s_mov_b32 s0, exec_lo
	s_waitcnt lgkmcnt(0)
	s_waitcnt_vscnt null, 0x0
	s_barrier
	buffer_gl0_inv
	v_cmpx_lt_i32_e32 10, v75
	s_cbranch_execz .LBB58_182
; %bb.181:
	v_mul_f64 v[42:43], v[0:1], v[42:43]
	ds_read2_b64 v[76:79], v72 offset0:11 offset1:12
	ds_read2_b64 v[80:83], v72 offset0:13 offset1:14
	;; [unrolled: 1-line block ×9, first 2 shown]
	ds_read_b64 v[0:1], v72 offset:232
	s_waitcnt lgkmcnt(9)
	v_fma_f64 v[38:39], -v[42:43], v[76:77], v[38:39]
	v_fma_f64 v[40:41], -v[42:43], v[78:79], v[40:41]
	s_waitcnt lgkmcnt(8)
	v_fma_f64 v[34:35], -v[42:43], v[80:81], v[34:35]
	v_fma_f64 v[36:37], -v[42:43], v[82:83], v[36:37]
	;; [unrolled: 3-line block ×9, first 2 shown]
	s_waitcnt lgkmcnt(0)
	v_fma_f64 v[64:65], -v[42:43], v[0:1], v[64:65]
.LBB58_182:
	s_or_b32 exec_lo, exec_lo, s0
	v_lshl_add_u32 v0, v75, 3, v72
	s_barrier
	buffer_gl0_inv
	v_mov_b32_e32 v66, 11
	ds_write_b64 v0, v[38:39]
	s_waitcnt lgkmcnt(0)
	s_barrier
	buffer_gl0_inv
	ds_read_b64 v[0:1], v72 offset:88
	s_cmp_lt_i32 s7, 13
	s_cbranch_scc1 .LBB58_185
; %bb.183:
	v_add3_u32 v67, v73, 0, 0x60
	v_mov_b32_e32 v66, 11
	s_mov_b32 s0, 12
.LBB58_184:                             ; =>This Inner Loop Header: Depth=1
	ds_read_b64 v[76:77], v67
	v_add_nc_u32_e32 v67, 8, v67
	s_waitcnt lgkmcnt(0)
	v_cmp_lt_f64_e64 vcc_lo, |v[0:1]|, |v[76:77]|
	v_cndmask_b32_e32 v1, v1, v77, vcc_lo
	v_cndmask_b32_e32 v0, v0, v76, vcc_lo
	v_cndmask_b32_e64 v66, v66, s0, vcc_lo
	s_add_i32 s0, s0, 1
	s_cmp_lg_u32 s7, s0
	s_cbranch_scc1 .LBB58_184
.LBB58_185:
	s_mov_b32 s0, exec_lo
	s_waitcnt lgkmcnt(0)
	v_cmpx_eq_f64_e32 0, v[0:1]
	s_xor_b32 s0, exec_lo, s0
; %bb.186:
	v_cmp_ne_u32_e32 vcc_lo, 0, v74
	v_cndmask_b32_e32 v74, 12, v74, vcc_lo
; %bb.187:
	s_andn2_saveexec_b32 s0, s0
	s_cbranch_execz .LBB58_189
; %bb.188:
	v_div_scale_f64 v[67:68], null, v[0:1], v[0:1], 1.0
	v_rcp_f64_e32 v[76:77], v[67:68]
	v_fma_f64 v[78:79], -v[67:68], v[76:77], 1.0
	v_fma_f64 v[76:77], v[76:77], v[78:79], v[76:77]
	v_fma_f64 v[78:79], -v[67:68], v[76:77], 1.0
	v_fma_f64 v[76:77], v[76:77], v[78:79], v[76:77]
	v_div_scale_f64 v[78:79], vcc_lo, 1.0, v[0:1], 1.0
	v_mul_f64 v[80:81], v[78:79], v[76:77]
	v_fma_f64 v[67:68], -v[67:68], v[80:81], v[78:79]
	v_div_fmas_f64 v[67:68], v[67:68], v[76:77], v[80:81]
	v_div_fixup_f64 v[0:1], v[67:68], v[0:1], 1.0
.LBB58_189:
	s_or_b32 exec_lo, exec_lo, s0
	s_mov_b32 s0, exec_lo
	v_cmpx_ne_u32_e64 v75, v66
	s_xor_b32 s0, exec_lo, s0
	s_cbranch_execz .LBB58_195
; %bb.190:
	s_mov_b32 s1, exec_lo
	v_cmpx_eq_u32_e32 11, v75
	s_cbranch_execz .LBB58_194
; %bb.191:
	v_cmp_ne_u32_e32 vcc_lo, 11, v66
	s_xor_b32 s2, s6, -1
	s_and_b32 s3, s2, vcc_lo
	s_and_saveexec_b32 s2, s3
	s_cbranch_execz .LBB58_193
; %bb.192:
	v_ashrrev_i32_e32 v67, 31, v66
	v_lshlrev_b64 v[67:68], 2, v[66:67]
	v_add_co_u32 v67, vcc_lo, v4, v67
	v_add_co_ci_u32_e64 v68, null, v5, v68, vcc_lo
	s_clause 0x1
	global_load_dword v69, v[67:68], off
	global_load_dword v75, v[4:5], off offset:44
	s_waitcnt vmcnt(1)
	global_store_dword v[4:5], v69, off offset:44
	s_waitcnt vmcnt(0)
	global_store_dword v[67:68], v75, off
.LBB58_193:
	s_or_b32 exec_lo, exec_lo, s2
	v_mov_b32_e32 v69, v66
	v_mov_b32_e32 v75, v66
.LBB58_194:
	s_or_b32 exec_lo, exec_lo, s1
.LBB58_195:
	s_andn2_saveexec_b32 s0, s0
	s_cbranch_execz .LBB58_197
; %bb.196:
	v_mov_b32_e32 v66, v40
	v_mov_b32_e32 v67, v41
	;; [unrolled: 1-line block ×20, first 2 shown]
	ds_write2_b64 v72, v[66:67], v[75:76] offset0:12 offset1:13
	ds_write2_b64 v72, v[77:78], v[79:80] offset0:14 offset1:15
	;; [unrolled: 1-line block ×5, first 2 shown]
	v_mov_b32_e32 v66, v20
	v_mov_b32_e32 v67, v21
	;; [unrolled: 1-line block ×15, first 2 shown]
	ds_write2_b64 v72, v[66:67], v[76:77] offset0:22 offset1:23
	ds_write2_b64 v72, v[78:79], v[80:81] offset0:24 offset1:25
	ds_write2_b64 v72, v[82:83], v[84:85] offset0:26 offset1:27
	ds_write2_b64 v72, v[86:87], v[64:65] offset0:28 offset1:29
.LBB58_197:
	s_or_b32 exec_lo, exec_lo, s0
	s_mov_b32 s0, exec_lo
	s_waitcnt lgkmcnt(0)
	s_waitcnt_vscnt null, 0x0
	s_barrier
	buffer_gl0_inv
	v_cmpx_lt_i32_e32 11, v75
	s_cbranch_execz .LBB58_199
; %bb.198:
	v_mul_f64 v[38:39], v[0:1], v[38:39]
	ds_read2_b64 v[76:79], v72 offset0:12 offset1:13
	ds_read2_b64 v[80:83], v72 offset0:14 offset1:15
	;; [unrolled: 1-line block ×9, first 2 shown]
	s_waitcnt lgkmcnt(8)
	v_fma_f64 v[40:41], -v[38:39], v[76:77], v[40:41]
	v_fma_f64 v[34:35], -v[38:39], v[78:79], v[34:35]
	s_waitcnt lgkmcnt(7)
	v_fma_f64 v[36:37], -v[38:39], v[80:81], v[36:37]
	v_fma_f64 v[32:33], -v[38:39], v[82:83], v[32:33]
	;; [unrolled: 3-line block ×9, first 2 shown]
.LBB58_199:
	s_or_b32 exec_lo, exec_lo, s0
	v_lshl_add_u32 v0, v75, 3, v72
	s_barrier
	buffer_gl0_inv
	v_mov_b32_e32 v66, 12
	ds_write_b64 v0, v[40:41]
	s_waitcnt lgkmcnt(0)
	s_barrier
	buffer_gl0_inv
	ds_read_b64 v[0:1], v72 offset:96
	s_cmp_lt_i32 s7, 14
	s_cbranch_scc1 .LBB58_202
; %bb.200:
	v_add3_u32 v67, v73, 0, 0x68
	v_mov_b32_e32 v66, 12
	s_mov_b32 s0, 13
.LBB58_201:                             ; =>This Inner Loop Header: Depth=1
	ds_read_b64 v[76:77], v67
	v_add_nc_u32_e32 v67, 8, v67
	s_waitcnt lgkmcnt(0)
	v_cmp_lt_f64_e64 vcc_lo, |v[0:1]|, |v[76:77]|
	v_cndmask_b32_e32 v1, v1, v77, vcc_lo
	v_cndmask_b32_e32 v0, v0, v76, vcc_lo
	v_cndmask_b32_e64 v66, v66, s0, vcc_lo
	s_add_i32 s0, s0, 1
	s_cmp_lg_u32 s7, s0
	s_cbranch_scc1 .LBB58_201
.LBB58_202:
	s_mov_b32 s0, exec_lo
	s_waitcnt lgkmcnt(0)
	v_cmpx_eq_f64_e32 0, v[0:1]
	s_xor_b32 s0, exec_lo, s0
; %bb.203:
	v_cmp_ne_u32_e32 vcc_lo, 0, v74
	v_cndmask_b32_e32 v74, 13, v74, vcc_lo
; %bb.204:
	s_andn2_saveexec_b32 s0, s0
	s_cbranch_execz .LBB58_206
; %bb.205:
	v_div_scale_f64 v[67:68], null, v[0:1], v[0:1], 1.0
	v_rcp_f64_e32 v[76:77], v[67:68]
	v_fma_f64 v[78:79], -v[67:68], v[76:77], 1.0
	v_fma_f64 v[76:77], v[76:77], v[78:79], v[76:77]
	v_fma_f64 v[78:79], -v[67:68], v[76:77], 1.0
	v_fma_f64 v[76:77], v[76:77], v[78:79], v[76:77]
	v_div_scale_f64 v[78:79], vcc_lo, 1.0, v[0:1], 1.0
	v_mul_f64 v[80:81], v[78:79], v[76:77]
	v_fma_f64 v[67:68], -v[67:68], v[80:81], v[78:79]
	v_div_fmas_f64 v[67:68], v[67:68], v[76:77], v[80:81]
	v_div_fixup_f64 v[0:1], v[67:68], v[0:1], 1.0
.LBB58_206:
	s_or_b32 exec_lo, exec_lo, s0
	s_mov_b32 s0, exec_lo
	v_cmpx_ne_u32_e64 v75, v66
	s_xor_b32 s0, exec_lo, s0
	s_cbranch_execz .LBB58_212
; %bb.207:
	s_mov_b32 s1, exec_lo
	v_cmpx_eq_u32_e32 12, v75
	s_cbranch_execz .LBB58_211
; %bb.208:
	v_cmp_ne_u32_e32 vcc_lo, 12, v66
	s_xor_b32 s2, s6, -1
	s_and_b32 s3, s2, vcc_lo
	s_and_saveexec_b32 s2, s3
	s_cbranch_execz .LBB58_210
; %bb.209:
	v_ashrrev_i32_e32 v67, 31, v66
	v_lshlrev_b64 v[67:68], 2, v[66:67]
	v_add_co_u32 v67, vcc_lo, v4, v67
	v_add_co_ci_u32_e64 v68, null, v5, v68, vcc_lo
	s_clause 0x1
	global_load_dword v69, v[67:68], off
	global_load_dword v75, v[4:5], off offset:48
	s_waitcnt vmcnt(1)
	global_store_dword v[4:5], v69, off offset:48
	s_waitcnt vmcnt(0)
	global_store_dword v[67:68], v75, off
.LBB58_210:
	s_or_b32 exec_lo, exec_lo, s2
	v_mov_b32_e32 v69, v66
	v_mov_b32_e32 v75, v66
.LBB58_211:
	s_or_b32 exec_lo, exec_lo, s1
.LBB58_212:
	s_andn2_saveexec_b32 s0, s0
	s_cbranch_execz .LBB58_214
; %bb.213:
	v_mov_b32_e32 v75, 12
	ds_write2_b64 v72, v[34:35], v[36:37] offset0:13 offset1:14
	ds_write2_b64 v72, v[32:33], v[30:31] offset0:15 offset1:16
	;; [unrolled: 1-line block ×8, first 2 shown]
	ds_write_b64 v72, v[64:65] offset:232
.LBB58_214:
	s_or_b32 exec_lo, exec_lo, s0
	s_mov_b32 s0, exec_lo
	s_waitcnt lgkmcnt(0)
	s_waitcnt_vscnt null, 0x0
	s_barrier
	buffer_gl0_inv
	v_cmpx_lt_i32_e32 12, v75
	s_cbranch_execz .LBB58_216
; %bb.215:
	v_mul_f64 v[40:41], v[0:1], v[40:41]
	ds_read2_b64 v[76:79], v72 offset0:13 offset1:14
	ds_read2_b64 v[80:83], v72 offset0:15 offset1:16
	;; [unrolled: 1-line block ×8, first 2 shown]
	ds_read_b64 v[0:1], v72 offset:232
	s_waitcnt lgkmcnt(8)
	v_fma_f64 v[34:35], -v[40:41], v[76:77], v[34:35]
	v_fma_f64 v[36:37], -v[40:41], v[78:79], v[36:37]
	s_waitcnt lgkmcnt(7)
	v_fma_f64 v[32:33], -v[40:41], v[80:81], v[32:33]
	v_fma_f64 v[30:31], -v[40:41], v[82:83], v[30:31]
	;; [unrolled: 3-line block ×8, first 2 shown]
	s_waitcnt lgkmcnt(0)
	v_fma_f64 v[64:65], -v[40:41], v[0:1], v[64:65]
.LBB58_216:
	s_or_b32 exec_lo, exec_lo, s0
	v_lshl_add_u32 v0, v75, 3, v72
	s_barrier
	buffer_gl0_inv
	v_mov_b32_e32 v66, 13
	ds_write_b64 v0, v[34:35]
	s_waitcnt lgkmcnt(0)
	s_barrier
	buffer_gl0_inv
	ds_read_b64 v[0:1], v72 offset:104
	s_cmp_lt_i32 s7, 15
	s_cbranch_scc1 .LBB58_219
; %bb.217:
	v_add3_u32 v67, v73, 0, 0x70
	v_mov_b32_e32 v66, 13
	s_mov_b32 s0, 14
.LBB58_218:                             ; =>This Inner Loop Header: Depth=1
	ds_read_b64 v[76:77], v67
	v_add_nc_u32_e32 v67, 8, v67
	s_waitcnt lgkmcnt(0)
	v_cmp_lt_f64_e64 vcc_lo, |v[0:1]|, |v[76:77]|
	v_cndmask_b32_e32 v1, v1, v77, vcc_lo
	v_cndmask_b32_e32 v0, v0, v76, vcc_lo
	v_cndmask_b32_e64 v66, v66, s0, vcc_lo
	s_add_i32 s0, s0, 1
	s_cmp_lg_u32 s7, s0
	s_cbranch_scc1 .LBB58_218
.LBB58_219:
	s_mov_b32 s0, exec_lo
	s_waitcnt lgkmcnt(0)
	v_cmpx_eq_f64_e32 0, v[0:1]
	s_xor_b32 s0, exec_lo, s0
; %bb.220:
	v_cmp_ne_u32_e32 vcc_lo, 0, v74
	v_cndmask_b32_e32 v74, 14, v74, vcc_lo
; %bb.221:
	s_andn2_saveexec_b32 s0, s0
	s_cbranch_execz .LBB58_223
; %bb.222:
	v_div_scale_f64 v[67:68], null, v[0:1], v[0:1], 1.0
	v_rcp_f64_e32 v[76:77], v[67:68]
	v_fma_f64 v[78:79], -v[67:68], v[76:77], 1.0
	v_fma_f64 v[76:77], v[76:77], v[78:79], v[76:77]
	v_fma_f64 v[78:79], -v[67:68], v[76:77], 1.0
	v_fma_f64 v[76:77], v[76:77], v[78:79], v[76:77]
	v_div_scale_f64 v[78:79], vcc_lo, 1.0, v[0:1], 1.0
	v_mul_f64 v[80:81], v[78:79], v[76:77]
	v_fma_f64 v[67:68], -v[67:68], v[80:81], v[78:79]
	v_div_fmas_f64 v[67:68], v[67:68], v[76:77], v[80:81]
	v_div_fixup_f64 v[0:1], v[67:68], v[0:1], 1.0
.LBB58_223:
	s_or_b32 exec_lo, exec_lo, s0
	s_mov_b32 s0, exec_lo
	v_cmpx_ne_u32_e64 v75, v66
	s_xor_b32 s0, exec_lo, s0
	s_cbranch_execz .LBB58_229
; %bb.224:
	s_mov_b32 s1, exec_lo
	v_cmpx_eq_u32_e32 13, v75
	s_cbranch_execz .LBB58_228
; %bb.225:
	v_cmp_ne_u32_e32 vcc_lo, 13, v66
	s_xor_b32 s2, s6, -1
	s_and_b32 s3, s2, vcc_lo
	s_and_saveexec_b32 s2, s3
	s_cbranch_execz .LBB58_227
; %bb.226:
	v_ashrrev_i32_e32 v67, 31, v66
	v_lshlrev_b64 v[67:68], 2, v[66:67]
	v_add_co_u32 v67, vcc_lo, v4, v67
	v_add_co_ci_u32_e64 v68, null, v5, v68, vcc_lo
	s_clause 0x1
	global_load_dword v69, v[67:68], off
	global_load_dword v75, v[4:5], off offset:52
	s_waitcnt vmcnt(1)
	global_store_dword v[4:5], v69, off offset:52
	s_waitcnt vmcnt(0)
	global_store_dword v[67:68], v75, off
.LBB58_227:
	s_or_b32 exec_lo, exec_lo, s2
	v_mov_b32_e32 v69, v66
	v_mov_b32_e32 v75, v66
.LBB58_228:
	s_or_b32 exec_lo, exec_lo, s1
.LBB58_229:
	s_andn2_saveexec_b32 s0, s0
	s_cbranch_execz .LBB58_231
; %bb.230:
	v_mov_b32_e32 v66, v36
	v_mov_b32_e32 v67, v37
	;; [unrolled: 1-line block ×16, first 2 shown]
	ds_write2_b64 v72, v[66:67], v[75:76] offset0:14 offset1:15
	ds_write2_b64 v72, v[77:78], v[79:80] offset0:16 offset1:17
	;; [unrolled: 1-line block ×4, first 2 shown]
	v_mov_b32_e32 v66, v20
	v_mov_b32_e32 v67, v21
	;; [unrolled: 1-line block ×15, first 2 shown]
	ds_write2_b64 v72, v[66:67], v[76:77] offset0:22 offset1:23
	ds_write2_b64 v72, v[78:79], v[80:81] offset0:24 offset1:25
	;; [unrolled: 1-line block ×4, first 2 shown]
.LBB58_231:
	s_or_b32 exec_lo, exec_lo, s0
	s_mov_b32 s0, exec_lo
	s_waitcnt lgkmcnt(0)
	s_waitcnt_vscnt null, 0x0
	s_barrier
	buffer_gl0_inv
	v_cmpx_lt_i32_e32 13, v75
	s_cbranch_execz .LBB58_233
; %bb.232:
	v_mul_f64 v[34:35], v[0:1], v[34:35]
	ds_read2_b64 v[76:79], v72 offset0:14 offset1:15
	ds_read2_b64 v[80:83], v72 offset0:16 offset1:17
	;; [unrolled: 1-line block ×8, first 2 shown]
	s_waitcnt lgkmcnt(7)
	v_fma_f64 v[36:37], -v[34:35], v[76:77], v[36:37]
	v_fma_f64 v[32:33], -v[34:35], v[78:79], v[32:33]
	s_waitcnt lgkmcnt(6)
	v_fma_f64 v[30:31], -v[34:35], v[80:81], v[30:31]
	v_fma_f64 v[28:29], -v[34:35], v[82:83], v[28:29]
	;; [unrolled: 3-line block ×8, first 2 shown]
.LBB58_233:
	s_or_b32 exec_lo, exec_lo, s0
	v_lshl_add_u32 v0, v75, 3, v72
	s_barrier
	buffer_gl0_inv
	v_mov_b32_e32 v66, 14
	ds_write_b64 v0, v[36:37]
	s_waitcnt lgkmcnt(0)
	s_barrier
	buffer_gl0_inv
	ds_read_b64 v[0:1], v72 offset:112
	s_cmp_lt_i32 s7, 16
	s_cbranch_scc1 .LBB58_236
; %bb.234:
	v_add3_u32 v67, v73, 0, 0x78
	v_mov_b32_e32 v66, 14
	s_mov_b32 s0, 15
.LBB58_235:                             ; =>This Inner Loop Header: Depth=1
	ds_read_b64 v[76:77], v67
	v_add_nc_u32_e32 v67, 8, v67
	s_waitcnt lgkmcnt(0)
	v_cmp_lt_f64_e64 vcc_lo, |v[0:1]|, |v[76:77]|
	v_cndmask_b32_e32 v1, v1, v77, vcc_lo
	v_cndmask_b32_e32 v0, v0, v76, vcc_lo
	v_cndmask_b32_e64 v66, v66, s0, vcc_lo
	s_add_i32 s0, s0, 1
	s_cmp_lg_u32 s7, s0
	s_cbranch_scc1 .LBB58_235
.LBB58_236:
	s_mov_b32 s0, exec_lo
	s_waitcnt lgkmcnt(0)
	v_cmpx_eq_f64_e32 0, v[0:1]
	s_xor_b32 s0, exec_lo, s0
; %bb.237:
	v_cmp_ne_u32_e32 vcc_lo, 0, v74
	v_cndmask_b32_e32 v74, 15, v74, vcc_lo
; %bb.238:
	s_andn2_saveexec_b32 s0, s0
	s_cbranch_execz .LBB58_240
; %bb.239:
	v_div_scale_f64 v[67:68], null, v[0:1], v[0:1], 1.0
	v_rcp_f64_e32 v[76:77], v[67:68]
	v_fma_f64 v[78:79], -v[67:68], v[76:77], 1.0
	v_fma_f64 v[76:77], v[76:77], v[78:79], v[76:77]
	v_fma_f64 v[78:79], -v[67:68], v[76:77], 1.0
	v_fma_f64 v[76:77], v[76:77], v[78:79], v[76:77]
	v_div_scale_f64 v[78:79], vcc_lo, 1.0, v[0:1], 1.0
	v_mul_f64 v[80:81], v[78:79], v[76:77]
	v_fma_f64 v[67:68], -v[67:68], v[80:81], v[78:79]
	v_div_fmas_f64 v[67:68], v[67:68], v[76:77], v[80:81]
	v_div_fixup_f64 v[0:1], v[67:68], v[0:1], 1.0
.LBB58_240:
	s_or_b32 exec_lo, exec_lo, s0
	s_mov_b32 s0, exec_lo
	v_cmpx_ne_u32_e64 v75, v66
	s_xor_b32 s0, exec_lo, s0
	s_cbranch_execz .LBB58_246
; %bb.241:
	s_mov_b32 s1, exec_lo
	v_cmpx_eq_u32_e32 14, v75
	s_cbranch_execz .LBB58_245
; %bb.242:
	v_cmp_ne_u32_e32 vcc_lo, 14, v66
	s_xor_b32 s2, s6, -1
	s_and_b32 s3, s2, vcc_lo
	s_and_saveexec_b32 s2, s3
	s_cbranch_execz .LBB58_244
; %bb.243:
	v_ashrrev_i32_e32 v67, 31, v66
	v_lshlrev_b64 v[67:68], 2, v[66:67]
	v_add_co_u32 v67, vcc_lo, v4, v67
	v_add_co_ci_u32_e64 v68, null, v5, v68, vcc_lo
	s_clause 0x1
	global_load_dword v69, v[67:68], off
	global_load_dword v75, v[4:5], off offset:56
	s_waitcnt vmcnt(1)
	global_store_dword v[4:5], v69, off offset:56
	s_waitcnt vmcnt(0)
	global_store_dword v[67:68], v75, off
.LBB58_244:
	s_or_b32 exec_lo, exec_lo, s2
	v_mov_b32_e32 v69, v66
	v_mov_b32_e32 v75, v66
.LBB58_245:
	s_or_b32 exec_lo, exec_lo, s1
.LBB58_246:
	s_andn2_saveexec_b32 s0, s0
	s_cbranch_execz .LBB58_248
; %bb.247:
	v_mov_b32_e32 v75, 14
	ds_write2_b64 v72, v[32:33], v[30:31] offset0:15 offset1:16
	ds_write2_b64 v72, v[28:29], v[26:27] offset0:17 offset1:18
	;; [unrolled: 1-line block ×7, first 2 shown]
	ds_write_b64 v72, v[64:65] offset:232
.LBB58_248:
	s_or_b32 exec_lo, exec_lo, s0
	s_mov_b32 s0, exec_lo
	s_waitcnt lgkmcnt(0)
	s_waitcnt_vscnt null, 0x0
	s_barrier
	buffer_gl0_inv
	v_cmpx_lt_i32_e32 14, v75
	s_cbranch_execz .LBB58_250
; %bb.249:
	v_mul_f64 v[36:37], v[0:1], v[36:37]
	ds_read2_b64 v[76:79], v72 offset0:15 offset1:16
	ds_read2_b64 v[80:83], v72 offset0:17 offset1:18
	ds_read2_b64 v[84:87], v72 offset0:19 offset1:20
	ds_read2_b64 v[88:91], v72 offset0:21 offset1:22
	ds_read2_b64 v[92:95], v72 offset0:23 offset1:24
	ds_read2_b64 v[96:99], v72 offset0:25 offset1:26
	ds_read2_b64 v[100:103], v72 offset0:27 offset1:28
	ds_read_b64 v[0:1], v72 offset:232
	s_waitcnt lgkmcnt(7)
	v_fma_f64 v[32:33], -v[36:37], v[76:77], v[32:33]
	v_fma_f64 v[30:31], -v[36:37], v[78:79], v[30:31]
	s_waitcnt lgkmcnt(6)
	v_fma_f64 v[28:29], -v[36:37], v[80:81], v[28:29]
	v_fma_f64 v[26:27], -v[36:37], v[82:83], v[26:27]
	;; [unrolled: 3-line block ×7, first 2 shown]
	s_waitcnt lgkmcnt(0)
	v_fma_f64 v[64:65], -v[36:37], v[0:1], v[64:65]
.LBB58_250:
	s_or_b32 exec_lo, exec_lo, s0
	v_lshl_add_u32 v0, v75, 3, v72
	s_barrier
	buffer_gl0_inv
	v_mov_b32_e32 v66, 15
	ds_write_b64 v0, v[32:33]
	s_waitcnt lgkmcnt(0)
	s_barrier
	buffer_gl0_inv
	ds_read_b64 v[0:1], v72 offset:120
	s_cmp_lt_i32 s7, 17
	s_cbranch_scc1 .LBB58_253
; %bb.251:
	v_add3_u32 v67, v73, 0, 0x80
	v_mov_b32_e32 v66, 15
	s_mov_b32 s0, 16
.LBB58_252:                             ; =>This Inner Loop Header: Depth=1
	ds_read_b64 v[76:77], v67
	v_add_nc_u32_e32 v67, 8, v67
	s_waitcnt lgkmcnt(0)
	v_cmp_lt_f64_e64 vcc_lo, |v[0:1]|, |v[76:77]|
	v_cndmask_b32_e32 v1, v1, v77, vcc_lo
	v_cndmask_b32_e32 v0, v0, v76, vcc_lo
	v_cndmask_b32_e64 v66, v66, s0, vcc_lo
	s_add_i32 s0, s0, 1
	s_cmp_lg_u32 s7, s0
	s_cbranch_scc1 .LBB58_252
.LBB58_253:
	s_mov_b32 s0, exec_lo
	s_waitcnt lgkmcnt(0)
	v_cmpx_eq_f64_e32 0, v[0:1]
	s_xor_b32 s0, exec_lo, s0
; %bb.254:
	v_cmp_ne_u32_e32 vcc_lo, 0, v74
	v_cndmask_b32_e32 v74, 16, v74, vcc_lo
; %bb.255:
	s_andn2_saveexec_b32 s0, s0
	s_cbranch_execz .LBB58_257
; %bb.256:
	v_div_scale_f64 v[67:68], null, v[0:1], v[0:1], 1.0
	v_rcp_f64_e32 v[76:77], v[67:68]
	v_fma_f64 v[78:79], -v[67:68], v[76:77], 1.0
	v_fma_f64 v[76:77], v[76:77], v[78:79], v[76:77]
	v_fma_f64 v[78:79], -v[67:68], v[76:77], 1.0
	v_fma_f64 v[76:77], v[76:77], v[78:79], v[76:77]
	v_div_scale_f64 v[78:79], vcc_lo, 1.0, v[0:1], 1.0
	v_mul_f64 v[80:81], v[78:79], v[76:77]
	v_fma_f64 v[67:68], -v[67:68], v[80:81], v[78:79]
	v_div_fmas_f64 v[67:68], v[67:68], v[76:77], v[80:81]
	v_div_fixup_f64 v[0:1], v[67:68], v[0:1], 1.0
.LBB58_257:
	s_or_b32 exec_lo, exec_lo, s0
	s_mov_b32 s0, exec_lo
	v_cmpx_ne_u32_e64 v75, v66
	s_xor_b32 s0, exec_lo, s0
	s_cbranch_execz .LBB58_263
; %bb.258:
	s_mov_b32 s1, exec_lo
	v_cmpx_eq_u32_e32 15, v75
	s_cbranch_execz .LBB58_262
; %bb.259:
	v_cmp_ne_u32_e32 vcc_lo, 15, v66
	s_xor_b32 s2, s6, -1
	s_and_b32 s3, s2, vcc_lo
	s_and_saveexec_b32 s2, s3
	s_cbranch_execz .LBB58_261
; %bb.260:
	v_ashrrev_i32_e32 v67, 31, v66
	v_lshlrev_b64 v[67:68], 2, v[66:67]
	v_add_co_u32 v67, vcc_lo, v4, v67
	v_add_co_ci_u32_e64 v68, null, v5, v68, vcc_lo
	s_clause 0x1
	global_load_dword v69, v[67:68], off
	global_load_dword v75, v[4:5], off offset:60
	s_waitcnt vmcnt(1)
	global_store_dword v[4:5], v69, off offset:60
	s_waitcnt vmcnt(0)
	global_store_dword v[67:68], v75, off
.LBB58_261:
	s_or_b32 exec_lo, exec_lo, s2
	v_mov_b32_e32 v69, v66
	v_mov_b32_e32 v75, v66
.LBB58_262:
	s_or_b32 exec_lo, exec_lo, s1
.LBB58_263:
	s_andn2_saveexec_b32 s0, s0
	s_cbranch_execz .LBB58_265
; %bb.264:
	v_mov_b32_e32 v66, v30
	v_mov_b32_e32 v67, v31
	;; [unrolled: 1-line block ×12, first 2 shown]
	ds_write2_b64 v72, v[66:67], v[75:76] offset0:16 offset1:17
	ds_write2_b64 v72, v[77:78], v[79:80] offset0:18 offset1:19
	ds_write2_b64 v72, v[81:82], v[83:84] offset0:20 offset1:21
	v_mov_b32_e32 v66, v20
	v_mov_b32_e32 v67, v21
	;; [unrolled: 1-line block ×15, first 2 shown]
	ds_write2_b64 v72, v[66:67], v[76:77] offset0:22 offset1:23
	ds_write2_b64 v72, v[78:79], v[80:81] offset0:24 offset1:25
	;; [unrolled: 1-line block ×4, first 2 shown]
.LBB58_265:
	s_or_b32 exec_lo, exec_lo, s0
	s_mov_b32 s0, exec_lo
	s_waitcnt lgkmcnt(0)
	s_waitcnt_vscnt null, 0x0
	s_barrier
	buffer_gl0_inv
	v_cmpx_lt_i32_e32 15, v75
	s_cbranch_execz .LBB58_267
; %bb.266:
	v_mul_f64 v[32:33], v[0:1], v[32:33]
	ds_read2_b64 v[76:79], v72 offset0:16 offset1:17
	ds_read2_b64 v[80:83], v72 offset0:18 offset1:19
	;; [unrolled: 1-line block ×7, first 2 shown]
	s_waitcnt lgkmcnt(6)
	v_fma_f64 v[30:31], -v[32:33], v[76:77], v[30:31]
	v_fma_f64 v[28:29], -v[32:33], v[78:79], v[28:29]
	s_waitcnt lgkmcnt(5)
	v_fma_f64 v[26:27], -v[32:33], v[80:81], v[26:27]
	v_fma_f64 v[24:25], -v[32:33], v[82:83], v[24:25]
	;; [unrolled: 3-line block ×7, first 2 shown]
.LBB58_267:
	s_or_b32 exec_lo, exec_lo, s0
	v_lshl_add_u32 v0, v75, 3, v72
	s_barrier
	buffer_gl0_inv
	v_mov_b32_e32 v66, 16
	ds_write_b64 v0, v[30:31]
	s_waitcnt lgkmcnt(0)
	s_barrier
	buffer_gl0_inv
	ds_read_b64 v[0:1], v72 offset:128
	s_cmp_lt_i32 s7, 18
	s_cbranch_scc1 .LBB58_270
; %bb.268:
	v_add3_u32 v67, v73, 0, 0x88
	v_mov_b32_e32 v66, 16
	s_mov_b32 s0, 17
.LBB58_269:                             ; =>This Inner Loop Header: Depth=1
	ds_read_b64 v[76:77], v67
	v_add_nc_u32_e32 v67, 8, v67
	s_waitcnt lgkmcnt(0)
	v_cmp_lt_f64_e64 vcc_lo, |v[0:1]|, |v[76:77]|
	v_cndmask_b32_e32 v1, v1, v77, vcc_lo
	v_cndmask_b32_e32 v0, v0, v76, vcc_lo
	v_cndmask_b32_e64 v66, v66, s0, vcc_lo
	s_add_i32 s0, s0, 1
	s_cmp_lg_u32 s7, s0
	s_cbranch_scc1 .LBB58_269
.LBB58_270:
	s_mov_b32 s0, exec_lo
	s_waitcnt lgkmcnt(0)
	v_cmpx_eq_f64_e32 0, v[0:1]
	s_xor_b32 s0, exec_lo, s0
; %bb.271:
	v_cmp_ne_u32_e32 vcc_lo, 0, v74
	v_cndmask_b32_e32 v74, 17, v74, vcc_lo
; %bb.272:
	s_andn2_saveexec_b32 s0, s0
	s_cbranch_execz .LBB58_274
; %bb.273:
	v_div_scale_f64 v[67:68], null, v[0:1], v[0:1], 1.0
	v_rcp_f64_e32 v[76:77], v[67:68]
	v_fma_f64 v[78:79], -v[67:68], v[76:77], 1.0
	v_fma_f64 v[76:77], v[76:77], v[78:79], v[76:77]
	v_fma_f64 v[78:79], -v[67:68], v[76:77], 1.0
	v_fma_f64 v[76:77], v[76:77], v[78:79], v[76:77]
	v_div_scale_f64 v[78:79], vcc_lo, 1.0, v[0:1], 1.0
	v_mul_f64 v[80:81], v[78:79], v[76:77]
	v_fma_f64 v[67:68], -v[67:68], v[80:81], v[78:79]
	v_div_fmas_f64 v[67:68], v[67:68], v[76:77], v[80:81]
	v_div_fixup_f64 v[0:1], v[67:68], v[0:1], 1.0
.LBB58_274:
	s_or_b32 exec_lo, exec_lo, s0
	s_mov_b32 s0, exec_lo
	v_cmpx_ne_u32_e64 v75, v66
	s_xor_b32 s0, exec_lo, s0
	s_cbranch_execz .LBB58_280
; %bb.275:
	s_mov_b32 s1, exec_lo
	v_cmpx_eq_u32_e32 16, v75
	s_cbranch_execz .LBB58_279
; %bb.276:
	v_cmp_ne_u32_e32 vcc_lo, 16, v66
	s_xor_b32 s2, s6, -1
	s_and_b32 s3, s2, vcc_lo
	s_and_saveexec_b32 s2, s3
	s_cbranch_execz .LBB58_278
; %bb.277:
	v_ashrrev_i32_e32 v67, 31, v66
	v_lshlrev_b64 v[67:68], 2, v[66:67]
	v_add_co_u32 v67, vcc_lo, v4, v67
	v_add_co_ci_u32_e64 v68, null, v5, v68, vcc_lo
	s_clause 0x1
	global_load_dword v69, v[67:68], off
	global_load_dword v75, v[4:5], off offset:64
	s_waitcnt vmcnt(1)
	global_store_dword v[4:5], v69, off offset:64
	s_waitcnt vmcnt(0)
	global_store_dword v[67:68], v75, off
.LBB58_278:
	s_or_b32 exec_lo, exec_lo, s2
	v_mov_b32_e32 v69, v66
	v_mov_b32_e32 v75, v66
.LBB58_279:
	s_or_b32 exec_lo, exec_lo, s1
.LBB58_280:
	s_andn2_saveexec_b32 s0, s0
	s_cbranch_execz .LBB58_282
; %bb.281:
	v_mov_b32_e32 v75, 16
	ds_write2_b64 v72, v[28:29], v[26:27] offset0:17 offset1:18
	ds_write2_b64 v72, v[24:25], v[22:23] offset0:19 offset1:20
	;; [unrolled: 1-line block ×6, first 2 shown]
	ds_write_b64 v72, v[64:65] offset:232
.LBB58_282:
	s_or_b32 exec_lo, exec_lo, s0
	s_mov_b32 s0, exec_lo
	s_waitcnt lgkmcnt(0)
	s_waitcnt_vscnt null, 0x0
	s_barrier
	buffer_gl0_inv
	v_cmpx_lt_i32_e32 16, v75
	s_cbranch_execz .LBB58_284
; %bb.283:
	v_mul_f64 v[30:31], v[0:1], v[30:31]
	ds_read2_b64 v[76:79], v72 offset0:17 offset1:18
	ds_read2_b64 v[80:83], v72 offset0:19 offset1:20
	;; [unrolled: 1-line block ×6, first 2 shown]
	ds_read_b64 v[0:1], v72 offset:232
	s_waitcnt lgkmcnt(6)
	v_fma_f64 v[28:29], -v[30:31], v[76:77], v[28:29]
	v_fma_f64 v[26:27], -v[30:31], v[78:79], v[26:27]
	s_waitcnt lgkmcnt(5)
	v_fma_f64 v[24:25], -v[30:31], v[80:81], v[24:25]
	v_fma_f64 v[22:23], -v[30:31], v[82:83], v[22:23]
	;; [unrolled: 3-line block ×6, first 2 shown]
	s_waitcnt lgkmcnt(0)
	v_fma_f64 v[64:65], -v[30:31], v[0:1], v[64:65]
.LBB58_284:
	s_or_b32 exec_lo, exec_lo, s0
	v_lshl_add_u32 v0, v75, 3, v72
	s_barrier
	buffer_gl0_inv
	v_mov_b32_e32 v66, 17
	ds_write_b64 v0, v[28:29]
	s_waitcnt lgkmcnt(0)
	s_barrier
	buffer_gl0_inv
	ds_read_b64 v[0:1], v72 offset:136
	s_cmp_lt_i32 s7, 19
	s_cbranch_scc1 .LBB58_287
; %bb.285:
	v_add3_u32 v67, v73, 0, 0x90
	v_mov_b32_e32 v66, 17
	s_mov_b32 s0, 18
.LBB58_286:                             ; =>This Inner Loop Header: Depth=1
	ds_read_b64 v[76:77], v67
	v_add_nc_u32_e32 v67, 8, v67
	s_waitcnt lgkmcnt(0)
	v_cmp_lt_f64_e64 vcc_lo, |v[0:1]|, |v[76:77]|
	v_cndmask_b32_e32 v1, v1, v77, vcc_lo
	v_cndmask_b32_e32 v0, v0, v76, vcc_lo
	v_cndmask_b32_e64 v66, v66, s0, vcc_lo
	s_add_i32 s0, s0, 1
	s_cmp_lg_u32 s7, s0
	s_cbranch_scc1 .LBB58_286
.LBB58_287:
	s_mov_b32 s0, exec_lo
	s_waitcnt lgkmcnt(0)
	v_cmpx_eq_f64_e32 0, v[0:1]
	s_xor_b32 s0, exec_lo, s0
; %bb.288:
	v_cmp_ne_u32_e32 vcc_lo, 0, v74
	v_cndmask_b32_e32 v74, 18, v74, vcc_lo
; %bb.289:
	s_andn2_saveexec_b32 s0, s0
	s_cbranch_execz .LBB58_291
; %bb.290:
	v_div_scale_f64 v[67:68], null, v[0:1], v[0:1], 1.0
	v_rcp_f64_e32 v[76:77], v[67:68]
	v_fma_f64 v[78:79], -v[67:68], v[76:77], 1.0
	v_fma_f64 v[76:77], v[76:77], v[78:79], v[76:77]
	v_fma_f64 v[78:79], -v[67:68], v[76:77], 1.0
	v_fma_f64 v[76:77], v[76:77], v[78:79], v[76:77]
	v_div_scale_f64 v[78:79], vcc_lo, 1.0, v[0:1], 1.0
	v_mul_f64 v[80:81], v[78:79], v[76:77]
	v_fma_f64 v[67:68], -v[67:68], v[80:81], v[78:79]
	v_div_fmas_f64 v[67:68], v[67:68], v[76:77], v[80:81]
	v_div_fixup_f64 v[0:1], v[67:68], v[0:1], 1.0
.LBB58_291:
	s_or_b32 exec_lo, exec_lo, s0
	s_mov_b32 s0, exec_lo
	v_cmpx_ne_u32_e64 v75, v66
	s_xor_b32 s0, exec_lo, s0
	s_cbranch_execz .LBB58_297
; %bb.292:
	s_mov_b32 s1, exec_lo
	v_cmpx_eq_u32_e32 17, v75
	s_cbranch_execz .LBB58_296
; %bb.293:
	v_cmp_ne_u32_e32 vcc_lo, 17, v66
	s_xor_b32 s2, s6, -1
	s_and_b32 s3, s2, vcc_lo
	s_and_saveexec_b32 s2, s3
	s_cbranch_execz .LBB58_295
; %bb.294:
	v_ashrrev_i32_e32 v67, 31, v66
	v_lshlrev_b64 v[67:68], 2, v[66:67]
	v_add_co_u32 v67, vcc_lo, v4, v67
	v_add_co_ci_u32_e64 v68, null, v5, v68, vcc_lo
	s_clause 0x1
	global_load_dword v69, v[67:68], off
	global_load_dword v75, v[4:5], off offset:68
	s_waitcnt vmcnt(1)
	global_store_dword v[4:5], v69, off offset:68
	s_waitcnt vmcnt(0)
	global_store_dword v[67:68], v75, off
.LBB58_295:
	s_or_b32 exec_lo, exec_lo, s2
	v_mov_b32_e32 v69, v66
	v_mov_b32_e32 v75, v66
.LBB58_296:
	s_or_b32 exec_lo, exec_lo, s1
.LBB58_297:
	s_andn2_saveexec_b32 s0, s0
	s_cbranch_execz .LBB58_299
; %bb.298:
	v_mov_b32_e32 v66, v26
	v_mov_b32_e32 v67, v27
	;; [unrolled: 1-line block ×8, first 2 shown]
	ds_write2_b64 v72, v[66:67], v[75:76] offset0:18 offset1:19
	ds_write2_b64 v72, v[77:78], v[79:80] offset0:20 offset1:21
	v_mov_b32_e32 v66, v20
	v_mov_b32_e32 v67, v21
	;; [unrolled: 1-line block ×15, first 2 shown]
	ds_write2_b64 v72, v[66:67], v[76:77] offset0:22 offset1:23
	ds_write2_b64 v72, v[78:79], v[80:81] offset0:24 offset1:25
	ds_write2_b64 v72, v[82:83], v[84:85] offset0:26 offset1:27
	ds_write2_b64 v72, v[86:87], v[64:65] offset0:28 offset1:29
.LBB58_299:
	s_or_b32 exec_lo, exec_lo, s0
	s_mov_b32 s0, exec_lo
	s_waitcnt lgkmcnt(0)
	s_waitcnt_vscnt null, 0x0
	s_barrier
	buffer_gl0_inv
	v_cmpx_lt_i32_e32 17, v75
	s_cbranch_execz .LBB58_301
; %bb.300:
	v_mul_f64 v[28:29], v[0:1], v[28:29]
	ds_read2_b64 v[76:79], v72 offset0:18 offset1:19
	ds_read2_b64 v[80:83], v72 offset0:20 offset1:21
	;; [unrolled: 1-line block ×6, first 2 shown]
	s_waitcnt lgkmcnt(5)
	v_fma_f64 v[26:27], -v[28:29], v[76:77], v[26:27]
	v_fma_f64 v[24:25], -v[28:29], v[78:79], v[24:25]
	s_waitcnt lgkmcnt(4)
	v_fma_f64 v[22:23], -v[28:29], v[80:81], v[22:23]
	v_fma_f64 v[18:19], -v[28:29], v[82:83], v[18:19]
	;; [unrolled: 3-line block ×6, first 2 shown]
.LBB58_301:
	s_or_b32 exec_lo, exec_lo, s0
	v_lshl_add_u32 v0, v75, 3, v72
	s_barrier
	buffer_gl0_inv
	v_mov_b32_e32 v66, 18
	ds_write_b64 v0, v[26:27]
	s_waitcnt lgkmcnt(0)
	s_barrier
	buffer_gl0_inv
	ds_read_b64 v[0:1], v72 offset:144
	s_cmp_lt_i32 s7, 20
	s_cbranch_scc1 .LBB58_304
; %bb.302:
	v_add3_u32 v67, v73, 0, 0x98
	v_mov_b32_e32 v66, 18
	s_mov_b32 s0, 19
.LBB58_303:                             ; =>This Inner Loop Header: Depth=1
	ds_read_b64 v[76:77], v67
	v_add_nc_u32_e32 v67, 8, v67
	s_waitcnt lgkmcnt(0)
	v_cmp_lt_f64_e64 vcc_lo, |v[0:1]|, |v[76:77]|
	v_cndmask_b32_e32 v1, v1, v77, vcc_lo
	v_cndmask_b32_e32 v0, v0, v76, vcc_lo
	v_cndmask_b32_e64 v66, v66, s0, vcc_lo
	s_add_i32 s0, s0, 1
	s_cmp_lg_u32 s7, s0
	s_cbranch_scc1 .LBB58_303
.LBB58_304:
	s_mov_b32 s0, exec_lo
	s_waitcnt lgkmcnt(0)
	v_cmpx_eq_f64_e32 0, v[0:1]
	s_xor_b32 s0, exec_lo, s0
; %bb.305:
	v_cmp_ne_u32_e32 vcc_lo, 0, v74
	v_cndmask_b32_e32 v74, 19, v74, vcc_lo
; %bb.306:
	s_andn2_saveexec_b32 s0, s0
	s_cbranch_execz .LBB58_308
; %bb.307:
	v_div_scale_f64 v[67:68], null, v[0:1], v[0:1], 1.0
	v_rcp_f64_e32 v[76:77], v[67:68]
	v_fma_f64 v[78:79], -v[67:68], v[76:77], 1.0
	v_fma_f64 v[76:77], v[76:77], v[78:79], v[76:77]
	v_fma_f64 v[78:79], -v[67:68], v[76:77], 1.0
	v_fma_f64 v[76:77], v[76:77], v[78:79], v[76:77]
	v_div_scale_f64 v[78:79], vcc_lo, 1.0, v[0:1], 1.0
	v_mul_f64 v[80:81], v[78:79], v[76:77]
	v_fma_f64 v[67:68], -v[67:68], v[80:81], v[78:79]
	v_div_fmas_f64 v[67:68], v[67:68], v[76:77], v[80:81]
	v_div_fixup_f64 v[0:1], v[67:68], v[0:1], 1.0
.LBB58_308:
	s_or_b32 exec_lo, exec_lo, s0
	s_mov_b32 s0, exec_lo
	v_cmpx_ne_u32_e64 v75, v66
	s_xor_b32 s0, exec_lo, s0
	s_cbranch_execz .LBB58_314
; %bb.309:
	s_mov_b32 s1, exec_lo
	v_cmpx_eq_u32_e32 18, v75
	s_cbranch_execz .LBB58_313
; %bb.310:
	v_cmp_ne_u32_e32 vcc_lo, 18, v66
	s_xor_b32 s2, s6, -1
	s_and_b32 s3, s2, vcc_lo
	s_and_saveexec_b32 s2, s3
	s_cbranch_execz .LBB58_312
; %bb.311:
	v_ashrrev_i32_e32 v67, 31, v66
	v_lshlrev_b64 v[67:68], 2, v[66:67]
	v_add_co_u32 v67, vcc_lo, v4, v67
	v_add_co_ci_u32_e64 v68, null, v5, v68, vcc_lo
	s_clause 0x1
	global_load_dword v69, v[67:68], off
	global_load_dword v75, v[4:5], off offset:72
	s_waitcnt vmcnt(1)
	global_store_dword v[4:5], v69, off offset:72
	s_waitcnt vmcnt(0)
	global_store_dword v[67:68], v75, off
.LBB58_312:
	s_or_b32 exec_lo, exec_lo, s2
	v_mov_b32_e32 v69, v66
	v_mov_b32_e32 v75, v66
.LBB58_313:
	s_or_b32 exec_lo, exec_lo, s1
.LBB58_314:
	s_andn2_saveexec_b32 s0, s0
	s_cbranch_execz .LBB58_316
; %bb.315:
	v_mov_b32_e32 v75, 18
	ds_write2_b64 v72, v[24:25], v[22:23] offset0:19 offset1:20
	ds_write2_b64 v72, v[18:19], v[20:21] offset0:21 offset1:22
	;; [unrolled: 1-line block ×5, first 2 shown]
	ds_write_b64 v72, v[64:65] offset:232
.LBB58_316:
	s_or_b32 exec_lo, exec_lo, s0
	s_mov_b32 s0, exec_lo
	s_waitcnt lgkmcnt(0)
	s_waitcnt_vscnt null, 0x0
	s_barrier
	buffer_gl0_inv
	v_cmpx_lt_i32_e32 18, v75
	s_cbranch_execz .LBB58_318
; %bb.317:
	v_mul_f64 v[26:27], v[0:1], v[26:27]
	ds_read2_b64 v[76:79], v72 offset0:19 offset1:20
	ds_read2_b64 v[80:83], v72 offset0:21 offset1:22
	;; [unrolled: 1-line block ×5, first 2 shown]
	ds_read_b64 v[0:1], v72 offset:232
	s_waitcnt lgkmcnt(5)
	v_fma_f64 v[24:25], -v[26:27], v[76:77], v[24:25]
	v_fma_f64 v[22:23], -v[26:27], v[78:79], v[22:23]
	s_waitcnt lgkmcnt(4)
	v_fma_f64 v[18:19], -v[26:27], v[80:81], v[18:19]
	v_fma_f64 v[20:21], -v[26:27], v[82:83], v[20:21]
	;; [unrolled: 3-line block ×5, first 2 shown]
	s_waitcnt lgkmcnt(0)
	v_fma_f64 v[64:65], -v[26:27], v[0:1], v[64:65]
.LBB58_318:
	s_or_b32 exec_lo, exec_lo, s0
	v_lshl_add_u32 v0, v75, 3, v72
	s_barrier
	buffer_gl0_inv
	v_mov_b32_e32 v66, 19
	ds_write_b64 v0, v[24:25]
	s_waitcnt lgkmcnt(0)
	s_barrier
	buffer_gl0_inv
	ds_read_b64 v[0:1], v72 offset:152
	s_cmp_lt_i32 s7, 21
	s_cbranch_scc1 .LBB58_321
; %bb.319:
	v_add3_u32 v67, v73, 0, 0xa0
	v_mov_b32_e32 v66, 19
	s_mov_b32 s0, 20
.LBB58_320:                             ; =>This Inner Loop Header: Depth=1
	ds_read_b64 v[76:77], v67
	v_add_nc_u32_e32 v67, 8, v67
	s_waitcnt lgkmcnt(0)
	v_cmp_lt_f64_e64 vcc_lo, |v[0:1]|, |v[76:77]|
	v_cndmask_b32_e32 v1, v1, v77, vcc_lo
	v_cndmask_b32_e32 v0, v0, v76, vcc_lo
	v_cndmask_b32_e64 v66, v66, s0, vcc_lo
	s_add_i32 s0, s0, 1
	s_cmp_lg_u32 s7, s0
	s_cbranch_scc1 .LBB58_320
.LBB58_321:
	s_mov_b32 s0, exec_lo
	s_waitcnt lgkmcnt(0)
	v_cmpx_eq_f64_e32 0, v[0:1]
	s_xor_b32 s0, exec_lo, s0
; %bb.322:
	v_cmp_ne_u32_e32 vcc_lo, 0, v74
	v_cndmask_b32_e32 v74, 20, v74, vcc_lo
; %bb.323:
	s_andn2_saveexec_b32 s0, s0
	s_cbranch_execz .LBB58_325
; %bb.324:
	v_div_scale_f64 v[67:68], null, v[0:1], v[0:1], 1.0
	v_rcp_f64_e32 v[76:77], v[67:68]
	v_fma_f64 v[78:79], -v[67:68], v[76:77], 1.0
	v_fma_f64 v[76:77], v[76:77], v[78:79], v[76:77]
	v_fma_f64 v[78:79], -v[67:68], v[76:77], 1.0
	v_fma_f64 v[76:77], v[76:77], v[78:79], v[76:77]
	v_div_scale_f64 v[78:79], vcc_lo, 1.0, v[0:1], 1.0
	v_mul_f64 v[80:81], v[78:79], v[76:77]
	v_fma_f64 v[67:68], -v[67:68], v[80:81], v[78:79]
	v_div_fmas_f64 v[67:68], v[67:68], v[76:77], v[80:81]
	v_div_fixup_f64 v[0:1], v[67:68], v[0:1], 1.0
.LBB58_325:
	s_or_b32 exec_lo, exec_lo, s0
	s_mov_b32 s0, exec_lo
	v_cmpx_ne_u32_e64 v75, v66
	s_xor_b32 s0, exec_lo, s0
	s_cbranch_execz .LBB58_331
; %bb.326:
	s_mov_b32 s1, exec_lo
	v_cmpx_eq_u32_e32 19, v75
	s_cbranch_execz .LBB58_330
; %bb.327:
	v_cmp_ne_u32_e32 vcc_lo, 19, v66
	s_xor_b32 s2, s6, -1
	s_and_b32 s3, s2, vcc_lo
	s_and_saveexec_b32 s2, s3
	s_cbranch_execz .LBB58_329
; %bb.328:
	v_ashrrev_i32_e32 v67, 31, v66
	v_lshlrev_b64 v[67:68], 2, v[66:67]
	v_add_co_u32 v67, vcc_lo, v4, v67
	v_add_co_ci_u32_e64 v68, null, v5, v68, vcc_lo
	s_clause 0x1
	global_load_dword v69, v[67:68], off
	global_load_dword v75, v[4:5], off offset:76
	s_waitcnt vmcnt(1)
	global_store_dword v[4:5], v69, off offset:76
	s_waitcnt vmcnt(0)
	global_store_dword v[67:68], v75, off
.LBB58_329:
	s_or_b32 exec_lo, exec_lo, s2
	v_mov_b32_e32 v69, v66
	v_mov_b32_e32 v75, v66
.LBB58_330:
	s_or_b32 exec_lo, exec_lo, s1
.LBB58_331:
	s_andn2_saveexec_b32 s0, s0
	s_cbranch_execz .LBB58_333
; %bb.332:
	v_mov_b32_e32 v66, v22
	v_mov_b32_e32 v67, v23
	;; [unrolled: 1-line block ×8, first 2 shown]
	ds_write2_b64 v72, v[66:67], v[75:76] offset0:20 offset1:21
	v_mov_b32_e32 v66, v16
	v_mov_b32_e32 v67, v17
	;; [unrolled: 1-line block ×11, first 2 shown]
	ds_write2_b64 v72, v[77:78], v[66:67] offset0:22 offset1:23
	ds_write2_b64 v72, v[79:80], v[81:82] offset0:24 offset1:25
	;; [unrolled: 1-line block ×4, first 2 shown]
.LBB58_333:
	s_or_b32 exec_lo, exec_lo, s0
	s_mov_b32 s0, exec_lo
	s_waitcnt lgkmcnt(0)
	s_waitcnt_vscnt null, 0x0
	s_barrier
	buffer_gl0_inv
	v_cmpx_lt_i32_e32 19, v75
	s_cbranch_execz .LBB58_335
; %bb.334:
	v_mul_f64 v[24:25], v[0:1], v[24:25]
	ds_read2_b64 v[76:79], v72 offset0:20 offset1:21
	ds_read2_b64 v[80:83], v72 offset0:22 offset1:23
	;; [unrolled: 1-line block ×5, first 2 shown]
	s_waitcnt lgkmcnt(4)
	v_fma_f64 v[22:23], -v[24:25], v[76:77], v[22:23]
	v_fma_f64 v[18:19], -v[24:25], v[78:79], v[18:19]
	s_waitcnt lgkmcnt(3)
	v_fma_f64 v[20:21], -v[24:25], v[80:81], v[20:21]
	v_fma_f64 v[16:17], -v[24:25], v[82:83], v[16:17]
	s_waitcnt lgkmcnt(2)
	v_fma_f64 v[14:15], -v[24:25], v[84:85], v[14:15]
	v_fma_f64 v[8:9], -v[24:25], v[86:87], v[8:9]
	s_waitcnt lgkmcnt(1)
	v_fma_f64 v[12:13], -v[24:25], v[88:89], v[12:13]
	v_fma_f64 v[6:7], -v[24:25], v[90:91], v[6:7]
	s_waitcnt lgkmcnt(0)
	v_fma_f64 v[10:11], -v[24:25], v[92:93], v[10:11]
	v_fma_f64 v[64:65], -v[24:25], v[94:95], v[64:65]
.LBB58_335:
	s_or_b32 exec_lo, exec_lo, s0
	v_lshl_add_u32 v0, v75, 3, v72
	s_barrier
	buffer_gl0_inv
	v_mov_b32_e32 v66, 20
	ds_write_b64 v0, v[22:23]
	s_waitcnt lgkmcnt(0)
	s_barrier
	buffer_gl0_inv
	ds_read_b64 v[0:1], v72 offset:160
	s_cmp_lt_i32 s7, 22
	s_cbranch_scc1 .LBB58_338
; %bb.336:
	v_add3_u32 v67, v73, 0, 0xa8
	v_mov_b32_e32 v66, 20
	s_mov_b32 s0, 21
.LBB58_337:                             ; =>This Inner Loop Header: Depth=1
	ds_read_b64 v[76:77], v67
	v_add_nc_u32_e32 v67, 8, v67
	s_waitcnt lgkmcnt(0)
	v_cmp_lt_f64_e64 vcc_lo, |v[0:1]|, |v[76:77]|
	v_cndmask_b32_e32 v1, v1, v77, vcc_lo
	v_cndmask_b32_e32 v0, v0, v76, vcc_lo
	v_cndmask_b32_e64 v66, v66, s0, vcc_lo
	s_add_i32 s0, s0, 1
	s_cmp_lg_u32 s7, s0
	s_cbranch_scc1 .LBB58_337
.LBB58_338:
	s_mov_b32 s0, exec_lo
	s_waitcnt lgkmcnt(0)
	v_cmpx_eq_f64_e32 0, v[0:1]
	s_xor_b32 s0, exec_lo, s0
; %bb.339:
	v_cmp_ne_u32_e32 vcc_lo, 0, v74
	v_cndmask_b32_e32 v74, 21, v74, vcc_lo
; %bb.340:
	s_andn2_saveexec_b32 s0, s0
	s_cbranch_execz .LBB58_342
; %bb.341:
	v_div_scale_f64 v[67:68], null, v[0:1], v[0:1], 1.0
	v_rcp_f64_e32 v[76:77], v[67:68]
	v_fma_f64 v[78:79], -v[67:68], v[76:77], 1.0
	v_fma_f64 v[76:77], v[76:77], v[78:79], v[76:77]
	v_fma_f64 v[78:79], -v[67:68], v[76:77], 1.0
	v_fma_f64 v[76:77], v[76:77], v[78:79], v[76:77]
	v_div_scale_f64 v[78:79], vcc_lo, 1.0, v[0:1], 1.0
	v_mul_f64 v[80:81], v[78:79], v[76:77]
	v_fma_f64 v[67:68], -v[67:68], v[80:81], v[78:79]
	v_div_fmas_f64 v[67:68], v[67:68], v[76:77], v[80:81]
	v_div_fixup_f64 v[0:1], v[67:68], v[0:1], 1.0
.LBB58_342:
	s_or_b32 exec_lo, exec_lo, s0
	s_mov_b32 s0, exec_lo
	v_cmpx_ne_u32_e64 v75, v66
	s_xor_b32 s0, exec_lo, s0
	s_cbranch_execz .LBB58_348
; %bb.343:
	s_mov_b32 s1, exec_lo
	v_cmpx_eq_u32_e32 20, v75
	s_cbranch_execz .LBB58_347
; %bb.344:
	v_cmp_ne_u32_e32 vcc_lo, 20, v66
	s_xor_b32 s2, s6, -1
	s_and_b32 s3, s2, vcc_lo
	s_and_saveexec_b32 s2, s3
	s_cbranch_execz .LBB58_346
; %bb.345:
	v_ashrrev_i32_e32 v67, 31, v66
	v_lshlrev_b64 v[67:68], 2, v[66:67]
	v_add_co_u32 v67, vcc_lo, v4, v67
	v_add_co_ci_u32_e64 v68, null, v5, v68, vcc_lo
	s_clause 0x1
	global_load_dword v69, v[67:68], off
	global_load_dword v75, v[4:5], off offset:80
	s_waitcnt vmcnt(1)
	global_store_dword v[4:5], v69, off offset:80
	s_waitcnt vmcnt(0)
	global_store_dword v[67:68], v75, off
.LBB58_346:
	s_or_b32 exec_lo, exec_lo, s2
	v_mov_b32_e32 v69, v66
	v_mov_b32_e32 v75, v66
.LBB58_347:
	s_or_b32 exec_lo, exec_lo, s1
.LBB58_348:
	s_andn2_saveexec_b32 s0, s0
	s_cbranch_execz .LBB58_350
; %bb.349:
	v_mov_b32_e32 v75, 20
	ds_write2_b64 v72, v[18:19], v[20:21] offset0:21 offset1:22
	ds_write2_b64 v72, v[16:17], v[14:15] offset0:23 offset1:24
	;; [unrolled: 1-line block ×4, first 2 shown]
	ds_write_b64 v72, v[64:65] offset:232
.LBB58_350:
	s_or_b32 exec_lo, exec_lo, s0
	s_mov_b32 s0, exec_lo
	s_waitcnt lgkmcnt(0)
	s_waitcnt_vscnt null, 0x0
	s_barrier
	buffer_gl0_inv
	v_cmpx_lt_i32_e32 20, v75
	s_cbranch_execz .LBB58_352
; %bb.351:
	v_mul_f64 v[22:23], v[0:1], v[22:23]
	ds_read2_b64 v[76:79], v72 offset0:21 offset1:22
	ds_read2_b64 v[80:83], v72 offset0:23 offset1:24
	ds_read2_b64 v[84:87], v72 offset0:25 offset1:26
	ds_read2_b64 v[88:91], v72 offset0:27 offset1:28
	ds_read_b64 v[0:1], v72 offset:232
	s_waitcnt lgkmcnt(4)
	v_fma_f64 v[18:19], -v[22:23], v[76:77], v[18:19]
	v_fma_f64 v[20:21], -v[22:23], v[78:79], v[20:21]
	s_waitcnt lgkmcnt(3)
	v_fma_f64 v[16:17], -v[22:23], v[80:81], v[16:17]
	v_fma_f64 v[14:15], -v[22:23], v[82:83], v[14:15]
	;; [unrolled: 3-line block ×4, first 2 shown]
	s_waitcnt lgkmcnt(0)
	v_fma_f64 v[64:65], -v[22:23], v[0:1], v[64:65]
.LBB58_352:
	s_or_b32 exec_lo, exec_lo, s0
	v_lshl_add_u32 v0, v75, 3, v72
	s_barrier
	buffer_gl0_inv
	v_mov_b32_e32 v66, 21
	ds_write_b64 v0, v[18:19]
	s_waitcnt lgkmcnt(0)
	s_barrier
	buffer_gl0_inv
	ds_read_b64 v[0:1], v72 offset:168
	s_cmp_lt_i32 s7, 23
	s_cbranch_scc1 .LBB58_355
; %bb.353:
	v_add3_u32 v67, v73, 0, 0xb0
	v_mov_b32_e32 v66, 21
	s_mov_b32 s0, 22
.LBB58_354:                             ; =>This Inner Loop Header: Depth=1
	ds_read_b64 v[76:77], v67
	v_add_nc_u32_e32 v67, 8, v67
	s_waitcnt lgkmcnt(0)
	v_cmp_lt_f64_e64 vcc_lo, |v[0:1]|, |v[76:77]|
	v_cndmask_b32_e32 v1, v1, v77, vcc_lo
	v_cndmask_b32_e32 v0, v0, v76, vcc_lo
	v_cndmask_b32_e64 v66, v66, s0, vcc_lo
	s_add_i32 s0, s0, 1
	s_cmp_lg_u32 s7, s0
	s_cbranch_scc1 .LBB58_354
.LBB58_355:
	s_mov_b32 s0, exec_lo
	s_waitcnt lgkmcnt(0)
	v_cmpx_eq_f64_e32 0, v[0:1]
	s_xor_b32 s0, exec_lo, s0
; %bb.356:
	v_cmp_ne_u32_e32 vcc_lo, 0, v74
	v_cndmask_b32_e32 v74, 22, v74, vcc_lo
; %bb.357:
	s_andn2_saveexec_b32 s0, s0
	s_cbranch_execz .LBB58_359
; %bb.358:
	v_div_scale_f64 v[67:68], null, v[0:1], v[0:1], 1.0
	v_rcp_f64_e32 v[76:77], v[67:68]
	v_fma_f64 v[78:79], -v[67:68], v[76:77], 1.0
	v_fma_f64 v[76:77], v[76:77], v[78:79], v[76:77]
	v_fma_f64 v[78:79], -v[67:68], v[76:77], 1.0
	v_fma_f64 v[76:77], v[76:77], v[78:79], v[76:77]
	v_div_scale_f64 v[78:79], vcc_lo, 1.0, v[0:1], 1.0
	v_mul_f64 v[80:81], v[78:79], v[76:77]
	v_fma_f64 v[67:68], -v[67:68], v[80:81], v[78:79]
	v_div_fmas_f64 v[67:68], v[67:68], v[76:77], v[80:81]
	v_div_fixup_f64 v[0:1], v[67:68], v[0:1], 1.0
.LBB58_359:
	s_or_b32 exec_lo, exec_lo, s0
	s_mov_b32 s0, exec_lo
	v_cmpx_ne_u32_e64 v75, v66
	s_xor_b32 s0, exec_lo, s0
	s_cbranch_execz .LBB58_365
; %bb.360:
	s_mov_b32 s1, exec_lo
	v_cmpx_eq_u32_e32 21, v75
	s_cbranch_execz .LBB58_364
; %bb.361:
	v_cmp_ne_u32_e32 vcc_lo, 21, v66
	s_xor_b32 s2, s6, -1
	s_and_b32 s3, s2, vcc_lo
	s_and_saveexec_b32 s2, s3
	s_cbranch_execz .LBB58_363
; %bb.362:
	v_ashrrev_i32_e32 v67, 31, v66
	v_lshlrev_b64 v[67:68], 2, v[66:67]
	v_add_co_u32 v67, vcc_lo, v4, v67
	v_add_co_ci_u32_e64 v68, null, v5, v68, vcc_lo
	s_clause 0x1
	global_load_dword v69, v[67:68], off
	global_load_dword v75, v[4:5], off offset:84
	s_waitcnt vmcnt(1)
	global_store_dword v[4:5], v69, off offset:84
	s_waitcnt vmcnt(0)
	global_store_dword v[67:68], v75, off
.LBB58_363:
	s_or_b32 exec_lo, exec_lo, s2
	v_mov_b32_e32 v69, v66
	v_mov_b32_e32 v75, v66
.LBB58_364:
	s_or_b32 exec_lo, exec_lo, s1
.LBB58_365:
	s_andn2_saveexec_b32 s0, s0
	s_cbranch_execz .LBB58_367
; %bb.366:
	v_mov_b32_e32 v66, v20
	v_mov_b32_e32 v67, v21
	;; [unrolled: 1-line block ×15, first 2 shown]
	ds_write2_b64 v72, v[66:67], v[76:77] offset0:22 offset1:23
	ds_write2_b64 v72, v[78:79], v[80:81] offset0:24 offset1:25
	;; [unrolled: 1-line block ×4, first 2 shown]
.LBB58_367:
	s_or_b32 exec_lo, exec_lo, s0
	s_mov_b32 s0, exec_lo
	s_waitcnt lgkmcnt(0)
	s_waitcnt_vscnt null, 0x0
	s_barrier
	buffer_gl0_inv
	v_cmpx_lt_i32_e32 21, v75
	s_cbranch_execz .LBB58_369
; %bb.368:
	v_mul_f64 v[18:19], v[0:1], v[18:19]
	ds_read2_b64 v[76:79], v72 offset0:22 offset1:23
	ds_read2_b64 v[80:83], v72 offset0:24 offset1:25
	ds_read2_b64 v[84:87], v72 offset0:26 offset1:27
	ds_read2_b64 v[88:91], v72 offset0:28 offset1:29
	s_waitcnt lgkmcnt(3)
	v_fma_f64 v[20:21], -v[18:19], v[76:77], v[20:21]
	v_fma_f64 v[16:17], -v[18:19], v[78:79], v[16:17]
	s_waitcnt lgkmcnt(2)
	v_fma_f64 v[14:15], -v[18:19], v[80:81], v[14:15]
	v_fma_f64 v[8:9], -v[18:19], v[82:83], v[8:9]
	s_waitcnt lgkmcnt(1)
	v_fma_f64 v[12:13], -v[18:19], v[84:85], v[12:13]
	v_fma_f64 v[6:7], -v[18:19], v[86:87], v[6:7]
	s_waitcnt lgkmcnt(0)
	v_fma_f64 v[10:11], -v[18:19], v[88:89], v[10:11]
	v_fma_f64 v[64:65], -v[18:19], v[90:91], v[64:65]
.LBB58_369:
	s_or_b32 exec_lo, exec_lo, s0
	v_lshl_add_u32 v0, v75, 3, v72
	s_barrier
	buffer_gl0_inv
	v_mov_b32_e32 v66, 22
	ds_write_b64 v0, v[20:21]
	s_waitcnt lgkmcnt(0)
	s_barrier
	buffer_gl0_inv
	ds_read_b64 v[0:1], v72 offset:176
	s_cmp_lt_i32 s7, 24
	s_cbranch_scc1 .LBB58_372
; %bb.370:
	v_add3_u32 v67, v73, 0, 0xb8
	v_mov_b32_e32 v66, 22
	s_mov_b32 s0, 23
.LBB58_371:                             ; =>This Inner Loop Header: Depth=1
	ds_read_b64 v[76:77], v67
	v_add_nc_u32_e32 v67, 8, v67
	s_waitcnt lgkmcnt(0)
	v_cmp_lt_f64_e64 vcc_lo, |v[0:1]|, |v[76:77]|
	v_cndmask_b32_e32 v1, v1, v77, vcc_lo
	v_cndmask_b32_e32 v0, v0, v76, vcc_lo
	v_cndmask_b32_e64 v66, v66, s0, vcc_lo
	s_add_i32 s0, s0, 1
	s_cmp_lg_u32 s7, s0
	s_cbranch_scc1 .LBB58_371
.LBB58_372:
	s_mov_b32 s0, exec_lo
	s_waitcnt lgkmcnt(0)
	v_cmpx_eq_f64_e32 0, v[0:1]
	s_xor_b32 s0, exec_lo, s0
; %bb.373:
	v_cmp_ne_u32_e32 vcc_lo, 0, v74
	v_cndmask_b32_e32 v74, 23, v74, vcc_lo
; %bb.374:
	s_andn2_saveexec_b32 s0, s0
	s_cbranch_execz .LBB58_376
; %bb.375:
	v_div_scale_f64 v[67:68], null, v[0:1], v[0:1], 1.0
	v_rcp_f64_e32 v[76:77], v[67:68]
	v_fma_f64 v[78:79], -v[67:68], v[76:77], 1.0
	v_fma_f64 v[76:77], v[76:77], v[78:79], v[76:77]
	v_fma_f64 v[78:79], -v[67:68], v[76:77], 1.0
	v_fma_f64 v[76:77], v[76:77], v[78:79], v[76:77]
	v_div_scale_f64 v[78:79], vcc_lo, 1.0, v[0:1], 1.0
	v_mul_f64 v[80:81], v[78:79], v[76:77]
	v_fma_f64 v[67:68], -v[67:68], v[80:81], v[78:79]
	v_div_fmas_f64 v[67:68], v[67:68], v[76:77], v[80:81]
	v_div_fixup_f64 v[0:1], v[67:68], v[0:1], 1.0
.LBB58_376:
	s_or_b32 exec_lo, exec_lo, s0
	s_mov_b32 s0, exec_lo
	v_cmpx_ne_u32_e64 v75, v66
	s_xor_b32 s0, exec_lo, s0
	s_cbranch_execz .LBB58_382
; %bb.377:
	s_mov_b32 s1, exec_lo
	v_cmpx_eq_u32_e32 22, v75
	s_cbranch_execz .LBB58_381
; %bb.378:
	v_cmp_ne_u32_e32 vcc_lo, 22, v66
	s_xor_b32 s2, s6, -1
	s_and_b32 s3, s2, vcc_lo
	s_and_saveexec_b32 s2, s3
	s_cbranch_execz .LBB58_380
; %bb.379:
	v_ashrrev_i32_e32 v67, 31, v66
	v_lshlrev_b64 v[67:68], 2, v[66:67]
	v_add_co_u32 v67, vcc_lo, v4, v67
	v_add_co_ci_u32_e64 v68, null, v5, v68, vcc_lo
	s_clause 0x1
	global_load_dword v69, v[67:68], off
	global_load_dword v75, v[4:5], off offset:88
	s_waitcnt vmcnt(1)
	global_store_dword v[4:5], v69, off offset:88
	s_waitcnt vmcnt(0)
	global_store_dword v[67:68], v75, off
.LBB58_380:
	s_or_b32 exec_lo, exec_lo, s2
	v_mov_b32_e32 v69, v66
	v_mov_b32_e32 v75, v66
.LBB58_381:
	s_or_b32 exec_lo, exec_lo, s1
.LBB58_382:
	s_andn2_saveexec_b32 s0, s0
	s_cbranch_execz .LBB58_384
; %bb.383:
	v_mov_b32_e32 v75, 22
	ds_write2_b64 v72, v[16:17], v[14:15] offset0:23 offset1:24
	ds_write2_b64 v72, v[8:9], v[12:13] offset0:25 offset1:26
	;; [unrolled: 1-line block ×3, first 2 shown]
	ds_write_b64 v72, v[64:65] offset:232
.LBB58_384:
	s_or_b32 exec_lo, exec_lo, s0
	s_mov_b32 s0, exec_lo
	s_waitcnt lgkmcnt(0)
	s_waitcnt_vscnt null, 0x0
	s_barrier
	buffer_gl0_inv
	v_cmpx_lt_i32_e32 22, v75
	s_cbranch_execz .LBB58_386
; %bb.385:
	v_mul_f64 v[20:21], v[0:1], v[20:21]
	ds_read2_b64 v[76:79], v72 offset0:23 offset1:24
	ds_read2_b64 v[80:83], v72 offset0:25 offset1:26
	;; [unrolled: 1-line block ×3, first 2 shown]
	ds_read_b64 v[0:1], v72 offset:232
	s_waitcnt lgkmcnt(3)
	v_fma_f64 v[16:17], -v[20:21], v[76:77], v[16:17]
	v_fma_f64 v[14:15], -v[20:21], v[78:79], v[14:15]
	s_waitcnt lgkmcnt(2)
	v_fma_f64 v[8:9], -v[20:21], v[80:81], v[8:9]
	v_fma_f64 v[12:13], -v[20:21], v[82:83], v[12:13]
	;; [unrolled: 3-line block ×3, first 2 shown]
	s_waitcnt lgkmcnt(0)
	v_fma_f64 v[64:65], -v[20:21], v[0:1], v[64:65]
.LBB58_386:
	s_or_b32 exec_lo, exec_lo, s0
	v_lshl_add_u32 v0, v75, 3, v72
	s_barrier
	buffer_gl0_inv
	v_mov_b32_e32 v66, 23
	ds_write_b64 v0, v[16:17]
	s_waitcnt lgkmcnt(0)
	s_barrier
	buffer_gl0_inv
	ds_read_b64 v[0:1], v72 offset:184
	s_cmp_lt_i32 s7, 25
	s_cbranch_scc1 .LBB58_389
; %bb.387:
	v_add3_u32 v67, v73, 0, 0xc0
	v_mov_b32_e32 v66, 23
	s_mov_b32 s0, 24
.LBB58_388:                             ; =>This Inner Loop Header: Depth=1
	ds_read_b64 v[76:77], v67
	v_add_nc_u32_e32 v67, 8, v67
	s_waitcnt lgkmcnt(0)
	v_cmp_lt_f64_e64 vcc_lo, |v[0:1]|, |v[76:77]|
	v_cndmask_b32_e32 v1, v1, v77, vcc_lo
	v_cndmask_b32_e32 v0, v0, v76, vcc_lo
	v_cndmask_b32_e64 v66, v66, s0, vcc_lo
	s_add_i32 s0, s0, 1
	s_cmp_lg_u32 s7, s0
	s_cbranch_scc1 .LBB58_388
.LBB58_389:
	s_mov_b32 s0, exec_lo
	s_waitcnt lgkmcnt(0)
	v_cmpx_eq_f64_e32 0, v[0:1]
	s_xor_b32 s0, exec_lo, s0
; %bb.390:
	v_cmp_ne_u32_e32 vcc_lo, 0, v74
	v_cndmask_b32_e32 v74, 24, v74, vcc_lo
; %bb.391:
	s_andn2_saveexec_b32 s0, s0
	s_cbranch_execz .LBB58_393
; %bb.392:
	v_div_scale_f64 v[67:68], null, v[0:1], v[0:1], 1.0
	v_rcp_f64_e32 v[76:77], v[67:68]
	v_fma_f64 v[78:79], -v[67:68], v[76:77], 1.0
	v_fma_f64 v[76:77], v[76:77], v[78:79], v[76:77]
	v_fma_f64 v[78:79], -v[67:68], v[76:77], 1.0
	v_fma_f64 v[76:77], v[76:77], v[78:79], v[76:77]
	v_div_scale_f64 v[78:79], vcc_lo, 1.0, v[0:1], 1.0
	v_mul_f64 v[80:81], v[78:79], v[76:77]
	v_fma_f64 v[67:68], -v[67:68], v[80:81], v[78:79]
	v_div_fmas_f64 v[67:68], v[67:68], v[76:77], v[80:81]
	v_div_fixup_f64 v[0:1], v[67:68], v[0:1], 1.0
.LBB58_393:
	s_or_b32 exec_lo, exec_lo, s0
	s_mov_b32 s0, exec_lo
	v_cmpx_ne_u32_e64 v75, v66
	s_xor_b32 s0, exec_lo, s0
	s_cbranch_execz .LBB58_399
; %bb.394:
	s_mov_b32 s1, exec_lo
	v_cmpx_eq_u32_e32 23, v75
	s_cbranch_execz .LBB58_398
; %bb.395:
	v_cmp_ne_u32_e32 vcc_lo, 23, v66
	s_xor_b32 s2, s6, -1
	s_and_b32 s3, s2, vcc_lo
	s_and_saveexec_b32 s2, s3
	s_cbranch_execz .LBB58_397
; %bb.396:
	v_ashrrev_i32_e32 v67, 31, v66
	v_lshlrev_b64 v[67:68], 2, v[66:67]
	v_add_co_u32 v67, vcc_lo, v4, v67
	v_add_co_ci_u32_e64 v68, null, v5, v68, vcc_lo
	s_clause 0x1
	global_load_dword v69, v[67:68], off
	global_load_dword v75, v[4:5], off offset:92
	s_waitcnt vmcnt(1)
	global_store_dword v[4:5], v69, off offset:92
	s_waitcnt vmcnt(0)
	global_store_dword v[67:68], v75, off
.LBB58_397:
	s_or_b32 exec_lo, exec_lo, s2
	v_mov_b32_e32 v69, v66
	v_mov_b32_e32 v75, v66
.LBB58_398:
	s_or_b32 exec_lo, exec_lo, s1
.LBB58_399:
	s_andn2_saveexec_b32 s0, s0
	s_cbranch_execz .LBB58_401
; %bb.400:
	v_mov_b32_e32 v66, v14
	v_mov_b32_e32 v67, v15
	;; [unrolled: 1-line block ×11, first 2 shown]
	ds_write2_b64 v72, v[66:67], v[76:77] offset0:24 offset1:25
	ds_write2_b64 v72, v[78:79], v[80:81] offset0:26 offset1:27
	;; [unrolled: 1-line block ×3, first 2 shown]
.LBB58_401:
	s_or_b32 exec_lo, exec_lo, s0
	s_mov_b32 s0, exec_lo
	s_waitcnt lgkmcnt(0)
	s_waitcnt_vscnt null, 0x0
	s_barrier
	buffer_gl0_inv
	v_cmpx_lt_i32_e32 23, v75
	s_cbranch_execz .LBB58_403
; %bb.402:
	v_mul_f64 v[16:17], v[0:1], v[16:17]
	ds_read2_b64 v[76:79], v72 offset0:24 offset1:25
	ds_read2_b64 v[80:83], v72 offset0:26 offset1:27
	;; [unrolled: 1-line block ×3, first 2 shown]
	s_waitcnt lgkmcnt(2)
	v_fma_f64 v[14:15], -v[16:17], v[76:77], v[14:15]
	v_fma_f64 v[8:9], -v[16:17], v[78:79], v[8:9]
	s_waitcnt lgkmcnt(1)
	v_fma_f64 v[12:13], -v[16:17], v[80:81], v[12:13]
	v_fma_f64 v[6:7], -v[16:17], v[82:83], v[6:7]
	s_waitcnt lgkmcnt(0)
	v_fma_f64 v[10:11], -v[16:17], v[84:85], v[10:11]
	v_fma_f64 v[64:65], -v[16:17], v[86:87], v[64:65]
.LBB58_403:
	s_or_b32 exec_lo, exec_lo, s0
	v_lshl_add_u32 v0, v75, 3, v72
	s_barrier
	buffer_gl0_inv
	v_mov_b32_e32 v66, 24
	ds_write_b64 v0, v[14:15]
	s_waitcnt lgkmcnt(0)
	s_barrier
	buffer_gl0_inv
	ds_read_b64 v[0:1], v72 offset:192
	s_cmp_lt_i32 s7, 26
	s_cbranch_scc1 .LBB58_406
; %bb.404:
	v_add3_u32 v67, v73, 0, 0xc8
	v_mov_b32_e32 v66, 24
	s_mov_b32 s0, 25
.LBB58_405:                             ; =>This Inner Loop Header: Depth=1
	ds_read_b64 v[76:77], v67
	v_add_nc_u32_e32 v67, 8, v67
	s_waitcnt lgkmcnt(0)
	v_cmp_lt_f64_e64 vcc_lo, |v[0:1]|, |v[76:77]|
	v_cndmask_b32_e32 v1, v1, v77, vcc_lo
	v_cndmask_b32_e32 v0, v0, v76, vcc_lo
	v_cndmask_b32_e64 v66, v66, s0, vcc_lo
	s_add_i32 s0, s0, 1
	s_cmp_lg_u32 s7, s0
	s_cbranch_scc1 .LBB58_405
.LBB58_406:
	s_mov_b32 s0, exec_lo
	s_waitcnt lgkmcnt(0)
	v_cmpx_eq_f64_e32 0, v[0:1]
	s_xor_b32 s0, exec_lo, s0
; %bb.407:
	v_cmp_ne_u32_e32 vcc_lo, 0, v74
	v_cndmask_b32_e32 v74, 25, v74, vcc_lo
; %bb.408:
	s_andn2_saveexec_b32 s0, s0
	s_cbranch_execz .LBB58_410
; %bb.409:
	v_div_scale_f64 v[67:68], null, v[0:1], v[0:1], 1.0
	v_rcp_f64_e32 v[76:77], v[67:68]
	v_fma_f64 v[78:79], -v[67:68], v[76:77], 1.0
	v_fma_f64 v[76:77], v[76:77], v[78:79], v[76:77]
	v_fma_f64 v[78:79], -v[67:68], v[76:77], 1.0
	v_fma_f64 v[76:77], v[76:77], v[78:79], v[76:77]
	v_div_scale_f64 v[78:79], vcc_lo, 1.0, v[0:1], 1.0
	v_mul_f64 v[80:81], v[78:79], v[76:77]
	v_fma_f64 v[67:68], -v[67:68], v[80:81], v[78:79]
	v_div_fmas_f64 v[67:68], v[67:68], v[76:77], v[80:81]
	v_div_fixup_f64 v[0:1], v[67:68], v[0:1], 1.0
.LBB58_410:
	s_or_b32 exec_lo, exec_lo, s0
	s_mov_b32 s0, exec_lo
	v_cmpx_ne_u32_e64 v75, v66
	s_xor_b32 s0, exec_lo, s0
	s_cbranch_execz .LBB58_416
; %bb.411:
	s_mov_b32 s1, exec_lo
	v_cmpx_eq_u32_e32 24, v75
	s_cbranch_execz .LBB58_415
; %bb.412:
	v_cmp_ne_u32_e32 vcc_lo, 24, v66
	s_xor_b32 s2, s6, -1
	s_and_b32 s3, s2, vcc_lo
	s_and_saveexec_b32 s2, s3
	s_cbranch_execz .LBB58_414
; %bb.413:
	v_ashrrev_i32_e32 v67, 31, v66
	v_lshlrev_b64 v[67:68], 2, v[66:67]
	v_add_co_u32 v67, vcc_lo, v4, v67
	v_add_co_ci_u32_e64 v68, null, v5, v68, vcc_lo
	s_clause 0x1
	global_load_dword v69, v[67:68], off
	global_load_dword v75, v[4:5], off offset:96
	s_waitcnt vmcnt(1)
	global_store_dword v[4:5], v69, off offset:96
	s_waitcnt vmcnt(0)
	global_store_dword v[67:68], v75, off
.LBB58_414:
	s_or_b32 exec_lo, exec_lo, s2
	v_mov_b32_e32 v69, v66
	v_mov_b32_e32 v75, v66
.LBB58_415:
	s_or_b32 exec_lo, exec_lo, s1
.LBB58_416:
	s_andn2_saveexec_b32 s0, s0
	s_cbranch_execz .LBB58_418
; %bb.417:
	v_mov_b32_e32 v75, 24
	ds_write2_b64 v72, v[8:9], v[12:13] offset0:25 offset1:26
	ds_write2_b64 v72, v[6:7], v[10:11] offset0:27 offset1:28
	ds_write_b64 v72, v[64:65] offset:232
.LBB58_418:
	s_or_b32 exec_lo, exec_lo, s0
	s_mov_b32 s0, exec_lo
	s_waitcnt lgkmcnt(0)
	s_waitcnt_vscnt null, 0x0
	s_barrier
	buffer_gl0_inv
	v_cmpx_lt_i32_e32 24, v75
	s_cbranch_execz .LBB58_420
; %bb.419:
	v_mul_f64 v[14:15], v[0:1], v[14:15]
	ds_read2_b64 v[76:79], v72 offset0:25 offset1:26
	ds_read2_b64 v[80:83], v72 offset0:27 offset1:28
	ds_read_b64 v[0:1], v72 offset:232
	s_waitcnt lgkmcnt(2)
	v_fma_f64 v[8:9], -v[14:15], v[76:77], v[8:9]
	v_fma_f64 v[12:13], -v[14:15], v[78:79], v[12:13]
	s_waitcnt lgkmcnt(1)
	v_fma_f64 v[6:7], -v[14:15], v[80:81], v[6:7]
	v_fma_f64 v[10:11], -v[14:15], v[82:83], v[10:11]
	s_waitcnt lgkmcnt(0)
	v_fma_f64 v[64:65], -v[14:15], v[0:1], v[64:65]
.LBB58_420:
	s_or_b32 exec_lo, exec_lo, s0
	v_lshl_add_u32 v0, v75, 3, v72
	s_barrier
	buffer_gl0_inv
	v_mov_b32_e32 v66, 25
	ds_write_b64 v0, v[8:9]
	s_waitcnt lgkmcnt(0)
	s_barrier
	buffer_gl0_inv
	ds_read_b64 v[0:1], v72 offset:200
	s_cmp_lt_i32 s7, 27
	s_cbranch_scc1 .LBB58_423
; %bb.421:
	v_add3_u32 v67, v73, 0, 0xd0
	v_mov_b32_e32 v66, 25
	s_mov_b32 s0, 26
.LBB58_422:                             ; =>This Inner Loop Header: Depth=1
	ds_read_b64 v[76:77], v67
	v_add_nc_u32_e32 v67, 8, v67
	s_waitcnt lgkmcnt(0)
	v_cmp_lt_f64_e64 vcc_lo, |v[0:1]|, |v[76:77]|
	v_cndmask_b32_e32 v1, v1, v77, vcc_lo
	v_cndmask_b32_e32 v0, v0, v76, vcc_lo
	v_cndmask_b32_e64 v66, v66, s0, vcc_lo
	s_add_i32 s0, s0, 1
	s_cmp_lg_u32 s7, s0
	s_cbranch_scc1 .LBB58_422
.LBB58_423:
	s_mov_b32 s0, exec_lo
	s_waitcnt lgkmcnt(0)
	v_cmpx_eq_f64_e32 0, v[0:1]
	s_xor_b32 s0, exec_lo, s0
; %bb.424:
	v_cmp_ne_u32_e32 vcc_lo, 0, v74
	v_cndmask_b32_e32 v74, 26, v74, vcc_lo
; %bb.425:
	s_andn2_saveexec_b32 s0, s0
	s_cbranch_execz .LBB58_427
; %bb.426:
	v_div_scale_f64 v[67:68], null, v[0:1], v[0:1], 1.0
	v_rcp_f64_e32 v[76:77], v[67:68]
	v_fma_f64 v[78:79], -v[67:68], v[76:77], 1.0
	v_fma_f64 v[76:77], v[76:77], v[78:79], v[76:77]
	v_fma_f64 v[78:79], -v[67:68], v[76:77], 1.0
	v_fma_f64 v[76:77], v[76:77], v[78:79], v[76:77]
	v_div_scale_f64 v[78:79], vcc_lo, 1.0, v[0:1], 1.0
	v_mul_f64 v[80:81], v[78:79], v[76:77]
	v_fma_f64 v[67:68], -v[67:68], v[80:81], v[78:79]
	v_div_fmas_f64 v[67:68], v[67:68], v[76:77], v[80:81]
	v_div_fixup_f64 v[0:1], v[67:68], v[0:1], 1.0
.LBB58_427:
	s_or_b32 exec_lo, exec_lo, s0
	s_mov_b32 s0, exec_lo
	v_cmpx_ne_u32_e64 v75, v66
	s_xor_b32 s0, exec_lo, s0
	s_cbranch_execz .LBB58_433
; %bb.428:
	s_mov_b32 s1, exec_lo
	v_cmpx_eq_u32_e32 25, v75
	s_cbranch_execz .LBB58_432
; %bb.429:
	v_cmp_ne_u32_e32 vcc_lo, 25, v66
	s_xor_b32 s2, s6, -1
	s_and_b32 s3, s2, vcc_lo
	s_and_saveexec_b32 s2, s3
	s_cbranch_execz .LBB58_431
; %bb.430:
	v_ashrrev_i32_e32 v67, 31, v66
	v_lshlrev_b64 v[67:68], 2, v[66:67]
	v_add_co_u32 v67, vcc_lo, v4, v67
	v_add_co_ci_u32_e64 v68, null, v5, v68, vcc_lo
	s_clause 0x1
	global_load_dword v69, v[67:68], off
	global_load_dword v75, v[4:5], off offset:100
	s_waitcnt vmcnt(1)
	global_store_dword v[4:5], v69, off offset:100
	s_waitcnt vmcnt(0)
	global_store_dword v[67:68], v75, off
.LBB58_431:
	s_or_b32 exec_lo, exec_lo, s2
	v_mov_b32_e32 v69, v66
	v_mov_b32_e32 v75, v66
.LBB58_432:
	s_or_b32 exec_lo, exec_lo, s1
.LBB58_433:
	s_andn2_saveexec_b32 s0, s0
	s_cbranch_execz .LBB58_435
; %bb.434:
	v_mov_b32_e32 v66, v12
	v_mov_b32_e32 v67, v13
	;; [unrolled: 1-line block ×7, first 2 shown]
	ds_write2_b64 v72, v[66:67], v[76:77] offset0:26 offset1:27
	ds_write2_b64 v72, v[78:79], v[64:65] offset0:28 offset1:29
.LBB58_435:
	s_or_b32 exec_lo, exec_lo, s0
	s_mov_b32 s0, exec_lo
	s_waitcnt lgkmcnt(0)
	s_waitcnt_vscnt null, 0x0
	s_barrier
	buffer_gl0_inv
	v_cmpx_lt_i32_e32 25, v75
	s_cbranch_execz .LBB58_437
; %bb.436:
	v_mul_f64 v[8:9], v[0:1], v[8:9]
	ds_read2_b64 v[76:79], v72 offset0:26 offset1:27
	ds_read2_b64 v[80:83], v72 offset0:28 offset1:29
	s_waitcnt lgkmcnt(1)
	v_fma_f64 v[12:13], -v[8:9], v[76:77], v[12:13]
	v_fma_f64 v[6:7], -v[8:9], v[78:79], v[6:7]
	s_waitcnt lgkmcnt(0)
	v_fma_f64 v[10:11], -v[8:9], v[80:81], v[10:11]
	v_fma_f64 v[64:65], -v[8:9], v[82:83], v[64:65]
.LBB58_437:
	s_or_b32 exec_lo, exec_lo, s0
	v_lshl_add_u32 v0, v75, 3, v72
	s_barrier
	buffer_gl0_inv
	v_mov_b32_e32 v66, 26
	ds_write_b64 v0, v[12:13]
	s_waitcnt lgkmcnt(0)
	s_barrier
	buffer_gl0_inv
	ds_read_b64 v[0:1], v72 offset:208
	s_cmp_lt_i32 s7, 28
	s_cbranch_scc1 .LBB58_440
; %bb.438:
	v_add3_u32 v67, v73, 0, 0xd8
	v_mov_b32_e32 v66, 26
	s_mov_b32 s0, 27
.LBB58_439:                             ; =>This Inner Loop Header: Depth=1
	ds_read_b64 v[76:77], v67
	v_add_nc_u32_e32 v67, 8, v67
	s_waitcnt lgkmcnt(0)
	v_cmp_lt_f64_e64 vcc_lo, |v[0:1]|, |v[76:77]|
	v_cndmask_b32_e32 v1, v1, v77, vcc_lo
	v_cndmask_b32_e32 v0, v0, v76, vcc_lo
	v_cndmask_b32_e64 v66, v66, s0, vcc_lo
	s_add_i32 s0, s0, 1
	s_cmp_lg_u32 s7, s0
	s_cbranch_scc1 .LBB58_439
.LBB58_440:
	s_mov_b32 s0, exec_lo
	s_waitcnt lgkmcnt(0)
	v_cmpx_eq_f64_e32 0, v[0:1]
	s_xor_b32 s0, exec_lo, s0
; %bb.441:
	v_cmp_ne_u32_e32 vcc_lo, 0, v74
	v_cndmask_b32_e32 v74, 27, v74, vcc_lo
; %bb.442:
	s_andn2_saveexec_b32 s0, s0
	s_cbranch_execz .LBB58_444
; %bb.443:
	v_div_scale_f64 v[67:68], null, v[0:1], v[0:1], 1.0
	v_rcp_f64_e32 v[76:77], v[67:68]
	v_fma_f64 v[78:79], -v[67:68], v[76:77], 1.0
	v_fma_f64 v[76:77], v[76:77], v[78:79], v[76:77]
	v_fma_f64 v[78:79], -v[67:68], v[76:77], 1.0
	v_fma_f64 v[76:77], v[76:77], v[78:79], v[76:77]
	v_div_scale_f64 v[78:79], vcc_lo, 1.0, v[0:1], 1.0
	v_mul_f64 v[80:81], v[78:79], v[76:77]
	v_fma_f64 v[67:68], -v[67:68], v[80:81], v[78:79]
	v_div_fmas_f64 v[67:68], v[67:68], v[76:77], v[80:81]
	v_div_fixup_f64 v[0:1], v[67:68], v[0:1], 1.0
.LBB58_444:
	s_or_b32 exec_lo, exec_lo, s0
	s_mov_b32 s0, exec_lo
	v_cmpx_ne_u32_e64 v75, v66
	s_xor_b32 s0, exec_lo, s0
	s_cbranch_execz .LBB58_450
; %bb.445:
	s_mov_b32 s1, exec_lo
	v_cmpx_eq_u32_e32 26, v75
	s_cbranch_execz .LBB58_449
; %bb.446:
	v_cmp_ne_u32_e32 vcc_lo, 26, v66
	s_xor_b32 s2, s6, -1
	s_and_b32 s3, s2, vcc_lo
	s_and_saveexec_b32 s2, s3
	s_cbranch_execz .LBB58_448
; %bb.447:
	v_ashrrev_i32_e32 v67, 31, v66
	v_lshlrev_b64 v[67:68], 2, v[66:67]
	v_add_co_u32 v67, vcc_lo, v4, v67
	v_add_co_ci_u32_e64 v68, null, v5, v68, vcc_lo
	s_clause 0x1
	global_load_dword v69, v[67:68], off
	global_load_dword v75, v[4:5], off offset:104
	s_waitcnt vmcnt(1)
	global_store_dword v[4:5], v69, off offset:104
	s_waitcnt vmcnt(0)
	global_store_dword v[67:68], v75, off
.LBB58_448:
	s_or_b32 exec_lo, exec_lo, s2
	v_mov_b32_e32 v69, v66
	v_mov_b32_e32 v75, v66
.LBB58_449:
	s_or_b32 exec_lo, exec_lo, s1
.LBB58_450:
	s_andn2_saveexec_b32 s0, s0
	s_cbranch_execz .LBB58_452
; %bb.451:
	v_mov_b32_e32 v75, 26
	ds_write2_b64 v72, v[6:7], v[10:11] offset0:27 offset1:28
	ds_write_b64 v72, v[64:65] offset:232
.LBB58_452:
	s_or_b32 exec_lo, exec_lo, s0
	s_mov_b32 s0, exec_lo
	s_waitcnt lgkmcnt(0)
	s_waitcnt_vscnt null, 0x0
	s_barrier
	buffer_gl0_inv
	v_cmpx_lt_i32_e32 26, v75
	s_cbranch_execz .LBB58_454
; %bb.453:
	v_mul_f64 v[12:13], v[0:1], v[12:13]
	ds_read2_b64 v[76:79], v72 offset0:27 offset1:28
	ds_read_b64 v[0:1], v72 offset:232
	s_waitcnt lgkmcnt(1)
	v_fma_f64 v[6:7], -v[12:13], v[76:77], v[6:7]
	v_fma_f64 v[10:11], -v[12:13], v[78:79], v[10:11]
	s_waitcnt lgkmcnt(0)
	v_fma_f64 v[64:65], -v[12:13], v[0:1], v[64:65]
.LBB58_454:
	s_or_b32 exec_lo, exec_lo, s0
	v_lshl_add_u32 v0, v75, 3, v72
	s_barrier
	buffer_gl0_inv
	v_mov_b32_e32 v66, 27
	ds_write_b64 v0, v[6:7]
	s_waitcnt lgkmcnt(0)
	s_barrier
	buffer_gl0_inv
	ds_read_b64 v[0:1], v72 offset:216
	s_cmp_lt_i32 s7, 29
	s_cbranch_scc1 .LBB58_457
; %bb.455:
	v_add3_u32 v67, v73, 0, 0xe0
	v_mov_b32_e32 v66, 27
	s_mov_b32 s0, 28
.LBB58_456:                             ; =>This Inner Loop Header: Depth=1
	ds_read_b64 v[76:77], v67
	v_add_nc_u32_e32 v67, 8, v67
	s_waitcnt lgkmcnt(0)
	v_cmp_lt_f64_e64 vcc_lo, |v[0:1]|, |v[76:77]|
	v_cndmask_b32_e32 v1, v1, v77, vcc_lo
	v_cndmask_b32_e32 v0, v0, v76, vcc_lo
	v_cndmask_b32_e64 v66, v66, s0, vcc_lo
	s_add_i32 s0, s0, 1
	s_cmp_lg_u32 s7, s0
	s_cbranch_scc1 .LBB58_456
.LBB58_457:
	s_mov_b32 s0, exec_lo
	s_waitcnt lgkmcnt(0)
	v_cmpx_eq_f64_e32 0, v[0:1]
	s_xor_b32 s0, exec_lo, s0
; %bb.458:
	v_cmp_ne_u32_e32 vcc_lo, 0, v74
	v_cndmask_b32_e32 v74, 28, v74, vcc_lo
; %bb.459:
	s_andn2_saveexec_b32 s0, s0
	s_cbranch_execz .LBB58_461
; %bb.460:
	v_div_scale_f64 v[67:68], null, v[0:1], v[0:1], 1.0
	v_rcp_f64_e32 v[76:77], v[67:68]
	v_fma_f64 v[78:79], -v[67:68], v[76:77], 1.0
	v_fma_f64 v[76:77], v[76:77], v[78:79], v[76:77]
	v_fma_f64 v[78:79], -v[67:68], v[76:77], 1.0
	v_fma_f64 v[76:77], v[76:77], v[78:79], v[76:77]
	v_div_scale_f64 v[78:79], vcc_lo, 1.0, v[0:1], 1.0
	v_mul_f64 v[80:81], v[78:79], v[76:77]
	v_fma_f64 v[67:68], -v[67:68], v[80:81], v[78:79]
	v_div_fmas_f64 v[67:68], v[67:68], v[76:77], v[80:81]
	v_div_fixup_f64 v[0:1], v[67:68], v[0:1], 1.0
.LBB58_461:
	s_or_b32 exec_lo, exec_lo, s0
	s_mov_b32 s0, exec_lo
	v_cmpx_ne_u32_e64 v75, v66
	s_xor_b32 s0, exec_lo, s0
	s_cbranch_execz .LBB58_467
; %bb.462:
	s_mov_b32 s1, exec_lo
	v_cmpx_eq_u32_e32 27, v75
	s_cbranch_execz .LBB58_466
; %bb.463:
	v_cmp_ne_u32_e32 vcc_lo, 27, v66
	s_xor_b32 s2, s6, -1
	s_and_b32 s3, s2, vcc_lo
	s_and_saveexec_b32 s2, s3
	s_cbranch_execz .LBB58_465
; %bb.464:
	v_ashrrev_i32_e32 v67, 31, v66
	v_lshlrev_b64 v[67:68], 2, v[66:67]
	v_add_co_u32 v67, vcc_lo, v4, v67
	v_add_co_ci_u32_e64 v68, null, v5, v68, vcc_lo
	s_clause 0x1
	global_load_dword v69, v[67:68], off
	global_load_dword v75, v[4:5], off offset:108
	s_waitcnt vmcnt(1)
	global_store_dword v[4:5], v69, off offset:108
	s_waitcnt vmcnt(0)
	global_store_dword v[67:68], v75, off
.LBB58_465:
	s_or_b32 exec_lo, exec_lo, s2
	v_mov_b32_e32 v69, v66
	v_mov_b32_e32 v75, v66
.LBB58_466:
	s_or_b32 exec_lo, exec_lo, s1
.LBB58_467:
	s_andn2_saveexec_b32 s0, s0
	s_cbranch_execz .LBB58_469
; %bb.468:
	v_mov_b32_e32 v66, v10
	v_mov_b32_e32 v67, v11
	;; [unrolled: 1-line block ×3, first 2 shown]
	ds_write2_b64 v72, v[66:67], v[64:65] offset0:28 offset1:29
.LBB58_469:
	s_or_b32 exec_lo, exec_lo, s0
	s_mov_b32 s0, exec_lo
	s_waitcnt lgkmcnt(0)
	s_waitcnt_vscnt null, 0x0
	s_barrier
	buffer_gl0_inv
	v_cmpx_lt_i32_e32 27, v75
	s_cbranch_execz .LBB58_471
; %bb.470:
	v_mul_f64 v[6:7], v[0:1], v[6:7]
	ds_read2_b64 v[76:79], v72 offset0:28 offset1:29
	s_waitcnt lgkmcnt(0)
	v_fma_f64 v[10:11], -v[6:7], v[76:77], v[10:11]
	v_fma_f64 v[64:65], -v[6:7], v[78:79], v[64:65]
.LBB58_471:
	s_or_b32 exec_lo, exec_lo, s0
	v_lshl_add_u32 v0, v75, 3, v72
	s_barrier
	buffer_gl0_inv
	v_mov_b32_e32 v66, 28
	ds_write_b64 v0, v[10:11]
	s_waitcnt lgkmcnt(0)
	s_barrier
	buffer_gl0_inv
	ds_read_b64 v[0:1], v72 offset:224
	s_cmp_lt_i32 s7, 30
	s_cbranch_scc1 .LBB58_474
; %bb.472:
	v_add3_u32 v67, v73, 0, 0xe8
	v_mov_b32_e32 v66, 28
	s_mov_b32 s0, 29
.LBB58_473:                             ; =>This Inner Loop Header: Depth=1
	ds_read_b64 v[76:77], v67
	v_add_nc_u32_e32 v67, 8, v67
	s_waitcnt lgkmcnt(0)
	v_cmp_lt_f64_e64 vcc_lo, |v[0:1]|, |v[76:77]|
	v_cndmask_b32_e32 v1, v1, v77, vcc_lo
	v_cndmask_b32_e32 v0, v0, v76, vcc_lo
	v_cndmask_b32_e64 v66, v66, s0, vcc_lo
	s_add_i32 s0, s0, 1
	s_cmp_lg_u32 s7, s0
	s_cbranch_scc1 .LBB58_473
.LBB58_474:
	s_mov_b32 s0, exec_lo
	s_waitcnt lgkmcnt(0)
	v_cmpx_eq_f64_e32 0, v[0:1]
	s_xor_b32 s0, exec_lo, s0
; %bb.475:
	v_cmp_ne_u32_e32 vcc_lo, 0, v74
	v_cndmask_b32_e32 v74, 29, v74, vcc_lo
; %bb.476:
	s_andn2_saveexec_b32 s0, s0
	s_cbranch_execz .LBB58_478
; %bb.477:
	v_div_scale_f64 v[67:68], null, v[0:1], v[0:1], 1.0
	v_rcp_f64_e32 v[76:77], v[67:68]
	v_fma_f64 v[78:79], -v[67:68], v[76:77], 1.0
	v_fma_f64 v[76:77], v[76:77], v[78:79], v[76:77]
	v_fma_f64 v[78:79], -v[67:68], v[76:77], 1.0
	v_fma_f64 v[76:77], v[76:77], v[78:79], v[76:77]
	v_div_scale_f64 v[78:79], vcc_lo, 1.0, v[0:1], 1.0
	v_mul_f64 v[80:81], v[78:79], v[76:77]
	v_fma_f64 v[67:68], -v[67:68], v[80:81], v[78:79]
	v_div_fmas_f64 v[67:68], v[67:68], v[76:77], v[80:81]
	v_div_fixup_f64 v[0:1], v[67:68], v[0:1], 1.0
.LBB58_478:
	s_or_b32 exec_lo, exec_lo, s0
	s_mov_b32 s0, exec_lo
	v_cmpx_ne_u32_e64 v75, v66
	s_xor_b32 s0, exec_lo, s0
	s_cbranch_execz .LBB58_484
; %bb.479:
	s_mov_b32 s1, exec_lo
	v_cmpx_eq_u32_e32 28, v75
	s_cbranch_execz .LBB58_483
; %bb.480:
	v_cmp_ne_u32_e32 vcc_lo, 28, v66
	s_xor_b32 s2, s6, -1
	s_and_b32 s3, s2, vcc_lo
	s_and_saveexec_b32 s2, s3
	s_cbranch_execz .LBB58_482
; %bb.481:
	v_ashrrev_i32_e32 v67, 31, v66
	v_lshlrev_b64 v[67:68], 2, v[66:67]
	v_add_co_u32 v67, vcc_lo, v4, v67
	v_add_co_ci_u32_e64 v68, null, v5, v68, vcc_lo
	s_clause 0x1
	global_load_dword v69, v[67:68], off
	global_load_dword v75, v[4:5], off offset:112
	s_waitcnt vmcnt(1)
	global_store_dword v[4:5], v69, off offset:112
	s_waitcnt vmcnt(0)
	global_store_dword v[67:68], v75, off
.LBB58_482:
	s_or_b32 exec_lo, exec_lo, s2
	v_mov_b32_e32 v69, v66
	v_mov_b32_e32 v75, v66
.LBB58_483:
	s_or_b32 exec_lo, exec_lo, s1
.LBB58_484:
	s_andn2_saveexec_b32 s0, s0
; %bb.485:
	v_mov_b32_e32 v75, 28
	ds_write_b64 v72, v[64:65] offset:232
; %bb.486:
	s_or_b32 exec_lo, exec_lo, s0
	s_mov_b32 s0, exec_lo
	s_waitcnt lgkmcnt(0)
	s_waitcnt_vscnt null, 0x0
	s_barrier
	buffer_gl0_inv
	v_cmpx_lt_i32_e32 28, v75
	s_cbranch_execz .LBB58_488
; %bb.487:
	v_mul_f64 v[10:11], v[0:1], v[10:11]
	ds_read_b64 v[0:1], v72 offset:232
	s_waitcnt lgkmcnt(0)
	v_fma_f64 v[64:65], -v[10:11], v[0:1], v[64:65]
.LBB58_488:
	s_or_b32 exec_lo, exec_lo, s0
	v_lshl_add_u32 v0, v75, 3, v72
	s_barrier
	buffer_gl0_inv
	v_mov_b32_e32 v66, 29
	ds_write_b64 v0, v[64:65]
	s_waitcnt lgkmcnt(0)
	s_barrier
	buffer_gl0_inv
	ds_read_b64 v[0:1], v72 offset:232
	s_cmp_lt_i32 s7, 31
	s_cbranch_scc1 .LBB58_491
; %bb.489:
	v_add3_u32 v67, v73, 0, 0xf0
	v_mov_b32_e32 v66, 29
	s_mov_b32 s0, 30
.LBB58_490:                             ; =>This Inner Loop Header: Depth=1
	ds_read_b64 v[72:73], v67
	v_add_nc_u32_e32 v67, 8, v67
	s_waitcnt lgkmcnt(0)
	v_cmp_lt_f64_e64 vcc_lo, |v[0:1]|, |v[72:73]|
	v_cndmask_b32_e32 v1, v1, v73, vcc_lo
	v_cndmask_b32_e32 v0, v0, v72, vcc_lo
	v_cndmask_b32_e64 v66, v66, s0, vcc_lo
	s_add_i32 s0, s0, 1
	s_cmp_lg_u32 s7, s0
	s_cbranch_scc1 .LBB58_490
.LBB58_491:
	s_mov_b32 s0, exec_lo
	s_waitcnt lgkmcnt(0)
	v_cmpx_eq_f64_e32 0, v[0:1]
	s_xor_b32 s0, exec_lo, s0
; %bb.492:
	v_cmp_ne_u32_e32 vcc_lo, 0, v74
	v_cndmask_b32_e32 v74, 30, v74, vcc_lo
; %bb.493:
	s_andn2_saveexec_b32 s0, s0
	s_cbranch_execz .LBB58_495
; %bb.494:
	v_div_scale_f64 v[67:68], null, v[0:1], v[0:1], 1.0
	v_rcp_f64_e32 v[72:73], v[67:68]
	v_fma_f64 v[76:77], -v[67:68], v[72:73], 1.0
	v_fma_f64 v[72:73], v[72:73], v[76:77], v[72:73]
	v_fma_f64 v[76:77], -v[67:68], v[72:73], 1.0
	v_fma_f64 v[72:73], v[72:73], v[76:77], v[72:73]
	v_div_scale_f64 v[76:77], vcc_lo, 1.0, v[0:1], 1.0
	v_mul_f64 v[78:79], v[76:77], v[72:73]
	v_fma_f64 v[67:68], -v[67:68], v[78:79], v[76:77]
	v_div_fmas_f64 v[67:68], v[67:68], v[72:73], v[78:79]
	v_div_fixup_f64 v[0:1], v[67:68], v[0:1], 1.0
.LBB58_495:
	s_or_b32 exec_lo, exec_lo, s0
	v_mov_b32_e32 v67, 29
	s_mov_b32 s0, exec_lo
	v_cmpx_ne_u32_e64 v75, v66
	s_cbranch_execz .LBB58_501
; %bb.496:
	s_mov_b32 s1, exec_lo
	v_cmpx_eq_u32_e32 29, v75
	s_cbranch_execz .LBB58_500
; %bb.497:
	v_cmp_ne_u32_e32 vcc_lo, 29, v66
	s_xor_b32 s2, s6, -1
	s_and_b32 s3, s2, vcc_lo
	s_and_saveexec_b32 s2, s3
	s_cbranch_execz .LBB58_499
; %bb.498:
	v_ashrrev_i32_e32 v67, 31, v66
	v_lshlrev_b64 v[67:68], 2, v[66:67]
	v_add_co_u32 v67, vcc_lo, v4, v67
	v_add_co_ci_u32_e64 v68, null, v5, v68, vcc_lo
	s_clause 0x1
	global_load_dword v69, v[67:68], off
	global_load_dword v72, v[4:5], off offset:116
	s_waitcnt vmcnt(1)
	global_store_dword v[4:5], v69, off offset:116
	s_waitcnt vmcnt(0)
	global_store_dword v[67:68], v72, off
.LBB58_499:
	s_or_b32 exec_lo, exec_lo, s2
	v_mov_b32_e32 v69, v66
	v_mov_b32_e32 v75, v66
.LBB58_500:
	s_or_b32 exec_lo, exec_lo, s1
	v_mov_b32_e32 v67, v75
.LBB58_501:
	s_or_b32 exec_lo, exec_lo, s0
	s_load_dwordx8 s[0:7], s[4:5], 0x28
	v_ashrrev_i32_e32 v68, 31, v67
	s_mov_b32 s9, exec_lo
	s_waitcnt lgkmcnt(0)
	s_waitcnt_vscnt null, 0x0
	s_barrier
	buffer_gl0_inv
	s_barrier
	buffer_gl0_inv
	v_cmpx_gt_i32_e32 30, v67
	s_cbranch_execz .LBB58_503
; %bb.502:
	v_mul_lo_u32 v66, s5, v2
	v_mul_lo_u32 v72, s4, v3
	v_mad_u64_u32 v[4:5], null, s4, v2, 0
	s_lshl_b64 s[2:3], s[2:3], 2
	v_add3_u32 v5, v5, v72, v66
	v_lshlrev_b64 v[4:5], 2, v[4:5]
	v_add_co_u32 v66, vcc_lo, s0, v4
	v_add_co_ci_u32_e64 v72, null, s1, v5, vcc_lo
	v_lshlrev_b64 v[4:5], 2, v[67:68]
	v_add_co_u32 v66, vcc_lo, v66, s2
	v_add_co_ci_u32_e64 v72, null, s3, v72, vcc_lo
	v_add_co_u32 v4, vcc_lo, v66, v4
	v_add_co_ci_u32_e64 v5, null, v72, v5, vcc_lo
	v_add3_u32 v66, v69, s13, 1
	global_store_dword v[4:5], v66, off
.LBB58_503:
	s_or_b32 exec_lo, exec_lo, s9
	s_mov_b32 s1, exec_lo
	v_cmpx_eq_u32_e32 0, v67
	s_cbranch_execz .LBB58_506
; %bb.504:
	v_lshlrev_b64 v[2:3], 2, v[2:3]
	v_cmp_ne_u32_e64 s0, 0, v74
	v_add_co_u32 v2, vcc_lo, s6, v2
	v_add_co_ci_u32_e64 v3, null, s7, v3, vcc_lo
	global_load_dword v4, v[2:3], off
	s_waitcnt vmcnt(0)
	v_cmp_eq_u32_e32 vcc_lo, 0, v4
	s_and_b32 s0, vcc_lo, s0
	s_and_b32 exec_lo, exec_lo, s0
	s_cbranch_execz .LBB58_506
; %bb.505:
	v_add_nc_u32_e32 v4, s13, v74
	global_store_dword v[2:3], v4, off
.LBB58_506:
	s_or_b32 exec_lo, exec_lo, s1
	v_add3_u32 v2, s8, s8, v67
	v_lshlrev_b64 v[4:5], 3, v[67:68]
	v_mul_f64 v[0:1], v[0:1], v[64:65]
	v_cmp_lt_i32_e32 vcc_lo, 29, v67
	v_ashrrev_i32_e32 v3, 31, v2
	v_add_nc_u32_e32 v66, s8, v2
	v_add_co_u32 v4, s0, v70, v4
	v_add_co_ci_u32_e64 v5, null, v71, v5, s0
	v_lshlrev_b64 v[2:3], 3, v[2:3]
	v_add_co_u32 v72, s0, v4, s10
	v_add_co_ci_u32_e64 v73, null, s11, v5, s0
	v_add_nc_u32_e32 v68, s8, v66
	v_add_co_u32 v2, s0, v70, v2
	v_add_co_ci_u32_e64 v3, null, v71, v3, s0
	v_ashrrev_i32_e32 v67, 31, v66
	flat_store_dwordx2 v[4:5], v[62:63]
	flat_store_dwordx2 v[72:73], v[58:59]
	;; [unrolled: 1-line block ×3, first 2 shown]
	v_add_nc_u32_e32 v58, s8, v68
	v_ashrrev_i32_e32 v69, 31, v68
	v_lshlrev_b64 v[4:5], 3, v[66:67]
	v_cndmask_b32_e32 v1, v65, v1, vcc_lo
	v_cndmask_b32_e32 v0, v64, v0, vcc_lo
	v_add_nc_u32_e32 v60, s8, v58
	v_lshlrev_b64 v[2:3], 3, v[68:69]
	v_ashrrev_i32_e32 v59, 31, v58
	v_add_co_u32 v4, vcc_lo, v70, v4
	v_add_nc_u32_e32 v62, s8, v60
	v_add_co_ci_u32_e64 v5, null, v71, v5, vcc_lo
	v_add_co_u32 v2, vcc_lo, v70, v2
	v_ashrrev_i32_e32 v61, 31, v60
	v_add_co_ci_u32_e64 v3, null, v71, v3, vcc_lo
	v_ashrrev_i32_e32 v63, 31, v62
	v_lshlrev_b64 v[58:59], 3, v[58:59]
	flat_store_dwordx2 v[4:5], v[54:55]
	flat_store_dwordx2 v[2:3], v[56:57]
	v_lshlrev_b64 v[2:3], 3, v[60:61]
	v_add_nc_u32_e32 v56, s8, v62
	v_lshlrev_b64 v[54:55], 3, v[62:63]
	v_add_co_u32 v4, vcc_lo, v70, v58
	v_add_co_ci_u32_e64 v5, null, v71, v59, vcc_lo
	v_add_co_u32 v2, vcc_lo, v70, v2
	v_add_co_ci_u32_e64 v3, null, v71, v3, vcc_lo
	v_add_co_u32 v54, vcc_lo, v70, v54
	v_add_nc_u32_e32 v58, s8, v56
	v_add_co_ci_u32_e64 v55, null, v71, v55, vcc_lo
	v_ashrrev_i32_e32 v57, 31, v56
	flat_store_dwordx2 v[4:5], v[52:53]
	flat_store_dwordx2 v[2:3], v[50:51]
	flat_store_dwordx2 v[54:55], v[48:49]
	v_add_nc_u32_e32 v48, s8, v58
	v_ashrrev_i32_e32 v59, 31, v58
	v_lshlrev_b64 v[4:5], 3, v[56:57]
	v_add_nc_u32_e32 v50, s8, v48
	v_lshlrev_b64 v[2:3], 3, v[58:59]
	v_ashrrev_i32_e32 v49, 31, v48
	v_add_co_u32 v4, vcc_lo, v70, v4
	v_add_nc_u32_e32 v52, s8, v50
	v_add_co_ci_u32_e64 v5, null, v71, v5, vcc_lo
	v_add_co_u32 v2, vcc_lo, v70, v2
	v_ashrrev_i32_e32 v51, 31, v50
	v_add_co_ci_u32_e64 v3, null, v71, v3, vcc_lo
	v_ashrrev_i32_e32 v53, 31, v52
	v_lshlrev_b64 v[48:49], 3, v[48:49]
	flat_store_dwordx2 v[4:5], v[46:47]
	flat_store_dwordx2 v[2:3], v[44:45]
	v_lshlrev_b64 v[2:3], 3, v[50:51]
	v_add_nc_u32_e32 v46, s8, v52
	v_lshlrev_b64 v[44:45], 3, v[52:53]
	v_add_co_u32 v4, vcc_lo, v70, v48
	v_add_co_ci_u32_e64 v5, null, v71, v49, vcc_lo
	v_add_co_u32 v2, vcc_lo, v70, v2
	v_add_co_ci_u32_e64 v3, null, v71, v3, vcc_lo
	v_add_co_u32 v44, vcc_lo, v70, v44
	v_add_nc_u32_e32 v48, s8, v46
	v_add_co_ci_u32_e64 v45, null, v71, v45, vcc_lo
	v_ashrrev_i32_e32 v47, 31, v46
	flat_store_dwordx2 v[4:5], v[42:43]
	flat_store_dwordx2 v[2:3], v[38:39]
	flat_store_dwordx2 v[44:45], v[40:41]
	v_add_nc_u32_e32 v38, s8, v48
	v_ashrrev_i32_e32 v49, 31, v48
	v_lshlrev_b64 v[4:5], 3, v[46:47]
	;; [unrolled: 30-line block ×3, first 2 shown]
	v_add_nc_u32_e32 v30, s8, v28
	v_lshlrev_b64 v[2:3], 3, v[38:39]
	v_ashrrev_i32_e32 v29, 31, v28
	v_add_co_u32 v4, vcc_lo, v70, v4
	v_add_nc_u32_e32 v32, s8, v30
	v_add_co_ci_u32_e64 v5, null, v71, v5, vcc_lo
	v_add_co_u32 v2, vcc_lo, v70, v2
	v_ashrrev_i32_e32 v31, 31, v30
	v_add_co_ci_u32_e64 v3, null, v71, v3, vcc_lo
	v_ashrrev_i32_e32 v33, 31, v32
	v_lshlrev_b64 v[28:29], 3, v[28:29]
	flat_store_dwordx2 v[4:5], v[26:27]
	flat_store_dwordx2 v[2:3], v[24:25]
	v_lshlrev_b64 v[2:3], 3, v[30:31]
	v_add_nc_u32_e32 v26, s8, v32
	v_lshlrev_b64 v[24:25], 3, v[32:33]
	v_add_co_u32 v4, vcc_lo, v70, v28
	v_add_co_ci_u32_e64 v5, null, v71, v29, vcc_lo
	v_add_co_u32 v2, vcc_lo, v70, v2
	v_add_nc_u32_e32 v28, s8, v26
	v_add_co_ci_u32_e64 v3, null, v71, v3, vcc_lo
	v_add_co_u32 v24, vcc_lo, v70, v24
	v_ashrrev_i32_e32 v27, 31, v26
	v_add_co_ci_u32_e64 v25, null, v71, v25, vcc_lo
	v_ashrrev_i32_e32 v29, 31, v28
	flat_store_dwordx2 v[4:5], v[22:23]
	v_lshlrev_b64 v[4:5], 3, v[26:27]
	flat_store_dwordx2 v[2:3], v[18:19]
	flat_store_dwordx2 v[24:25], v[20:21]
	v_add_nc_u32_e32 v18, s8, v28
	v_lshlrev_b64 v[2:3], 3, v[28:29]
	v_add_co_u32 v4, vcc_lo, v70, v4
	v_add_nc_u32_e32 v20, s8, v18
	v_add_co_ci_u32_e64 v5, null, v71, v5, vcc_lo
	v_add_co_u32 v2, vcc_lo, v70, v2
	v_add_co_ci_u32_e64 v3, null, v71, v3, vcc_lo
	v_add_nc_u32_e32 v22, s8, v20
	v_ashrrev_i32_e32 v19, 31, v18
	flat_store_dwordx2 v[4:5], v[16:17]
	flat_store_dwordx2 v[2:3], v[14:15]
	v_ashrrev_i32_e32 v21, 31, v20
	v_add_nc_u32_e32 v14, s8, v22
	v_lshlrev_b64 v[4:5], 3, v[18:19]
	v_ashrrev_i32_e32 v23, 31, v22
	v_lshlrev_b64 v[2:3], 3, v[20:21]
	v_add_nc_u32_e32 v18, s8, v14
	v_ashrrev_i32_e32 v15, 31, v14
	v_lshlrev_b64 v[16:17], 3, v[22:23]
	v_add_co_u32 v4, vcc_lo, v70, v4
	v_ashrrev_i32_e32 v19, 31, v18
	v_lshlrev_b64 v[14:15], 3, v[14:15]
	v_add_co_ci_u32_e64 v5, null, v71, v5, vcc_lo
	v_add_co_u32 v2, vcc_lo, v70, v2
	v_lshlrev_b64 v[18:19], 3, v[18:19]
	v_add_co_ci_u32_e64 v3, null, v71, v3, vcc_lo
	v_add_co_u32 v16, vcc_lo, v70, v16
	v_add_co_ci_u32_e64 v17, null, v71, v17, vcc_lo
	v_add_co_u32 v14, vcc_lo, v70, v14
	;; [unrolled: 2-line block ×3, first 2 shown]
	v_add_co_ci_u32_e64 v19, null, v71, v19, vcc_lo
	flat_store_dwordx2 v[4:5], v[8:9]
	flat_store_dwordx2 v[2:3], v[12:13]
	;; [unrolled: 1-line block ×5, first 2 shown]
.LBB58_507:
	s_endpgm
	.section	.rodata,"a",@progbits
	.p2align	6, 0x0
	.amdhsa_kernel _ZN9rocsolver6v33100L18getf2_small_kernelILi30EdiiPKPdEEvT1_T3_lS5_lPS5_llPT2_S5_S5_S7_l
		.amdhsa_group_segment_fixed_size 0
		.amdhsa_private_segment_fixed_size 0
		.amdhsa_kernarg_size 352
		.amdhsa_user_sgpr_count 6
		.amdhsa_user_sgpr_private_segment_buffer 1
		.amdhsa_user_sgpr_dispatch_ptr 0
		.amdhsa_user_sgpr_queue_ptr 0
		.amdhsa_user_sgpr_kernarg_segment_ptr 1
		.amdhsa_user_sgpr_dispatch_id 0
		.amdhsa_user_sgpr_flat_scratch_init 0
		.amdhsa_user_sgpr_private_segment_size 0
		.amdhsa_wavefront_size32 1
		.amdhsa_uses_dynamic_stack 0
		.amdhsa_system_sgpr_private_segment_wavefront_offset 0
		.amdhsa_system_sgpr_workgroup_id_x 1
		.amdhsa_system_sgpr_workgroup_id_y 1
		.amdhsa_system_sgpr_workgroup_id_z 0
		.amdhsa_system_sgpr_workgroup_info 0
		.amdhsa_system_vgpr_workitem_id 1
		.amdhsa_next_free_vgpr 132
		.amdhsa_next_free_sgpr 14
		.amdhsa_reserve_vcc 1
		.amdhsa_reserve_flat_scratch 1
		.amdhsa_float_round_mode_32 0
		.amdhsa_float_round_mode_16_64 0
		.amdhsa_float_denorm_mode_32 3
		.amdhsa_float_denorm_mode_16_64 3
		.amdhsa_dx10_clamp 1
		.amdhsa_ieee_mode 1
		.amdhsa_fp16_overflow 0
		.amdhsa_workgroup_processor_mode 1
		.amdhsa_memory_ordered 1
		.amdhsa_forward_progress 1
		.amdhsa_shared_vgpr_count 0
		.amdhsa_exception_fp_ieee_invalid_op 0
		.amdhsa_exception_fp_denorm_src 0
		.amdhsa_exception_fp_ieee_div_zero 0
		.amdhsa_exception_fp_ieee_overflow 0
		.amdhsa_exception_fp_ieee_underflow 0
		.amdhsa_exception_fp_ieee_inexact 0
		.amdhsa_exception_int_div_zero 0
	.end_amdhsa_kernel
	.section	.text._ZN9rocsolver6v33100L18getf2_small_kernelILi30EdiiPKPdEEvT1_T3_lS5_lPS5_llPT2_S5_S5_S7_l,"axG",@progbits,_ZN9rocsolver6v33100L18getf2_small_kernelILi30EdiiPKPdEEvT1_T3_lS5_lPS5_llPT2_S5_S5_S7_l,comdat
.Lfunc_end58:
	.size	_ZN9rocsolver6v33100L18getf2_small_kernelILi30EdiiPKPdEEvT1_T3_lS5_lPS5_llPT2_S5_S5_S7_l, .Lfunc_end58-_ZN9rocsolver6v33100L18getf2_small_kernelILi30EdiiPKPdEEvT1_T3_lS5_lPS5_llPT2_S5_S5_S7_l
                                        ; -- End function
	.set _ZN9rocsolver6v33100L18getf2_small_kernelILi30EdiiPKPdEEvT1_T3_lS5_lPS5_llPT2_S5_S5_S7_l.num_vgpr, 132
	.set _ZN9rocsolver6v33100L18getf2_small_kernelILi30EdiiPKPdEEvT1_T3_lS5_lPS5_llPT2_S5_S5_S7_l.num_agpr, 0
	.set _ZN9rocsolver6v33100L18getf2_small_kernelILi30EdiiPKPdEEvT1_T3_lS5_lPS5_llPT2_S5_S5_S7_l.numbered_sgpr, 14
	.set _ZN9rocsolver6v33100L18getf2_small_kernelILi30EdiiPKPdEEvT1_T3_lS5_lPS5_llPT2_S5_S5_S7_l.num_named_barrier, 0
	.set _ZN9rocsolver6v33100L18getf2_small_kernelILi30EdiiPKPdEEvT1_T3_lS5_lPS5_llPT2_S5_S5_S7_l.private_seg_size, 0
	.set _ZN9rocsolver6v33100L18getf2_small_kernelILi30EdiiPKPdEEvT1_T3_lS5_lPS5_llPT2_S5_S5_S7_l.uses_vcc, 1
	.set _ZN9rocsolver6v33100L18getf2_small_kernelILi30EdiiPKPdEEvT1_T3_lS5_lPS5_llPT2_S5_S5_S7_l.uses_flat_scratch, 1
	.set _ZN9rocsolver6v33100L18getf2_small_kernelILi30EdiiPKPdEEvT1_T3_lS5_lPS5_llPT2_S5_S5_S7_l.has_dyn_sized_stack, 0
	.set _ZN9rocsolver6v33100L18getf2_small_kernelILi30EdiiPKPdEEvT1_T3_lS5_lPS5_llPT2_S5_S5_S7_l.has_recursion, 0
	.set _ZN9rocsolver6v33100L18getf2_small_kernelILi30EdiiPKPdEEvT1_T3_lS5_lPS5_llPT2_S5_S5_S7_l.has_indirect_call, 0
	.section	.AMDGPU.csdata,"",@progbits
; Kernel info:
; codeLenInByte = 26060
; TotalNumSgprs: 16
; NumVgprs: 132
; ScratchSize: 0
; MemoryBound: 0
; FloatMode: 240
; IeeeMode: 1
; LDSByteSize: 0 bytes/workgroup (compile time only)
; SGPRBlocks: 0
; VGPRBlocks: 16
; NumSGPRsForWavesPerEU: 16
; NumVGPRsForWavesPerEU: 132
; Occupancy: 7
; WaveLimiterHint : 1
; COMPUTE_PGM_RSRC2:SCRATCH_EN: 0
; COMPUTE_PGM_RSRC2:USER_SGPR: 6
; COMPUTE_PGM_RSRC2:TRAP_HANDLER: 0
; COMPUTE_PGM_RSRC2:TGID_X_EN: 1
; COMPUTE_PGM_RSRC2:TGID_Y_EN: 1
; COMPUTE_PGM_RSRC2:TGID_Z_EN: 0
; COMPUTE_PGM_RSRC2:TIDIG_COMP_CNT: 1
	.section	.text._ZN9rocsolver6v33100L23getf2_npvt_small_kernelILi30EdiiPKPdEEvT1_T3_lS5_lPT2_S5_S5_,"axG",@progbits,_ZN9rocsolver6v33100L23getf2_npvt_small_kernelILi30EdiiPKPdEEvT1_T3_lS5_lPT2_S5_S5_,comdat
	.globl	_ZN9rocsolver6v33100L23getf2_npvt_small_kernelILi30EdiiPKPdEEvT1_T3_lS5_lPT2_S5_S5_ ; -- Begin function _ZN9rocsolver6v33100L23getf2_npvt_small_kernelILi30EdiiPKPdEEvT1_T3_lS5_lPT2_S5_S5_
	.p2align	8
	.type	_ZN9rocsolver6v33100L23getf2_npvt_small_kernelILi30EdiiPKPdEEvT1_T3_lS5_lPT2_S5_S5_,@function
_ZN9rocsolver6v33100L23getf2_npvt_small_kernelILi30EdiiPKPdEEvT1_T3_lS5_lPT2_S5_S5_: ; @_ZN9rocsolver6v33100L23getf2_npvt_small_kernelILi30EdiiPKPdEEvT1_T3_lS5_lPT2_S5_S5_
; %bb.0:
	s_clause 0x1
	s_load_dword s0, s[4:5], 0x44
	s_load_dwordx2 s[8:9], s[4:5], 0x30
	s_waitcnt lgkmcnt(0)
	s_lshr_b32 s10, s0, 16
	s_mov_b32 s0, exec_lo
	v_mad_u64_u32 v[2:3], null, s7, s10, v[1:2]
	v_cmpx_gt_i32_e64 s8, v2
	s_cbranch_execz .LBB59_153
; %bb.1:
	s_clause 0x1
	s_load_dwordx4 s[0:3], s[4:5], 0x8
	s_load_dword s6, s[4:5], 0x18
	v_ashrrev_i32_e32 v3, 31, v2
	v_lshlrev_b32_e32 v64, 3, v0
	v_lshlrev_b32_e32 v124, 3, v1
	s_mulk_i32 s10, 0xf0
	v_mad_u32_u24 v182, 0xf0, v1, 0
	v_lshlrev_b64 v[4:5], 3, v[2:3]
	v_add3_u32 v1, 0, s10, v124
	s_waitcnt lgkmcnt(0)
	v_add_co_u32 v4, vcc_lo, s0, v4
	v_add_co_ci_u32_e64 v5, null, s1, v5, vcc_lo
	v_add3_u32 v6, s6, s6, v0
	s_lshl_b64 s[2:3], s[2:3], 3
	s_ashr_i32 s7, s6, 31
	global_load_dwordx2 v[4:5], v[4:5], off
	s_lshl_b64 s[0:1], s[6:7], 3
	v_add_nc_u32_e32 v8, s6, v6
	v_ashrrev_i32_e32 v7, 31, v6
	v_add_nc_u32_e32 v10, s6, v8
	v_ashrrev_i32_e32 v9, 31, v8
	v_lshlrev_b64 v[6:7], 3, v[6:7]
	v_add_nc_u32_e32 v12, s6, v10
	v_ashrrev_i32_e32 v11, 31, v10
	v_lshlrev_b64 v[8:9], 3, v[8:9]
	v_add_nc_u32_e32 v14, s6, v12
	v_ashrrev_i32_e32 v13, 31, v12
	v_lshlrev_b64 v[10:11], 3, v[10:11]
	v_add_nc_u32_e32 v16, s6, v14
	v_ashrrev_i32_e32 v15, 31, v14
	v_lshlrev_b64 v[12:13], 3, v[12:13]
	v_add_nc_u32_e32 v18, s6, v16
	v_ashrrev_i32_e32 v17, 31, v16
	v_lshlrev_b64 v[14:15], 3, v[14:15]
	v_add_nc_u32_e32 v20, s6, v18
	v_ashrrev_i32_e32 v19, 31, v18
	v_lshlrev_b64 v[16:17], 3, v[16:17]
	v_add_nc_u32_e32 v22, s6, v20
	v_ashrrev_i32_e32 v21, 31, v20
	v_lshlrev_b64 v[18:19], 3, v[18:19]
	v_add_nc_u32_e32 v24, s6, v22
	v_ashrrev_i32_e32 v23, 31, v22
	v_lshlrev_b64 v[20:21], 3, v[20:21]
	v_add_nc_u32_e32 v26, s6, v24
	v_ashrrev_i32_e32 v25, 31, v24
	v_lshlrev_b64 v[22:23], 3, v[22:23]
	v_add_nc_u32_e32 v28, s6, v26
	v_ashrrev_i32_e32 v27, 31, v26
	v_lshlrev_b64 v[24:25], 3, v[24:25]
	v_add_nc_u32_e32 v30, s6, v28
	v_ashrrev_i32_e32 v29, 31, v28
	v_lshlrev_b64 v[26:27], 3, v[26:27]
	v_add_nc_u32_e32 v32, s6, v30
	v_ashrrev_i32_e32 v31, 31, v30
	v_lshlrev_b64 v[28:29], 3, v[28:29]
	v_add_nc_u32_e32 v34, s6, v32
	v_ashrrev_i32_e32 v33, 31, v32
	v_lshlrev_b64 v[30:31], 3, v[30:31]
	v_add_nc_u32_e32 v36, s6, v34
	v_ashrrev_i32_e32 v35, 31, v34
	v_lshlrev_b64 v[32:33], 3, v[32:33]
	v_add_nc_u32_e32 v38, s6, v36
	v_ashrrev_i32_e32 v37, 31, v36
	v_lshlrev_b64 v[34:35], 3, v[34:35]
	v_add_nc_u32_e32 v40, s6, v38
	v_ashrrev_i32_e32 v39, 31, v38
	v_lshlrev_b64 v[36:37], 3, v[36:37]
	v_add_nc_u32_e32 v42, s6, v40
	v_ashrrev_i32_e32 v41, 31, v40
	v_lshlrev_b64 v[38:39], 3, v[38:39]
	v_add_nc_u32_e32 v44, s6, v42
	v_ashrrev_i32_e32 v43, 31, v42
	v_lshlrev_b64 v[40:41], 3, v[40:41]
	v_add_nc_u32_e32 v46, s6, v44
	v_ashrrev_i32_e32 v45, 31, v44
	v_lshlrev_b64 v[42:43], 3, v[42:43]
	v_add_nc_u32_e32 v48, s6, v46
	v_ashrrev_i32_e32 v47, 31, v46
	v_lshlrev_b64 v[44:45], 3, v[44:45]
	v_add_nc_u32_e32 v50, s6, v48
	v_ashrrev_i32_e32 v49, 31, v48
	v_lshlrev_b64 v[46:47], 3, v[46:47]
	v_add_nc_u32_e32 v52, s6, v50
	v_ashrrev_i32_e32 v51, 31, v50
	v_lshlrev_b64 v[48:49], 3, v[48:49]
	v_add_nc_u32_e32 v54, s6, v52
	v_ashrrev_i32_e32 v53, 31, v52
	v_lshlrev_b64 v[50:51], 3, v[50:51]
	v_add_nc_u32_e32 v56, s6, v54
	v_ashrrev_i32_e32 v55, 31, v54
	v_lshlrev_b64 v[52:53], 3, v[52:53]
	v_add_nc_u32_e32 v58, s6, v56
	v_ashrrev_i32_e32 v57, 31, v56
	v_lshlrev_b64 v[54:55], 3, v[54:55]
	v_ashrrev_i32_e32 v59, 31, v58
	v_add_nc_u32_e32 v60, s6, v58
	v_lshlrev_b64 v[56:57], 3, v[56:57]
	v_lshlrev_b64 v[58:59], 3, v[58:59]
	v_ashrrev_i32_e32 v61, 31, v60
	v_lshlrev_b64 v[62:63], 3, v[60:61]
	s_waitcnt vmcnt(0)
	v_add_co_u32 v65, vcc_lo, v4, s2
	v_add_co_ci_u32_e64 v66, null, s3, v5, vcc_lo
	v_add_co_u32 v4, vcc_lo, v65, v6
	v_add_co_ci_u32_e64 v5, null, v66, v7, vcc_lo
	;; [unrolled: 2-line block ×31, first 2 shown]
	s_clause 0x1d
	flat_load_dwordx2 v[108:109], v[8:9]
	flat_load_dwordx2 v[92:93], v[10:11]
	;; [unrolled: 1-line block ×30, first 2 shown]
	v_cmp_ne_u32_e64 s1, 0, v0
	v_cmp_eq_u32_e64 s0, 0, v0
	s_and_saveexec_b32 s2, s0
	s_cbranch_execz .LBB59_4
; %bb.2:
	s_waitcnt vmcnt(5) lgkmcnt(5)
	ds_write_b64 v1, v[116:117]
	s_waitcnt vmcnt(3) lgkmcnt(4)
	ds_write2_b64 v182, v[120:121], v[122:123] offset0:1 offset1:2
	s_waitcnt vmcnt(2) lgkmcnt(4)
	ds_write2_b64 v182, v[118:119], v[108:109] offset0:3 offset1:4
	ds_write2_b64 v182, v[92:93], v[106:107] offset0:5 offset1:6
	;; [unrolled: 1-line block ×12, first 2 shown]
	s_waitcnt vmcnt(1) lgkmcnt(15)
	ds_write2_b64 v182, v[62:63], v[112:113] offset0:27 offset1:28
	s_waitcnt vmcnt(0) lgkmcnt(15)
	ds_write_b64 v182, v[114:115] offset:232
	ds_read_b64 v[124:125], v1
	s_waitcnt lgkmcnt(0)
	v_cmp_neq_f64_e32 vcc_lo, 0, v[124:125]
	s_and_b32 exec_lo, exec_lo, vcc_lo
	s_cbranch_execz .LBB59_4
; %bb.3:
	v_div_scale_f64 v[126:127], null, v[124:125], v[124:125], 1.0
	v_rcp_f64_e32 v[128:129], v[126:127]
	v_fma_f64 v[130:131], -v[126:127], v[128:129], 1.0
	v_fma_f64 v[128:129], v[128:129], v[130:131], v[128:129]
	v_fma_f64 v[130:131], -v[126:127], v[128:129], 1.0
	v_fma_f64 v[128:129], v[128:129], v[130:131], v[128:129]
	v_div_scale_f64 v[130:131], vcc_lo, 1.0, v[124:125], 1.0
	v_mul_f64 v[132:133], v[130:131], v[128:129]
	v_fma_f64 v[126:127], -v[126:127], v[132:133], v[130:131]
	v_div_fmas_f64 v[126:127], v[126:127], v[128:129], v[132:133]
	v_div_fixup_f64 v[124:125], v[126:127], v[124:125], 1.0
	ds_write_b64 v1, v[124:125]
.LBB59_4:
	s_or_b32 exec_lo, exec_lo, s2
	s_waitcnt vmcnt(0) lgkmcnt(0)
	s_barrier
	buffer_gl0_inv
	ds_read_b64 v[124:125], v1
	s_and_saveexec_b32 s2, s1
	s_cbranch_execz .LBB59_6
; %bb.5:
	s_waitcnt lgkmcnt(0)
	v_mul_f64 v[116:117], v[124:125], v[116:117]
	ds_read2_b64 v[126:129], v182 offset0:1 offset1:2
	ds_read2_b64 v[130:133], v182 offset0:3 offset1:4
	;; [unrolled: 1-line block ×14, first 2 shown]
	s_waitcnt lgkmcnt(13)
	v_fma_f64 v[120:121], -v[116:117], v[126:127], v[120:121]
	ds_read_b64 v[126:127], v182 offset:232
	v_fma_f64 v[122:123], -v[116:117], v[128:129], v[122:123]
	s_waitcnt lgkmcnt(13)
	v_fma_f64 v[118:119], -v[116:117], v[130:131], v[118:119]
	v_fma_f64 v[108:109], -v[116:117], v[132:133], v[108:109]
	s_waitcnt lgkmcnt(12)
	v_fma_f64 v[92:93], -v[116:117], v[134:135], v[92:93]
	;; [unrolled: 3-line block ×14, first 2 shown]
.LBB59_6:
	s_or_b32 exec_lo, exec_lo, s2
	s_mov_b32 s1, exec_lo
	s_waitcnt lgkmcnt(0)
	s_barrier
	buffer_gl0_inv
	v_cmpx_eq_u32_e32 1, v0
	s_cbranch_execz .LBB59_9
; %bb.7:
	v_mov_b32_e32 v126, v122
	v_mov_b32_e32 v127, v123
	v_mov_b32_e32 v128, v118
	v_mov_b32_e32 v129, v119
	v_mov_b32_e32 v130, v108
	v_mov_b32_e32 v131, v109
	v_mov_b32_e32 v132, v92
	v_mov_b32_e32 v133, v93
	v_mov_b32_e32 v134, v106
	v_mov_b32_e32 v135, v107
	v_mov_b32_e32 v136, v90
	v_mov_b32_e32 v137, v91
	v_mov_b32_e32 v138, v104
	v_mov_b32_e32 v139, v105
	v_mov_b32_e32 v140, v88
	v_mov_b32_e32 v141, v89
	ds_write_b64 v1, v[120:121]
	ds_write2_b64 v182, v[126:127], v[128:129] offset0:2 offset1:3
	ds_write2_b64 v182, v[130:131], v[132:133] offset0:4 offset1:5
	;; [unrolled: 1-line block ×4, first 2 shown]
	v_mov_b32_e32 v126, v102
	v_mov_b32_e32 v127, v103
	;; [unrolled: 1-line block ×20, first 2 shown]
	ds_write2_b64 v182, v[126:127], v[128:129] offset0:10 offset1:11
	ds_write2_b64 v182, v[130:131], v[132:133] offset0:12 offset1:13
	ds_write2_b64 v182, v[134:135], v[136:137] offset0:14 offset1:15
	ds_write2_b64 v182, v[138:139], v[140:141] offset0:16 offset1:17
	ds_write2_b64 v182, v[142:143], v[144:145] offset0:18 offset1:19
	v_mov_b32_e32 v126, v78
	v_mov_b32_e32 v127, v79
	;; [unrolled: 1-line block ×18, first 2 shown]
	ds_write2_b64 v182, v[126:127], v[128:129] offset0:20 offset1:21
	ds_write2_b64 v182, v[130:131], v[132:133] offset0:22 offset1:23
	;; [unrolled: 1-line block ×5, first 2 shown]
	ds_read_b64 v[126:127], v1
	s_waitcnt lgkmcnt(0)
	v_cmp_neq_f64_e32 vcc_lo, 0, v[126:127]
	s_and_b32 exec_lo, exec_lo, vcc_lo
	s_cbranch_execz .LBB59_9
; %bb.8:
	v_div_scale_f64 v[128:129], null, v[126:127], v[126:127], 1.0
	v_rcp_f64_e32 v[130:131], v[128:129]
	v_fma_f64 v[132:133], -v[128:129], v[130:131], 1.0
	v_fma_f64 v[130:131], v[130:131], v[132:133], v[130:131]
	v_fma_f64 v[132:133], -v[128:129], v[130:131], 1.0
	v_fma_f64 v[130:131], v[130:131], v[132:133], v[130:131]
	v_div_scale_f64 v[132:133], vcc_lo, 1.0, v[126:127], 1.0
	v_mul_f64 v[134:135], v[132:133], v[130:131]
	v_fma_f64 v[128:129], -v[128:129], v[134:135], v[132:133]
	v_div_fmas_f64 v[128:129], v[128:129], v[130:131], v[134:135]
	v_div_fixup_f64 v[126:127], v[128:129], v[126:127], 1.0
	ds_write_b64 v1, v[126:127]
.LBB59_9:
	s_or_b32 exec_lo, exec_lo, s1
	s_waitcnt lgkmcnt(0)
	s_barrier
	buffer_gl0_inv
	ds_read_b64 v[126:127], v1
	s_mov_b32 s1, exec_lo
	v_cmpx_lt_u32_e32 1, v0
	s_cbranch_execz .LBB59_11
; %bb.10:
	s_waitcnt lgkmcnt(0)
	v_mul_f64 v[120:121], v[126:127], v[120:121]
	ds_read2_b64 v[128:131], v182 offset0:2 offset1:3
	ds_read2_b64 v[132:135], v182 offset0:4 offset1:5
	;; [unrolled: 1-line block ×14, first 2 shown]
	s_waitcnt lgkmcnt(13)
	v_fma_f64 v[122:123], -v[120:121], v[128:129], v[122:123]
	v_fma_f64 v[118:119], -v[120:121], v[130:131], v[118:119]
	s_waitcnt lgkmcnt(12)
	v_fma_f64 v[108:109], -v[120:121], v[132:133], v[108:109]
	v_fma_f64 v[92:93], -v[120:121], v[134:135], v[92:93]
	;; [unrolled: 3-line block ×14, first 2 shown]
.LBB59_11:
	s_or_b32 exec_lo, exec_lo, s1
	s_mov_b32 s1, exec_lo
	s_waitcnt lgkmcnt(0)
	s_barrier
	buffer_gl0_inv
	v_cmpx_eq_u32_e32 2, v0
	s_cbranch_execz .LBB59_14
; %bb.12:
	ds_write_b64 v1, v[122:123]
	ds_write2_b64 v182, v[118:119], v[108:109] offset0:3 offset1:4
	ds_write2_b64 v182, v[92:93], v[106:107] offset0:5 offset1:6
	;; [unrolled: 1-line block ×13, first 2 shown]
	ds_write_b64 v182, v[114:115] offset:232
	ds_read_b64 v[128:129], v1
	s_waitcnt lgkmcnt(0)
	v_cmp_neq_f64_e32 vcc_lo, 0, v[128:129]
	s_and_b32 exec_lo, exec_lo, vcc_lo
	s_cbranch_execz .LBB59_14
; %bb.13:
	v_div_scale_f64 v[130:131], null, v[128:129], v[128:129], 1.0
	v_rcp_f64_e32 v[132:133], v[130:131]
	v_fma_f64 v[134:135], -v[130:131], v[132:133], 1.0
	v_fma_f64 v[132:133], v[132:133], v[134:135], v[132:133]
	v_fma_f64 v[134:135], -v[130:131], v[132:133], 1.0
	v_fma_f64 v[132:133], v[132:133], v[134:135], v[132:133]
	v_div_scale_f64 v[134:135], vcc_lo, 1.0, v[128:129], 1.0
	v_mul_f64 v[136:137], v[134:135], v[132:133]
	v_fma_f64 v[130:131], -v[130:131], v[136:137], v[134:135]
	v_div_fmas_f64 v[130:131], v[130:131], v[132:133], v[136:137]
	v_div_fixup_f64 v[128:129], v[130:131], v[128:129], 1.0
	ds_write_b64 v1, v[128:129]
.LBB59_14:
	s_or_b32 exec_lo, exec_lo, s1
	s_waitcnt lgkmcnt(0)
	s_barrier
	buffer_gl0_inv
	ds_read_b64 v[128:129], v1
	s_mov_b32 s1, exec_lo
	v_cmpx_lt_u32_e32 2, v0
	s_cbranch_execz .LBB59_16
; %bb.15:
	s_waitcnt lgkmcnt(0)
	v_mul_f64 v[122:123], v[128:129], v[122:123]
	ds_read2_b64 v[130:133], v182 offset0:3 offset1:4
	ds_read2_b64 v[134:137], v182 offset0:5 offset1:6
	;; [unrolled: 1-line block ×13, first 2 shown]
	ds_read_b64 v[183:184], v182 offset:232
	s_waitcnt lgkmcnt(13)
	v_fma_f64 v[118:119], -v[122:123], v[130:131], v[118:119]
	v_fma_f64 v[108:109], -v[122:123], v[132:133], v[108:109]
	s_waitcnt lgkmcnt(12)
	v_fma_f64 v[92:93], -v[122:123], v[134:135], v[92:93]
	v_fma_f64 v[106:107], -v[122:123], v[136:137], v[106:107]
	;; [unrolled: 3-line block ×13, first 2 shown]
	s_waitcnt lgkmcnt(0)
	v_fma_f64 v[114:115], -v[122:123], v[183:184], v[114:115]
.LBB59_16:
	s_or_b32 exec_lo, exec_lo, s1
	s_mov_b32 s1, exec_lo
	s_waitcnt lgkmcnt(0)
	s_barrier
	buffer_gl0_inv
	v_cmpx_eq_u32_e32 3, v0
	s_cbranch_execz .LBB59_19
; %bb.17:
	v_mov_b32_e32 v130, v108
	v_mov_b32_e32 v131, v109
	;; [unrolled: 1-line block ×12, first 2 shown]
	ds_write_b64 v1, v[118:119]
	ds_write2_b64 v182, v[130:131], v[132:133] offset0:4 offset1:5
	ds_write2_b64 v182, v[134:135], v[136:137] offset0:6 offset1:7
	;; [unrolled: 1-line block ×3, first 2 shown]
	v_mov_b32_e32 v130, v102
	v_mov_b32_e32 v131, v103
	;; [unrolled: 1-line block ×20, first 2 shown]
	ds_write2_b64 v182, v[130:131], v[132:133] offset0:10 offset1:11
	ds_write2_b64 v182, v[134:135], v[136:137] offset0:12 offset1:13
	;; [unrolled: 1-line block ×5, first 2 shown]
	v_mov_b32_e32 v130, v78
	v_mov_b32_e32 v131, v79
	;; [unrolled: 1-line block ×18, first 2 shown]
	ds_write2_b64 v182, v[130:131], v[132:133] offset0:20 offset1:21
	ds_write2_b64 v182, v[134:135], v[136:137] offset0:22 offset1:23
	;; [unrolled: 1-line block ×5, first 2 shown]
	ds_read_b64 v[130:131], v1
	s_waitcnt lgkmcnt(0)
	v_cmp_neq_f64_e32 vcc_lo, 0, v[130:131]
	s_and_b32 exec_lo, exec_lo, vcc_lo
	s_cbranch_execz .LBB59_19
; %bb.18:
	v_div_scale_f64 v[132:133], null, v[130:131], v[130:131], 1.0
	v_rcp_f64_e32 v[134:135], v[132:133]
	v_fma_f64 v[136:137], -v[132:133], v[134:135], 1.0
	v_fma_f64 v[134:135], v[134:135], v[136:137], v[134:135]
	v_fma_f64 v[136:137], -v[132:133], v[134:135], 1.0
	v_fma_f64 v[134:135], v[134:135], v[136:137], v[134:135]
	v_div_scale_f64 v[136:137], vcc_lo, 1.0, v[130:131], 1.0
	v_mul_f64 v[138:139], v[136:137], v[134:135]
	v_fma_f64 v[132:133], -v[132:133], v[138:139], v[136:137]
	v_div_fmas_f64 v[132:133], v[132:133], v[134:135], v[138:139]
	v_div_fixup_f64 v[130:131], v[132:133], v[130:131], 1.0
	ds_write_b64 v1, v[130:131]
.LBB59_19:
	s_or_b32 exec_lo, exec_lo, s1
	s_waitcnt lgkmcnt(0)
	s_barrier
	buffer_gl0_inv
	ds_read_b64 v[130:131], v1
	s_mov_b32 s1, exec_lo
	v_cmpx_lt_u32_e32 3, v0
	s_cbranch_execz .LBB59_21
; %bb.20:
	s_waitcnt lgkmcnt(0)
	v_mul_f64 v[118:119], v[130:131], v[118:119]
	ds_read2_b64 v[132:135], v182 offset0:4 offset1:5
	ds_read2_b64 v[136:139], v182 offset0:6 offset1:7
	;; [unrolled: 1-line block ×13, first 2 shown]
	s_waitcnt lgkmcnt(12)
	v_fma_f64 v[108:109], -v[118:119], v[132:133], v[108:109]
	v_fma_f64 v[92:93], -v[118:119], v[134:135], v[92:93]
	s_waitcnt lgkmcnt(11)
	v_fma_f64 v[106:107], -v[118:119], v[136:137], v[106:107]
	v_fma_f64 v[90:91], -v[118:119], v[138:139], v[90:91]
	;; [unrolled: 3-line block ×13, first 2 shown]
.LBB59_21:
	s_or_b32 exec_lo, exec_lo, s1
	s_mov_b32 s1, exec_lo
	s_waitcnt lgkmcnt(0)
	s_barrier
	buffer_gl0_inv
	v_cmpx_eq_u32_e32 4, v0
	s_cbranch_execz .LBB59_24
; %bb.22:
	ds_write_b64 v1, v[108:109]
	ds_write2_b64 v182, v[92:93], v[106:107] offset0:5 offset1:6
	ds_write2_b64 v182, v[90:91], v[104:105] offset0:7 offset1:8
	;; [unrolled: 1-line block ×12, first 2 shown]
	ds_write_b64 v182, v[114:115] offset:232
	ds_read_b64 v[132:133], v1
	s_waitcnt lgkmcnt(0)
	v_cmp_neq_f64_e32 vcc_lo, 0, v[132:133]
	s_and_b32 exec_lo, exec_lo, vcc_lo
	s_cbranch_execz .LBB59_24
; %bb.23:
	v_div_scale_f64 v[134:135], null, v[132:133], v[132:133], 1.0
	v_rcp_f64_e32 v[136:137], v[134:135]
	v_fma_f64 v[138:139], -v[134:135], v[136:137], 1.0
	v_fma_f64 v[136:137], v[136:137], v[138:139], v[136:137]
	v_fma_f64 v[138:139], -v[134:135], v[136:137], 1.0
	v_fma_f64 v[136:137], v[136:137], v[138:139], v[136:137]
	v_div_scale_f64 v[138:139], vcc_lo, 1.0, v[132:133], 1.0
	v_mul_f64 v[140:141], v[138:139], v[136:137]
	v_fma_f64 v[134:135], -v[134:135], v[140:141], v[138:139]
	v_div_fmas_f64 v[134:135], v[134:135], v[136:137], v[140:141]
	v_div_fixup_f64 v[132:133], v[134:135], v[132:133], 1.0
	ds_write_b64 v1, v[132:133]
.LBB59_24:
	s_or_b32 exec_lo, exec_lo, s1
	s_waitcnt lgkmcnt(0)
	s_barrier
	buffer_gl0_inv
	ds_read_b64 v[132:133], v1
	s_mov_b32 s1, exec_lo
	v_cmpx_lt_u32_e32 4, v0
	s_cbranch_execz .LBB59_26
; %bb.25:
	s_waitcnt lgkmcnt(0)
	v_mul_f64 v[108:109], v[132:133], v[108:109]
	ds_read2_b64 v[134:137], v182 offset0:5 offset1:6
	ds_read2_b64 v[138:141], v182 offset0:7 offset1:8
	;; [unrolled: 1-line block ×12, first 2 shown]
	ds_read_b64 v[183:184], v182 offset:232
	s_waitcnt lgkmcnt(12)
	v_fma_f64 v[92:93], -v[108:109], v[134:135], v[92:93]
	v_fma_f64 v[106:107], -v[108:109], v[136:137], v[106:107]
	s_waitcnt lgkmcnt(11)
	v_fma_f64 v[90:91], -v[108:109], v[138:139], v[90:91]
	v_fma_f64 v[104:105], -v[108:109], v[140:141], v[104:105]
	;; [unrolled: 3-line block ×12, first 2 shown]
	s_waitcnt lgkmcnt(0)
	v_fma_f64 v[114:115], -v[108:109], v[183:184], v[114:115]
.LBB59_26:
	s_or_b32 exec_lo, exec_lo, s1
	s_mov_b32 s1, exec_lo
	s_waitcnt lgkmcnt(0)
	s_barrier
	buffer_gl0_inv
	v_cmpx_eq_u32_e32 5, v0
	s_cbranch_execz .LBB59_29
; %bb.27:
	v_mov_b32_e32 v134, v106
	v_mov_b32_e32 v135, v107
	;; [unrolled: 1-line block ×8, first 2 shown]
	ds_write_b64 v1, v[92:93]
	ds_write2_b64 v182, v[134:135], v[136:137] offset0:6 offset1:7
	ds_write2_b64 v182, v[138:139], v[140:141] offset0:8 offset1:9
	v_mov_b32_e32 v134, v102
	v_mov_b32_e32 v135, v103
	;; [unrolled: 1-line block ×20, first 2 shown]
	ds_write2_b64 v182, v[134:135], v[136:137] offset0:10 offset1:11
	ds_write2_b64 v182, v[138:139], v[140:141] offset0:12 offset1:13
	ds_write2_b64 v182, v[142:143], v[144:145] offset0:14 offset1:15
	ds_write2_b64 v182, v[146:147], v[148:149] offset0:16 offset1:17
	ds_write2_b64 v182, v[150:151], v[152:153] offset0:18 offset1:19
	v_mov_b32_e32 v134, v78
	v_mov_b32_e32 v135, v79
	;; [unrolled: 1-line block ×18, first 2 shown]
	ds_write2_b64 v182, v[134:135], v[136:137] offset0:20 offset1:21
	ds_write2_b64 v182, v[138:139], v[140:141] offset0:22 offset1:23
	;; [unrolled: 1-line block ×5, first 2 shown]
	ds_read_b64 v[134:135], v1
	s_waitcnt lgkmcnt(0)
	v_cmp_neq_f64_e32 vcc_lo, 0, v[134:135]
	s_and_b32 exec_lo, exec_lo, vcc_lo
	s_cbranch_execz .LBB59_29
; %bb.28:
	v_div_scale_f64 v[136:137], null, v[134:135], v[134:135], 1.0
	v_rcp_f64_e32 v[138:139], v[136:137]
	v_fma_f64 v[140:141], -v[136:137], v[138:139], 1.0
	v_fma_f64 v[138:139], v[138:139], v[140:141], v[138:139]
	v_fma_f64 v[140:141], -v[136:137], v[138:139], 1.0
	v_fma_f64 v[138:139], v[138:139], v[140:141], v[138:139]
	v_div_scale_f64 v[140:141], vcc_lo, 1.0, v[134:135], 1.0
	v_mul_f64 v[142:143], v[140:141], v[138:139]
	v_fma_f64 v[136:137], -v[136:137], v[142:143], v[140:141]
	v_div_fmas_f64 v[136:137], v[136:137], v[138:139], v[142:143]
	v_div_fixup_f64 v[134:135], v[136:137], v[134:135], 1.0
	ds_write_b64 v1, v[134:135]
.LBB59_29:
	s_or_b32 exec_lo, exec_lo, s1
	s_waitcnt lgkmcnt(0)
	s_barrier
	buffer_gl0_inv
	ds_read_b64 v[134:135], v1
	s_mov_b32 s1, exec_lo
	v_cmpx_lt_u32_e32 5, v0
	s_cbranch_execz .LBB59_31
; %bb.30:
	s_waitcnt lgkmcnt(0)
	v_mul_f64 v[92:93], v[134:135], v[92:93]
	ds_read2_b64 v[136:139], v182 offset0:6 offset1:7
	ds_read2_b64 v[140:143], v182 offset0:8 offset1:9
	;; [unrolled: 1-line block ×12, first 2 shown]
	s_waitcnt lgkmcnt(11)
	v_fma_f64 v[106:107], -v[92:93], v[136:137], v[106:107]
	v_fma_f64 v[90:91], -v[92:93], v[138:139], v[90:91]
	s_waitcnt lgkmcnt(10)
	v_fma_f64 v[104:105], -v[92:93], v[140:141], v[104:105]
	v_fma_f64 v[88:89], -v[92:93], v[142:143], v[88:89]
	;; [unrolled: 3-line block ×12, first 2 shown]
.LBB59_31:
	s_or_b32 exec_lo, exec_lo, s1
	s_mov_b32 s1, exec_lo
	s_waitcnt lgkmcnt(0)
	s_barrier
	buffer_gl0_inv
	v_cmpx_eq_u32_e32 6, v0
	s_cbranch_execz .LBB59_34
; %bb.32:
	ds_write_b64 v1, v[106:107]
	ds_write2_b64 v182, v[90:91], v[104:105] offset0:7 offset1:8
	ds_write2_b64 v182, v[88:89], v[102:103] offset0:9 offset1:10
	;; [unrolled: 1-line block ×11, first 2 shown]
	ds_write_b64 v182, v[114:115] offset:232
	ds_read_b64 v[136:137], v1
	s_waitcnt lgkmcnt(0)
	v_cmp_neq_f64_e32 vcc_lo, 0, v[136:137]
	s_and_b32 exec_lo, exec_lo, vcc_lo
	s_cbranch_execz .LBB59_34
; %bb.33:
	v_div_scale_f64 v[138:139], null, v[136:137], v[136:137], 1.0
	v_rcp_f64_e32 v[140:141], v[138:139]
	v_fma_f64 v[142:143], -v[138:139], v[140:141], 1.0
	v_fma_f64 v[140:141], v[140:141], v[142:143], v[140:141]
	v_fma_f64 v[142:143], -v[138:139], v[140:141], 1.0
	v_fma_f64 v[140:141], v[140:141], v[142:143], v[140:141]
	v_div_scale_f64 v[142:143], vcc_lo, 1.0, v[136:137], 1.0
	v_mul_f64 v[144:145], v[142:143], v[140:141]
	v_fma_f64 v[138:139], -v[138:139], v[144:145], v[142:143]
	v_div_fmas_f64 v[138:139], v[138:139], v[140:141], v[144:145]
	v_div_fixup_f64 v[136:137], v[138:139], v[136:137], 1.0
	ds_write_b64 v1, v[136:137]
.LBB59_34:
	s_or_b32 exec_lo, exec_lo, s1
	s_waitcnt lgkmcnt(0)
	s_barrier
	buffer_gl0_inv
	ds_read_b64 v[136:137], v1
	s_mov_b32 s1, exec_lo
	v_cmpx_lt_u32_e32 6, v0
	s_cbranch_execz .LBB59_36
; %bb.35:
	s_waitcnt lgkmcnt(0)
	v_mul_f64 v[106:107], v[136:137], v[106:107]
	ds_read2_b64 v[138:141], v182 offset0:7 offset1:8
	ds_read2_b64 v[142:145], v182 offset0:9 offset1:10
	;; [unrolled: 1-line block ×11, first 2 shown]
	ds_read_b64 v[183:184], v182 offset:232
	s_waitcnt lgkmcnt(11)
	v_fma_f64 v[90:91], -v[106:107], v[138:139], v[90:91]
	v_fma_f64 v[104:105], -v[106:107], v[140:141], v[104:105]
	s_waitcnt lgkmcnt(10)
	v_fma_f64 v[88:89], -v[106:107], v[142:143], v[88:89]
	v_fma_f64 v[102:103], -v[106:107], v[144:145], v[102:103]
	;; [unrolled: 3-line block ×11, first 2 shown]
	s_waitcnt lgkmcnt(0)
	v_fma_f64 v[114:115], -v[106:107], v[183:184], v[114:115]
.LBB59_36:
	s_or_b32 exec_lo, exec_lo, s1
	s_mov_b32 s1, exec_lo
	s_waitcnt lgkmcnt(0)
	s_barrier
	buffer_gl0_inv
	v_cmpx_eq_u32_e32 7, v0
	s_cbranch_execz .LBB59_39
; %bb.37:
	v_mov_b32_e32 v138, v104
	v_mov_b32_e32 v139, v105
	;; [unrolled: 1-line block ×4, first 2 shown]
	ds_write_b64 v1, v[90:91]
	ds_write2_b64 v182, v[138:139], v[140:141] offset0:8 offset1:9
	v_mov_b32_e32 v138, v102
	v_mov_b32_e32 v139, v103
	;; [unrolled: 1-line block ×20, first 2 shown]
	ds_write2_b64 v182, v[138:139], v[140:141] offset0:10 offset1:11
	ds_write2_b64 v182, v[142:143], v[144:145] offset0:12 offset1:13
	ds_write2_b64 v182, v[146:147], v[148:149] offset0:14 offset1:15
	ds_write2_b64 v182, v[150:151], v[152:153] offset0:16 offset1:17
	ds_write2_b64 v182, v[154:155], v[156:157] offset0:18 offset1:19
	v_mov_b32_e32 v138, v78
	v_mov_b32_e32 v139, v79
	;; [unrolled: 1-line block ×18, first 2 shown]
	ds_write2_b64 v182, v[138:139], v[140:141] offset0:20 offset1:21
	ds_write2_b64 v182, v[142:143], v[144:145] offset0:22 offset1:23
	;; [unrolled: 1-line block ×5, first 2 shown]
	ds_read_b64 v[138:139], v1
	s_waitcnt lgkmcnt(0)
	v_cmp_neq_f64_e32 vcc_lo, 0, v[138:139]
	s_and_b32 exec_lo, exec_lo, vcc_lo
	s_cbranch_execz .LBB59_39
; %bb.38:
	v_div_scale_f64 v[140:141], null, v[138:139], v[138:139], 1.0
	v_rcp_f64_e32 v[142:143], v[140:141]
	v_fma_f64 v[144:145], -v[140:141], v[142:143], 1.0
	v_fma_f64 v[142:143], v[142:143], v[144:145], v[142:143]
	v_fma_f64 v[144:145], -v[140:141], v[142:143], 1.0
	v_fma_f64 v[142:143], v[142:143], v[144:145], v[142:143]
	v_div_scale_f64 v[144:145], vcc_lo, 1.0, v[138:139], 1.0
	v_mul_f64 v[146:147], v[144:145], v[142:143]
	v_fma_f64 v[140:141], -v[140:141], v[146:147], v[144:145]
	v_div_fmas_f64 v[140:141], v[140:141], v[142:143], v[146:147]
	v_div_fixup_f64 v[138:139], v[140:141], v[138:139], 1.0
	ds_write_b64 v1, v[138:139]
.LBB59_39:
	s_or_b32 exec_lo, exec_lo, s1
	s_waitcnt lgkmcnt(0)
	s_barrier
	buffer_gl0_inv
	ds_read_b64 v[138:139], v1
	s_mov_b32 s1, exec_lo
	v_cmpx_lt_u32_e32 7, v0
	s_cbranch_execz .LBB59_41
; %bb.40:
	s_waitcnt lgkmcnt(0)
	v_mul_f64 v[90:91], v[138:139], v[90:91]
	ds_read2_b64 v[140:143], v182 offset0:8 offset1:9
	ds_read2_b64 v[144:147], v182 offset0:10 offset1:11
	;; [unrolled: 1-line block ×11, first 2 shown]
	s_waitcnt lgkmcnt(10)
	v_fma_f64 v[104:105], -v[90:91], v[140:141], v[104:105]
	v_fma_f64 v[88:89], -v[90:91], v[142:143], v[88:89]
	s_waitcnt lgkmcnt(9)
	v_fma_f64 v[102:103], -v[90:91], v[144:145], v[102:103]
	v_fma_f64 v[86:87], -v[90:91], v[146:147], v[86:87]
	s_waitcnt lgkmcnt(8)
	v_fma_f64 v[100:101], -v[90:91], v[148:149], v[100:101]
	v_fma_f64 v[84:85], -v[90:91], v[150:151], v[84:85]
	s_waitcnt lgkmcnt(7)
	v_fma_f64 v[98:99], -v[90:91], v[152:153], v[98:99]
	v_fma_f64 v[82:83], -v[90:91], v[154:155], v[82:83]
	s_waitcnt lgkmcnt(6)
	v_fma_f64 v[96:97], -v[90:91], v[156:157], v[96:97]
	v_fma_f64 v[80:81], -v[90:91], v[158:159], v[80:81]
	s_waitcnt lgkmcnt(5)
	v_fma_f64 v[94:95], -v[90:91], v[160:161], v[94:95]
	v_fma_f64 v[70:71], -v[90:91], v[162:163], v[70:71]
	s_waitcnt lgkmcnt(4)
	v_fma_f64 v[78:79], -v[90:91], v[164:165], v[78:79]
	v_fma_f64 v[68:69], -v[90:91], v[166:167], v[68:69]
	s_waitcnt lgkmcnt(3)
	v_fma_f64 v[76:77], -v[90:91], v[168:169], v[76:77]
	v_fma_f64 v[66:67], -v[90:91], v[170:171], v[66:67]
	s_waitcnt lgkmcnt(2)
	v_fma_f64 v[74:75], -v[90:91], v[172:173], v[74:75]
	v_fma_f64 v[64:65], -v[90:91], v[174:175], v[64:65]
	s_waitcnt lgkmcnt(1)
	v_fma_f64 v[72:73], -v[90:91], v[176:177], v[72:73]
	v_fma_f64 v[62:63], -v[90:91], v[178:179], v[62:63]
	s_waitcnt lgkmcnt(0)
	v_fma_f64 v[112:113], -v[90:91], v[183:184], v[112:113]
	v_fma_f64 v[114:115], -v[90:91], v[185:186], v[114:115]
.LBB59_41:
	s_or_b32 exec_lo, exec_lo, s1
	s_mov_b32 s1, exec_lo
	s_waitcnt lgkmcnt(0)
	s_barrier
	buffer_gl0_inv
	v_cmpx_eq_u32_e32 8, v0
	s_cbranch_execz .LBB59_44
; %bb.42:
	ds_write_b64 v1, v[104:105]
	ds_write2_b64 v182, v[88:89], v[102:103] offset0:9 offset1:10
	ds_write2_b64 v182, v[86:87], v[100:101] offset0:11 offset1:12
	;; [unrolled: 1-line block ×10, first 2 shown]
	ds_write_b64 v182, v[114:115] offset:232
	ds_read_b64 v[140:141], v1
	s_waitcnt lgkmcnt(0)
	v_cmp_neq_f64_e32 vcc_lo, 0, v[140:141]
	s_and_b32 exec_lo, exec_lo, vcc_lo
	s_cbranch_execz .LBB59_44
; %bb.43:
	v_div_scale_f64 v[142:143], null, v[140:141], v[140:141], 1.0
	v_rcp_f64_e32 v[144:145], v[142:143]
	v_fma_f64 v[146:147], -v[142:143], v[144:145], 1.0
	v_fma_f64 v[144:145], v[144:145], v[146:147], v[144:145]
	v_fma_f64 v[146:147], -v[142:143], v[144:145], 1.0
	v_fma_f64 v[144:145], v[144:145], v[146:147], v[144:145]
	v_div_scale_f64 v[146:147], vcc_lo, 1.0, v[140:141], 1.0
	v_mul_f64 v[148:149], v[146:147], v[144:145]
	v_fma_f64 v[142:143], -v[142:143], v[148:149], v[146:147]
	v_div_fmas_f64 v[142:143], v[142:143], v[144:145], v[148:149]
	v_div_fixup_f64 v[140:141], v[142:143], v[140:141], 1.0
	ds_write_b64 v1, v[140:141]
.LBB59_44:
	s_or_b32 exec_lo, exec_lo, s1
	s_waitcnt lgkmcnt(0)
	s_barrier
	buffer_gl0_inv
	ds_read_b64 v[140:141], v1
	s_mov_b32 s1, exec_lo
	v_cmpx_lt_u32_e32 8, v0
	s_cbranch_execz .LBB59_46
; %bb.45:
	s_waitcnt lgkmcnt(0)
	v_mul_f64 v[104:105], v[140:141], v[104:105]
	ds_read2_b64 v[142:145], v182 offset0:9 offset1:10
	ds_read2_b64 v[146:149], v182 offset0:11 offset1:12
	;; [unrolled: 1-line block ×10, first 2 shown]
	ds_read_b64 v[183:184], v182 offset:232
	s_waitcnt lgkmcnt(10)
	v_fma_f64 v[88:89], -v[104:105], v[142:143], v[88:89]
	v_fma_f64 v[102:103], -v[104:105], v[144:145], v[102:103]
	s_waitcnt lgkmcnt(9)
	v_fma_f64 v[86:87], -v[104:105], v[146:147], v[86:87]
	v_fma_f64 v[100:101], -v[104:105], v[148:149], v[100:101]
	;; [unrolled: 3-line block ×10, first 2 shown]
	s_waitcnt lgkmcnt(0)
	v_fma_f64 v[114:115], -v[104:105], v[183:184], v[114:115]
.LBB59_46:
	s_or_b32 exec_lo, exec_lo, s1
	s_mov_b32 s1, exec_lo
	s_waitcnt lgkmcnt(0)
	s_barrier
	buffer_gl0_inv
	v_cmpx_eq_u32_e32 9, v0
	s_cbranch_execz .LBB59_49
; %bb.47:
	v_mov_b32_e32 v142, v102
	v_mov_b32_e32 v143, v103
	;; [unrolled: 1-line block ×20, first 2 shown]
	ds_write_b64 v1, v[88:89]
	ds_write2_b64 v182, v[142:143], v[144:145] offset0:10 offset1:11
	ds_write2_b64 v182, v[146:147], v[148:149] offset0:12 offset1:13
	;; [unrolled: 1-line block ×5, first 2 shown]
	v_mov_b32_e32 v142, v78
	v_mov_b32_e32 v143, v79
	;; [unrolled: 1-line block ×18, first 2 shown]
	ds_write2_b64 v182, v[142:143], v[144:145] offset0:20 offset1:21
	ds_write2_b64 v182, v[146:147], v[148:149] offset0:22 offset1:23
	;; [unrolled: 1-line block ×5, first 2 shown]
	ds_read_b64 v[142:143], v1
	s_waitcnt lgkmcnt(0)
	v_cmp_neq_f64_e32 vcc_lo, 0, v[142:143]
	s_and_b32 exec_lo, exec_lo, vcc_lo
	s_cbranch_execz .LBB59_49
; %bb.48:
	v_div_scale_f64 v[144:145], null, v[142:143], v[142:143], 1.0
	v_rcp_f64_e32 v[146:147], v[144:145]
	v_fma_f64 v[148:149], -v[144:145], v[146:147], 1.0
	v_fma_f64 v[146:147], v[146:147], v[148:149], v[146:147]
	v_fma_f64 v[148:149], -v[144:145], v[146:147], 1.0
	v_fma_f64 v[146:147], v[146:147], v[148:149], v[146:147]
	v_div_scale_f64 v[148:149], vcc_lo, 1.0, v[142:143], 1.0
	v_mul_f64 v[150:151], v[148:149], v[146:147]
	v_fma_f64 v[144:145], -v[144:145], v[150:151], v[148:149]
	v_div_fmas_f64 v[144:145], v[144:145], v[146:147], v[150:151]
	v_div_fixup_f64 v[142:143], v[144:145], v[142:143], 1.0
	ds_write_b64 v1, v[142:143]
.LBB59_49:
	s_or_b32 exec_lo, exec_lo, s1
	s_waitcnt lgkmcnt(0)
	s_barrier
	buffer_gl0_inv
	ds_read_b64 v[142:143], v1
	s_mov_b32 s1, exec_lo
	v_cmpx_lt_u32_e32 9, v0
	s_cbranch_execz .LBB59_51
; %bb.50:
	s_waitcnt lgkmcnt(0)
	v_mul_f64 v[88:89], v[142:143], v[88:89]
	ds_read2_b64 v[144:147], v182 offset0:10 offset1:11
	ds_read2_b64 v[148:151], v182 offset0:12 offset1:13
	;; [unrolled: 1-line block ×10, first 2 shown]
	s_waitcnt lgkmcnt(9)
	v_fma_f64 v[102:103], -v[88:89], v[144:145], v[102:103]
	v_fma_f64 v[86:87], -v[88:89], v[146:147], v[86:87]
	s_waitcnt lgkmcnt(8)
	v_fma_f64 v[100:101], -v[88:89], v[148:149], v[100:101]
	v_fma_f64 v[84:85], -v[88:89], v[150:151], v[84:85]
	;; [unrolled: 3-line block ×10, first 2 shown]
.LBB59_51:
	s_or_b32 exec_lo, exec_lo, s1
	s_mov_b32 s1, exec_lo
	s_waitcnt lgkmcnt(0)
	s_barrier
	buffer_gl0_inv
	v_cmpx_eq_u32_e32 10, v0
	s_cbranch_execz .LBB59_54
; %bb.52:
	ds_write_b64 v1, v[102:103]
	ds_write2_b64 v182, v[86:87], v[100:101] offset0:11 offset1:12
	ds_write2_b64 v182, v[84:85], v[98:99] offset0:13 offset1:14
	;; [unrolled: 1-line block ×9, first 2 shown]
	ds_write_b64 v182, v[114:115] offset:232
	ds_read_b64 v[144:145], v1
	s_waitcnt lgkmcnt(0)
	v_cmp_neq_f64_e32 vcc_lo, 0, v[144:145]
	s_and_b32 exec_lo, exec_lo, vcc_lo
	s_cbranch_execz .LBB59_54
; %bb.53:
	v_div_scale_f64 v[146:147], null, v[144:145], v[144:145], 1.0
	v_rcp_f64_e32 v[148:149], v[146:147]
	v_fma_f64 v[150:151], -v[146:147], v[148:149], 1.0
	v_fma_f64 v[148:149], v[148:149], v[150:151], v[148:149]
	v_fma_f64 v[150:151], -v[146:147], v[148:149], 1.0
	v_fma_f64 v[148:149], v[148:149], v[150:151], v[148:149]
	v_div_scale_f64 v[150:151], vcc_lo, 1.0, v[144:145], 1.0
	v_mul_f64 v[152:153], v[150:151], v[148:149]
	v_fma_f64 v[146:147], -v[146:147], v[152:153], v[150:151]
	v_div_fmas_f64 v[146:147], v[146:147], v[148:149], v[152:153]
	v_div_fixup_f64 v[144:145], v[146:147], v[144:145], 1.0
	ds_write_b64 v1, v[144:145]
.LBB59_54:
	s_or_b32 exec_lo, exec_lo, s1
	s_waitcnt lgkmcnt(0)
	s_barrier
	buffer_gl0_inv
	ds_read_b64 v[144:145], v1
	s_mov_b32 s1, exec_lo
	v_cmpx_lt_u32_e32 10, v0
	s_cbranch_execz .LBB59_56
; %bb.55:
	s_waitcnt lgkmcnt(0)
	v_mul_f64 v[102:103], v[144:145], v[102:103]
	ds_read2_b64 v[146:149], v182 offset0:11 offset1:12
	ds_read2_b64 v[150:153], v182 offset0:13 offset1:14
	;; [unrolled: 1-line block ×9, first 2 shown]
	ds_read_b64 v[183:184], v182 offset:232
	s_waitcnt lgkmcnt(9)
	v_fma_f64 v[86:87], -v[102:103], v[146:147], v[86:87]
	v_fma_f64 v[100:101], -v[102:103], v[148:149], v[100:101]
	s_waitcnt lgkmcnt(8)
	v_fma_f64 v[84:85], -v[102:103], v[150:151], v[84:85]
	v_fma_f64 v[98:99], -v[102:103], v[152:153], v[98:99]
	;; [unrolled: 3-line block ×9, first 2 shown]
	s_waitcnt lgkmcnt(0)
	v_fma_f64 v[114:115], -v[102:103], v[183:184], v[114:115]
.LBB59_56:
	s_or_b32 exec_lo, exec_lo, s1
	s_mov_b32 s1, exec_lo
	s_waitcnt lgkmcnt(0)
	s_barrier
	buffer_gl0_inv
	v_cmpx_eq_u32_e32 11, v0
	s_cbranch_execz .LBB59_59
; %bb.57:
	v_mov_b32_e32 v146, v100
	v_mov_b32_e32 v147, v101
	;; [unrolled: 1-line block ×16, first 2 shown]
	ds_write_b64 v1, v[86:87]
	ds_write2_b64 v182, v[146:147], v[148:149] offset0:12 offset1:13
	ds_write2_b64 v182, v[150:151], v[152:153] offset0:14 offset1:15
	;; [unrolled: 1-line block ×4, first 2 shown]
	v_mov_b32_e32 v146, v78
	v_mov_b32_e32 v147, v79
	;; [unrolled: 1-line block ×18, first 2 shown]
	ds_write2_b64 v182, v[146:147], v[148:149] offset0:20 offset1:21
	ds_write2_b64 v182, v[150:151], v[152:153] offset0:22 offset1:23
	ds_write2_b64 v182, v[154:155], v[156:157] offset0:24 offset1:25
	ds_write2_b64 v182, v[158:159], v[160:161] offset0:26 offset1:27
	ds_write2_b64 v182, v[162:163], v[114:115] offset0:28 offset1:29
	ds_read_b64 v[146:147], v1
	s_waitcnt lgkmcnt(0)
	v_cmp_neq_f64_e32 vcc_lo, 0, v[146:147]
	s_and_b32 exec_lo, exec_lo, vcc_lo
	s_cbranch_execz .LBB59_59
; %bb.58:
	v_div_scale_f64 v[148:149], null, v[146:147], v[146:147], 1.0
	v_rcp_f64_e32 v[150:151], v[148:149]
	v_fma_f64 v[152:153], -v[148:149], v[150:151], 1.0
	v_fma_f64 v[150:151], v[150:151], v[152:153], v[150:151]
	v_fma_f64 v[152:153], -v[148:149], v[150:151], 1.0
	v_fma_f64 v[150:151], v[150:151], v[152:153], v[150:151]
	v_div_scale_f64 v[152:153], vcc_lo, 1.0, v[146:147], 1.0
	v_mul_f64 v[154:155], v[152:153], v[150:151]
	v_fma_f64 v[148:149], -v[148:149], v[154:155], v[152:153]
	v_div_fmas_f64 v[148:149], v[148:149], v[150:151], v[154:155]
	v_div_fixup_f64 v[146:147], v[148:149], v[146:147], 1.0
	ds_write_b64 v1, v[146:147]
.LBB59_59:
	s_or_b32 exec_lo, exec_lo, s1
	s_waitcnt lgkmcnt(0)
	s_barrier
	buffer_gl0_inv
	ds_read_b64 v[146:147], v1
	s_mov_b32 s1, exec_lo
	v_cmpx_lt_u32_e32 11, v0
	s_cbranch_execz .LBB59_61
; %bb.60:
	s_waitcnt lgkmcnt(0)
	v_mul_f64 v[86:87], v[146:147], v[86:87]
	ds_read2_b64 v[148:151], v182 offset0:12 offset1:13
	ds_read2_b64 v[152:155], v182 offset0:14 offset1:15
	ds_read2_b64 v[156:159], v182 offset0:16 offset1:17
	ds_read2_b64 v[160:163], v182 offset0:18 offset1:19
	ds_read2_b64 v[164:167], v182 offset0:20 offset1:21
	ds_read2_b64 v[168:171], v182 offset0:22 offset1:23
	ds_read2_b64 v[172:175], v182 offset0:24 offset1:25
	ds_read2_b64 v[176:179], v182 offset0:26 offset1:27
	ds_read2_b64 v[183:186], v182 offset0:28 offset1:29
	s_waitcnt lgkmcnt(8)
	v_fma_f64 v[100:101], -v[86:87], v[148:149], v[100:101]
	v_fma_f64 v[84:85], -v[86:87], v[150:151], v[84:85]
	s_waitcnt lgkmcnt(7)
	v_fma_f64 v[98:99], -v[86:87], v[152:153], v[98:99]
	v_fma_f64 v[82:83], -v[86:87], v[154:155], v[82:83]
	;; [unrolled: 3-line block ×9, first 2 shown]
.LBB59_61:
	s_or_b32 exec_lo, exec_lo, s1
	s_mov_b32 s1, exec_lo
	s_waitcnt lgkmcnt(0)
	s_barrier
	buffer_gl0_inv
	v_cmpx_eq_u32_e32 12, v0
	s_cbranch_execz .LBB59_64
; %bb.62:
	ds_write_b64 v1, v[100:101]
	ds_write2_b64 v182, v[84:85], v[98:99] offset0:13 offset1:14
	ds_write2_b64 v182, v[82:83], v[96:97] offset0:15 offset1:16
	;; [unrolled: 1-line block ×8, first 2 shown]
	ds_write_b64 v182, v[114:115] offset:232
	ds_read_b64 v[148:149], v1
	s_waitcnt lgkmcnt(0)
	v_cmp_neq_f64_e32 vcc_lo, 0, v[148:149]
	s_and_b32 exec_lo, exec_lo, vcc_lo
	s_cbranch_execz .LBB59_64
; %bb.63:
	v_div_scale_f64 v[150:151], null, v[148:149], v[148:149], 1.0
	v_rcp_f64_e32 v[152:153], v[150:151]
	v_fma_f64 v[154:155], -v[150:151], v[152:153], 1.0
	v_fma_f64 v[152:153], v[152:153], v[154:155], v[152:153]
	v_fma_f64 v[154:155], -v[150:151], v[152:153], 1.0
	v_fma_f64 v[152:153], v[152:153], v[154:155], v[152:153]
	v_div_scale_f64 v[154:155], vcc_lo, 1.0, v[148:149], 1.0
	v_mul_f64 v[156:157], v[154:155], v[152:153]
	v_fma_f64 v[150:151], -v[150:151], v[156:157], v[154:155]
	v_div_fmas_f64 v[150:151], v[150:151], v[152:153], v[156:157]
	v_div_fixup_f64 v[148:149], v[150:151], v[148:149], 1.0
	ds_write_b64 v1, v[148:149]
.LBB59_64:
	s_or_b32 exec_lo, exec_lo, s1
	s_waitcnt lgkmcnt(0)
	s_barrier
	buffer_gl0_inv
	ds_read_b64 v[148:149], v1
	s_mov_b32 s1, exec_lo
	v_cmpx_lt_u32_e32 12, v0
	s_cbranch_execz .LBB59_66
; %bb.65:
	s_waitcnt lgkmcnt(0)
	v_mul_f64 v[100:101], v[148:149], v[100:101]
	ds_read2_b64 v[150:153], v182 offset0:13 offset1:14
	ds_read2_b64 v[154:157], v182 offset0:15 offset1:16
	;; [unrolled: 1-line block ×8, first 2 shown]
	ds_read_b64 v[183:184], v182 offset:232
	s_waitcnt lgkmcnt(8)
	v_fma_f64 v[84:85], -v[100:101], v[150:151], v[84:85]
	v_fma_f64 v[98:99], -v[100:101], v[152:153], v[98:99]
	s_waitcnt lgkmcnt(7)
	v_fma_f64 v[82:83], -v[100:101], v[154:155], v[82:83]
	v_fma_f64 v[96:97], -v[100:101], v[156:157], v[96:97]
	;; [unrolled: 3-line block ×8, first 2 shown]
	s_waitcnt lgkmcnt(0)
	v_fma_f64 v[114:115], -v[100:101], v[183:184], v[114:115]
.LBB59_66:
	s_or_b32 exec_lo, exec_lo, s1
	s_mov_b32 s1, exec_lo
	s_waitcnt lgkmcnt(0)
	s_barrier
	buffer_gl0_inv
	v_cmpx_eq_u32_e32 13, v0
	s_cbranch_execz .LBB59_69
; %bb.67:
	v_mov_b32_e32 v150, v98
	v_mov_b32_e32 v151, v99
	v_mov_b32_e32 v152, v82
	v_mov_b32_e32 v153, v83
	v_mov_b32_e32 v154, v96
	v_mov_b32_e32 v155, v97
	v_mov_b32_e32 v156, v80
	v_mov_b32_e32 v157, v81
	v_mov_b32_e32 v158, v94
	v_mov_b32_e32 v159, v95
	v_mov_b32_e32 v160, v70
	v_mov_b32_e32 v161, v71
	ds_write_b64 v1, v[84:85]
	ds_write2_b64 v182, v[150:151], v[152:153] offset0:14 offset1:15
	ds_write2_b64 v182, v[154:155], v[156:157] offset0:16 offset1:17
	;; [unrolled: 1-line block ×3, first 2 shown]
	v_mov_b32_e32 v150, v78
	v_mov_b32_e32 v151, v79
	;; [unrolled: 1-line block ×18, first 2 shown]
	ds_write2_b64 v182, v[150:151], v[152:153] offset0:20 offset1:21
	ds_write2_b64 v182, v[154:155], v[156:157] offset0:22 offset1:23
	;; [unrolled: 1-line block ×5, first 2 shown]
	ds_read_b64 v[150:151], v1
	s_waitcnt lgkmcnt(0)
	v_cmp_neq_f64_e32 vcc_lo, 0, v[150:151]
	s_and_b32 exec_lo, exec_lo, vcc_lo
	s_cbranch_execz .LBB59_69
; %bb.68:
	v_div_scale_f64 v[152:153], null, v[150:151], v[150:151], 1.0
	v_rcp_f64_e32 v[154:155], v[152:153]
	v_fma_f64 v[156:157], -v[152:153], v[154:155], 1.0
	v_fma_f64 v[154:155], v[154:155], v[156:157], v[154:155]
	v_fma_f64 v[156:157], -v[152:153], v[154:155], 1.0
	v_fma_f64 v[154:155], v[154:155], v[156:157], v[154:155]
	v_div_scale_f64 v[156:157], vcc_lo, 1.0, v[150:151], 1.0
	v_mul_f64 v[158:159], v[156:157], v[154:155]
	v_fma_f64 v[152:153], -v[152:153], v[158:159], v[156:157]
	v_div_fmas_f64 v[152:153], v[152:153], v[154:155], v[158:159]
	v_div_fixup_f64 v[150:151], v[152:153], v[150:151], 1.0
	ds_write_b64 v1, v[150:151]
.LBB59_69:
	s_or_b32 exec_lo, exec_lo, s1
	s_waitcnt lgkmcnt(0)
	s_barrier
	buffer_gl0_inv
	ds_read_b64 v[150:151], v1
	s_mov_b32 s1, exec_lo
	v_cmpx_lt_u32_e32 13, v0
	s_cbranch_execz .LBB59_71
; %bb.70:
	s_waitcnt lgkmcnt(0)
	v_mul_f64 v[84:85], v[150:151], v[84:85]
	ds_read2_b64 v[152:155], v182 offset0:14 offset1:15
	ds_read2_b64 v[156:159], v182 offset0:16 offset1:17
	;; [unrolled: 1-line block ×8, first 2 shown]
	s_waitcnt lgkmcnt(7)
	v_fma_f64 v[98:99], -v[84:85], v[152:153], v[98:99]
	v_fma_f64 v[82:83], -v[84:85], v[154:155], v[82:83]
	s_waitcnt lgkmcnt(6)
	v_fma_f64 v[96:97], -v[84:85], v[156:157], v[96:97]
	v_fma_f64 v[80:81], -v[84:85], v[158:159], v[80:81]
	;; [unrolled: 3-line block ×8, first 2 shown]
.LBB59_71:
	s_or_b32 exec_lo, exec_lo, s1
	s_mov_b32 s1, exec_lo
	s_waitcnt lgkmcnt(0)
	s_barrier
	buffer_gl0_inv
	v_cmpx_eq_u32_e32 14, v0
	s_cbranch_execz .LBB59_74
; %bb.72:
	ds_write_b64 v1, v[98:99]
	ds_write2_b64 v182, v[82:83], v[96:97] offset0:15 offset1:16
	ds_write2_b64 v182, v[80:81], v[94:95] offset0:17 offset1:18
	;; [unrolled: 1-line block ×7, first 2 shown]
	ds_write_b64 v182, v[114:115] offset:232
	ds_read_b64 v[152:153], v1
	s_waitcnt lgkmcnt(0)
	v_cmp_neq_f64_e32 vcc_lo, 0, v[152:153]
	s_and_b32 exec_lo, exec_lo, vcc_lo
	s_cbranch_execz .LBB59_74
; %bb.73:
	v_div_scale_f64 v[154:155], null, v[152:153], v[152:153], 1.0
	v_rcp_f64_e32 v[156:157], v[154:155]
	v_fma_f64 v[158:159], -v[154:155], v[156:157], 1.0
	v_fma_f64 v[156:157], v[156:157], v[158:159], v[156:157]
	v_fma_f64 v[158:159], -v[154:155], v[156:157], 1.0
	v_fma_f64 v[156:157], v[156:157], v[158:159], v[156:157]
	v_div_scale_f64 v[158:159], vcc_lo, 1.0, v[152:153], 1.0
	v_mul_f64 v[160:161], v[158:159], v[156:157]
	v_fma_f64 v[154:155], -v[154:155], v[160:161], v[158:159]
	v_div_fmas_f64 v[154:155], v[154:155], v[156:157], v[160:161]
	v_div_fixup_f64 v[152:153], v[154:155], v[152:153], 1.0
	ds_write_b64 v1, v[152:153]
.LBB59_74:
	s_or_b32 exec_lo, exec_lo, s1
	s_waitcnt lgkmcnt(0)
	s_barrier
	buffer_gl0_inv
	ds_read_b64 v[152:153], v1
	s_mov_b32 s1, exec_lo
	v_cmpx_lt_u32_e32 14, v0
	s_cbranch_execz .LBB59_76
; %bb.75:
	s_waitcnt lgkmcnt(0)
	v_mul_f64 v[98:99], v[152:153], v[98:99]
	ds_read2_b64 v[154:157], v182 offset0:15 offset1:16
	ds_read2_b64 v[158:161], v182 offset0:17 offset1:18
	;; [unrolled: 1-line block ×7, first 2 shown]
	ds_read_b64 v[183:184], v182 offset:232
	s_waitcnt lgkmcnt(7)
	v_fma_f64 v[82:83], -v[98:99], v[154:155], v[82:83]
	v_fma_f64 v[96:97], -v[98:99], v[156:157], v[96:97]
	s_waitcnt lgkmcnt(6)
	v_fma_f64 v[80:81], -v[98:99], v[158:159], v[80:81]
	v_fma_f64 v[94:95], -v[98:99], v[160:161], v[94:95]
	;; [unrolled: 3-line block ×7, first 2 shown]
	s_waitcnt lgkmcnt(0)
	v_fma_f64 v[114:115], -v[98:99], v[183:184], v[114:115]
.LBB59_76:
	s_or_b32 exec_lo, exec_lo, s1
	s_mov_b32 s1, exec_lo
	s_waitcnt lgkmcnt(0)
	s_barrier
	buffer_gl0_inv
	v_cmpx_eq_u32_e32 15, v0
	s_cbranch_execz .LBB59_79
; %bb.77:
	v_mov_b32_e32 v154, v96
	v_mov_b32_e32 v155, v97
	;; [unrolled: 1-line block ×8, first 2 shown]
	ds_write_b64 v1, v[82:83]
	ds_write2_b64 v182, v[154:155], v[156:157] offset0:16 offset1:17
	ds_write2_b64 v182, v[158:159], v[160:161] offset0:18 offset1:19
	v_mov_b32_e32 v154, v78
	v_mov_b32_e32 v155, v79
	;; [unrolled: 1-line block ×18, first 2 shown]
	ds_write2_b64 v182, v[154:155], v[156:157] offset0:20 offset1:21
	ds_write2_b64 v182, v[158:159], v[160:161] offset0:22 offset1:23
	;; [unrolled: 1-line block ×5, first 2 shown]
	ds_read_b64 v[154:155], v1
	s_waitcnt lgkmcnt(0)
	v_cmp_neq_f64_e32 vcc_lo, 0, v[154:155]
	s_and_b32 exec_lo, exec_lo, vcc_lo
	s_cbranch_execz .LBB59_79
; %bb.78:
	v_div_scale_f64 v[156:157], null, v[154:155], v[154:155], 1.0
	v_rcp_f64_e32 v[158:159], v[156:157]
	v_fma_f64 v[160:161], -v[156:157], v[158:159], 1.0
	v_fma_f64 v[158:159], v[158:159], v[160:161], v[158:159]
	v_fma_f64 v[160:161], -v[156:157], v[158:159], 1.0
	v_fma_f64 v[158:159], v[158:159], v[160:161], v[158:159]
	v_div_scale_f64 v[160:161], vcc_lo, 1.0, v[154:155], 1.0
	v_mul_f64 v[162:163], v[160:161], v[158:159]
	v_fma_f64 v[156:157], -v[156:157], v[162:163], v[160:161]
	v_div_fmas_f64 v[156:157], v[156:157], v[158:159], v[162:163]
	v_div_fixup_f64 v[154:155], v[156:157], v[154:155], 1.0
	ds_write_b64 v1, v[154:155]
.LBB59_79:
	s_or_b32 exec_lo, exec_lo, s1
	s_waitcnt lgkmcnt(0)
	s_barrier
	buffer_gl0_inv
	ds_read_b64 v[154:155], v1
	s_mov_b32 s1, exec_lo
	v_cmpx_lt_u32_e32 15, v0
	s_cbranch_execz .LBB59_81
; %bb.80:
	s_waitcnt lgkmcnt(0)
	v_mul_f64 v[82:83], v[154:155], v[82:83]
	ds_read2_b64 v[156:159], v182 offset0:16 offset1:17
	ds_read2_b64 v[160:163], v182 offset0:18 offset1:19
	ds_read2_b64 v[164:167], v182 offset0:20 offset1:21
	ds_read2_b64 v[168:171], v182 offset0:22 offset1:23
	ds_read2_b64 v[172:175], v182 offset0:24 offset1:25
	ds_read2_b64 v[176:179], v182 offset0:26 offset1:27
	ds_read2_b64 v[183:186], v182 offset0:28 offset1:29
	s_waitcnt lgkmcnt(6)
	v_fma_f64 v[96:97], -v[82:83], v[156:157], v[96:97]
	v_fma_f64 v[80:81], -v[82:83], v[158:159], v[80:81]
	s_waitcnt lgkmcnt(5)
	v_fma_f64 v[94:95], -v[82:83], v[160:161], v[94:95]
	v_fma_f64 v[70:71], -v[82:83], v[162:163], v[70:71]
	s_waitcnt lgkmcnt(4)
	v_fma_f64 v[78:79], -v[82:83], v[164:165], v[78:79]
	v_fma_f64 v[68:69], -v[82:83], v[166:167], v[68:69]
	s_waitcnt lgkmcnt(3)
	v_fma_f64 v[76:77], -v[82:83], v[168:169], v[76:77]
	v_fma_f64 v[66:67], -v[82:83], v[170:171], v[66:67]
	s_waitcnt lgkmcnt(2)
	v_fma_f64 v[74:75], -v[82:83], v[172:173], v[74:75]
	v_fma_f64 v[64:65], -v[82:83], v[174:175], v[64:65]
	s_waitcnt lgkmcnt(1)
	v_fma_f64 v[72:73], -v[82:83], v[176:177], v[72:73]
	v_fma_f64 v[62:63], -v[82:83], v[178:179], v[62:63]
	s_waitcnt lgkmcnt(0)
	v_fma_f64 v[112:113], -v[82:83], v[183:184], v[112:113]
	v_fma_f64 v[114:115], -v[82:83], v[185:186], v[114:115]
.LBB59_81:
	s_or_b32 exec_lo, exec_lo, s1
	s_mov_b32 s1, exec_lo
	s_waitcnt lgkmcnt(0)
	s_barrier
	buffer_gl0_inv
	v_cmpx_eq_u32_e32 16, v0
	s_cbranch_execz .LBB59_84
; %bb.82:
	ds_write_b64 v1, v[96:97]
	ds_write2_b64 v182, v[80:81], v[94:95] offset0:17 offset1:18
	ds_write2_b64 v182, v[70:71], v[78:79] offset0:19 offset1:20
	;; [unrolled: 1-line block ×6, first 2 shown]
	ds_write_b64 v182, v[114:115] offset:232
	ds_read_b64 v[156:157], v1
	s_waitcnt lgkmcnt(0)
	v_cmp_neq_f64_e32 vcc_lo, 0, v[156:157]
	s_and_b32 exec_lo, exec_lo, vcc_lo
	s_cbranch_execz .LBB59_84
; %bb.83:
	v_div_scale_f64 v[158:159], null, v[156:157], v[156:157], 1.0
	v_rcp_f64_e32 v[160:161], v[158:159]
	v_fma_f64 v[162:163], -v[158:159], v[160:161], 1.0
	v_fma_f64 v[160:161], v[160:161], v[162:163], v[160:161]
	v_fma_f64 v[162:163], -v[158:159], v[160:161], 1.0
	v_fma_f64 v[160:161], v[160:161], v[162:163], v[160:161]
	v_div_scale_f64 v[162:163], vcc_lo, 1.0, v[156:157], 1.0
	v_mul_f64 v[164:165], v[162:163], v[160:161]
	v_fma_f64 v[158:159], -v[158:159], v[164:165], v[162:163]
	v_div_fmas_f64 v[158:159], v[158:159], v[160:161], v[164:165]
	v_div_fixup_f64 v[156:157], v[158:159], v[156:157], 1.0
	ds_write_b64 v1, v[156:157]
.LBB59_84:
	s_or_b32 exec_lo, exec_lo, s1
	s_waitcnt lgkmcnt(0)
	s_barrier
	buffer_gl0_inv
	ds_read_b64 v[156:157], v1
	s_mov_b32 s1, exec_lo
	v_cmpx_lt_u32_e32 16, v0
	s_cbranch_execz .LBB59_86
; %bb.85:
	s_waitcnt lgkmcnt(0)
	v_mul_f64 v[96:97], v[156:157], v[96:97]
	ds_read2_b64 v[158:161], v182 offset0:17 offset1:18
	ds_read2_b64 v[162:165], v182 offset0:19 offset1:20
	;; [unrolled: 1-line block ×6, first 2 shown]
	ds_read_b64 v[183:184], v182 offset:232
	s_waitcnt lgkmcnt(6)
	v_fma_f64 v[80:81], -v[96:97], v[158:159], v[80:81]
	v_fma_f64 v[94:95], -v[96:97], v[160:161], v[94:95]
	s_waitcnt lgkmcnt(5)
	v_fma_f64 v[70:71], -v[96:97], v[162:163], v[70:71]
	v_fma_f64 v[78:79], -v[96:97], v[164:165], v[78:79]
	;; [unrolled: 3-line block ×6, first 2 shown]
	s_waitcnt lgkmcnt(0)
	v_fma_f64 v[114:115], -v[96:97], v[183:184], v[114:115]
.LBB59_86:
	s_or_b32 exec_lo, exec_lo, s1
	s_mov_b32 s1, exec_lo
	s_waitcnt lgkmcnt(0)
	s_barrier
	buffer_gl0_inv
	v_cmpx_eq_u32_e32 17, v0
	s_cbranch_execz .LBB59_89
; %bb.87:
	v_mov_b32_e32 v158, v94
	v_mov_b32_e32 v159, v95
	;; [unrolled: 1-line block ×4, first 2 shown]
	ds_write_b64 v1, v[80:81]
	ds_write2_b64 v182, v[158:159], v[160:161] offset0:18 offset1:19
	v_mov_b32_e32 v158, v78
	v_mov_b32_e32 v159, v79
	;; [unrolled: 1-line block ×18, first 2 shown]
	ds_write2_b64 v182, v[158:159], v[160:161] offset0:20 offset1:21
	ds_write2_b64 v182, v[162:163], v[164:165] offset0:22 offset1:23
	;; [unrolled: 1-line block ×5, first 2 shown]
	ds_read_b64 v[158:159], v1
	s_waitcnt lgkmcnt(0)
	v_cmp_neq_f64_e32 vcc_lo, 0, v[158:159]
	s_and_b32 exec_lo, exec_lo, vcc_lo
	s_cbranch_execz .LBB59_89
; %bb.88:
	v_div_scale_f64 v[160:161], null, v[158:159], v[158:159], 1.0
	v_rcp_f64_e32 v[162:163], v[160:161]
	v_fma_f64 v[164:165], -v[160:161], v[162:163], 1.0
	v_fma_f64 v[162:163], v[162:163], v[164:165], v[162:163]
	v_fma_f64 v[164:165], -v[160:161], v[162:163], 1.0
	v_fma_f64 v[162:163], v[162:163], v[164:165], v[162:163]
	v_div_scale_f64 v[164:165], vcc_lo, 1.0, v[158:159], 1.0
	v_mul_f64 v[166:167], v[164:165], v[162:163]
	v_fma_f64 v[160:161], -v[160:161], v[166:167], v[164:165]
	v_div_fmas_f64 v[160:161], v[160:161], v[162:163], v[166:167]
	v_div_fixup_f64 v[158:159], v[160:161], v[158:159], 1.0
	ds_write_b64 v1, v[158:159]
.LBB59_89:
	s_or_b32 exec_lo, exec_lo, s1
	s_waitcnt lgkmcnt(0)
	s_barrier
	buffer_gl0_inv
	ds_read_b64 v[158:159], v1
	s_mov_b32 s1, exec_lo
	v_cmpx_lt_u32_e32 17, v0
	s_cbranch_execz .LBB59_91
; %bb.90:
	s_waitcnt lgkmcnt(0)
	v_mul_f64 v[80:81], v[158:159], v[80:81]
	ds_read2_b64 v[160:163], v182 offset0:18 offset1:19
	ds_read2_b64 v[164:167], v182 offset0:20 offset1:21
	;; [unrolled: 1-line block ×6, first 2 shown]
	s_waitcnt lgkmcnt(5)
	v_fma_f64 v[94:95], -v[80:81], v[160:161], v[94:95]
	v_fma_f64 v[70:71], -v[80:81], v[162:163], v[70:71]
	s_waitcnt lgkmcnt(4)
	v_fma_f64 v[78:79], -v[80:81], v[164:165], v[78:79]
	v_fma_f64 v[68:69], -v[80:81], v[166:167], v[68:69]
	;; [unrolled: 3-line block ×6, first 2 shown]
.LBB59_91:
	s_or_b32 exec_lo, exec_lo, s1
	s_mov_b32 s1, exec_lo
	s_waitcnt lgkmcnt(0)
	s_barrier
	buffer_gl0_inv
	v_cmpx_eq_u32_e32 18, v0
	s_cbranch_execz .LBB59_94
; %bb.92:
	ds_write_b64 v1, v[94:95]
	ds_write2_b64 v182, v[70:71], v[78:79] offset0:19 offset1:20
	ds_write2_b64 v182, v[68:69], v[76:77] offset0:21 offset1:22
	;; [unrolled: 1-line block ×5, first 2 shown]
	ds_write_b64 v182, v[114:115] offset:232
	ds_read_b64 v[160:161], v1
	s_waitcnt lgkmcnt(0)
	v_cmp_neq_f64_e32 vcc_lo, 0, v[160:161]
	s_and_b32 exec_lo, exec_lo, vcc_lo
	s_cbranch_execz .LBB59_94
; %bb.93:
	v_div_scale_f64 v[162:163], null, v[160:161], v[160:161], 1.0
	v_rcp_f64_e32 v[164:165], v[162:163]
	v_fma_f64 v[166:167], -v[162:163], v[164:165], 1.0
	v_fma_f64 v[164:165], v[164:165], v[166:167], v[164:165]
	v_fma_f64 v[166:167], -v[162:163], v[164:165], 1.0
	v_fma_f64 v[164:165], v[164:165], v[166:167], v[164:165]
	v_div_scale_f64 v[166:167], vcc_lo, 1.0, v[160:161], 1.0
	v_mul_f64 v[168:169], v[166:167], v[164:165]
	v_fma_f64 v[162:163], -v[162:163], v[168:169], v[166:167]
	v_div_fmas_f64 v[162:163], v[162:163], v[164:165], v[168:169]
	v_div_fixup_f64 v[160:161], v[162:163], v[160:161], 1.0
	ds_write_b64 v1, v[160:161]
.LBB59_94:
	s_or_b32 exec_lo, exec_lo, s1
	s_waitcnt lgkmcnt(0)
	s_barrier
	buffer_gl0_inv
	ds_read_b64 v[160:161], v1
	s_mov_b32 s1, exec_lo
	v_cmpx_lt_u32_e32 18, v0
	s_cbranch_execz .LBB59_96
; %bb.95:
	s_waitcnt lgkmcnt(0)
	v_mul_f64 v[94:95], v[160:161], v[94:95]
	ds_read2_b64 v[162:165], v182 offset0:19 offset1:20
	ds_read2_b64 v[166:169], v182 offset0:21 offset1:22
	;; [unrolled: 1-line block ×5, first 2 shown]
	ds_read_b64 v[183:184], v182 offset:232
	s_waitcnt lgkmcnt(5)
	v_fma_f64 v[70:71], -v[94:95], v[162:163], v[70:71]
	v_fma_f64 v[78:79], -v[94:95], v[164:165], v[78:79]
	s_waitcnt lgkmcnt(4)
	v_fma_f64 v[68:69], -v[94:95], v[166:167], v[68:69]
	v_fma_f64 v[76:77], -v[94:95], v[168:169], v[76:77]
	;; [unrolled: 3-line block ×5, first 2 shown]
	s_waitcnt lgkmcnt(0)
	v_fma_f64 v[114:115], -v[94:95], v[183:184], v[114:115]
.LBB59_96:
	s_or_b32 exec_lo, exec_lo, s1
	s_mov_b32 s1, exec_lo
	s_waitcnt lgkmcnt(0)
	s_barrier
	buffer_gl0_inv
	v_cmpx_eq_u32_e32 19, v0
	s_cbranch_execz .LBB59_99
; %bb.97:
	v_mov_b32_e32 v162, v78
	v_mov_b32_e32 v163, v79
	;; [unrolled: 1-line block ×18, first 2 shown]
	ds_write_b64 v1, v[70:71]
	ds_write2_b64 v182, v[162:163], v[164:165] offset0:20 offset1:21
	ds_write2_b64 v182, v[166:167], v[168:169] offset0:22 offset1:23
	;; [unrolled: 1-line block ×5, first 2 shown]
	ds_read_b64 v[162:163], v1
	s_waitcnt lgkmcnt(0)
	v_cmp_neq_f64_e32 vcc_lo, 0, v[162:163]
	s_and_b32 exec_lo, exec_lo, vcc_lo
	s_cbranch_execz .LBB59_99
; %bb.98:
	v_div_scale_f64 v[164:165], null, v[162:163], v[162:163], 1.0
	v_rcp_f64_e32 v[166:167], v[164:165]
	v_fma_f64 v[168:169], -v[164:165], v[166:167], 1.0
	v_fma_f64 v[166:167], v[166:167], v[168:169], v[166:167]
	v_fma_f64 v[168:169], -v[164:165], v[166:167], 1.0
	v_fma_f64 v[166:167], v[166:167], v[168:169], v[166:167]
	v_div_scale_f64 v[168:169], vcc_lo, 1.0, v[162:163], 1.0
	v_mul_f64 v[170:171], v[168:169], v[166:167]
	v_fma_f64 v[164:165], -v[164:165], v[170:171], v[168:169]
	v_div_fmas_f64 v[164:165], v[164:165], v[166:167], v[170:171]
	v_div_fixup_f64 v[162:163], v[164:165], v[162:163], 1.0
	ds_write_b64 v1, v[162:163]
.LBB59_99:
	s_or_b32 exec_lo, exec_lo, s1
	s_waitcnt lgkmcnt(0)
	s_barrier
	buffer_gl0_inv
	ds_read_b64 v[162:163], v1
	s_mov_b32 s1, exec_lo
	v_cmpx_lt_u32_e32 19, v0
	s_cbranch_execz .LBB59_101
; %bb.100:
	s_waitcnt lgkmcnt(0)
	v_mul_f64 v[70:71], v[162:163], v[70:71]
	ds_read2_b64 v[164:167], v182 offset0:20 offset1:21
	ds_read2_b64 v[168:171], v182 offset0:22 offset1:23
	;; [unrolled: 1-line block ×5, first 2 shown]
	s_waitcnt lgkmcnt(4)
	v_fma_f64 v[78:79], -v[70:71], v[164:165], v[78:79]
	v_fma_f64 v[68:69], -v[70:71], v[166:167], v[68:69]
	s_waitcnt lgkmcnt(3)
	v_fma_f64 v[76:77], -v[70:71], v[168:169], v[76:77]
	v_fma_f64 v[66:67], -v[70:71], v[170:171], v[66:67]
	;; [unrolled: 3-line block ×5, first 2 shown]
.LBB59_101:
	s_or_b32 exec_lo, exec_lo, s1
	s_mov_b32 s1, exec_lo
	s_waitcnt lgkmcnt(0)
	s_barrier
	buffer_gl0_inv
	v_cmpx_eq_u32_e32 20, v0
	s_cbranch_execz .LBB59_104
; %bb.102:
	ds_write_b64 v1, v[78:79]
	ds_write2_b64 v182, v[68:69], v[76:77] offset0:21 offset1:22
	ds_write2_b64 v182, v[66:67], v[74:75] offset0:23 offset1:24
	;; [unrolled: 1-line block ×4, first 2 shown]
	ds_write_b64 v182, v[114:115] offset:232
	ds_read_b64 v[164:165], v1
	s_waitcnt lgkmcnt(0)
	v_cmp_neq_f64_e32 vcc_lo, 0, v[164:165]
	s_and_b32 exec_lo, exec_lo, vcc_lo
	s_cbranch_execz .LBB59_104
; %bb.103:
	v_div_scale_f64 v[166:167], null, v[164:165], v[164:165], 1.0
	v_rcp_f64_e32 v[168:169], v[166:167]
	v_fma_f64 v[170:171], -v[166:167], v[168:169], 1.0
	v_fma_f64 v[168:169], v[168:169], v[170:171], v[168:169]
	v_fma_f64 v[170:171], -v[166:167], v[168:169], 1.0
	v_fma_f64 v[168:169], v[168:169], v[170:171], v[168:169]
	v_div_scale_f64 v[170:171], vcc_lo, 1.0, v[164:165], 1.0
	v_mul_f64 v[172:173], v[170:171], v[168:169]
	v_fma_f64 v[166:167], -v[166:167], v[172:173], v[170:171]
	v_div_fmas_f64 v[166:167], v[166:167], v[168:169], v[172:173]
	v_div_fixup_f64 v[164:165], v[166:167], v[164:165], 1.0
	ds_write_b64 v1, v[164:165]
.LBB59_104:
	s_or_b32 exec_lo, exec_lo, s1
	s_waitcnt lgkmcnt(0)
	s_barrier
	buffer_gl0_inv
	ds_read_b64 v[164:165], v1
	s_mov_b32 s1, exec_lo
	v_cmpx_lt_u32_e32 20, v0
	s_cbranch_execz .LBB59_106
; %bb.105:
	s_waitcnt lgkmcnt(0)
	v_mul_f64 v[78:79], v[164:165], v[78:79]
	ds_read2_b64 v[166:169], v182 offset0:21 offset1:22
	ds_read2_b64 v[170:173], v182 offset0:23 offset1:24
	;; [unrolled: 1-line block ×4, first 2 shown]
	ds_read_b64 v[183:184], v182 offset:232
	s_waitcnt lgkmcnt(4)
	v_fma_f64 v[68:69], -v[78:79], v[166:167], v[68:69]
	v_fma_f64 v[76:77], -v[78:79], v[168:169], v[76:77]
	s_waitcnt lgkmcnt(3)
	v_fma_f64 v[66:67], -v[78:79], v[170:171], v[66:67]
	v_fma_f64 v[74:75], -v[78:79], v[172:173], v[74:75]
	;; [unrolled: 3-line block ×4, first 2 shown]
	s_waitcnt lgkmcnt(0)
	v_fma_f64 v[114:115], -v[78:79], v[183:184], v[114:115]
.LBB59_106:
	s_or_b32 exec_lo, exec_lo, s1
	s_mov_b32 s1, exec_lo
	s_waitcnt lgkmcnt(0)
	s_barrier
	buffer_gl0_inv
	v_cmpx_eq_u32_e32 21, v0
	s_cbranch_execz .LBB59_109
; %bb.107:
	v_mov_b32_e32 v166, v76
	v_mov_b32_e32 v167, v77
	;; [unrolled: 1-line block ×14, first 2 shown]
	ds_write_b64 v1, v[68:69]
	ds_write2_b64 v182, v[166:167], v[168:169] offset0:22 offset1:23
	ds_write2_b64 v182, v[170:171], v[172:173] offset0:24 offset1:25
	;; [unrolled: 1-line block ×4, first 2 shown]
	ds_read_b64 v[166:167], v1
	s_waitcnt lgkmcnt(0)
	v_cmp_neq_f64_e32 vcc_lo, 0, v[166:167]
	s_and_b32 exec_lo, exec_lo, vcc_lo
	s_cbranch_execz .LBB59_109
; %bb.108:
	v_div_scale_f64 v[168:169], null, v[166:167], v[166:167], 1.0
	v_rcp_f64_e32 v[170:171], v[168:169]
	v_fma_f64 v[172:173], -v[168:169], v[170:171], 1.0
	v_fma_f64 v[170:171], v[170:171], v[172:173], v[170:171]
	v_fma_f64 v[172:173], -v[168:169], v[170:171], 1.0
	v_fma_f64 v[170:171], v[170:171], v[172:173], v[170:171]
	v_div_scale_f64 v[172:173], vcc_lo, 1.0, v[166:167], 1.0
	v_mul_f64 v[174:175], v[172:173], v[170:171]
	v_fma_f64 v[168:169], -v[168:169], v[174:175], v[172:173]
	v_div_fmas_f64 v[168:169], v[168:169], v[170:171], v[174:175]
	v_div_fixup_f64 v[166:167], v[168:169], v[166:167], 1.0
	ds_write_b64 v1, v[166:167]
.LBB59_109:
	s_or_b32 exec_lo, exec_lo, s1
	s_waitcnt lgkmcnt(0)
	s_barrier
	buffer_gl0_inv
	ds_read_b64 v[166:167], v1
	s_mov_b32 s1, exec_lo
	v_cmpx_lt_u32_e32 21, v0
	s_cbranch_execz .LBB59_111
; %bb.110:
	s_waitcnt lgkmcnt(0)
	v_mul_f64 v[68:69], v[166:167], v[68:69]
	ds_read2_b64 v[168:171], v182 offset0:22 offset1:23
	ds_read2_b64 v[172:175], v182 offset0:24 offset1:25
	;; [unrolled: 1-line block ×4, first 2 shown]
	s_waitcnt lgkmcnt(3)
	v_fma_f64 v[76:77], -v[68:69], v[168:169], v[76:77]
	v_fma_f64 v[66:67], -v[68:69], v[170:171], v[66:67]
	s_waitcnt lgkmcnt(2)
	v_fma_f64 v[74:75], -v[68:69], v[172:173], v[74:75]
	v_fma_f64 v[64:65], -v[68:69], v[174:175], v[64:65]
	;; [unrolled: 3-line block ×4, first 2 shown]
.LBB59_111:
	s_or_b32 exec_lo, exec_lo, s1
	s_mov_b32 s1, exec_lo
	s_waitcnt lgkmcnt(0)
	s_barrier
	buffer_gl0_inv
	v_cmpx_eq_u32_e32 22, v0
	s_cbranch_execz .LBB59_114
; %bb.112:
	ds_write_b64 v1, v[76:77]
	ds_write2_b64 v182, v[66:67], v[74:75] offset0:23 offset1:24
	ds_write2_b64 v182, v[64:65], v[72:73] offset0:25 offset1:26
	;; [unrolled: 1-line block ×3, first 2 shown]
	ds_write_b64 v182, v[114:115] offset:232
	ds_read_b64 v[168:169], v1
	s_waitcnt lgkmcnt(0)
	v_cmp_neq_f64_e32 vcc_lo, 0, v[168:169]
	s_and_b32 exec_lo, exec_lo, vcc_lo
	s_cbranch_execz .LBB59_114
; %bb.113:
	v_div_scale_f64 v[170:171], null, v[168:169], v[168:169], 1.0
	v_rcp_f64_e32 v[172:173], v[170:171]
	v_fma_f64 v[174:175], -v[170:171], v[172:173], 1.0
	v_fma_f64 v[172:173], v[172:173], v[174:175], v[172:173]
	v_fma_f64 v[174:175], -v[170:171], v[172:173], 1.0
	v_fma_f64 v[172:173], v[172:173], v[174:175], v[172:173]
	v_div_scale_f64 v[174:175], vcc_lo, 1.0, v[168:169], 1.0
	v_mul_f64 v[176:177], v[174:175], v[172:173]
	v_fma_f64 v[170:171], -v[170:171], v[176:177], v[174:175]
	v_div_fmas_f64 v[170:171], v[170:171], v[172:173], v[176:177]
	v_div_fixup_f64 v[168:169], v[170:171], v[168:169], 1.0
	ds_write_b64 v1, v[168:169]
.LBB59_114:
	s_or_b32 exec_lo, exec_lo, s1
	s_waitcnt lgkmcnt(0)
	s_barrier
	buffer_gl0_inv
	ds_read_b64 v[168:169], v1
	s_mov_b32 s1, exec_lo
	v_cmpx_lt_u32_e32 22, v0
	s_cbranch_execz .LBB59_116
; %bb.115:
	s_waitcnt lgkmcnt(0)
	v_mul_f64 v[76:77], v[168:169], v[76:77]
	ds_read2_b64 v[170:173], v182 offset0:23 offset1:24
	ds_read2_b64 v[174:177], v182 offset0:25 offset1:26
	;; [unrolled: 1-line block ×3, first 2 shown]
	ds_read_b64 v[183:184], v182 offset:232
	s_waitcnt lgkmcnt(3)
	v_fma_f64 v[66:67], -v[76:77], v[170:171], v[66:67]
	v_fma_f64 v[74:75], -v[76:77], v[172:173], v[74:75]
	s_waitcnt lgkmcnt(2)
	v_fma_f64 v[64:65], -v[76:77], v[174:175], v[64:65]
	v_fma_f64 v[72:73], -v[76:77], v[176:177], v[72:73]
	;; [unrolled: 3-line block ×3, first 2 shown]
	s_waitcnt lgkmcnt(0)
	v_fma_f64 v[114:115], -v[76:77], v[183:184], v[114:115]
.LBB59_116:
	s_or_b32 exec_lo, exec_lo, s1
	s_mov_b32 s1, exec_lo
	s_waitcnt lgkmcnt(0)
	s_barrier
	buffer_gl0_inv
	v_cmpx_eq_u32_e32 23, v0
	s_cbranch_execz .LBB59_119
; %bb.117:
	v_mov_b32_e32 v170, v74
	v_mov_b32_e32 v171, v75
	;; [unrolled: 1-line block ×10, first 2 shown]
	ds_write_b64 v1, v[66:67]
	ds_write2_b64 v182, v[170:171], v[172:173] offset0:24 offset1:25
	ds_write2_b64 v182, v[174:175], v[176:177] offset0:26 offset1:27
	ds_write2_b64 v182, v[178:179], v[114:115] offset0:28 offset1:29
	ds_read_b64 v[170:171], v1
	s_waitcnt lgkmcnt(0)
	v_cmp_neq_f64_e32 vcc_lo, 0, v[170:171]
	s_and_b32 exec_lo, exec_lo, vcc_lo
	s_cbranch_execz .LBB59_119
; %bb.118:
	v_div_scale_f64 v[172:173], null, v[170:171], v[170:171], 1.0
	v_rcp_f64_e32 v[174:175], v[172:173]
	v_fma_f64 v[176:177], -v[172:173], v[174:175], 1.0
	v_fma_f64 v[174:175], v[174:175], v[176:177], v[174:175]
	v_fma_f64 v[176:177], -v[172:173], v[174:175], 1.0
	v_fma_f64 v[174:175], v[174:175], v[176:177], v[174:175]
	v_div_scale_f64 v[176:177], vcc_lo, 1.0, v[170:171], 1.0
	v_mul_f64 v[178:179], v[176:177], v[174:175]
	v_fma_f64 v[172:173], -v[172:173], v[178:179], v[176:177]
	v_div_fmas_f64 v[172:173], v[172:173], v[174:175], v[178:179]
	v_div_fixup_f64 v[170:171], v[172:173], v[170:171], 1.0
	ds_write_b64 v1, v[170:171]
.LBB59_119:
	s_or_b32 exec_lo, exec_lo, s1
	s_waitcnt lgkmcnt(0)
	s_barrier
	buffer_gl0_inv
	ds_read_b64 v[170:171], v1
	s_mov_b32 s1, exec_lo
	v_cmpx_lt_u32_e32 23, v0
	s_cbranch_execz .LBB59_121
; %bb.120:
	s_waitcnt lgkmcnt(0)
	v_mul_f64 v[66:67], v[170:171], v[66:67]
	ds_read2_b64 v[172:175], v182 offset0:24 offset1:25
	ds_read2_b64 v[176:179], v182 offset0:26 offset1:27
	;; [unrolled: 1-line block ×3, first 2 shown]
	s_waitcnt lgkmcnt(2)
	v_fma_f64 v[74:75], -v[66:67], v[172:173], v[74:75]
	v_fma_f64 v[64:65], -v[66:67], v[174:175], v[64:65]
	s_waitcnt lgkmcnt(1)
	v_fma_f64 v[72:73], -v[66:67], v[176:177], v[72:73]
	v_fma_f64 v[62:63], -v[66:67], v[178:179], v[62:63]
	;; [unrolled: 3-line block ×3, first 2 shown]
.LBB59_121:
	s_or_b32 exec_lo, exec_lo, s1
	s_mov_b32 s1, exec_lo
	s_waitcnt lgkmcnt(0)
	s_barrier
	buffer_gl0_inv
	v_cmpx_eq_u32_e32 24, v0
	s_cbranch_execz .LBB59_124
; %bb.122:
	ds_write_b64 v1, v[74:75]
	ds_write2_b64 v182, v[64:65], v[72:73] offset0:25 offset1:26
	ds_write2_b64 v182, v[62:63], v[112:113] offset0:27 offset1:28
	ds_write_b64 v182, v[114:115] offset:232
	ds_read_b64 v[172:173], v1
	s_waitcnt lgkmcnt(0)
	v_cmp_neq_f64_e32 vcc_lo, 0, v[172:173]
	s_and_b32 exec_lo, exec_lo, vcc_lo
	s_cbranch_execz .LBB59_124
; %bb.123:
	v_div_scale_f64 v[174:175], null, v[172:173], v[172:173], 1.0
	v_rcp_f64_e32 v[176:177], v[174:175]
	v_fma_f64 v[178:179], -v[174:175], v[176:177], 1.0
	v_fma_f64 v[176:177], v[176:177], v[178:179], v[176:177]
	v_fma_f64 v[178:179], -v[174:175], v[176:177], 1.0
	v_fma_f64 v[176:177], v[176:177], v[178:179], v[176:177]
	v_div_scale_f64 v[178:179], vcc_lo, 1.0, v[172:173], 1.0
	v_mul_f64 v[180:181], v[178:179], v[176:177]
	v_fma_f64 v[174:175], -v[174:175], v[180:181], v[178:179]
	v_div_fmas_f64 v[174:175], v[174:175], v[176:177], v[180:181]
	v_div_fixup_f64 v[172:173], v[174:175], v[172:173], 1.0
	ds_write_b64 v1, v[172:173]
.LBB59_124:
	s_or_b32 exec_lo, exec_lo, s1
	s_waitcnt lgkmcnt(0)
	s_barrier
	buffer_gl0_inv
	ds_read_b64 v[172:173], v1
	s_mov_b32 s1, exec_lo
	v_cmpx_lt_u32_e32 24, v0
	s_cbranch_execz .LBB59_126
; %bb.125:
	s_waitcnt lgkmcnt(0)
	v_mul_f64 v[74:75], v[172:173], v[74:75]
	ds_read2_b64 v[174:177], v182 offset0:25 offset1:26
	ds_read2_b64 v[178:181], v182 offset0:27 offset1:28
	ds_read_b64 v[183:184], v182 offset:232
	s_waitcnt lgkmcnt(2)
	v_fma_f64 v[64:65], -v[74:75], v[174:175], v[64:65]
	v_fma_f64 v[72:73], -v[74:75], v[176:177], v[72:73]
	s_waitcnt lgkmcnt(1)
	v_fma_f64 v[62:63], -v[74:75], v[178:179], v[62:63]
	v_fma_f64 v[112:113], -v[74:75], v[180:181], v[112:113]
	s_waitcnt lgkmcnt(0)
	v_fma_f64 v[114:115], -v[74:75], v[183:184], v[114:115]
.LBB59_126:
	s_or_b32 exec_lo, exec_lo, s1
	s_mov_b32 s1, exec_lo
	s_waitcnt lgkmcnt(0)
	s_barrier
	buffer_gl0_inv
	v_cmpx_eq_u32_e32 25, v0
	s_cbranch_execz .LBB59_129
; %bb.127:
	v_mov_b32_e32 v174, v72
	v_mov_b32_e32 v175, v73
	;; [unrolled: 1-line block ×6, first 2 shown]
	ds_write_b64 v1, v[64:65]
	ds_write2_b64 v182, v[174:175], v[176:177] offset0:26 offset1:27
	ds_write2_b64 v182, v[178:179], v[114:115] offset0:28 offset1:29
	ds_read_b64 v[174:175], v1
	s_waitcnt lgkmcnt(0)
	v_cmp_neq_f64_e32 vcc_lo, 0, v[174:175]
	s_and_b32 exec_lo, exec_lo, vcc_lo
	s_cbranch_execz .LBB59_129
; %bb.128:
	v_div_scale_f64 v[176:177], null, v[174:175], v[174:175], 1.0
	v_rcp_f64_e32 v[178:179], v[176:177]
	v_fma_f64 v[180:181], -v[176:177], v[178:179], 1.0
	v_fma_f64 v[178:179], v[178:179], v[180:181], v[178:179]
	v_fma_f64 v[180:181], -v[176:177], v[178:179], 1.0
	v_fma_f64 v[178:179], v[178:179], v[180:181], v[178:179]
	v_div_scale_f64 v[180:181], vcc_lo, 1.0, v[174:175], 1.0
	v_mul_f64 v[183:184], v[180:181], v[178:179]
	v_fma_f64 v[176:177], -v[176:177], v[183:184], v[180:181]
	v_div_fmas_f64 v[176:177], v[176:177], v[178:179], v[183:184]
	v_div_fixup_f64 v[174:175], v[176:177], v[174:175], 1.0
	ds_write_b64 v1, v[174:175]
.LBB59_129:
	s_or_b32 exec_lo, exec_lo, s1
	s_waitcnt lgkmcnt(0)
	s_barrier
	buffer_gl0_inv
	ds_read_b64 v[174:175], v1
	s_mov_b32 s1, exec_lo
	v_cmpx_lt_u32_e32 25, v0
	s_cbranch_execz .LBB59_131
; %bb.130:
	s_waitcnt lgkmcnt(0)
	v_mul_f64 v[64:65], v[174:175], v[64:65]
	ds_read2_b64 v[176:179], v182 offset0:26 offset1:27
	ds_read2_b64 v[183:186], v182 offset0:28 offset1:29
	s_waitcnt lgkmcnt(1)
	v_fma_f64 v[72:73], -v[64:65], v[176:177], v[72:73]
	v_fma_f64 v[62:63], -v[64:65], v[178:179], v[62:63]
	s_waitcnt lgkmcnt(0)
	v_fma_f64 v[112:113], -v[64:65], v[183:184], v[112:113]
	v_fma_f64 v[114:115], -v[64:65], v[185:186], v[114:115]
.LBB59_131:
	s_or_b32 exec_lo, exec_lo, s1
	s_mov_b32 s1, exec_lo
	s_waitcnt lgkmcnt(0)
	s_barrier
	buffer_gl0_inv
	v_cmpx_eq_u32_e32 26, v0
	s_cbranch_execz .LBB59_134
; %bb.132:
	ds_write_b64 v1, v[72:73]
	ds_write2_b64 v182, v[62:63], v[112:113] offset0:27 offset1:28
	ds_write_b64 v182, v[114:115] offset:232
	ds_read_b64 v[176:177], v1
	s_waitcnt lgkmcnt(0)
	v_cmp_neq_f64_e32 vcc_lo, 0, v[176:177]
	s_and_b32 exec_lo, exec_lo, vcc_lo
	s_cbranch_execz .LBB59_134
; %bb.133:
	v_div_scale_f64 v[178:179], null, v[176:177], v[176:177], 1.0
	v_rcp_f64_e32 v[180:181], v[178:179]
	v_fma_f64 v[183:184], -v[178:179], v[180:181], 1.0
	v_fma_f64 v[180:181], v[180:181], v[183:184], v[180:181]
	v_fma_f64 v[183:184], -v[178:179], v[180:181], 1.0
	v_fma_f64 v[180:181], v[180:181], v[183:184], v[180:181]
	v_div_scale_f64 v[183:184], vcc_lo, 1.0, v[176:177], 1.0
	v_mul_f64 v[185:186], v[183:184], v[180:181]
	v_fma_f64 v[178:179], -v[178:179], v[185:186], v[183:184]
	v_div_fmas_f64 v[178:179], v[178:179], v[180:181], v[185:186]
	v_div_fixup_f64 v[176:177], v[178:179], v[176:177], 1.0
	ds_write_b64 v1, v[176:177]
.LBB59_134:
	s_or_b32 exec_lo, exec_lo, s1
	s_waitcnt lgkmcnt(0)
	s_barrier
	buffer_gl0_inv
	ds_read_b64 v[176:177], v1
	s_mov_b32 s1, exec_lo
	v_cmpx_lt_u32_e32 26, v0
	s_cbranch_execz .LBB59_136
; %bb.135:
	s_waitcnt lgkmcnt(0)
	v_mul_f64 v[72:73], v[176:177], v[72:73]
	ds_read2_b64 v[178:181], v182 offset0:27 offset1:28
	ds_read_b64 v[183:184], v182 offset:232
	s_waitcnt lgkmcnt(1)
	v_fma_f64 v[62:63], -v[72:73], v[178:179], v[62:63]
	v_fma_f64 v[112:113], -v[72:73], v[180:181], v[112:113]
	s_waitcnt lgkmcnt(0)
	v_fma_f64 v[114:115], -v[72:73], v[183:184], v[114:115]
.LBB59_136:
	s_or_b32 exec_lo, exec_lo, s1
	s_mov_b32 s1, exec_lo
	s_waitcnt lgkmcnt(0)
	s_barrier
	buffer_gl0_inv
	v_cmpx_eq_u32_e32 27, v0
	s_cbranch_execz .LBB59_139
; %bb.137:
	v_mov_b32_e32 v178, v112
	v_mov_b32_e32 v179, v113
	ds_write_b64 v1, v[62:63]
	ds_write2_b64 v182, v[178:179], v[114:115] offset0:28 offset1:29
	ds_read_b64 v[178:179], v1
	s_waitcnt lgkmcnt(0)
	v_cmp_neq_f64_e32 vcc_lo, 0, v[178:179]
	s_and_b32 exec_lo, exec_lo, vcc_lo
	s_cbranch_execz .LBB59_139
; %bb.138:
	v_div_scale_f64 v[180:181], null, v[178:179], v[178:179], 1.0
	v_rcp_f64_e32 v[183:184], v[180:181]
	v_fma_f64 v[185:186], -v[180:181], v[183:184], 1.0
	v_fma_f64 v[183:184], v[183:184], v[185:186], v[183:184]
	v_fma_f64 v[185:186], -v[180:181], v[183:184], 1.0
	v_fma_f64 v[183:184], v[183:184], v[185:186], v[183:184]
	v_div_scale_f64 v[185:186], vcc_lo, 1.0, v[178:179], 1.0
	v_mul_f64 v[187:188], v[185:186], v[183:184]
	v_fma_f64 v[180:181], -v[180:181], v[187:188], v[185:186]
	v_div_fmas_f64 v[180:181], v[180:181], v[183:184], v[187:188]
	v_div_fixup_f64 v[178:179], v[180:181], v[178:179], 1.0
	ds_write_b64 v1, v[178:179]
.LBB59_139:
	s_or_b32 exec_lo, exec_lo, s1
	s_waitcnt lgkmcnt(0)
	s_barrier
	buffer_gl0_inv
	ds_read_b64 v[178:179], v1
	s_mov_b32 s1, exec_lo
	v_cmpx_lt_u32_e32 27, v0
	s_cbranch_execz .LBB59_141
; %bb.140:
	s_waitcnt lgkmcnt(0)
	v_mul_f64 v[62:63], v[178:179], v[62:63]
	ds_read2_b64 v[183:186], v182 offset0:28 offset1:29
	s_waitcnt lgkmcnt(0)
	v_fma_f64 v[112:113], -v[62:63], v[183:184], v[112:113]
	v_fma_f64 v[114:115], -v[62:63], v[185:186], v[114:115]
.LBB59_141:
	s_or_b32 exec_lo, exec_lo, s1
	s_mov_b32 s1, exec_lo
	s_waitcnt lgkmcnt(0)
	s_barrier
	buffer_gl0_inv
	v_cmpx_eq_u32_e32 28, v0
	s_cbranch_execz .LBB59_144
; %bb.142:
	ds_write_b64 v1, v[112:113]
	ds_write_b64 v182, v[114:115] offset:232
	ds_read_b64 v[180:181], v1
	s_waitcnt lgkmcnt(0)
	v_cmp_neq_f64_e32 vcc_lo, 0, v[180:181]
	s_and_b32 exec_lo, exec_lo, vcc_lo
	s_cbranch_execz .LBB59_144
; %bb.143:
	v_div_scale_f64 v[183:184], null, v[180:181], v[180:181], 1.0
	v_rcp_f64_e32 v[185:186], v[183:184]
	v_fma_f64 v[187:188], -v[183:184], v[185:186], 1.0
	v_fma_f64 v[185:186], v[185:186], v[187:188], v[185:186]
	v_fma_f64 v[187:188], -v[183:184], v[185:186], 1.0
	v_fma_f64 v[185:186], v[185:186], v[187:188], v[185:186]
	v_div_scale_f64 v[187:188], vcc_lo, 1.0, v[180:181], 1.0
	v_mul_f64 v[189:190], v[187:188], v[185:186]
	v_fma_f64 v[183:184], -v[183:184], v[189:190], v[187:188]
	v_div_fmas_f64 v[183:184], v[183:184], v[185:186], v[189:190]
	v_div_fixup_f64 v[180:181], v[183:184], v[180:181], 1.0
	ds_write_b64 v1, v[180:181]
.LBB59_144:
	s_or_b32 exec_lo, exec_lo, s1
	s_waitcnt lgkmcnt(0)
	s_barrier
	buffer_gl0_inv
	ds_read_b64 v[180:181], v1
	s_mov_b32 s1, exec_lo
	v_cmpx_lt_u32_e32 28, v0
	s_cbranch_execz .LBB59_146
; %bb.145:
	s_waitcnt lgkmcnt(0)
	v_mul_f64 v[112:113], v[180:181], v[112:113]
	ds_read_b64 v[182:183], v182 offset:232
	s_waitcnt lgkmcnt(0)
	v_fma_f64 v[114:115], -v[112:113], v[182:183], v[114:115]
.LBB59_146:
	s_or_b32 exec_lo, exec_lo, s1
	s_mov_b32 s1, exec_lo
	s_waitcnt lgkmcnt(0)
	s_barrier
	buffer_gl0_inv
	v_cmpx_eq_u32_e32 29, v0
	s_cbranch_execz .LBB59_149
; %bb.147:
	v_cmp_neq_f64_e32 vcc_lo, 0, v[114:115]
	ds_write_b64 v1, v[114:115]
	s_and_b32 exec_lo, exec_lo, vcc_lo
	s_cbranch_execz .LBB59_149
; %bb.148:
	v_div_scale_f64 v[182:183], null, v[114:115], v[114:115], 1.0
	v_rcp_f64_e32 v[184:185], v[182:183]
	v_fma_f64 v[186:187], -v[182:183], v[184:185], 1.0
	v_fma_f64 v[184:185], v[184:185], v[186:187], v[184:185]
	v_fma_f64 v[186:187], -v[182:183], v[184:185], 1.0
	v_fma_f64 v[184:185], v[184:185], v[186:187], v[184:185]
	v_div_scale_f64 v[186:187], vcc_lo, 1.0, v[114:115], 1.0
	v_mul_f64 v[188:189], v[186:187], v[184:185]
	v_fma_f64 v[182:183], -v[182:183], v[188:189], v[186:187]
	v_div_fmas_f64 v[182:183], v[182:183], v[184:185], v[188:189]
	v_div_fixup_f64 v[182:183], v[182:183], v[114:115], 1.0
	ds_write_b64 v1, v[182:183]
.LBB59_149:
	s_or_b32 exec_lo, exec_lo, s1
	s_waitcnt lgkmcnt(0)
	s_barrier
	buffer_gl0_inv
	ds_read_b64 v[182:183], v1
	s_waitcnt lgkmcnt(0)
	s_barrier
	buffer_gl0_inv
	s_and_saveexec_b32 s3, s0
	s_cbranch_execz .LBB59_152
; %bb.150:
	s_load_dwordx2 s[4:5], s[4:5], 0x28
	v_cmp_eq_f64_e32 vcc_lo, 0, v[124:125]
	v_cmp_neq_f64_e64 s0, 0, v[126:127]
	v_lshlrev_b64 v[1:2], 2, v[2:3]
	v_cmp_eq_f64_e64 s2, 0, v[130:131]
	s_waitcnt lgkmcnt(0)
	v_add_co_u32 v1, s1, s4, v1
	v_add_co_ci_u32_e64 v2, null, s5, v2, s1
	v_cmp_eq_f64_e64 s1, 0, v[128:129]
	v_cndmask_b32_e64 v3, 0, 1, vcc_lo
	s_or_b32 vcc_lo, s0, vcc_lo
	v_cmp_eq_f64_e64 s0, 0, v[132:133]
	global_load_dword v124, v[1:2], off
	v_cndmask_b32_e32 v3, 2, v3, vcc_lo
	v_cmp_eq_u32_e32 vcc_lo, 0, v3
	s_and_b32 s1, s1, vcc_lo
	v_cndmask_b32_e64 v3, v3, 3, s1
	v_cmp_eq_f64_e64 s1, 0, v[134:135]
	v_cmp_eq_u32_e32 vcc_lo, 0, v3
	s_and_b32 s2, s2, vcc_lo
	v_cndmask_b32_e64 v3, v3, 4, s2
	v_cmp_eq_f64_e64 s2, 0, v[136:137]
	;; [unrolled: 4-line block ×25, first 2 shown]
	v_cmp_eq_u32_e32 vcc_lo, 0, v3
	s_and_b32 s2, s2, vcc_lo
	v_cndmask_b32_e64 v3, v3, 28, s2
	v_cmp_eq_u32_e32 vcc_lo, 0, v3
	s_and_b32 s0, s0, vcc_lo
	v_cndmask_b32_e64 v3, v3, 29, s0
	v_cmp_eq_u32_e32 vcc_lo, 0, v3
	s_and_b32 s0, s1, vcc_lo
	s_waitcnt vmcnt(0)
	v_cmp_eq_u32_e32 vcc_lo, 0, v124
	v_cndmask_b32_e64 v3, v3, 30, s0
	v_cmp_ne_u32_e64 s0, 0, v3
	s_and_b32 s0, vcc_lo, s0
	s_and_b32 exec_lo, exec_lo, s0
	s_cbranch_execz .LBB59_152
; %bb.151:
	v_add_nc_u32_e32 v3, s9, v3
	global_store_dword v[1:2], v3, off
.LBB59_152:
	s_or_b32 exec_lo, exec_lo, s3
	v_mul_f64 v[1:2], v[182:183], v[114:115]
	v_cmp_lt_u32_e32 vcc_lo, 29, v0
	flat_store_dwordx2 v[60:61], v[116:117]
	flat_store_dwordx2 v[110:111], v[120:121]
	flat_store_dwordx2 v[4:5], v[122:123]
	flat_store_dwordx2 v[6:7], v[118:119]
	flat_store_dwordx2 v[8:9], v[108:109]
	flat_store_dwordx2 v[10:11], v[92:93]
	flat_store_dwordx2 v[12:13], v[106:107]
	flat_store_dwordx2 v[14:15], v[90:91]
	flat_store_dwordx2 v[16:17], v[104:105]
	flat_store_dwordx2 v[18:19], v[88:89]
	flat_store_dwordx2 v[20:21], v[102:103]
	flat_store_dwordx2 v[22:23], v[86:87]
	flat_store_dwordx2 v[24:25], v[100:101]
	flat_store_dwordx2 v[26:27], v[84:85]
	flat_store_dwordx2 v[28:29], v[98:99]
	flat_store_dwordx2 v[30:31], v[82:83]
	flat_store_dwordx2 v[32:33], v[96:97]
	flat_store_dwordx2 v[34:35], v[80:81]
	flat_store_dwordx2 v[38:39], v[94:95]
	v_cndmask_b32_e32 v2, v115, v2, vcc_lo
	v_cndmask_b32_e32 v1, v114, v1, vcc_lo
	flat_store_dwordx2 v[36:37], v[70:71]
	flat_store_dwordx2 v[40:41], v[78:79]
	;; [unrolled: 1-line block ×11, first 2 shown]
.LBB59_153:
	s_endpgm
	.section	.rodata,"a",@progbits
	.p2align	6, 0x0
	.amdhsa_kernel _ZN9rocsolver6v33100L23getf2_npvt_small_kernelILi30EdiiPKPdEEvT1_T3_lS5_lPT2_S5_S5_
		.amdhsa_group_segment_fixed_size 0
		.amdhsa_private_segment_fixed_size 0
		.amdhsa_kernarg_size 312
		.amdhsa_user_sgpr_count 6
		.amdhsa_user_sgpr_private_segment_buffer 1
		.amdhsa_user_sgpr_dispatch_ptr 0
		.amdhsa_user_sgpr_queue_ptr 0
		.amdhsa_user_sgpr_kernarg_segment_ptr 1
		.amdhsa_user_sgpr_dispatch_id 0
		.amdhsa_user_sgpr_flat_scratch_init 0
		.amdhsa_user_sgpr_private_segment_size 0
		.amdhsa_wavefront_size32 1
		.amdhsa_uses_dynamic_stack 0
		.amdhsa_system_sgpr_private_segment_wavefront_offset 0
		.amdhsa_system_sgpr_workgroup_id_x 1
		.amdhsa_system_sgpr_workgroup_id_y 1
		.amdhsa_system_sgpr_workgroup_id_z 0
		.amdhsa_system_sgpr_workgroup_info 0
		.amdhsa_system_vgpr_workitem_id 1
		.amdhsa_next_free_vgpr 191
		.amdhsa_next_free_sgpr 11
		.amdhsa_reserve_vcc 1
		.amdhsa_reserve_flat_scratch 1
		.amdhsa_float_round_mode_32 0
		.amdhsa_float_round_mode_16_64 0
		.amdhsa_float_denorm_mode_32 3
		.amdhsa_float_denorm_mode_16_64 3
		.amdhsa_dx10_clamp 1
		.amdhsa_ieee_mode 1
		.amdhsa_fp16_overflow 0
		.amdhsa_workgroup_processor_mode 1
		.amdhsa_memory_ordered 1
		.amdhsa_forward_progress 1
		.amdhsa_shared_vgpr_count 0
		.amdhsa_exception_fp_ieee_invalid_op 0
		.amdhsa_exception_fp_denorm_src 0
		.amdhsa_exception_fp_ieee_div_zero 0
		.amdhsa_exception_fp_ieee_overflow 0
		.amdhsa_exception_fp_ieee_underflow 0
		.amdhsa_exception_fp_ieee_inexact 0
		.amdhsa_exception_int_div_zero 0
	.end_amdhsa_kernel
	.section	.text._ZN9rocsolver6v33100L23getf2_npvt_small_kernelILi30EdiiPKPdEEvT1_T3_lS5_lPT2_S5_S5_,"axG",@progbits,_ZN9rocsolver6v33100L23getf2_npvt_small_kernelILi30EdiiPKPdEEvT1_T3_lS5_lPT2_S5_S5_,comdat
.Lfunc_end59:
	.size	_ZN9rocsolver6v33100L23getf2_npvt_small_kernelILi30EdiiPKPdEEvT1_T3_lS5_lPT2_S5_S5_, .Lfunc_end59-_ZN9rocsolver6v33100L23getf2_npvt_small_kernelILi30EdiiPKPdEEvT1_T3_lS5_lPT2_S5_S5_
                                        ; -- End function
	.set _ZN9rocsolver6v33100L23getf2_npvt_small_kernelILi30EdiiPKPdEEvT1_T3_lS5_lPT2_S5_S5_.num_vgpr, 191
	.set _ZN9rocsolver6v33100L23getf2_npvt_small_kernelILi30EdiiPKPdEEvT1_T3_lS5_lPT2_S5_S5_.num_agpr, 0
	.set _ZN9rocsolver6v33100L23getf2_npvt_small_kernelILi30EdiiPKPdEEvT1_T3_lS5_lPT2_S5_S5_.numbered_sgpr, 11
	.set _ZN9rocsolver6v33100L23getf2_npvt_small_kernelILi30EdiiPKPdEEvT1_T3_lS5_lPT2_S5_S5_.num_named_barrier, 0
	.set _ZN9rocsolver6v33100L23getf2_npvt_small_kernelILi30EdiiPKPdEEvT1_T3_lS5_lPT2_S5_S5_.private_seg_size, 0
	.set _ZN9rocsolver6v33100L23getf2_npvt_small_kernelILi30EdiiPKPdEEvT1_T3_lS5_lPT2_S5_S5_.uses_vcc, 1
	.set _ZN9rocsolver6v33100L23getf2_npvt_small_kernelILi30EdiiPKPdEEvT1_T3_lS5_lPT2_S5_S5_.uses_flat_scratch, 1
	.set _ZN9rocsolver6v33100L23getf2_npvt_small_kernelILi30EdiiPKPdEEvT1_T3_lS5_lPT2_S5_S5_.has_dyn_sized_stack, 0
	.set _ZN9rocsolver6v33100L23getf2_npvt_small_kernelILi30EdiiPKPdEEvT1_T3_lS5_lPT2_S5_S5_.has_recursion, 0
	.set _ZN9rocsolver6v33100L23getf2_npvt_small_kernelILi30EdiiPKPdEEvT1_T3_lS5_lPT2_S5_S5_.has_indirect_call, 0
	.section	.AMDGPU.csdata,"",@progbits
; Kernel info:
; codeLenInByte = 18188
; TotalNumSgprs: 13
; NumVgprs: 191
; ScratchSize: 0
; MemoryBound: 0
; FloatMode: 240
; IeeeMode: 1
; LDSByteSize: 0 bytes/workgroup (compile time only)
; SGPRBlocks: 0
; VGPRBlocks: 23
; NumSGPRsForWavesPerEU: 13
; NumVGPRsForWavesPerEU: 191
; Occupancy: 5
; WaveLimiterHint : 1
; COMPUTE_PGM_RSRC2:SCRATCH_EN: 0
; COMPUTE_PGM_RSRC2:USER_SGPR: 6
; COMPUTE_PGM_RSRC2:TRAP_HANDLER: 0
; COMPUTE_PGM_RSRC2:TGID_X_EN: 1
; COMPUTE_PGM_RSRC2:TGID_Y_EN: 1
; COMPUTE_PGM_RSRC2:TGID_Z_EN: 0
; COMPUTE_PGM_RSRC2:TIDIG_COMP_CNT: 1
	.section	.text._ZN9rocsolver6v33100L18getf2_small_kernelILi31EdiiPKPdEEvT1_T3_lS5_lPS5_llPT2_S5_S5_S7_l,"axG",@progbits,_ZN9rocsolver6v33100L18getf2_small_kernelILi31EdiiPKPdEEvT1_T3_lS5_lPS5_llPT2_S5_S5_S7_l,comdat
	.globl	_ZN9rocsolver6v33100L18getf2_small_kernelILi31EdiiPKPdEEvT1_T3_lS5_lPS5_llPT2_S5_S5_S7_l ; -- Begin function _ZN9rocsolver6v33100L18getf2_small_kernelILi31EdiiPKPdEEvT1_T3_lS5_lPS5_llPT2_S5_S5_S7_l
	.p2align	8
	.type	_ZN9rocsolver6v33100L18getf2_small_kernelILi31EdiiPKPdEEvT1_T3_lS5_lPS5_llPT2_S5_S5_S7_l,@function
_ZN9rocsolver6v33100L18getf2_small_kernelILi31EdiiPKPdEEvT1_T3_lS5_lPS5_llPT2_S5_S5_S7_l: ; @_ZN9rocsolver6v33100L18getf2_small_kernelILi31EdiiPKPdEEvT1_T3_lS5_lPS5_llPT2_S5_S5_S7_l
; %bb.0:
	s_clause 0x1
	s_load_dword s0, s[4:5], 0x6c
	s_load_dwordx2 s[12:13], s[4:5], 0x48
	s_waitcnt lgkmcnt(0)
	s_lshr_b32 s0, s0, 16
	v_mad_u64_u32 v[2:3], null, s7, s0, v[1:2]
	s_mov_b32 s0, exec_lo
	v_cmpx_gt_i32_e64 s12, v2
	s_cbranch_execz .LBB60_524
; %bb.1:
	s_clause 0x1
	s_load_dwordx4 s[0:3], s[4:5], 0x8
	s_load_dwordx4 s[8:11], s[4:5], 0x50
	v_ashrrev_i32_e32 v3, 31, v2
	v_lshlrev_b64 v[4:5], 3, v[2:3]
	s_waitcnt lgkmcnt(0)
	v_add_co_u32 v4, vcc_lo, s0, v4
	v_add_co_ci_u32_e64 v5, null, s1, v5, vcc_lo
	s_cmp_eq_u64 s[8:9], 0
	s_cselect_b32 s6, -1, 0
	global_load_dwordx2 v[6:7], v[4:5], off
	v_mov_b32_e32 v4, 0
	v_mov_b32_e32 v5, 0
	s_and_b32 vcc_lo, exec_lo, s6
	s_cbranch_vccnz .LBB60_3
; %bb.2:
	v_mul_lo_u32 v8, s11, v2
	v_mul_lo_u32 v9, s10, v3
	v_mad_u64_u32 v[4:5], null, s10, v2, 0
	v_add3_u32 v5, v5, v9, v8
	v_lshlrev_b64 v[4:5], 2, v[4:5]
	v_add_co_u32 v4, vcc_lo, s8, v4
	v_add_co_ci_u32_e64 v5, null, s9, v5, vcc_lo
.LBB60_3:
	s_clause 0x1
	s_load_dword s8, s[4:5], 0x18
	s_load_dword s7, s[4:5], 0x0
	s_lshl_b64 s[0:1], s[2:3], 3
	v_lshlrev_b32_e32 v98, 3, v0
	s_waitcnt vmcnt(0)
	v_add_co_u32 v72, vcc_lo, v6, s0
	v_add_co_ci_u32_e64 v73, null, s1, v7, vcc_lo
	s_waitcnt lgkmcnt(0)
	v_add3_u32 v8, s8, s8, v0
	s_ashr_i32 s9, s8, 31
	s_max_i32 s0, s7, 31
	s_lshl_b64 s[10:11], s[8:9], 3
	v_mul_lo_u32 v1, s0, v1
	v_add_nc_u32_e32 v10, s8, v8
	v_ashrrev_i32_e32 v9, 31, v8
	s_cmp_lt_i32 s7, 2
	v_ashrrev_i32_e32 v11, 31, v10
	v_add_nc_u32_e32 v12, s8, v10
	v_lshlrev_b64 v[8:9], 3, v[8:9]
	v_lshlrev_b64 v[6:7], 3, v[10:11]
	v_add_nc_u32_e32 v10, s8, v12
	v_ashrrev_i32_e32 v13, 31, v12
	v_add_co_u32 v8, vcc_lo, v72, v8
	v_add_co_ci_u32_e64 v9, null, v73, v9, vcc_lo
	v_add_nc_u32_e32 v14, s8, v10
	v_ashrrev_i32_e32 v11, 31, v10
	v_lshlrev_b64 v[12:13], 3, v[12:13]
	v_add_co_u32 v6, vcc_lo, v72, v6
	v_add_nc_u32_e32 v16, s8, v14
	v_ashrrev_i32_e32 v15, 31, v14
	v_lshlrev_b64 v[10:11], 3, v[10:11]
	v_add_co_ci_u32_e64 v7, null, v73, v7, vcc_lo
	v_add_nc_u32_e32 v18, s8, v16
	v_ashrrev_i32_e32 v17, 31, v16
	v_lshlrev_b64 v[14:15], 3, v[14:15]
	v_add_co_u32 v12, vcc_lo, v72, v12
	v_add_nc_u32_e32 v20, s8, v18
	v_ashrrev_i32_e32 v19, 31, v18
	v_lshlrev_b64 v[16:17], 3, v[16:17]
	v_add_co_ci_u32_e64 v13, null, v73, v13, vcc_lo
	v_add_nc_u32_e32 v22, s8, v20
	v_ashrrev_i32_e32 v21, 31, v20
	v_add_co_u32 v10, vcc_lo, v72, v10
	v_lshlrev_b64 v[18:19], 3, v[18:19]
	v_add_nc_u32_e32 v24, s8, v22
	v_ashrrev_i32_e32 v23, 31, v22
	v_add_co_ci_u32_e64 v11, null, v73, v11, vcc_lo
	v_add_co_u32 v14, vcc_lo, v72, v14
	v_add_nc_u32_e32 v26, s8, v24
	v_ashrrev_i32_e32 v25, 31, v24
	v_lshlrev_b64 v[20:21], 3, v[20:21]
	v_add_co_ci_u32_e64 v15, null, v73, v15, vcc_lo
	v_add_nc_u32_e32 v28, s8, v26
	v_ashrrev_i32_e32 v27, 31, v26
	v_add_co_u32 v16, vcc_lo, v72, v16
	v_lshlrev_b64 v[22:23], 3, v[22:23]
	v_add_nc_u32_e32 v30, s8, v28
	v_ashrrev_i32_e32 v29, 31, v28
	v_add_co_ci_u32_e64 v17, null, v73, v17, vcc_lo
	v_add_co_u32 v18, vcc_lo, v72, v18
	v_add_nc_u32_e32 v32, s8, v30
	v_lshlrev_b64 v[24:25], 3, v[24:25]
	v_ashrrev_i32_e32 v31, 31, v30
	v_add_co_ci_u32_e64 v19, null, v73, v19, vcc_lo
	v_add_nc_u32_e32 v34, s8, v32
	v_add_co_u32 v20, vcc_lo, v72, v20
	v_lshlrev_b64 v[26:27], 3, v[26:27]
	v_ashrrev_i32_e32 v33, 31, v32
	v_add_nc_u32_e32 v36, s8, v34
	v_add_co_ci_u32_e64 v21, null, v73, v21, vcc_lo
	v_add_co_u32 v22, vcc_lo, v72, v22
	v_lshlrev_b64 v[28:29], 3, v[28:29]
	v_ashrrev_i32_e32 v35, 31, v34
	v_add_co_ci_u32_e64 v23, null, v73, v23, vcc_lo
	v_add_co_u32 v24, vcc_lo, v72, v24
	v_lshlrev_b64 v[30:31], 3, v[30:31]
	v_add_co_ci_u32_e64 v25, null, v73, v25, vcc_lo
	v_add_co_u32 v26, vcc_lo, v72, v26
	v_lshlrev_b64 v[32:33], 3, v[32:33]
	v_add_nc_u32_e32 v38, s8, v36
	v_add_co_ci_u32_e64 v27, null, v73, v27, vcc_lo
	v_add_co_u32 v28, vcc_lo, v72, v28
	v_lshlrev_b64 v[34:35], 3, v[34:35]
	v_ashrrev_i32_e32 v37, 31, v36
	v_add_co_ci_u32_e64 v29, null, v73, v29, vcc_lo
	v_add_co_u32 v30, vcc_lo, v72, v30
	v_ashrrev_i32_e32 v39, 31, v38
	v_add_nc_u32_e32 v40, s8, v38
	v_add_co_ci_u32_e64 v31, null, v73, v31, vcc_lo
	v_add_co_u32 v32, vcc_lo, v72, v32
	v_lshlrev_b64 v[36:37], 3, v[36:37]
	v_add_co_ci_u32_e64 v33, null, v73, v33, vcc_lo
	v_add_co_u32 v66, vcc_lo, v72, v34
	v_add_co_ci_u32_e64 v67, null, v73, v35, vcc_lo
	v_lshlrev_b64 v[34:35], 3, v[38:39]
	v_ashrrev_i32_e32 v41, 31, v40
	v_add_nc_u32_e32 v38, s8, v40
	v_add_co_u32 v68, vcc_lo, v72, v36
	v_add_co_ci_u32_e64 v69, null, v73, v37, vcc_lo
	v_lshlrev_b64 v[36:37], 3, v[40:41]
	v_ashrrev_i32_e32 v39, 31, v38
	v_add_nc_u32_e32 v40, s8, v38
	;; [unrolled: 5-line block ×9, first 2 shown]
	v_add_co_u32 v86, vcc_lo, v72, v36
	v_add_co_ci_u32_e64 v87, null, v73, v37, vcc_lo
	v_lshlrev_b64 v[36:37], 3, v[40:41]
	v_add_nc_u32_e32 v40, s8, v38
	v_ashrrev_i32_e32 v39, 31, v38
	v_add_co_u32 v88, vcc_lo, v72, v34
	v_add_co_ci_u32_e64 v89, null, v73, v35, vcc_lo
	v_ashrrev_i32_e32 v41, 31, v40
	v_lshlrev_b64 v[34:35], 3, v[38:39]
	v_add_co_u32 v90, vcc_lo, v72, v36
	v_add_co_ci_u32_e64 v91, null, v73, v37, vcc_lo
	v_lshlrev_b64 v[36:37], 3, v[40:41]
	v_add_nc_u32_e32 v38, s8, v40
	v_add_co_u32 v92, vcc_lo, v72, v34
	v_add_co_ci_u32_e64 v93, null, v73, v35, vcc_lo
	v_ashrrev_i32_e32 v39, 31, v38
	v_add_co_u32 v94, vcc_lo, v72, v36
	v_add_co_ci_u32_e64 v95, null, v73, v37, vcc_lo
	v_add_co_u32 v36, vcc_lo, v72, v98
	v_add_co_ci_u32_e64 v37, null, 0, v73, vcc_lo
	v_lshlrev_b64 v[34:35], 3, v[38:39]
	v_add_co_u32 v38, vcc_lo, v36, s10
	v_add_co_ci_u32_e64 v39, null, s11, v37, vcc_lo
	v_add_co_u32 v96, vcc_lo, v72, v34
	v_add_co_ci_u32_e64 v97, null, v73, v35, vcc_lo
	s_clause 0x1e
	flat_load_dwordx2 v[64:65], v[36:37]
	flat_load_dwordx2 v[62:63], v[38:39]
	;; [unrolled: 1-line block ×31, first 2 shown]
	v_lshl_add_u32 v74, v1, 3, 0
	v_lshlrev_b32_e32 v75, 3, v1
	v_mov_b32_e32 v70, 0
	v_add_nc_u32_e32 v68, v74, v98
	s_waitcnt vmcnt(30) lgkmcnt(30)
	ds_write_b64 v68, v[64:65]
	s_waitcnt vmcnt(0) lgkmcnt(0)
	s_barrier
	buffer_gl0_inv
	ds_read_b64 v[68:69], v74
	s_cbranch_scc1 .LBB60_6
; %bb.4:
	v_add3_u32 v1, v75, 0, 8
	v_mov_b32_e32 v70, 0
	s_mov_b32 s0, 1
.LBB60_5:                               ; =>This Inner Loop Header: Depth=1
	ds_read_b64 v[76:77], v1
	v_add_nc_u32_e32 v1, 8, v1
	s_waitcnt lgkmcnt(0)
	v_cmp_lt_f64_e64 vcc_lo, |v[68:69]|, |v[76:77]|
	v_cndmask_b32_e32 v69, v69, v77, vcc_lo
	v_cndmask_b32_e32 v68, v68, v76, vcc_lo
	v_cndmask_b32_e64 v70, v70, s0, vcc_lo
	s_add_i32 s0, s0, 1
	s_cmp_eq_u32 s7, s0
	s_cbranch_scc0 .LBB60_5
.LBB60_6:
	s_mov_b32 s0, exec_lo
                                        ; implicit-def: $vgpr77
	v_cmpx_ne_u32_e64 v0, v70
	s_xor_b32 s0, exec_lo, s0
	s_cbranch_execz .LBB60_12
; %bb.7:
	s_mov_b32 s1, exec_lo
	v_cmpx_eq_u32_e32 0, v0
	s_cbranch_execz .LBB60_11
; %bb.8:
	v_cmp_ne_u32_e32 vcc_lo, 0, v70
	s_xor_b32 s2, s6, -1
	s_and_b32 s3, s2, vcc_lo
	s_and_saveexec_b32 s2, s3
	s_cbranch_execz .LBB60_10
; %bb.9:
	v_ashrrev_i32_e32 v71, 31, v70
	v_lshlrev_b64 v[0:1], 2, v[70:71]
	v_add_co_u32 v0, vcc_lo, v4, v0
	v_add_co_ci_u32_e64 v1, null, v5, v1, vcc_lo
	s_clause 0x1
	global_load_dword v71, v[0:1], off
	global_load_dword v76, v[4:5], off
	s_waitcnt vmcnt(1)
	global_store_dword v[4:5], v71, off
	s_waitcnt vmcnt(0)
	global_store_dword v[0:1], v76, off
.LBB60_10:
	s_or_b32 exec_lo, exec_lo, s2
	v_mov_b32_e32 v0, v70
.LBB60_11:
	s_or_b32 exec_lo, exec_lo, s1
	v_mov_b32_e32 v77, v0
                                        ; implicit-def: $vgpr0
.LBB60_12:
	s_or_saveexec_b32 s0, s0
	v_mov_b32_e32 v71, v77
	s_xor_b32 exec_lo, exec_lo, s0
	s_cbranch_execz .LBB60_14
; %bb.13:
	v_mov_b32_e32 v77, 0
	v_mov_b32_e32 v71, v0
	ds_write2_b64 v74, v[62:63], v[60:61] offset0:1 offset1:2
	ds_write2_b64 v74, v[58:59], v[56:57] offset0:3 offset1:4
	;; [unrolled: 1-line block ×15, first 2 shown]
.LBB60_14:
	s_or_b32 exec_lo, exec_lo, s0
	s_waitcnt lgkmcnt(0)
	v_cmp_eq_f64_e64 s0, 0, v[68:69]
	s_mov_b32 s1, exec_lo
	s_waitcnt_vscnt null, 0x0
	s_barrier
	buffer_gl0_inv
	v_cmpx_lt_i32_e32 0, v77
	s_cbranch_execz .LBB60_16
; %bb.15:
	v_div_scale_f64 v[0:1], null, v[68:69], v[68:69], 1.0
	v_div_scale_f64 v[82:83], vcc_lo, 1.0, v[68:69], 1.0
	v_rcp_f64_e32 v[78:79], v[0:1]
	v_fma_f64 v[80:81], -v[0:1], v[78:79], 1.0
	v_fma_f64 v[78:79], v[78:79], v[80:81], v[78:79]
	v_fma_f64 v[80:81], -v[0:1], v[78:79], 1.0
	v_fma_f64 v[78:79], v[78:79], v[80:81], v[78:79]
	v_mul_f64 v[80:81], v[82:83], v[78:79]
	v_fma_f64 v[0:1], -v[0:1], v[80:81], v[82:83]
	v_div_fmas_f64 v[0:1], v[0:1], v[78:79], v[80:81]
	ds_read2_b64 v[78:81], v74 offset0:1 offset1:2
	ds_read2_b64 v[82:85], v74 offset0:3 offset1:4
	;; [unrolled: 1-line block ×15, first 2 shown]
	v_div_fixup_f64 v[0:1], v[0:1], v[68:69], 1.0
	v_cndmask_b32_e64 v1, v1, v69, s0
	v_cndmask_b32_e64 v0, v0, v68, s0
	v_mul_f64 v[64:65], v[0:1], v[64:65]
	s_waitcnt lgkmcnt(14)
	v_fma_f64 v[62:63], -v[64:65], v[78:79], v[62:63]
	v_fma_f64 v[60:61], -v[64:65], v[80:81], v[60:61]
	s_waitcnt lgkmcnt(13)
	v_fma_f64 v[58:59], -v[64:65], v[82:83], v[58:59]
	v_fma_f64 v[56:57], -v[64:65], v[84:85], v[56:57]
	;; [unrolled: 3-line block ×15, first 2 shown]
.LBB60_16:
	s_or_b32 exec_lo, exec_lo, s1
	v_lshl_add_u32 v0, v77, 3, v74
	s_barrier
	buffer_gl0_inv
	v_mov_b32_e32 v68, 1
	ds_write_b64 v0, v[62:63]
	s_waitcnt lgkmcnt(0)
	s_barrier
	buffer_gl0_inv
	ds_read_b64 v[0:1], v74 offset:8
	s_cmp_lt_i32 s7, 3
	s_cbranch_scc1 .LBB60_19
; %bb.17:
	v_add3_u32 v69, v75, 0, 16
	v_mov_b32_e32 v68, 1
	s_mov_b32 s1, 2
.LBB60_18:                              ; =>This Inner Loop Header: Depth=1
	ds_read_b64 v[78:79], v69
	v_add_nc_u32_e32 v69, 8, v69
	s_waitcnt lgkmcnt(0)
	v_cmp_lt_f64_e64 vcc_lo, |v[0:1]|, |v[78:79]|
	v_cndmask_b32_e32 v1, v1, v79, vcc_lo
	v_cndmask_b32_e32 v0, v0, v78, vcc_lo
	v_cndmask_b32_e64 v68, v68, s1, vcc_lo
	s_add_i32 s1, s1, 1
	s_cmp_lg_u32 s7, s1
	s_cbranch_scc1 .LBB60_18
.LBB60_19:
	s_mov_b32 s1, exec_lo
	v_cmpx_ne_u32_e64 v77, v68
	s_xor_b32 s1, exec_lo, s1
	s_cbranch_execz .LBB60_25
; %bb.20:
	s_mov_b32 s2, exec_lo
	v_cmpx_eq_u32_e32 1, v77
	s_cbranch_execz .LBB60_24
; %bb.21:
	v_cmp_ne_u32_e32 vcc_lo, 1, v68
	s_xor_b32 s3, s6, -1
	s_and_b32 s9, s3, vcc_lo
	s_and_saveexec_b32 s3, s9
	s_cbranch_execz .LBB60_23
; %bb.22:
	v_ashrrev_i32_e32 v69, 31, v68
	v_lshlrev_b64 v[69:70], 2, v[68:69]
	v_add_co_u32 v69, vcc_lo, v4, v69
	v_add_co_ci_u32_e64 v70, null, v5, v70, vcc_lo
	s_clause 0x1
	global_load_dword v71, v[69:70], off
	global_load_dword v76, v[4:5], off offset:4
	s_waitcnt vmcnt(1)
	global_store_dword v[4:5], v71, off offset:4
	s_waitcnt vmcnt(0)
	global_store_dword v[69:70], v76, off
.LBB60_23:
	s_or_b32 exec_lo, exec_lo, s3
	v_mov_b32_e32 v71, v68
	v_mov_b32_e32 v77, v68
.LBB60_24:
	s_or_b32 exec_lo, exec_lo, s2
.LBB60_25:
	s_andn2_saveexec_b32 s1, s1
	s_cbranch_execz .LBB60_27
; %bb.26:
	v_mov_b32_e32 v68, v60
	v_mov_b32_e32 v69, v61
	;; [unrolled: 1-line block ×20, first 2 shown]
	ds_write2_b64 v74, v[68:69], v[76:77] offset0:2 offset1:3
	ds_write2_b64 v74, v[78:79], v[80:81] offset0:4 offset1:5
	;; [unrolled: 1-line block ×5, first 2 shown]
	v_mov_b32_e32 v68, v40
	v_mov_b32_e32 v69, v41
	;; [unrolled: 1-line block ×20, first 2 shown]
	ds_write2_b64 v74, v[68:69], v[76:77] offset0:12 offset1:13
	ds_write2_b64 v74, v[78:79], v[80:81] offset0:14 offset1:15
	;; [unrolled: 1-line block ×5, first 2 shown]
	v_mov_b32_e32 v68, v20
	v_mov_b32_e32 v69, v21
	;; [unrolled: 1-line block ×8, first 2 shown]
	ds_write2_b64 v74, v[68:69], v[76:77] offset0:22 offset1:23
	v_mov_b32_e32 v77, 1
	v_mov_b32_e32 v82, v12
	;; [unrolled: 1-line block ×9, first 2 shown]
	ds_write2_b64 v74, v[78:79], v[80:81] offset0:24 offset1:25
	ds_write2_b64 v74, v[82:83], v[84:85] offset0:26 offset1:27
	;; [unrolled: 1-line block ×3, first 2 shown]
	ds_write_b64 v74, v[66:67] offset:240
.LBB60_27:
	s_or_b32 exec_lo, exec_lo, s1
	s_waitcnt lgkmcnt(0)
	v_cmp_neq_f64_e64 s1, 0, v[0:1]
	s_mov_b32 s2, exec_lo
	s_waitcnt_vscnt null, 0x0
	s_barrier
	buffer_gl0_inv
	v_cmpx_lt_i32_e32 1, v77
	s_cbranch_execz .LBB60_29
; %bb.28:
	v_div_scale_f64 v[68:69], null, v[0:1], v[0:1], 1.0
	v_div_scale_f64 v[82:83], vcc_lo, 1.0, v[0:1], 1.0
	v_rcp_f64_e32 v[78:79], v[68:69]
	v_fma_f64 v[80:81], -v[68:69], v[78:79], 1.0
	v_fma_f64 v[78:79], v[78:79], v[80:81], v[78:79]
	v_fma_f64 v[80:81], -v[68:69], v[78:79], 1.0
	v_fma_f64 v[78:79], v[78:79], v[80:81], v[78:79]
	v_mul_f64 v[80:81], v[82:83], v[78:79]
	v_fma_f64 v[68:69], -v[68:69], v[80:81], v[82:83]
	v_div_fmas_f64 v[68:69], v[68:69], v[78:79], v[80:81]
	v_div_fixup_f64 v[68:69], v[68:69], v[0:1], 1.0
	v_cndmask_b32_e64 v1, v1, v69, s1
	v_cndmask_b32_e64 v0, v0, v68, s1
	v_mul_f64 v[62:63], v[0:1], v[62:63]
	ds_read2_b64 v[78:81], v74 offset0:2 offset1:3
	ds_read2_b64 v[82:85], v74 offset0:4 offset1:5
	;; [unrolled: 1-line block ×14, first 2 shown]
	ds_read_b64 v[0:1], v74 offset:240
	s_waitcnt lgkmcnt(14)
	v_fma_f64 v[60:61], -v[62:63], v[78:79], v[60:61]
	v_fma_f64 v[58:59], -v[62:63], v[80:81], v[58:59]
	s_waitcnt lgkmcnt(13)
	v_fma_f64 v[56:57], -v[62:63], v[82:83], v[56:57]
	v_fma_f64 v[54:55], -v[62:63], v[84:85], v[54:55]
	;; [unrolled: 3-line block ×14, first 2 shown]
	s_waitcnt lgkmcnt(0)
	v_fma_f64 v[66:67], -v[62:63], v[0:1], v[66:67]
.LBB60_29:
	s_or_b32 exec_lo, exec_lo, s2
	v_lshl_add_u32 v0, v77, 3, v74
	s_barrier
	buffer_gl0_inv
	v_mov_b32_e32 v68, 2
	ds_write_b64 v0, v[60:61]
	s_waitcnt lgkmcnt(0)
	s_barrier
	buffer_gl0_inv
	ds_read_b64 v[0:1], v74 offset:16
	s_cmp_lt_i32 s7, 4
	s_mov_b32 s2, 3
	s_cbranch_scc1 .LBB60_32
; %bb.30:
	v_add3_u32 v69, v75, 0, 24
	v_mov_b32_e32 v68, 2
.LBB60_31:                              ; =>This Inner Loop Header: Depth=1
	ds_read_b64 v[78:79], v69
	v_add_nc_u32_e32 v69, 8, v69
	s_waitcnt lgkmcnt(0)
	v_cmp_lt_f64_e64 vcc_lo, |v[0:1]|, |v[78:79]|
	v_cndmask_b32_e32 v1, v1, v79, vcc_lo
	v_cndmask_b32_e32 v0, v0, v78, vcc_lo
	v_cndmask_b32_e64 v68, v68, s2, vcc_lo
	s_add_i32 s2, s2, 1
	s_cmp_lg_u32 s7, s2
	s_cbranch_scc1 .LBB60_31
.LBB60_32:
	v_cndmask_b32_e64 v69, 2, 1, s0
	v_cndmask_b32_e64 v70, 0, 1, s0
	s_mov_b32 s0, exec_lo
	v_cndmask_b32_e64 v76, v69, v70, s1
	s_waitcnt lgkmcnt(0)
	v_cmpx_eq_f64_e32 0, v[0:1]
	s_xor_b32 s0, exec_lo, s0
; %bb.33:
	v_cmp_ne_u32_e32 vcc_lo, 0, v76
	v_cndmask_b32_e32 v76, 3, v76, vcc_lo
; %bb.34:
	s_andn2_saveexec_b32 s0, s0
	s_cbranch_execz .LBB60_36
; %bb.35:
	v_div_scale_f64 v[69:70], null, v[0:1], v[0:1], 1.0
	v_rcp_f64_e32 v[78:79], v[69:70]
	v_fma_f64 v[80:81], -v[69:70], v[78:79], 1.0
	v_fma_f64 v[78:79], v[78:79], v[80:81], v[78:79]
	v_fma_f64 v[80:81], -v[69:70], v[78:79], 1.0
	v_fma_f64 v[78:79], v[78:79], v[80:81], v[78:79]
	v_div_scale_f64 v[80:81], vcc_lo, 1.0, v[0:1], 1.0
	v_mul_f64 v[82:83], v[80:81], v[78:79]
	v_fma_f64 v[69:70], -v[69:70], v[82:83], v[80:81]
	v_div_fmas_f64 v[69:70], v[69:70], v[78:79], v[82:83]
	v_div_fixup_f64 v[0:1], v[69:70], v[0:1], 1.0
.LBB60_36:
	s_or_b32 exec_lo, exec_lo, s0
	s_mov_b32 s0, exec_lo
	v_cmpx_ne_u32_e64 v77, v68
	s_xor_b32 s0, exec_lo, s0
	s_cbranch_execz .LBB60_42
; %bb.37:
	s_mov_b32 s1, exec_lo
	v_cmpx_eq_u32_e32 2, v77
	s_cbranch_execz .LBB60_41
; %bb.38:
	v_cmp_ne_u32_e32 vcc_lo, 2, v68
	s_xor_b32 s2, s6, -1
	s_and_b32 s3, s2, vcc_lo
	s_and_saveexec_b32 s2, s3
	s_cbranch_execz .LBB60_40
; %bb.39:
	v_ashrrev_i32_e32 v69, 31, v68
	v_lshlrev_b64 v[69:70], 2, v[68:69]
	v_add_co_u32 v69, vcc_lo, v4, v69
	v_add_co_ci_u32_e64 v70, null, v5, v70, vcc_lo
	s_clause 0x1
	global_load_dword v71, v[69:70], off
	global_load_dword v77, v[4:5], off offset:8
	s_waitcnt vmcnt(1)
	global_store_dword v[4:5], v71, off offset:8
	s_waitcnt vmcnt(0)
	global_store_dword v[69:70], v77, off
.LBB60_40:
	s_or_b32 exec_lo, exec_lo, s2
	v_mov_b32_e32 v71, v68
	v_mov_b32_e32 v77, v68
.LBB60_41:
	s_or_b32 exec_lo, exec_lo, s1
.LBB60_42:
	s_andn2_saveexec_b32 s0, s0
	s_cbranch_execz .LBB60_44
; %bb.43:
	v_mov_b32_e32 v77, 2
	ds_write2_b64 v74, v[58:59], v[56:57] offset0:3 offset1:4
	ds_write2_b64 v74, v[54:55], v[52:53] offset0:5 offset1:6
	;; [unrolled: 1-line block ×14, first 2 shown]
.LBB60_44:
	s_or_b32 exec_lo, exec_lo, s0
	s_mov_b32 s0, exec_lo
	s_waitcnt lgkmcnt(0)
	s_waitcnt_vscnt null, 0x0
	s_barrier
	buffer_gl0_inv
	v_cmpx_lt_i32_e32 2, v77
	s_cbranch_execz .LBB60_46
; %bb.45:
	v_mul_f64 v[60:61], v[0:1], v[60:61]
	ds_read2_b64 v[78:81], v74 offset0:3 offset1:4
	ds_read2_b64 v[82:85], v74 offset0:5 offset1:6
	;; [unrolled: 1-line block ×14, first 2 shown]
	s_waitcnt lgkmcnt(13)
	v_fma_f64 v[58:59], -v[60:61], v[78:79], v[58:59]
	v_fma_f64 v[56:57], -v[60:61], v[80:81], v[56:57]
	s_waitcnt lgkmcnt(12)
	v_fma_f64 v[54:55], -v[60:61], v[82:83], v[54:55]
	v_fma_f64 v[52:53], -v[60:61], v[84:85], v[52:53]
	;; [unrolled: 3-line block ×14, first 2 shown]
.LBB60_46:
	s_or_b32 exec_lo, exec_lo, s0
	v_lshl_add_u32 v0, v77, 3, v74
	s_barrier
	buffer_gl0_inv
	v_mov_b32_e32 v68, 3
	ds_write_b64 v0, v[58:59]
	s_waitcnt lgkmcnt(0)
	s_barrier
	buffer_gl0_inv
	ds_read_b64 v[0:1], v74 offset:24
	s_cmp_lt_i32 s7, 5
	s_cbranch_scc1 .LBB60_49
; %bb.47:
	v_mov_b32_e32 v68, 3
	v_add3_u32 v69, v75, 0, 32
	s_mov_b32 s0, 4
.LBB60_48:                              ; =>This Inner Loop Header: Depth=1
	ds_read_b64 v[78:79], v69
	v_add_nc_u32_e32 v69, 8, v69
	s_waitcnt lgkmcnt(0)
	v_cmp_lt_f64_e64 vcc_lo, |v[0:1]|, |v[78:79]|
	v_cndmask_b32_e32 v1, v1, v79, vcc_lo
	v_cndmask_b32_e32 v0, v0, v78, vcc_lo
	v_cndmask_b32_e64 v68, v68, s0, vcc_lo
	s_add_i32 s0, s0, 1
	s_cmp_lg_u32 s7, s0
	s_cbranch_scc1 .LBB60_48
.LBB60_49:
	s_mov_b32 s0, exec_lo
	s_waitcnt lgkmcnt(0)
	v_cmpx_eq_f64_e32 0, v[0:1]
	s_xor_b32 s0, exec_lo, s0
; %bb.50:
	v_cmp_ne_u32_e32 vcc_lo, 0, v76
	v_cndmask_b32_e32 v76, 4, v76, vcc_lo
; %bb.51:
	s_andn2_saveexec_b32 s0, s0
	s_cbranch_execz .LBB60_53
; %bb.52:
	v_div_scale_f64 v[69:70], null, v[0:1], v[0:1], 1.0
	v_rcp_f64_e32 v[78:79], v[69:70]
	v_fma_f64 v[80:81], -v[69:70], v[78:79], 1.0
	v_fma_f64 v[78:79], v[78:79], v[80:81], v[78:79]
	v_fma_f64 v[80:81], -v[69:70], v[78:79], 1.0
	v_fma_f64 v[78:79], v[78:79], v[80:81], v[78:79]
	v_div_scale_f64 v[80:81], vcc_lo, 1.0, v[0:1], 1.0
	v_mul_f64 v[82:83], v[80:81], v[78:79]
	v_fma_f64 v[69:70], -v[69:70], v[82:83], v[80:81]
	v_div_fmas_f64 v[69:70], v[69:70], v[78:79], v[82:83]
	v_div_fixup_f64 v[0:1], v[69:70], v[0:1], 1.0
.LBB60_53:
	s_or_b32 exec_lo, exec_lo, s0
	s_mov_b32 s0, exec_lo
	v_cmpx_ne_u32_e64 v77, v68
	s_xor_b32 s0, exec_lo, s0
	s_cbranch_execz .LBB60_59
; %bb.54:
	s_mov_b32 s1, exec_lo
	v_cmpx_eq_u32_e32 3, v77
	s_cbranch_execz .LBB60_58
; %bb.55:
	v_cmp_ne_u32_e32 vcc_lo, 3, v68
	s_xor_b32 s2, s6, -1
	s_and_b32 s3, s2, vcc_lo
	s_and_saveexec_b32 s2, s3
	s_cbranch_execz .LBB60_57
; %bb.56:
	v_ashrrev_i32_e32 v69, 31, v68
	v_lshlrev_b64 v[69:70], 2, v[68:69]
	v_add_co_u32 v69, vcc_lo, v4, v69
	v_add_co_ci_u32_e64 v70, null, v5, v70, vcc_lo
	s_clause 0x1
	global_load_dword v71, v[69:70], off
	global_load_dword v77, v[4:5], off offset:12
	s_waitcnt vmcnt(1)
	global_store_dword v[4:5], v71, off offset:12
	s_waitcnt vmcnt(0)
	global_store_dword v[69:70], v77, off
.LBB60_57:
	s_or_b32 exec_lo, exec_lo, s2
	v_mov_b32_e32 v71, v68
	v_mov_b32_e32 v77, v68
.LBB60_58:
	s_or_b32 exec_lo, exec_lo, s1
.LBB60_59:
	s_andn2_saveexec_b32 s0, s0
	s_cbranch_execz .LBB60_61
; %bb.60:
	v_mov_b32_e32 v68, v56
	v_mov_b32_e32 v69, v57
	;; [unrolled: 1-line block ×16, first 2 shown]
	ds_write2_b64 v74, v[68:69], v[77:78] offset0:4 offset1:5
	ds_write2_b64 v74, v[79:80], v[81:82] offset0:6 offset1:7
	;; [unrolled: 1-line block ×4, first 2 shown]
	v_mov_b32_e32 v68, v40
	v_mov_b32_e32 v69, v41
	;; [unrolled: 1-line block ×20, first 2 shown]
	ds_write2_b64 v74, v[68:69], v[77:78] offset0:12 offset1:13
	ds_write2_b64 v74, v[79:80], v[81:82] offset0:14 offset1:15
	;; [unrolled: 1-line block ×5, first 2 shown]
	v_mov_b32_e32 v68, v20
	v_mov_b32_e32 v69, v21
	;; [unrolled: 1-line block ×8, first 2 shown]
	ds_write2_b64 v74, v[68:69], v[77:78] offset0:22 offset1:23
	v_mov_b32_e32 v77, 3
	v_mov_b32_e32 v83, v12
	;; [unrolled: 1-line block ×9, first 2 shown]
	ds_write2_b64 v74, v[79:80], v[81:82] offset0:24 offset1:25
	ds_write2_b64 v74, v[83:84], v[85:86] offset0:26 offset1:27
	;; [unrolled: 1-line block ×3, first 2 shown]
	ds_write_b64 v74, v[66:67] offset:240
.LBB60_61:
	s_or_b32 exec_lo, exec_lo, s0
	s_mov_b32 s0, exec_lo
	s_waitcnt lgkmcnt(0)
	s_waitcnt_vscnt null, 0x0
	s_barrier
	buffer_gl0_inv
	v_cmpx_lt_i32_e32 3, v77
	s_cbranch_execz .LBB60_63
; %bb.62:
	v_mul_f64 v[58:59], v[0:1], v[58:59]
	ds_read2_b64 v[78:81], v74 offset0:4 offset1:5
	ds_read2_b64 v[82:85], v74 offset0:6 offset1:7
	ds_read2_b64 v[86:89], v74 offset0:8 offset1:9
	ds_read2_b64 v[90:93], v74 offset0:10 offset1:11
	ds_read2_b64 v[94:97], v74 offset0:12 offset1:13
	ds_read2_b64 v[98:101], v74 offset0:14 offset1:15
	ds_read2_b64 v[102:105], v74 offset0:16 offset1:17
	ds_read2_b64 v[106:109], v74 offset0:18 offset1:19
	ds_read2_b64 v[110:113], v74 offset0:20 offset1:21
	ds_read2_b64 v[114:117], v74 offset0:22 offset1:23
	ds_read2_b64 v[118:121], v74 offset0:24 offset1:25
	ds_read2_b64 v[122:125], v74 offset0:26 offset1:27
	ds_read2_b64 v[126:129], v74 offset0:28 offset1:29
	ds_read_b64 v[0:1], v74 offset:240
	s_waitcnt lgkmcnt(13)
	v_fma_f64 v[56:57], -v[58:59], v[78:79], v[56:57]
	v_fma_f64 v[54:55], -v[58:59], v[80:81], v[54:55]
	s_waitcnt lgkmcnt(12)
	v_fma_f64 v[52:53], -v[58:59], v[82:83], v[52:53]
	v_fma_f64 v[48:49], -v[58:59], v[84:85], v[48:49]
	;; [unrolled: 3-line block ×13, first 2 shown]
	s_waitcnt lgkmcnt(0)
	v_fma_f64 v[66:67], -v[58:59], v[0:1], v[66:67]
.LBB60_63:
	s_or_b32 exec_lo, exec_lo, s0
	v_lshl_add_u32 v0, v77, 3, v74
	s_barrier
	buffer_gl0_inv
	v_mov_b32_e32 v68, 4
	ds_write_b64 v0, v[56:57]
	s_waitcnt lgkmcnt(0)
	s_barrier
	buffer_gl0_inv
	ds_read_b64 v[0:1], v74 offset:32
	s_cmp_lt_i32 s7, 6
	s_cbranch_scc1 .LBB60_66
; %bb.64:
	v_add3_u32 v69, v75, 0, 40
	v_mov_b32_e32 v68, 4
	s_mov_b32 s0, 5
.LBB60_65:                              ; =>This Inner Loop Header: Depth=1
	ds_read_b64 v[78:79], v69
	v_add_nc_u32_e32 v69, 8, v69
	s_waitcnt lgkmcnt(0)
	v_cmp_lt_f64_e64 vcc_lo, |v[0:1]|, |v[78:79]|
	v_cndmask_b32_e32 v1, v1, v79, vcc_lo
	v_cndmask_b32_e32 v0, v0, v78, vcc_lo
	v_cndmask_b32_e64 v68, v68, s0, vcc_lo
	s_add_i32 s0, s0, 1
	s_cmp_lg_u32 s7, s0
	s_cbranch_scc1 .LBB60_65
.LBB60_66:
	s_mov_b32 s0, exec_lo
	s_waitcnt lgkmcnt(0)
	v_cmpx_eq_f64_e32 0, v[0:1]
	s_xor_b32 s0, exec_lo, s0
; %bb.67:
	v_cmp_ne_u32_e32 vcc_lo, 0, v76
	v_cndmask_b32_e32 v76, 5, v76, vcc_lo
; %bb.68:
	s_andn2_saveexec_b32 s0, s0
	s_cbranch_execz .LBB60_70
; %bb.69:
	v_div_scale_f64 v[69:70], null, v[0:1], v[0:1], 1.0
	v_rcp_f64_e32 v[78:79], v[69:70]
	v_fma_f64 v[80:81], -v[69:70], v[78:79], 1.0
	v_fma_f64 v[78:79], v[78:79], v[80:81], v[78:79]
	v_fma_f64 v[80:81], -v[69:70], v[78:79], 1.0
	v_fma_f64 v[78:79], v[78:79], v[80:81], v[78:79]
	v_div_scale_f64 v[80:81], vcc_lo, 1.0, v[0:1], 1.0
	v_mul_f64 v[82:83], v[80:81], v[78:79]
	v_fma_f64 v[69:70], -v[69:70], v[82:83], v[80:81]
	v_div_fmas_f64 v[69:70], v[69:70], v[78:79], v[82:83]
	v_div_fixup_f64 v[0:1], v[69:70], v[0:1], 1.0
.LBB60_70:
	s_or_b32 exec_lo, exec_lo, s0
	s_mov_b32 s0, exec_lo
	v_cmpx_ne_u32_e64 v77, v68
	s_xor_b32 s0, exec_lo, s0
	s_cbranch_execz .LBB60_76
; %bb.71:
	s_mov_b32 s1, exec_lo
	v_cmpx_eq_u32_e32 4, v77
	s_cbranch_execz .LBB60_75
; %bb.72:
	v_cmp_ne_u32_e32 vcc_lo, 4, v68
	s_xor_b32 s2, s6, -1
	s_and_b32 s3, s2, vcc_lo
	s_and_saveexec_b32 s2, s3
	s_cbranch_execz .LBB60_74
; %bb.73:
	v_ashrrev_i32_e32 v69, 31, v68
	v_lshlrev_b64 v[69:70], 2, v[68:69]
	v_add_co_u32 v69, vcc_lo, v4, v69
	v_add_co_ci_u32_e64 v70, null, v5, v70, vcc_lo
	s_clause 0x1
	global_load_dword v71, v[69:70], off
	global_load_dword v77, v[4:5], off offset:16
	s_waitcnt vmcnt(1)
	global_store_dword v[4:5], v71, off offset:16
	s_waitcnt vmcnt(0)
	global_store_dword v[69:70], v77, off
.LBB60_74:
	s_or_b32 exec_lo, exec_lo, s2
	v_mov_b32_e32 v71, v68
	v_mov_b32_e32 v77, v68
.LBB60_75:
	s_or_b32 exec_lo, exec_lo, s1
.LBB60_76:
	s_andn2_saveexec_b32 s0, s0
	s_cbranch_execz .LBB60_78
; %bb.77:
	v_mov_b32_e32 v77, 4
	ds_write2_b64 v74, v[54:55], v[52:53] offset0:5 offset1:6
	ds_write2_b64 v74, v[48:49], v[50:51] offset0:7 offset1:8
	;; [unrolled: 1-line block ×13, first 2 shown]
.LBB60_78:
	s_or_b32 exec_lo, exec_lo, s0
	s_mov_b32 s0, exec_lo
	s_waitcnt lgkmcnt(0)
	s_waitcnt_vscnt null, 0x0
	s_barrier
	buffer_gl0_inv
	v_cmpx_lt_i32_e32 4, v77
	s_cbranch_execz .LBB60_80
; %bb.79:
	v_mul_f64 v[56:57], v[0:1], v[56:57]
	ds_read2_b64 v[78:81], v74 offset0:5 offset1:6
	ds_read2_b64 v[82:85], v74 offset0:7 offset1:8
	;; [unrolled: 1-line block ×13, first 2 shown]
	s_waitcnt lgkmcnt(12)
	v_fma_f64 v[54:55], -v[56:57], v[78:79], v[54:55]
	v_fma_f64 v[52:53], -v[56:57], v[80:81], v[52:53]
	s_waitcnt lgkmcnt(11)
	v_fma_f64 v[48:49], -v[56:57], v[82:83], v[48:49]
	v_fma_f64 v[50:51], -v[56:57], v[84:85], v[50:51]
	;; [unrolled: 3-line block ×13, first 2 shown]
.LBB60_80:
	s_or_b32 exec_lo, exec_lo, s0
	v_lshl_add_u32 v0, v77, 3, v74
	s_barrier
	buffer_gl0_inv
	v_mov_b32_e32 v68, 5
	ds_write_b64 v0, v[54:55]
	s_waitcnt lgkmcnt(0)
	s_barrier
	buffer_gl0_inv
	ds_read_b64 v[0:1], v74 offset:40
	s_cmp_lt_i32 s7, 7
	s_cbranch_scc1 .LBB60_83
; %bb.81:
	v_add3_u32 v69, v75, 0, 48
	v_mov_b32_e32 v68, 5
	s_mov_b32 s0, 6
.LBB60_82:                              ; =>This Inner Loop Header: Depth=1
	ds_read_b64 v[78:79], v69
	v_add_nc_u32_e32 v69, 8, v69
	s_waitcnt lgkmcnt(0)
	v_cmp_lt_f64_e64 vcc_lo, |v[0:1]|, |v[78:79]|
	v_cndmask_b32_e32 v1, v1, v79, vcc_lo
	v_cndmask_b32_e32 v0, v0, v78, vcc_lo
	v_cndmask_b32_e64 v68, v68, s0, vcc_lo
	s_add_i32 s0, s0, 1
	s_cmp_lg_u32 s7, s0
	s_cbranch_scc1 .LBB60_82
.LBB60_83:
	s_mov_b32 s0, exec_lo
	s_waitcnt lgkmcnt(0)
	v_cmpx_eq_f64_e32 0, v[0:1]
	s_xor_b32 s0, exec_lo, s0
; %bb.84:
	v_cmp_ne_u32_e32 vcc_lo, 0, v76
	v_cndmask_b32_e32 v76, 6, v76, vcc_lo
; %bb.85:
	s_andn2_saveexec_b32 s0, s0
	s_cbranch_execz .LBB60_87
; %bb.86:
	v_div_scale_f64 v[69:70], null, v[0:1], v[0:1], 1.0
	v_rcp_f64_e32 v[78:79], v[69:70]
	v_fma_f64 v[80:81], -v[69:70], v[78:79], 1.0
	v_fma_f64 v[78:79], v[78:79], v[80:81], v[78:79]
	v_fma_f64 v[80:81], -v[69:70], v[78:79], 1.0
	v_fma_f64 v[78:79], v[78:79], v[80:81], v[78:79]
	v_div_scale_f64 v[80:81], vcc_lo, 1.0, v[0:1], 1.0
	v_mul_f64 v[82:83], v[80:81], v[78:79]
	v_fma_f64 v[69:70], -v[69:70], v[82:83], v[80:81]
	v_div_fmas_f64 v[69:70], v[69:70], v[78:79], v[82:83]
	v_div_fixup_f64 v[0:1], v[69:70], v[0:1], 1.0
.LBB60_87:
	s_or_b32 exec_lo, exec_lo, s0
	s_mov_b32 s0, exec_lo
	v_cmpx_ne_u32_e64 v77, v68
	s_xor_b32 s0, exec_lo, s0
	s_cbranch_execz .LBB60_93
; %bb.88:
	s_mov_b32 s1, exec_lo
	v_cmpx_eq_u32_e32 5, v77
	s_cbranch_execz .LBB60_92
; %bb.89:
	v_cmp_ne_u32_e32 vcc_lo, 5, v68
	s_xor_b32 s2, s6, -1
	s_and_b32 s3, s2, vcc_lo
	s_and_saveexec_b32 s2, s3
	s_cbranch_execz .LBB60_91
; %bb.90:
	v_ashrrev_i32_e32 v69, 31, v68
	v_lshlrev_b64 v[69:70], 2, v[68:69]
	v_add_co_u32 v69, vcc_lo, v4, v69
	v_add_co_ci_u32_e64 v70, null, v5, v70, vcc_lo
	s_clause 0x1
	global_load_dword v71, v[69:70], off
	global_load_dword v77, v[4:5], off offset:20
	s_waitcnt vmcnt(1)
	global_store_dword v[4:5], v71, off offset:20
	s_waitcnt vmcnt(0)
	global_store_dword v[69:70], v77, off
.LBB60_91:
	s_or_b32 exec_lo, exec_lo, s2
	v_mov_b32_e32 v71, v68
	v_mov_b32_e32 v77, v68
.LBB60_92:
	s_or_b32 exec_lo, exec_lo, s1
.LBB60_93:
	s_andn2_saveexec_b32 s0, s0
	s_cbranch_execz .LBB60_95
; %bb.94:
	v_mov_b32_e32 v68, v52
	v_mov_b32_e32 v69, v53
	v_mov_b32_e32 v77, v48
	v_mov_b32_e32 v78, v49
	v_mov_b32_e32 v79, v50
	v_mov_b32_e32 v80, v51
	v_mov_b32_e32 v81, v44
	v_mov_b32_e32 v82, v45
	v_mov_b32_e32 v83, v46
	v_mov_b32_e32 v84, v47
	v_mov_b32_e32 v85, v42
	v_mov_b32_e32 v86, v43
	ds_write2_b64 v74, v[68:69], v[77:78] offset0:6 offset1:7
	ds_write2_b64 v74, v[79:80], v[81:82] offset0:8 offset1:9
	;; [unrolled: 1-line block ×3, first 2 shown]
	v_mov_b32_e32 v68, v40
	v_mov_b32_e32 v69, v41
	;; [unrolled: 1-line block ×20, first 2 shown]
	ds_write2_b64 v74, v[68:69], v[77:78] offset0:12 offset1:13
	ds_write2_b64 v74, v[79:80], v[81:82] offset0:14 offset1:15
	;; [unrolled: 1-line block ×5, first 2 shown]
	v_mov_b32_e32 v68, v20
	v_mov_b32_e32 v69, v21
	;; [unrolled: 1-line block ×8, first 2 shown]
	ds_write2_b64 v74, v[68:69], v[77:78] offset0:22 offset1:23
	v_mov_b32_e32 v77, 5
	v_mov_b32_e32 v83, v12
	;; [unrolled: 1-line block ×9, first 2 shown]
	ds_write2_b64 v74, v[79:80], v[81:82] offset0:24 offset1:25
	ds_write2_b64 v74, v[83:84], v[85:86] offset0:26 offset1:27
	;; [unrolled: 1-line block ×3, first 2 shown]
	ds_write_b64 v74, v[66:67] offset:240
.LBB60_95:
	s_or_b32 exec_lo, exec_lo, s0
	s_mov_b32 s0, exec_lo
	s_waitcnt lgkmcnt(0)
	s_waitcnt_vscnt null, 0x0
	s_barrier
	buffer_gl0_inv
	v_cmpx_lt_i32_e32 5, v77
	s_cbranch_execz .LBB60_97
; %bb.96:
	v_mul_f64 v[54:55], v[0:1], v[54:55]
	ds_read2_b64 v[78:81], v74 offset0:6 offset1:7
	ds_read2_b64 v[82:85], v74 offset0:8 offset1:9
	;; [unrolled: 1-line block ×12, first 2 shown]
	ds_read_b64 v[0:1], v74 offset:240
	s_waitcnt lgkmcnt(12)
	v_fma_f64 v[52:53], -v[54:55], v[78:79], v[52:53]
	v_fma_f64 v[48:49], -v[54:55], v[80:81], v[48:49]
	s_waitcnt lgkmcnt(11)
	v_fma_f64 v[50:51], -v[54:55], v[82:83], v[50:51]
	v_fma_f64 v[44:45], -v[54:55], v[84:85], v[44:45]
	;; [unrolled: 3-line block ×12, first 2 shown]
	s_waitcnt lgkmcnt(0)
	v_fma_f64 v[66:67], -v[54:55], v[0:1], v[66:67]
.LBB60_97:
	s_or_b32 exec_lo, exec_lo, s0
	v_lshl_add_u32 v0, v77, 3, v74
	s_barrier
	buffer_gl0_inv
	v_mov_b32_e32 v68, 6
	ds_write_b64 v0, v[52:53]
	s_waitcnt lgkmcnt(0)
	s_barrier
	buffer_gl0_inv
	ds_read_b64 v[0:1], v74 offset:48
	s_cmp_lt_i32 s7, 8
	s_cbranch_scc1 .LBB60_100
; %bb.98:
	v_add3_u32 v69, v75, 0, 56
	v_mov_b32_e32 v68, 6
	s_mov_b32 s0, 7
.LBB60_99:                              ; =>This Inner Loop Header: Depth=1
	ds_read_b64 v[78:79], v69
	v_add_nc_u32_e32 v69, 8, v69
	s_waitcnt lgkmcnt(0)
	v_cmp_lt_f64_e64 vcc_lo, |v[0:1]|, |v[78:79]|
	v_cndmask_b32_e32 v1, v1, v79, vcc_lo
	v_cndmask_b32_e32 v0, v0, v78, vcc_lo
	v_cndmask_b32_e64 v68, v68, s0, vcc_lo
	s_add_i32 s0, s0, 1
	s_cmp_lg_u32 s7, s0
	s_cbranch_scc1 .LBB60_99
.LBB60_100:
	s_mov_b32 s0, exec_lo
	s_waitcnt lgkmcnt(0)
	v_cmpx_eq_f64_e32 0, v[0:1]
	s_xor_b32 s0, exec_lo, s0
; %bb.101:
	v_cmp_ne_u32_e32 vcc_lo, 0, v76
	v_cndmask_b32_e32 v76, 7, v76, vcc_lo
; %bb.102:
	s_andn2_saveexec_b32 s0, s0
	s_cbranch_execz .LBB60_104
; %bb.103:
	v_div_scale_f64 v[69:70], null, v[0:1], v[0:1], 1.0
	v_rcp_f64_e32 v[78:79], v[69:70]
	v_fma_f64 v[80:81], -v[69:70], v[78:79], 1.0
	v_fma_f64 v[78:79], v[78:79], v[80:81], v[78:79]
	v_fma_f64 v[80:81], -v[69:70], v[78:79], 1.0
	v_fma_f64 v[78:79], v[78:79], v[80:81], v[78:79]
	v_div_scale_f64 v[80:81], vcc_lo, 1.0, v[0:1], 1.0
	v_mul_f64 v[82:83], v[80:81], v[78:79]
	v_fma_f64 v[69:70], -v[69:70], v[82:83], v[80:81]
	v_div_fmas_f64 v[69:70], v[69:70], v[78:79], v[82:83]
	v_div_fixup_f64 v[0:1], v[69:70], v[0:1], 1.0
.LBB60_104:
	s_or_b32 exec_lo, exec_lo, s0
	s_mov_b32 s0, exec_lo
	v_cmpx_ne_u32_e64 v77, v68
	s_xor_b32 s0, exec_lo, s0
	s_cbranch_execz .LBB60_110
; %bb.105:
	s_mov_b32 s1, exec_lo
	v_cmpx_eq_u32_e32 6, v77
	s_cbranch_execz .LBB60_109
; %bb.106:
	v_cmp_ne_u32_e32 vcc_lo, 6, v68
	s_xor_b32 s2, s6, -1
	s_and_b32 s3, s2, vcc_lo
	s_and_saveexec_b32 s2, s3
	s_cbranch_execz .LBB60_108
; %bb.107:
	v_ashrrev_i32_e32 v69, 31, v68
	v_lshlrev_b64 v[69:70], 2, v[68:69]
	v_add_co_u32 v69, vcc_lo, v4, v69
	v_add_co_ci_u32_e64 v70, null, v5, v70, vcc_lo
	s_clause 0x1
	global_load_dword v71, v[69:70], off
	global_load_dword v77, v[4:5], off offset:24
	s_waitcnt vmcnt(1)
	global_store_dword v[4:5], v71, off offset:24
	s_waitcnt vmcnt(0)
	global_store_dword v[69:70], v77, off
.LBB60_108:
	s_or_b32 exec_lo, exec_lo, s2
	v_mov_b32_e32 v71, v68
	v_mov_b32_e32 v77, v68
.LBB60_109:
	s_or_b32 exec_lo, exec_lo, s1
.LBB60_110:
	s_andn2_saveexec_b32 s0, s0
	s_cbranch_execz .LBB60_112
; %bb.111:
	v_mov_b32_e32 v77, 6
	ds_write2_b64 v74, v[48:49], v[50:51] offset0:7 offset1:8
	ds_write2_b64 v74, v[44:45], v[46:47] offset0:9 offset1:10
	;; [unrolled: 1-line block ×12, first 2 shown]
.LBB60_112:
	s_or_b32 exec_lo, exec_lo, s0
	s_mov_b32 s0, exec_lo
	s_waitcnt lgkmcnt(0)
	s_waitcnt_vscnt null, 0x0
	s_barrier
	buffer_gl0_inv
	v_cmpx_lt_i32_e32 6, v77
	s_cbranch_execz .LBB60_114
; %bb.113:
	v_mul_f64 v[52:53], v[0:1], v[52:53]
	ds_read2_b64 v[78:81], v74 offset0:7 offset1:8
	ds_read2_b64 v[82:85], v74 offset0:9 offset1:10
	;; [unrolled: 1-line block ×12, first 2 shown]
	s_waitcnt lgkmcnt(11)
	v_fma_f64 v[48:49], -v[52:53], v[78:79], v[48:49]
	v_fma_f64 v[50:51], -v[52:53], v[80:81], v[50:51]
	s_waitcnt lgkmcnt(10)
	v_fma_f64 v[44:45], -v[52:53], v[82:83], v[44:45]
	v_fma_f64 v[46:47], -v[52:53], v[84:85], v[46:47]
	;; [unrolled: 3-line block ×12, first 2 shown]
.LBB60_114:
	s_or_b32 exec_lo, exec_lo, s0
	v_lshl_add_u32 v0, v77, 3, v74
	s_barrier
	buffer_gl0_inv
	v_mov_b32_e32 v68, 7
	ds_write_b64 v0, v[48:49]
	s_waitcnt lgkmcnt(0)
	s_barrier
	buffer_gl0_inv
	ds_read_b64 v[0:1], v74 offset:56
	s_cmp_lt_i32 s7, 9
	s_cbranch_scc1 .LBB60_117
; %bb.115:
	v_add3_u32 v69, v75, 0, 64
	v_mov_b32_e32 v68, 7
	s_mov_b32 s0, 8
.LBB60_116:                             ; =>This Inner Loop Header: Depth=1
	ds_read_b64 v[78:79], v69
	v_add_nc_u32_e32 v69, 8, v69
	s_waitcnt lgkmcnt(0)
	v_cmp_lt_f64_e64 vcc_lo, |v[0:1]|, |v[78:79]|
	v_cndmask_b32_e32 v1, v1, v79, vcc_lo
	v_cndmask_b32_e32 v0, v0, v78, vcc_lo
	v_cndmask_b32_e64 v68, v68, s0, vcc_lo
	s_add_i32 s0, s0, 1
	s_cmp_lg_u32 s7, s0
	s_cbranch_scc1 .LBB60_116
.LBB60_117:
	s_mov_b32 s0, exec_lo
	s_waitcnt lgkmcnt(0)
	v_cmpx_eq_f64_e32 0, v[0:1]
	s_xor_b32 s0, exec_lo, s0
; %bb.118:
	v_cmp_ne_u32_e32 vcc_lo, 0, v76
	v_cndmask_b32_e32 v76, 8, v76, vcc_lo
; %bb.119:
	s_andn2_saveexec_b32 s0, s0
	s_cbranch_execz .LBB60_121
; %bb.120:
	v_div_scale_f64 v[69:70], null, v[0:1], v[0:1], 1.0
	v_rcp_f64_e32 v[78:79], v[69:70]
	v_fma_f64 v[80:81], -v[69:70], v[78:79], 1.0
	v_fma_f64 v[78:79], v[78:79], v[80:81], v[78:79]
	v_fma_f64 v[80:81], -v[69:70], v[78:79], 1.0
	v_fma_f64 v[78:79], v[78:79], v[80:81], v[78:79]
	v_div_scale_f64 v[80:81], vcc_lo, 1.0, v[0:1], 1.0
	v_mul_f64 v[82:83], v[80:81], v[78:79]
	v_fma_f64 v[69:70], -v[69:70], v[82:83], v[80:81]
	v_div_fmas_f64 v[69:70], v[69:70], v[78:79], v[82:83]
	v_div_fixup_f64 v[0:1], v[69:70], v[0:1], 1.0
.LBB60_121:
	s_or_b32 exec_lo, exec_lo, s0
	s_mov_b32 s0, exec_lo
	v_cmpx_ne_u32_e64 v77, v68
	s_xor_b32 s0, exec_lo, s0
	s_cbranch_execz .LBB60_127
; %bb.122:
	s_mov_b32 s1, exec_lo
	v_cmpx_eq_u32_e32 7, v77
	s_cbranch_execz .LBB60_126
; %bb.123:
	v_cmp_ne_u32_e32 vcc_lo, 7, v68
	s_xor_b32 s2, s6, -1
	s_and_b32 s3, s2, vcc_lo
	s_and_saveexec_b32 s2, s3
	s_cbranch_execz .LBB60_125
; %bb.124:
	v_ashrrev_i32_e32 v69, 31, v68
	v_lshlrev_b64 v[69:70], 2, v[68:69]
	v_add_co_u32 v69, vcc_lo, v4, v69
	v_add_co_ci_u32_e64 v70, null, v5, v70, vcc_lo
	s_clause 0x1
	global_load_dword v71, v[69:70], off
	global_load_dword v77, v[4:5], off offset:28
	s_waitcnt vmcnt(1)
	global_store_dword v[4:5], v71, off offset:28
	s_waitcnt vmcnt(0)
	global_store_dword v[69:70], v77, off
.LBB60_125:
	s_or_b32 exec_lo, exec_lo, s2
	v_mov_b32_e32 v71, v68
	v_mov_b32_e32 v77, v68
.LBB60_126:
	s_or_b32 exec_lo, exec_lo, s1
.LBB60_127:
	s_andn2_saveexec_b32 s0, s0
	s_cbranch_execz .LBB60_129
; %bb.128:
	v_mov_b32_e32 v68, v50
	v_mov_b32_e32 v69, v51
	;; [unrolled: 1-line block ×8, first 2 shown]
	ds_write2_b64 v74, v[68:69], v[77:78] offset0:8 offset1:9
	ds_write2_b64 v74, v[79:80], v[81:82] offset0:10 offset1:11
	v_mov_b32_e32 v68, v40
	v_mov_b32_e32 v69, v41
	v_mov_b32_e32 v77, v38
	v_mov_b32_e32 v78, v39
	v_mov_b32_e32 v79, v36
	v_mov_b32_e32 v80, v37
	v_mov_b32_e32 v81, v34
	v_mov_b32_e32 v82, v35
	v_mov_b32_e32 v83, v32
	v_mov_b32_e32 v84, v33
	v_mov_b32_e32 v85, v28
	v_mov_b32_e32 v86, v29
	v_mov_b32_e32 v87, v30
	v_mov_b32_e32 v88, v31
	v_mov_b32_e32 v89, v24
	v_mov_b32_e32 v90, v25
	v_mov_b32_e32 v91, v26
	v_mov_b32_e32 v92, v27
	v_mov_b32_e32 v93, v22
	v_mov_b32_e32 v94, v23
	ds_write2_b64 v74, v[68:69], v[77:78] offset0:12 offset1:13
	ds_write2_b64 v74, v[79:80], v[81:82] offset0:14 offset1:15
	;; [unrolled: 1-line block ×5, first 2 shown]
	v_mov_b32_e32 v68, v20
	v_mov_b32_e32 v69, v21
	;; [unrolled: 1-line block ×8, first 2 shown]
	ds_write2_b64 v74, v[68:69], v[77:78] offset0:22 offset1:23
	v_mov_b32_e32 v77, 7
	v_mov_b32_e32 v83, v12
	;; [unrolled: 1-line block ×9, first 2 shown]
	ds_write2_b64 v74, v[79:80], v[81:82] offset0:24 offset1:25
	ds_write2_b64 v74, v[83:84], v[85:86] offset0:26 offset1:27
	;; [unrolled: 1-line block ×3, first 2 shown]
	ds_write_b64 v74, v[66:67] offset:240
.LBB60_129:
	s_or_b32 exec_lo, exec_lo, s0
	s_mov_b32 s0, exec_lo
	s_waitcnt lgkmcnt(0)
	s_waitcnt_vscnt null, 0x0
	s_barrier
	buffer_gl0_inv
	v_cmpx_lt_i32_e32 7, v77
	s_cbranch_execz .LBB60_131
; %bb.130:
	v_mul_f64 v[48:49], v[0:1], v[48:49]
	ds_read2_b64 v[78:81], v74 offset0:8 offset1:9
	ds_read2_b64 v[82:85], v74 offset0:10 offset1:11
	;; [unrolled: 1-line block ×11, first 2 shown]
	ds_read_b64 v[0:1], v74 offset:240
	s_waitcnt lgkmcnt(11)
	v_fma_f64 v[50:51], -v[48:49], v[78:79], v[50:51]
	v_fma_f64 v[44:45], -v[48:49], v[80:81], v[44:45]
	s_waitcnt lgkmcnt(10)
	v_fma_f64 v[46:47], -v[48:49], v[82:83], v[46:47]
	v_fma_f64 v[42:43], -v[48:49], v[84:85], v[42:43]
	;; [unrolled: 3-line block ×11, first 2 shown]
	s_waitcnt lgkmcnt(0)
	v_fma_f64 v[66:67], -v[48:49], v[0:1], v[66:67]
.LBB60_131:
	s_or_b32 exec_lo, exec_lo, s0
	v_lshl_add_u32 v0, v77, 3, v74
	s_barrier
	buffer_gl0_inv
	v_mov_b32_e32 v68, 8
	ds_write_b64 v0, v[50:51]
	s_waitcnt lgkmcnt(0)
	s_barrier
	buffer_gl0_inv
	ds_read_b64 v[0:1], v74 offset:64
	s_cmp_lt_i32 s7, 10
	s_cbranch_scc1 .LBB60_134
; %bb.132:
	v_add3_u32 v69, v75, 0, 0x48
	v_mov_b32_e32 v68, 8
	s_mov_b32 s0, 9
.LBB60_133:                             ; =>This Inner Loop Header: Depth=1
	ds_read_b64 v[78:79], v69
	v_add_nc_u32_e32 v69, 8, v69
	s_waitcnt lgkmcnt(0)
	v_cmp_lt_f64_e64 vcc_lo, |v[0:1]|, |v[78:79]|
	v_cndmask_b32_e32 v1, v1, v79, vcc_lo
	v_cndmask_b32_e32 v0, v0, v78, vcc_lo
	v_cndmask_b32_e64 v68, v68, s0, vcc_lo
	s_add_i32 s0, s0, 1
	s_cmp_lg_u32 s7, s0
	s_cbranch_scc1 .LBB60_133
.LBB60_134:
	s_mov_b32 s0, exec_lo
	s_waitcnt lgkmcnt(0)
	v_cmpx_eq_f64_e32 0, v[0:1]
	s_xor_b32 s0, exec_lo, s0
; %bb.135:
	v_cmp_ne_u32_e32 vcc_lo, 0, v76
	v_cndmask_b32_e32 v76, 9, v76, vcc_lo
; %bb.136:
	s_andn2_saveexec_b32 s0, s0
	s_cbranch_execz .LBB60_138
; %bb.137:
	v_div_scale_f64 v[69:70], null, v[0:1], v[0:1], 1.0
	v_rcp_f64_e32 v[78:79], v[69:70]
	v_fma_f64 v[80:81], -v[69:70], v[78:79], 1.0
	v_fma_f64 v[78:79], v[78:79], v[80:81], v[78:79]
	v_fma_f64 v[80:81], -v[69:70], v[78:79], 1.0
	v_fma_f64 v[78:79], v[78:79], v[80:81], v[78:79]
	v_div_scale_f64 v[80:81], vcc_lo, 1.0, v[0:1], 1.0
	v_mul_f64 v[82:83], v[80:81], v[78:79]
	v_fma_f64 v[69:70], -v[69:70], v[82:83], v[80:81]
	v_div_fmas_f64 v[69:70], v[69:70], v[78:79], v[82:83]
	v_div_fixup_f64 v[0:1], v[69:70], v[0:1], 1.0
.LBB60_138:
	s_or_b32 exec_lo, exec_lo, s0
	s_mov_b32 s0, exec_lo
	v_cmpx_ne_u32_e64 v77, v68
	s_xor_b32 s0, exec_lo, s0
	s_cbranch_execz .LBB60_144
; %bb.139:
	s_mov_b32 s1, exec_lo
	v_cmpx_eq_u32_e32 8, v77
	s_cbranch_execz .LBB60_143
; %bb.140:
	v_cmp_ne_u32_e32 vcc_lo, 8, v68
	s_xor_b32 s2, s6, -1
	s_and_b32 s3, s2, vcc_lo
	s_and_saveexec_b32 s2, s3
	s_cbranch_execz .LBB60_142
; %bb.141:
	v_ashrrev_i32_e32 v69, 31, v68
	v_lshlrev_b64 v[69:70], 2, v[68:69]
	v_add_co_u32 v69, vcc_lo, v4, v69
	v_add_co_ci_u32_e64 v70, null, v5, v70, vcc_lo
	s_clause 0x1
	global_load_dword v71, v[69:70], off
	global_load_dword v77, v[4:5], off offset:32
	s_waitcnt vmcnt(1)
	global_store_dword v[4:5], v71, off offset:32
	s_waitcnt vmcnt(0)
	global_store_dword v[69:70], v77, off
.LBB60_142:
	s_or_b32 exec_lo, exec_lo, s2
	v_mov_b32_e32 v71, v68
	v_mov_b32_e32 v77, v68
.LBB60_143:
	s_or_b32 exec_lo, exec_lo, s1
.LBB60_144:
	s_andn2_saveexec_b32 s0, s0
	s_cbranch_execz .LBB60_146
; %bb.145:
	v_mov_b32_e32 v77, 8
	ds_write2_b64 v74, v[44:45], v[46:47] offset0:9 offset1:10
	ds_write2_b64 v74, v[42:43], v[40:41] offset0:11 offset1:12
	ds_write2_b64 v74, v[38:39], v[36:37] offset0:13 offset1:14
	ds_write2_b64 v74, v[34:35], v[32:33] offset0:15 offset1:16
	ds_write2_b64 v74, v[28:29], v[30:31] offset0:17 offset1:18
	ds_write2_b64 v74, v[24:25], v[26:27] offset0:19 offset1:20
	ds_write2_b64 v74, v[22:23], v[20:21] offset0:21 offset1:22
	ds_write2_b64 v74, v[18:19], v[16:17] offset0:23 offset1:24
	ds_write2_b64 v74, v[14:15], v[12:13] offset0:25 offset1:26
	ds_write2_b64 v74, v[8:9], v[10:11] offset0:27 offset1:28
	ds_write2_b64 v74, v[6:7], v[66:67] offset0:29 offset1:30
.LBB60_146:
	s_or_b32 exec_lo, exec_lo, s0
	s_mov_b32 s0, exec_lo
	s_waitcnt lgkmcnt(0)
	s_waitcnt_vscnt null, 0x0
	s_barrier
	buffer_gl0_inv
	v_cmpx_lt_i32_e32 8, v77
	s_cbranch_execz .LBB60_148
; %bb.147:
	v_mul_f64 v[50:51], v[0:1], v[50:51]
	ds_read2_b64 v[78:81], v74 offset0:9 offset1:10
	ds_read2_b64 v[82:85], v74 offset0:11 offset1:12
	;; [unrolled: 1-line block ×11, first 2 shown]
	s_waitcnt lgkmcnt(10)
	v_fma_f64 v[44:45], -v[50:51], v[78:79], v[44:45]
	v_fma_f64 v[46:47], -v[50:51], v[80:81], v[46:47]
	s_waitcnt lgkmcnt(9)
	v_fma_f64 v[42:43], -v[50:51], v[82:83], v[42:43]
	v_fma_f64 v[40:41], -v[50:51], v[84:85], v[40:41]
	;; [unrolled: 3-line block ×11, first 2 shown]
.LBB60_148:
	s_or_b32 exec_lo, exec_lo, s0
	v_lshl_add_u32 v0, v77, 3, v74
	s_barrier
	buffer_gl0_inv
	v_mov_b32_e32 v68, 9
	ds_write_b64 v0, v[44:45]
	s_waitcnt lgkmcnt(0)
	s_barrier
	buffer_gl0_inv
	ds_read_b64 v[0:1], v74 offset:72
	s_cmp_lt_i32 s7, 11
	s_cbranch_scc1 .LBB60_151
; %bb.149:
	v_add3_u32 v69, v75, 0, 0x50
	v_mov_b32_e32 v68, 9
	s_mov_b32 s0, 10
.LBB60_150:                             ; =>This Inner Loop Header: Depth=1
	ds_read_b64 v[78:79], v69
	v_add_nc_u32_e32 v69, 8, v69
	s_waitcnt lgkmcnt(0)
	v_cmp_lt_f64_e64 vcc_lo, |v[0:1]|, |v[78:79]|
	v_cndmask_b32_e32 v1, v1, v79, vcc_lo
	v_cndmask_b32_e32 v0, v0, v78, vcc_lo
	v_cndmask_b32_e64 v68, v68, s0, vcc_lo
	s_add_i32 s0, s0, 1
	s_cmp_lg_u32 s7, s0
	s_cbranch_scc1 .LBB60_150
.LBB60_151:
	s_mov_b32 s0, exec_lo
	s_waitcnt lgkmcnt(0)
	v_cmpx_eq_f64_e32 0, v[0:1]
	s_xor_b32 s0, exec_lo, s0
; %bb.152:
	v_cmp_ne_u32_e32 vcc_lo, 0, v76
	v_cndmask_b32_e32 v76, 10, v76, vcc_lo
; %bb.153:
	s_andn2_saveexec_b32 s0, s0
	s_cbranch_execz .LBB60_155
; %bb.154:
	v_div_scale_f64 v[69:70], null, v[0:1], v[0:1], 1.0
	v_rcp_f64_e32 v[78:79], v[69:70]
	v_fma_f64 v[80:81], -v[69:70], v[78:79], 1.0
	v_fma_f64 v[78:79], v[78:79], v[80:81], v[78:79]
	v_fma_f64 v[80:81], -v[69:70], v[78:79], 1.0
	v_fma_f64 v[78:79], v[78:79], v[80:81], v[78:79]
	v_div_scale_f64 v[80:81], vcc_lo, 1.0, v[0:1], 1.0
	v_mul_f64 v[82:83], v[80:81], v[78:79]
	v_fma_f64 v[69:70], -v[69:70], v[82:83], v[80:81]
	v_div_fmas_f64 v[69:70], v[69:70], v[78:79], v[82:83]
	v_div_fixup_f64 v[0:1], v[69:70], v[0:1], 1.0
.LBB60_155:
	s_or_b32 exec_lo, exec_lo, s0
	s_mov_b32 s0, exec_lo
	v_cmpx_ne_u32_e64 v77, v68
	s_xor_b32 s0, exec_lo, s0
	s_cbranch_execz .LBB60_161
; %bb.156:
	s_mov_b32 s1, exec_lo
	v_cmpx_eq_u32_e32 9, v77
	s_cbranch_execz .LBB60_160
; %bb.157:
	v_cmp_ne_u32_e32 vcc_lo, 9, v68
	s_xor_b32 s2, s6, -1
	s_and_b32 s3, s2, vcc_lo
	s_and_saveexec_b32 s2, s3
	s_cbranch_execz .LBB60_159
; %bb.158:
	v_ashrrev_i32_e32 v69, 31, v68
	v_lshlrev_b64 v[69:70], 2, v[68:69]
	v_add_co_u32 v69, vcc_lo, v4, v69
	v_add_co_ci_u32_e64 v70, null, v5, v70, vcc_lo
	s_clause 0x1
	global_load_dword v71, v[69:70], off
	global_load_dword v77, v[4:5], off offset:36
	s_waitcnt vmcnt(1)
	global_store_dword v[4:5], v71, off offset:36
	s_waitcnt vmcnt(0)
	global_store_dword v[69:70], v77, off
.LBB60_159:
	s_or_b32 exec_lo, exec_lo, s2
	v_mov_b32_e32 v71, v68
	v_mov_b32_e32 v77, v68
.LBB60_160:
	s_or_b32 exec_lo, exec_lo, s1
.LBB60_161:
	s_andn2_saveexec_b32 s0, s0
	s_cbranch_execz .LBB60_163
; %bb.162:
	v_mov_b32_e32 v68, v46
	v_mov_b32_e32 v69, v47
	;; [unrolled: 1-line block ×8, first 2 shown]
	ds_write2_b64 v74, v[68:69], v[77:78] offset0:10 offset1:11
	v_mov_b32_e32 v68, v38
	v_mov_b32_e32 v69, v39
	;; [unrolled: 1-line block ×16, first 2 shown]
	ds_write2_b64 v74, v[79:80], v[68:69] offset0:12 offset1:13
	ds_write2_b64 v74, v[77:78], v[81:82] offset0:14 offset1:15
	;; [unrolled: 1-line block ×5, first 2 shown]
	v_mov_b32_e32 v68, v20
	v_mov_b32_e32 v69, v21
	;; [unrolled: 1-line block ×8, first 2 shown]
	ds_write2_b64 v74, v[68:69], v[77:78] offset0:22 offset1:23
	v_mov_b32_e32 v77, 9
	v_mov_b32_e32 v83, v12
	;; [unrolled: 1-line block ×9, first 2 shown]
	ds_write2_b64 v74, v[79:80], v[81:82] offset0:24 offset1:25
	ds_write2_b64 v74, v[83:84], v[85:86] offset0:26 offset1:27
	;; [unrolled: 1-line block ×3, first 2 shown]
	ds_write_b64 v74, v[66:67] offset:240
.LBB60_163:
	s_or_b32 exec_lo, exec_lo, s0
	s_mov_b32 s0, exec_lo
	s_waitcnt lgkmcnt(0)
	s_waitcnt_vscnt null, 0x0
	s_barrier
	buffer_gl0_inv
	v_cmpx_lt_i32_e32 9, v77
	s_cbranch_execz .LBB60_165
; %bb.164:
	v_mul_f64 v[44:45], v[0:1], v[44:45]
	ds_read2_b64 v[78:81], v74 offset0:10 offset1:11
	ds_read2_b64 v[82:85], v74 offset0:12 offset1:13
	;; [unrolled: 1-line block ×10, first 2 shown]
	ds_read_b64 v[0:1], v74 offset:240
	s_waitcnt lgkmcnt(10)
	v_fma_f64 v[46:47], -v[44:45], v[78:79], v[46:47]
	v_fma_f64 v[42:43], -v[44:45], v[80:81], v[42:43]
	s_waitcnt lgkmcnt(9)
	v_fma_f64 v[40:41], -v[44:45], v[82:83], v[40:41]
	v_fma_f64 v[38:39], -v[44:45], v[84:85], v[38:39]
	;; [unrolled: 3-line block ×10, first 2 shown]
	s_waitcnt lgkmcnt(0)
	v_fma_f64 v[66:67], -v[44:45], v[0:1], v[66:67]
.LBB60_165:
	s_or_b32 exec_lo, exec_lo, s0
	v_lshl_add_u32 v0, v77, 3, v74
	s_barrier
	buffer_gl0_inv
	v_mov_b32_e32 v68, 10
	ds_write_b64 v0, v[46:47]
	s_waitcnt lgkmcnt(0)
	s_barrier
	buffer_gl0_inv
	ds_read_b64 v[0:1], v74 offset:80
	s_cmp_lt_i32 s7, 12
	s_cbranch_scc1 .LBB60_168
; %bb.166:
	v_add3_u32 v69, v75, 0, 0x58
	v_mov_b32_e32 v68, 10
	s_mov_b32 s0, 11
.LBB60_167:                             ; =>This Inner Loop Header: Depth=1
	ds_read_b64 v[78:79], v69
	v_add_nc_u32_e32 v69, 8, v69
	s_waitcnt lgkmcnt(0)
	v_cmp_lt_f64_e64 vcc_lo, |v[0:1]|, |v[78:79]|
	v_cndmask_b32_e32 v1, v1, v79, vcc_lo
	v_cndmask_b32_e32 v0, v0, v78, vcc_lo
	v_cndmask_b32_e64 v68, v68, s0, vcc_lo
	s_add_i32 s0, s0, 1
	s_cmp_lg_u32 s7, s0
	s_cbranch_scc1 .LBB60_167
.LBB60_168:
	s_mov_b32 s0, exec_lo
	s_waitcnt lgkmcnt(0)
	v_cmpx_eq_f64_e32 0, v[0:1]
	s_xor_b32 s0, exec_lo, s0
; %bb.169:
	v_cmp_ne_u32_e32 vcc_lo, 0, v76
	v_cndmask_b32_e32 v76, 11, v76, vcc_lo
; %bb.170:
	s_andn2_saveexec_b32 s0, s0
	s_cbranch_execz .LBB60_172
; %bb.171:
	v_div_scale_f64 v[69:70], null, v[0:1], v[0:1], 1.0
	v_rcp_f64_e32 v[78:79], v[69:70]
	v_fma_f64 v[80:81], -v[69:70], v[78:79], 1.0
	v_fma_f64 v[78:79], v[78:79], v[80:81], v[78:79]
	v_fma_f64 v[80:81], -v[69:70], v[78:79], 1.0
	v_fma_f64 v[78:79], v[78:79], v[80:81], v[78:79]
	v_div_scale_f64 v[80:81], vcc_lo, 1.0, v[0:1], 1.0
	v_mul_f64 v[82:83], v[80:81], v[78:79]
	v_fma_f64 v[69:70], -v[69:70], v[82:83], v[80:81]
	v_div_fmas_f64 v[69:70], v[69:70], v[78:79], v[82:83]
	v_div_fixup_f64 v[0:1], v[69:70], v[0:1], 1.0
.LBB60_172:
	s_or_b32 exec_lo, exec_lo, s0
	s_mov_b32 s0, exec_lo
	v_cmpx_ne_u32_e64 v77, v68
	s_xor_b32 s0, exec_lo, s0
	s_cbranch_execz .LBB60_178
; %bb.173:
	s_mov_b32 s1, exec_lo
	v_cmpx_eq_u32_e32 10, v77
	s_cbranch_execz .LBB60_177
; %bb.174:
	v_cmp_ne_u32_e32 vcc_lo, 10, v68
	s_xor_b32 s2, s6, -1
	s_and_b32 s3, s2, vcc_lo
	s_and_saveexec_b32 s2, s3
	s_cbranch_execz .LBB60_176
; %bb.175:
	v_ashrrev_i32_e32 v69, 31, v68
	v_lshlrev_b64 v[69:70], 2, v[68:69]
	v_add_co_u32 v69, vcc_lo, v4, v69
	v_add_co_ci_u32_e64 v70, null, v5, v70, vcc_lo
	s_clause 0x1
	global_load_dword v71, v[69:70], off
	global_load_dword v77, v[4:5], off offset:40
	s_waitcnt vmcnt(1)
	global_store_dword v[4:5], v71, off offset:40
	s_waitcnt vmcnt(0)
	global_store_dword v[69:70], v77, off
.LBB60_176:
	s_or_b32 exec_lo, exec_lo, s2
	v_mov_b32_e32 v71, v68
	v_mov_b32_e32 v77, v68
.LBB60_177:
	s_or_b32 exec_lo, exec_lo, s1
.LBB60_178:
	s_andn2_saveexec_b32 s0, s0
	s_cbranch_execz .LBB60_180
; %bb.179:
	v_mov_b32_e32 v77, 10
	ds_write2_b64 v74, v[42:43], v[40:41] offset0:11 offset1:12
	ds_write2_b64 v74, v[38:39], v[36:37] offset0:13 offset1:14
	;; [unrolled: 1-line block ×10, first 2 shown]
.LBB60_180:
	s_or_b32 exec_lo, exec_lo, s0
	s_mov_b32 s0, exec_lo
	s_waitcnt lgkmcnt(0)
	s_waitcnt_vscnt null, 0x0
	s_barrier
	buffer_gl0_inv
	v_cmpx_lt_i32_e32 10, v77
	s_cbranch_execz .LBB60_182
; %bb.181:
	v_mul_f64 v[46:47], v[0:1], v[46:47]
	ds_read2_b64 v[78:81], v74 offset0:11 offset1:12
	ds_read2_b64 v[82:85], v74 offset0:13 offset1:14
	;; [unrolled: 1-line block ×10, first 2 shown]
	s_waitcnt lgkmcnt(9)
	v_fma_f64 v[42:43], -v[46:47], v[78:79], v[42:43]
	v_fma_f64 v[40:41], -v[46:47], v[80:81], v[40:41]
	s_waitcnt lgkmcnt(8)
	v_fma_f64 v[38:39], -v[46:47], v[82:83], v[38:39]
	v_fma_f64 v[36:37], -v[46:47], v[84:85], v[36:37]
	;; [unrolled: 3-line block ×10, first 2 shown]
.LBB60_182:
	s_or_b32 exec_lo, exec_lo, s0
	v_lshl_add_u32 v0, v77, 3, v74
	s_barrier
	buffer_gl0_inv
	v_mov_b32_e32 v68, 11
	ds_write_b64 v0, v[42:43]
	s_waitcnt lgkmcnt(0)
	s_barrier
	buffer_gl0_inv
	ds_read_b64 v[0:1], v74 offset:88
	s_cmp_lt_i32 s7, 13
	s_cbranch_scc1 .LBB60_185
; %bb.183:
	v_add3_u32 v69, v75, 0, 0x60
	v_mov_b32_e32 v68, 11
	s_mov_b32 s0, 12
.LBB60_184:                             ; =>This Inner Loop Header: Depth=1
	ds_read_b64 v[78:79], v69
	v_add_nc_u32_e32 v69, 8, v69
	s_waitcnt lgkmcnt(0)
	v_cmp_lt_f64_e64 vcc_lo, |v[0:1]|, |v[78:79]|
	v_cndmask_b32_e32 v1, v1, v79, vcc_lo
	v_cndmask_b32_e32 v0, v0, v78, vcc_lo
	v_cndmask_b32_e64 v68, v68, s0, vcc_lo
	s_add_i32 s0, s0, 1
	s_cmp_lg_u32 s7, s0
	s_cbranch_scc1 .LBB60_184
.LBB60_185:
	s_mov_b32 s0, exec_lo
	s_waitcnt lgkmcnt(0)
	v_cmpx_eq_f64_e32 0, v[0:1]
	s_xor_b32 s0, exec_lo, s0
; %bb.186:
	v_cmp_ne_u32_e32 vcc_lo, 0, v76
	v_cndmask_b32_e32 v76, 12, v76, vcc_lo
; %bb.187:
	s_andn2_saveexec_b32 s0, s0
	s_cbranch_execz .LBB60_189
; %bb.188:
	v_div_scale_f64 v[69:70], null, v[0:1], v[0:1], 1.0
	v_rcp_f64_e32 v[78:79], v[69:70]
	v_fma_f64 v[80:81], -v[69:70], v[78:79], 1.0
	v_fma_f64 v[78:79], v[78:79], v[80:81], v[78:79]
	v_fma_f64 v[80:81], -v[69:70], v[78:79], 1.0
	v_fma_f64 v[78:79], v[78:79], v[80:81], v[78:79]
	v_div_scale_f64 v[80:81], vcc_lo, 1.0, v[0:1], 1.0
	v_mul_f64 v[82:83], v[80:81], v[78:79]
	v_fma_f64 v[69:70], -v[69:70], v[82:83], v[80:81]
	v_div_fmas_f64 v[69:70], v[69:70], v[78:79], v[82:83]
	v_div_fixup_f64 v[0:1], v[69:70], v[0:1], 1.0
.LBB60_189:
	s_or_b32 exec_lo, exec_lo, s0
	s_mov_b32 s0, exec_lo
	v_cmpx_ne_u32_e64 v77, v68
	s_xor_b32 s0, exec_lo, s0
	s_cbranch_execz .LBB60_195
; %bb.190:
	s_mov_b32 s1, exec_lo
	v_cmpx_eq_u32_e32 11, v77
	s_cbranch_execz .LBB60_194
; %bb.191:
	v_cmp_ne_u32_e32 vcc_lo, 11, v68
	s_xor_b32 s2, s6, -1
	s_and_b32 s3, s2, vcc_lo
	s_and_saveexec_b32 s2, s3
	s_cbranch_execz .LBB60_193
; %bb.192:
	v_ashrrev_i32_e32 v69, 31, v68
	v_lshlrev_b64 v[69:70], 2, v[68:69]
	v_add_co_u32 v69, vcc_lo, v4, v69
	v_add_co_ci_u32_e64 v70, null, v5, v70, vcc_lo
	s_clause 0x1
	global_load_dword v71, v[69:70], off
	global_load_dword v77, v[4:5], off offset:44
	s_waitcnt vmcnt(1)
	global_store_dword v[4:5], v71, off offset:44
	s_waitcnt vmcnt(0)
	global_store_dword v[69:70], v77, off
.LBB60_193:
	s_or_b32 exec_lo, exec_lo, s2
	v_mov_b32_e32 v71, v68
	v_mov_b32_e32 v77, v68
.LBB60_194:
	s_or_b32 exec_lo, exec_lo, s1
.LBB60_195:
	s_andn2_saveexec_b32 s0, s0
	s_cbranch_execz .LBB60_197
; %bb.196:
	v_mov_b32_e32 v68, v40
	v_mov_b32_e32 v69, v41
	v_mov_b32_e32 v77, v38
	v_mov_b32_e32 v78, v39
	v_mov_b32_e32 v79, v36
	v_mov_b32_e32 v80, v37
	v_mov_b32_e32 v81, v34
	v_mov_b32_e32 v82, v35
	v_mov_b32_e32 v83, v32
	v_mov_b32_e32 v84, v33
	v_mov_b32_e32 v85, v28
	v_mov_b32_e32 v86, v29
	v_mov_b32_e32 v87, v30
	v_mov_b32_e32 v88, v31
	v_mov_b32_e32 v89, v24
	v_mov_b32_e32 v90, v25
	v_mov_b32_e32 v91, v26
	v_mov_b32_e32 v92, v27
	v_mov_b32_e32 v93, v22
	v_mov_b32_e32 v94, v23
	ds_write2_b64 v74, v[68:69], v[77:78] offset0:12 offset1:13
	ds_write2_b64 v74, v[79:80], v[81:82] offset0:14 offset1:15
	;; [unrolled: 1-line block ×5, first 2 shown]
	v_mov_b32_e32 v68, v20
	v_mov_b32_e32 v69, v21
	;; [unrolled: 1-line block ×8, first 2 shown]
	ds_write2_b64 v74, v[68:69], v[77:78] offset0:22 offset1:23
	v_mov_b32_e32 v77, 11
	v_mov_b32_e32 v83, v12
	;; [unrolled: 1-line block ×9, first 2 shown]
	ds_write2_b64 v74, v[79:80], v[81:82] offset0:24 offset1:25
	ds_write2_b64 v74, v[83:84], v[85:86] offset0:26 offset1:27
	;; [unrolled: 1-line block ×3, first 2 shown]
	ds_write_b64 v74, v[66:67] offset:240
.LBB60_197:
	s_or_b32 exec_lo, exec_lo, s0
	s_mov_b32 s0, exec_lo
	s_waitcnt lgkmcnt(0)
	s_waitcnt_vscnt null, 0x0
	s_barrier
	buffer_gl0_inv
	v_cmpx_lt_i32_e32 11, v77
	s_cbranch_execz .LBB60_199
; %bb.198:
	v_mul_f64 v[42:43], v[0:1], v[42:43]
	ds_read2_b64 v[78:81], v74 offset0:12 offset1:13
	ds_read2_b64 v[82:85], v74 offset0:14 offset1:15
	;; [unrolled: 1-line block ×9, first 2 shown]
	ds_read_b64 v[0:1], v74 offset:240
	s_waitcnt lgkmcnt(9)
	v_fma_f64 v[40:41], -v[42:43], v[78:79], v[40:41]
	v_fma_f64 v[38:39], -v[42:43], v[80:81], v[38:39]
	s_waitcnt lgkmcnt(8)
	v_fma_f64 v[36:37], -v[42:43], v[82:83], v[36:37]
	v_fma_f64 v[34:35], -v[42:43], v[84:85], v[34:35]
	;; [unrolled: 3-line block ×9, first 2 shown]
	s_waitcnt lgkmcnt(0)
	v_fma_f64 v[66:67], -v[42:43], v[0:1], v[66:67]
.LBB60_199:
	s_or_b32 exec_lo, exec_lo, s0
	v_lshl_add_u32 v0, v77, 3, v74
	s_barrier
	buffer_gl0_inv
	v_mov_b32_e32 v68, 12
	ds_write_b64 v0, v[40:41]
	s_waitcnt lgkmcnt(0)
	s_barrier
	buffer_gl0_inv
	ds_read_b64 v[0:1], v74 offset:96
	s_cmp_lt_i32 s7, 14
	s_cbranch_scc1 .LBB60_202
; %bb.200:
	v_add3_u32 v69, v75, 0, 0x68
	v_mov_b32_e32 v68, 12
	s_mov_b32 s0, 13
.LBB60_201:                             ; =>This Inner Loop Header: Depth=1
	ds_read_b64 v[78:79], v69
	v_add_nc_u32_e32 v69, 8, v69
	s_waitcnt lgkmcnt(0)
	v_cmp_lt_f64_e64 vcc_lo, |v[0:1]|, |v[78:79]|
	v_cndmask_b32_e32 v1, v1, v79, vcc_lo
	v_cndmask_b32_e32 v0, v0, v78, vcc_lo
	v_cndmask_b32_e64 v68, v68, s0, vcc_lo
	s_add_i32 s0, s0, 1
	s_cmp_lg_u32 s7, s0
	s_cbranch_scc1 .LBB60_201
.LBB60_202:
	s_mov_b32 s0, exec_lo
	s_waitcnt lgkmcnt(0)
	v_cmpx_eq_f64_e32 0, v[0:1]
	s_xor_b32 s0, exec_lo, s0
; %bb.203:
	v_cmp_ne_u32_e32 vcc_lo, 0, v76
	v_cndmask_b32_e32 v76, 13, v76, vcc_lo
; %bb.204:
	s_andn2_saveexec_b32 s0, s0
	s_cbranch_execz .LBB60_206
; %bb.205:
	v_div_scale_f64 v[69:70], null, v[0:1], v[0:1], 1.0
	v_rcp_f64_e32 v[78:79], v[69:70]
	v_fma_f64 v[80:81], -v[69:70], v[78:79], 1.0
	v_fma_f64 v[78:79], v[78:79], v[80:81], v[78:79]
	v_fma_f64 v[80:81], -v[69:70], v[78:79], 1.0
	v_fma_f64 v[78:79], v[78:79], v[80:81], v[78:79]
	v_div_scale_f64 v[80:81], vcc_lo, 1.0, v[0:1], 1.0
	v_mul_f64 v[82:83], v[80:81], v[78:79]
	v_fma_f64 v[69:70], -v[69:70], v[82:83], v[80:81]
	v_div_fmas_f64 v[69:70], v[69:70], v[78:79], v[82:83]
	v_div_fixup_f64 v[0:1], v[69:70], v[0:1], 1.0
.LBB60_206:
	s_or_b32 exec_lo, exec_lo, s0
	s_mov_b32 s0, exec_lo
	v_cmpx_ne_u32_e64 v77, v68
	s_xor_b32 s0, exec_lo, s0
	s_cbranch_execz .LBB60_212
; %bb.207:
	s_mov_b32 s1, exec_lo
	v_cmpx_eq_u32_e32 12, v77
	s_cbranch_execz .LBB60_211
; %bb.208:
	v_cmp_ne_u32_e32 vcc_lo, 12, v68
	s_xor_b32 s2, s6, -1
	s_and_b32 s3, s2, vcc_lo
	s_and_saveexec_b32 s2, s3
	s_cbranch_execz .LBB60_210
; %bb.209:
	v_ashrrev_i32_e32 v69, 31, v68
	v_lshlrev_b64 v[69:70], 2, v[68:69]
	v_add_co_u32 v69, vcc_lo, v4, v69
	v_add_co_ci_u32_e64 v70, null, v5, v70, vcc_lo
	s_clause 0x1
	global_load_dword v71, v[69:70], off
	global_load_dword v77, v[4:5], off offset:48
	s_waitcnt vmcnt(1)
	global_store_dword v[4:5], v71, off offset:48
	s_waitcnt vmcnt(0)
	global_store_dword v[69:70], v77, off
.LBB60_210:
	s_or_b32 exec_lo, exec_lo, s2
	v_mov_b32_e32 v71, v68
	v_mov_b32_e32 v77, v68
.LBB60_211:
	s_or_b32 exec_lo, exec_lo, s1
.LBB60_212:
	s_andn2_saveexec_b32 s0, s0
	s_cbranch_execz .LBB60_214
; %bb.213:
	v_mov_b32_e32 v77, 12
	ds_write2_b64 v74, v[38:39], v[36:37] offset0:13 offset1:14
	ds_write2_b64 v74, v[34:35], v[32:33] offset0:15 offset1:16
	;; [unrolled: 1-line block ×9, first 2 shown]
.LBB60_214:
	s_or_b32 exec_lo, exec_lo, s0
	s_mov_b32 s0, exec_lo
	s_waitcnt lgkmcnt(0)
	s_waitcnt_vscnt null, 0x0
	s_barrier
	buffer_gl0_inv
	v_cmpx_lt_i32_e32 12, v77
	s_cbranch_execz .LBB60_216
; %bb.215:
	v_mul_f64 v[40:41], v[0:1], v[40:41]
	ds_read2_b64 v[78:81], v74 offset0:13 offset1:14
	ds_read2_b64 v[82:85], v74 offset0:15 offset1:16
	;; [unrolled: 1-line block ×9, first 2 shown]
	s_waitcnt lgkmcnt(8)
	v_fma_f64 v[38:39], -v[40:41], v[78:79], v[38:39]
	v_fma_f64 v[36:37], -v[40:41], v[80:81], v[36:37]
	s_waitcnt lgkmcnt(7)
	v_fma_f64 v[34:35], -v[40:41], v[82:83], v[34:35]
	v_fma_f64 v[32:33], -v[40:41], v[84:85], v[32:33]
	;; [unrolled: 3-line block ×9, first 2 shown]
.LBB60_216:
	s_or_b32 exec_lo, exec_lo, s0
	v_lshl_add_u32 v0, v77, 3, v74
	s_barrier
	buffer_gl0_inv
	v_mov_b32_e32 v68, 13
	ds_write_b64 v0, v[38:39]
	s_waitcnt lgkmcnt(0)
	s_barrier
	buffer_gl0_inv
	ds_read_b64 v[0:1], v74 offset:104
	s_cmp_lt_i32 s7, 15
	s_cbranch_scc1 .LBB60_219
; %bb.217:
	v_add3_u32 v69, v75, 0, 0x70
	v_mov_b32_e32 v68, 13
	s_mov_b32 s0, 14
.LBB60_218:                             ; =>This Inner Loop Header: Depth=1
	ds_read_b64 v[78:79], v69
	v_add_nc_u32_e32 v69, 8, v69
	s_waitcnt lgkmcnt(0)
	v_cmp_lt_f64_e64 vcc_lo, |v[0:1]|, |v[78:79]|
	v_cndmask_b32_e32 v1, v1, v79, vcc_lo
	v_cndmask_b32_e32 v0, v0, v78, vcc_lo
	v_cndmask_b32_e64 v68, v68, s0, vcc_lo
	s_add_i32 s0, s0, 1
	s_cmp_lg_u32 s7, s0
	s_cbranch_scc1 .LBB60_218
.LBB60_219:
	s_mov_b32 s0, exec_lo
	s_waitcnt lgkmcnt(0)
	v_cmpx_eq_f64_e32 0, v[0:1]
	s_xor_b32 s0, exec_lo, s0
; %bb.220:
	v_cmp_ne_u32_e32 vcc_lo, 0, v76
	v_cndmask_b32_e32 v76, 14, v76, vcc_lo
; %bb.221:
	s_andn2_saveexec_b32 s0, s0
	s_cbranch_execz .LBB60_223
; %bb.222:
	v_div_scale_f64 v[69:70], null, v[0:1], v[0:1], 1.0
	v_rcp_f64_e32 v[78:79], v[69:70]
	v_fma_f64 v[80:81], -v[69:70], v[78:79], 1.0
	v_fma_f64 v[78:79], v[78:79], v[80:81], v[78:79]
	v_fma_f64 v[80:81], -v[69:70], v[78:79], 1.0
	v_fma_f64 v[78:79], v[78:79], v[80:81], v[78:79]
	v_div_scale_f64 v[80:81], vcc_lo, 1.0, v[0:1], 1.0
	v_mul_f64 v[82:83], v[80:81], v[78:79]
	v_fma_f64 v[69:70], -v[69:70], v[82:83], v[80:81]
	v_div_fmas_f64 v[69:70], v[69:70], v[78:79], v[82:83]
	v_div_fixup_f64 v[0:1], v[69:70], v[0:1], 1.0
.LBB60_223:
	s_or_b32 exec_lo, exec_lo, s0
	s_mov_b32 s0, exec_lo
	v_cmpx_ne_u32_e64 v77, v68
	s_xor_b32 s0, exec_lo, s0
	s_cbranch_execz .LBB60_229
; %bb.224:
	s_mov_b32 s1, exec_lo
	v_cmpx_eq_u32_e32 13, v77
	s_cbranch_execz .LBB60_228
; %bb.225:
	v_cmp_ne_u32_e32 vcc_lo, 13, v68
	s_xor_b32 s2, s6, -1
	s_and_b32 s3, s2, vcc_lo
	s_and_saveexec_b32 s2, s3
	s_cbranch_execz .LBB60_227
; %bb.226:
	v_ashrrev_i32_e32 v69, 31, v68
	v_lshlrev_b64 v[69:70], 2, v[68:69]
	v_add_co_u32 v69, vcc_lo, v4, v69
	v_add_co_ci_u32_e64 v70, null, v5, v70, vcc_lo
	s_clause 0x1
	global_load_dword v71, v[69:70], off
	global_load_dword v77, v[4:5], off offset:52
	s_waitcnt vmcnt(1)
	global_store_dword v[4:5], v71, off offset:52
	s_waitcnt vmcnt(0)
	global_store_dword v[69:70], v77, off
.LBB60_227:
	s_or_b32 exec_lo, exec_lo, s2
	v_mov_b32_e32 v71, v68
	v_mov_b32_e32 v77, v68
.LBB60_228:
	s_or_b32 exec_lo, exec_lo, s1
.LBB60_229:
	s_andn2_saveexec_b32 s0, s0
	s_cbranch_execz .LBB60_231
; %bb.230:
	v_mov_b32_e32 v68, v36
	v_mov_b32_e32 v69, v37
	;; [unrolled: 1-line block ×16, first 2 shown]
	ds_write2_b64 v74, v[68:69], v[77:78] offset0:14 offset1:15
	ds_write2_b64 v74, v[79:80], v[81:82] offset0:16 offset1:17
	;; [unrolled: 1-line block ×4, first 2 shown]
	v_mov_b32_e32 v68, v20
	v_mov_b32_e32 v69, v21
	;; [unrolled: 1-line block ×8, first 2 shown]
	ds_write2_b64 v74, v[68:69], v[77:78] offset0:22 offset1:23
	v_mov_b32_e32 v77, 13
	v_mov_b32_e32 v83, v12
	;; [unrolled: 1-line block ×9, first 2 shown]
	ds_write2_b64 v74, v[79:80], v[81:82] offset0:24 offset1:25
	ds_write2_b64 v74, v[83:84], v[85:86] offset0:26 offset1:27
	;; [unrolled: 1-line block ×3, first 2 shown]
	ds_write_b64 v74, v[66:67] offset:240
.LBB60_231:
	s_or_b32 exec_lo, exec_lo, s0
	s_mov_b32 s0, exec_lo
	s_waitcnt lgkmcnt(0)
	s_waitcnt_vscnt null, 0x0
	s_barrier
	buffer_gl0_inv
	v_cmpx_lt_i32_e32 13, v77
	s_cbranch_execz .LBB60_233
; %bb.232:
	v_mul_f64 v[38:39], v[0:1], v[38:39]
	ds_read2_b64 v[78:81], v74 offset0:14 offset1:15
	ds_read2_b64 v[82:85], v74 offset0:16 offset1:17
	;; [unrolled: 1-line block ×8, first 2 shown]
	ds_read_b64 v[0:1], v74 offset:240
	s_waitcnt lgkmcnt(8)
	v_fma_f64 v[36:37], -v[38:39], v[78:79], v[36:37]
	v_fma_f64 v[34:35], -v[38:39], v[80:81], v[34:35]
	s_waitcnt lgkmcnt(7)
	v_fma_f64 v[32:33], -v[38:39], v[82:83], v[32:33]
	v_fma_f64 v[28:29], -v[38:39], v[84:85], v[28:29]
	;; [unrolled: 3-line block ×8, first 2 shown]
	s_waitcnt lgkmcnt(0)
	v_fma_f64 v[66:67], -v[38:39], v[0:1], v[66:67]
.LBB60_233:
	s_or_b32 exec_lo, exec_lo, s0
	v_lshl_add_u32 v0, v77, 3, v74
	s_barrier
	buffer_gl0_inv
	v_mov_b32_e32 v68, 14
	ds_write_b64 v0, v[36:37]
	s_waitcnt lgkmcnt(0)
	s_barrier
	buffer_gl0_inv
	ds_read_b64 v[0:1], v74 offset:112
	s_cmp_lt_i32 s7, 16
	s_cbranch_scc1 .LBB60_236
; %bb.234:
	v_add3_u32 v69, v75, 0, 0x78
	v_mov_b32_e32 v68, 14
	s_mov_b32 s0, 15
.LBB60_235:                             ; =>This Inner Loop Header: Depth=1
	ds_read_b64 v[78:79], v69
	v_add_nc_u32_e32 v69, 8, v69
	s_waitcnt lgkmcnt(0)
	v_cmp_lt_f64_e64 vcc_lo, |v[0:1]|, |v[78:79]|
	v_cndmask_b32_e32 v1, v1, v79, vcc_lo
	v_cndmask_b32_e32 v0, v0, v78, vcc_lo
	v_cndmask_b32_e64 v68, v68, s0, vcc_lo
	s_add_i32 s0, s0, 1
	s_cmp_lg_u32 s7, s0
	s_cbranch_scc1 .LBB60_235
.LBB60_236:
	s_mov_b32 s0, exec_lo
	s_waitcnt lgkmcnt(0)
	v_cmpx_eq_f64_e32 0, v[0:1]
	s_xor_b32 s0, exec_lo, s0
; %bb.237:
	v_cmp_ne_u32_e32 vcc_lo, 0, v76
	v_cndmask_b32_e32 v76, 15, v76, vcc_lo
; %bb.238:
	s_andn2_saveexec_b32 s0, s0
	s_cbranch_execz .LBB60_240
; %bb.239:
	v_div_scale_f64 v[69:70], null, v[0:1], v[0:1], 1.0
	v_rcp_f64_e32 v[78:79], v[69:70]
	v_fma_f64 v[80:81], -v[69:70], v[78:79], 1.0
	v_fma_f64 v[78:79], v[78:79], v[80:81], v[78:79]
	v_fma_f64 v[80:81], -v[69:70], v[78:79], 1.0
	v_fma_f64 v[78:79], v[78:79], v[80:81], v[78:79]
	v_div_scale_f64 v[80:81], vcc_lo, 1.0, v[0:1], 1.0
	v_mul_f64 v[82:83], v[80:81], v[78:79]
	v_fma_f64 v[69:70], -v[69:70], v[82:83], v[80:81]
	v_div_fmas_f64 v[69:70], v[69:70], v[78:79], v[82:83]
	v_div_fixup_f64 v[0:1], v[69:70], v[0:1], 1.0
.LBB60_240:
	s_or_b32 exec_lo, exec_lo, s0
	s_mov_b32 s0, exec_lo
	v_cmpx_ne_u32_e64 v77, v68
	s_xor_b32 s0, exec_lo, s0
	s_cbranch_execz .LBB60_246
; %bb.241:
	s_mov_b32 s1, exec_lo
	v_cmpx_eq_u32_e32 14, v77
	s_cbranch_execz .LBB60_245
; %bb.242:
	v_cmp_ne_u32_e32 vcc_lo, 14, v68
	s_xor_b32 s2, s6, -1
	s_and_b32 s3, s2, vcc_lo
	s_and_saveexec_b32 s2, s3
	s_cbranch_execz .LBB60_244
; %bb.243:
	v_ashrrev_i32_e32 v69, 31, v68
	v_lshlrev_b64 v[69:70], 2, v[68:69]
	v_add_co_u32 v69, vcc_lo, v4, v69
	v_add_co_ci_u32_e64 v70, null, v5, v70, vcc_lo
	s_clause 0x1
	global_load_dword v71, v[69:70], off
	global_load_dword v77, v[4:5], off offset:56
	s_waitcnt vmcnt(1)
	global_store_dword v[4:5], v71, off offset:56
	s_waitcnt vmcnt(0)
	global_store_dword v[69:70], v77, off
.LBB60_244:
	s_or_b32 exec_lo, exec_lo, s2
	v_mov_b32_e32 v71, v68
	v_mov_b32_e32 v77, v68
.LBB60_245:
	s_or_b32 exec_lo, exec_lo, s1
.LBB60_246:
	s_andn2_saveexec_b32 s0, s0
	s_cbranch_execz .LBB60_248
; %bb.247:
	v_mov_b32_e32 v77, 14
	ds_write2_b64 v74, v[34:35], v[32:33] offset0:15 offset1:16
	ds_write2_b64 v74, v[28:29], v[30:31] offset0:17 offset1:18
	;; [unrolled: 1-line block ×8, first 2 shown]
.LBB60_248:
	s_or_b32 exec_lo, exec_lo, s0
	s_mov_b32 s0, exec_lo
	s_waitcnt lgkmcnt(0)
	s_waitcnt_vscnt null, 0x0
	s_barrier
	buffer_gl0_inv
	v_cmpx_lt_i32_e32 14, v77
	s_cbranch_execz .LBB60_250
; %bb.249:
	v_mul_f64 v[36:37], v[0:1], v[36:37]
	ds_read2_b64 v[78:81], v74 offset0:15 offset1:16
	ds_read2_b64 v[82:85], v74 offset0:17 offset1:18
	;; [unrolled: 1-line block ×8, first 2 shown]
	s_waitcnt lgkmcnt(7)
	v_fma_f64 v[34:35], -v[36:37], v[78:79], v[34:35]
	v_fma_f64 v[32:33], -v[36:37], v[80:81], v[32:33]
	s_waitcnt lgkmcnt(6)
	v_fma_f64 v[28:29], -v[36:37], v[82:83], v[28:29]
	v_fma_f64 v[30:31], -v[36:37], v[84:85], v[30:31]
	;; [unrolled: 3-line block ×8, first 2 shown]
.LBB60_250:
	s_or_b32 exec_lo, exec_lo, s0
	v_lshl_add_u32 v0, v77, 3, v74
	s_barrier
	buffer_gl0_inv
	v_mov_b32_e32 v68, 15
	ds_write_b64 v0, v[34:35]
	s_waitcnt lgkmcnt(0)
	s_barrier
	buffer_gl0_inv
	ds_read_b64 v[0:1], v74 offset:120
	s_cmp_lt_i32 s7, 17
	s_cbranch_scc1 .LBB60_253
; %bb.251:
	v_add3_u32 v69, v75, 0, 0x80
	v_mov_b32_e32 v68, 15
	s_mov_b32 s0, 16
.LBB60_252:                             ; =>This Inner Loop Header: Depth=1
	ds_read_b64 v[78:79], v69
	v_add_nc_u32_e32 v69, 8, v69
	s_waitcnt lgkmcnt(0)
	v_cmp_lt_f64_e64 vcc_lo, |v[0:1]|, |v[78:79]|
	v_cndmask_b32_e32 v1, v1, v79, vcc_lo
	v_cndmask_b32_e32 v0, v0, v78, vcc_lo
	v_cndmask_b32_e64 v68, v68, s0, vcc_lo
	s_add_i32 s0, s0, 1
	s_cmp_lg_u32 s7, s0
	s_cbranch_scc1 .LBB60_252
.LBB60_253:
	s_mov_b32 s0, exec_lo
	s_waitcnt lgkmcnt(0)
	v_cmpx_eq_f64_e32 0, v[0:1]
	s_xor_b32 s0, exec_lo, s0
; %bb.254:
	v_cmp_ne_u32_e32 vcc_lo, 0, v76
	v_cndmask_b32_e32 v76, 16, v76, vcc_lo
; %bb.255:
	s_andn2_saveexec_b32 s0, s0
	s_cbranch_execz .LBB60_257
; %bb.256:
	v_div_scale_f64 v[69:70], null, v[0:1], v[0:1], 1.0
	v_rcp_f64_e32 v[78:79], v[69:70]
	v_fma_f64 v[80:81], -v[69:70], v[78:79], 1.0
	v_fma_f64 v[78:79], v[78:79], v[80:81], v[78:79]
	v_fma_f64 v[80:81], -v[69:70], v[78:79], 1.0
	v_fma_f64 v[78:79], v[78:79], v[80:81], v[78:79]
	v_div_scale_f64 v[80:81], vcc_lo, 1.0, v[0:1], 1.0
	v_mul_f64 v[82:83], v[80:81], v[78:79]
	v_fma_f64 v[69:70], -v[69:70], v[82:83], v[80:81]
	v_div_fmas_f64 v[69:70], v[69:70], v[78:79], v[82:83]
	v_div_fixup_f64 v[0:1], v[69:70], v[0:1], 1.0
.LBB60_257:
	s_or_b32 exec_lo, exec_lo, s0
	s_mov_b32 s0, exec_lo
	v_cmpx_ne_u32_e64 v77, v68
	s_xor_b32 s0, exec_lo, s0
	s_cbranch_execz .LBB60_263
; %bb.258:
	s_mov_b32 s1, exec_lo
	v_cmpx_eq_u32_e32 15, v77
	s_cbranch_execz .LBB60_262
; %bb.259:
	v_cmp_ne_u32_e32 vcc_lo, 15, v68
	s_xor_b32 s2, s6, -1
	s_and_b32 s3, s2, vcc_lo
	s_and_saveexec_b32 s2, s3
	s_cbranch_execz .LBB60_261
; %bb.260:
	v_ashrrev_i32_e32 v69, 31, v68
	v_lshlrev_b64 v[69:70], 2, v[68:69]
	v_add_co_u32 v69, vcc_lo, v4, v69
	v_add_co_ci_u32_e64 v70, null, v5, v70, vcc_lo
	s_clause 0x1
	global_load_dword v71, v[69:70], off
	global_load_dword v77, v[4:5], off offset:60
	s_waitcnt vmcnt(1)
	global_store_dword v[4:5], v71, off offset:60
	s_waitcnt vmcnt(0)
	global_store_dword v[69:70], v77, off
.LBB60_261:
	s_or_b32 exec_lo, exec_lo, s2
	v_mov_b32_e32 v71, v68
	v_mov_b32_e32 v77, v68
.LBB60_262:
	s_or_b32 exec_lo, exec_lo, s1
.LBB60_263:
	s_andn2_saveexec_b32 s0, s0
	s_cbranch_execz .LBB60_265
; %bb.264:
	v_mov_b32_e32 v68, v32
	v_mov_b32_e32 v69, v33
	;; [unrolled: 1-line block ×12, first 2 shown]
	ds_write2_b64 v74, v[68:69], v[77:78] offset0:16 offset1:17
	ds_write2_b64 v74, v[79:80], v[81:82] offset0:18 offset1:19
	ds_write2_b64 v74, v[83:84], v[85:86] offset0:20 offset1:21
	v_mov_b32_e32 v68, v20
	v_mov_b32_e32 v69, v21
	;; [unrolled: 1-line block ×8, first 2 shown]
	ds_write2_b64 v74, v[68:69], v[77:78] offset0:22 offset1:23
	v_mov_b32_e32 v77, 15
	v_mov_b32_e32 v83, v12
	;; [unrolled: 1-line block ×9, first 2 shown]
	ds_write2_b64 v74, v[79:80], v[81:82] offset0:24 offset1:25
	ds_write2_b64 v74, v[83:84], v[85:86] offset0:26 offset1:27
	;; [unrolled: 1-line block ×3, first 2 shown]
	ds_write_b64 v74, v[66:67] offset:240
.LBB60_265:
	s_or_b32 exec_lo, exec_lo, s0
	s_mov_b32 s0, exec_lo
	s_waitcnt lgkmcnt(0)
	s_waitcnt_vscnt null, 0x0
	s_barrier
	buffer_gl0_inv
	v_cmpx_lt_i32_e32 15, v77
	s_cbranch_execz .LBB60_267
; %bb.266:
	v_mul_f64 v[34:35], v[0:1], v[34:35]
	ds_read2_b64 v[78:81], v74 offset0:16 offset1:17
	ds_read2_b64 v[82:85], v74 offset0:18 offset1:19
	;; [unrolled: 1-line block ×7, first 2 shown]
	ds_read_b64 v[0:1], v74 offset:240
	s_waitcnt lgkmcnt(7)
	v_fma_f64 v[32:33], -v[34:35], v[78:79], v[32:33]
	v_fma_f64 v[28:29], -v[34:35], v[80:81], v[28:29]
	s_waitcnt lgkmcnt(6)
	v_fma_f64 v[30:31], -v[34:35], v[82:83], v[30:31]
	v_fma_f64 v[24:25], -v[34:35], v[84:85], v[24:25]
	;; [unrolled: 3-line block ×7, first 2 shown]
	s_waitcnt lgkmcnt(0)
	v_fma_f64 v[66:67], -v[34:35], v[0:1], v[66:67]
.LBB60_267:
	s_or_b32 exec_lo, exec_lo, s0
	v_lshl_add_u32 v0, v77, 3, v74
	s_barrier
	buffer_gl0_inv
	v_mov_b32_e32 v68, 16
	ds_write_b64 v0, v[32:33]
	s_waitcnt lgkmcnt(0)
	s_barrier
	buffer_gl0_inv
	ds_read_b64 v[0:1], v74 offset:128
	s_cmp_lt_i32 s7, 18
	s_cbranch_scc1 .LBB60_270
; %bb.268:
	v_add3_u32 v69, v75, 0, 0x88
	v_mov_b32_e32 v68, 16
	s_mov_b32 s0, 17
.LBB60_269:                             ; =>This Inner Loop Header: Depth=1
	ds_read_b64 v[78:79], v69
	v_add_nc_u32_e32 v69, 8, v69
	s_waitcnt lgkmcnt(0)
	v_cmp_lt_f64_e64 vcc_lo, |v[0:1]|, |v[78:79]|
	v_cndmask_b32_e32 v1, v1, v79, vcc_lo
	v_cndmask_b32_e32 v0, v0, v78, vcc_lo
	v_cndmask_b32_e64 v68, v68, s0, vcc_lo
	s_add_i32 s0, s0, 1
	s_cmp_lg_u32 s7, s0
	s_cbranch_scc1 .LBB60_269
.LBB60_270:
	s_mov_b32 s0, exec_lo
	s_waitcnt lgkmcnt(0)
	v_cmpx_eq_f64_e32 0, v[0:1]
	s_xor_b32 s0, exec_lo, s0
; %bb.271:
	v_cmp_ne_u32_e32 vcc_lo, 0, v76
	v_cndmask_b32_e32 v76, 17, v76, vcc_lo
; %bb.272:
	s_andn2_saveexec_b32 s0, s0
	s_cbranch_execz .LBB60_274
; %bb.273:
	v_div_scale_f64 v[69:70], null, v[0:1], v[0:1], 1.0
	v_rcp_f64_e32 v[78:79], v[69:70]
	v_fma_f64 v[80:81], -v[69:70], v[78:79], 1.0
	v_fma_f64 v[78:79], v[78:79], v[80:81], v[78:79]
	v_fma_f64 v[80:81], -v[69:70], v[78:79], 1.0
	v_fma_f64 v[78:79], v[78:79], v[80:81], v[78:79]
	v_div_scale_f64 v[80:81], vcc_lo, 1.0, v[0:1], 1.0
	v_mul_f64 v[82:83], v[80:81], v[78:79]
	v_fma_f64 v[69:70], -v[69:70], v[82:83], v[80:81]
	v_div_fmas_f64 v[69:70], v[69:70], v[78:79], v[82:83]
	v_div_fixup_f64 v[0:1], v[69:70], v[0:1], 1.0
.LBB60_274:
	s_or_b32 exec_lo, exec_lo, s0
	s_mov_b32 s0, exec_lo
	v_cmpx_ne_u32_e64 v77, v68
	s_xor_b32 s0, exec_lo, s0
	s_cbranch_execz .LBB60_280
; %bb.275:
	s_mov_b32 s1, exec_lo
	v_cmpx_eq_u32_e32 16, v77
	s_cbranch_execz .LBB60_279
; %bb.276:
	v_cmp_ne_u32_e32 vcc_lo, 16, v68
	s_xor_b32 s2, s6, -1
	s_and_b32 s3, s2, vcc_lo
	s_and_saveexec_b32 s2, s3
	s_cbranch_execz .LBB60_278
; %bb.277:
	v_ashrrev_i32_e32 v69, 31, v68
	v_lshlrev_b64 v[69:70], 2, v[68:69]
	v_add_co_u32 v69, vcc_lo, v4, v69
	v_add_co_ci_u32_e64 v70, null, v5, v70, vcc_lo
	s_clause 0x1
	global_load_dword v71, v[69:70], off
	global_load_dword v77, v[4:5], off offset:64
	s_waitcnt vmcnt(1)
	global_store_dword v[4:5], v71, off offset:64
	s_waitcnt vmcnt(0)
	global_store_dword v[69:70], v77, off
.LBB60_278:
	s_or_b32 exec_lo, exec_lo, s2
	v_mov_b32_e32 v71, v68
	v_mov_b32_e32 v77, v68
.LBB60_279:
	s_or_b32 exec_lo, exec_lo, s1
.LBB60_280:
	s_andn2_saveexec_b32 s0, s0
	s_cbranch_execz .LBB60_282
; %bb.281:
	v_mov_b32_e32 v77, 16
	ds_write2_b64 v74, v[28:29], v[30:31] offset0:17 offset1:18
	ds_write2_b64 v74, v[24:25], v[26:27] offset0:19 offset1:20
	;; [unrolled: 1-line block ×7, first 2 shown]
.LBB60_282:
	s_or_b32 exec_lo, exec_lo, s0
	s_mov_b32 s0, exec_lo
	s_waitcnt lgkmcnt(0)
	s_waitcnt_vscnt null, 0x0
	s_barrier
	buffer_gl0_inv
	v_cmpx_lt_i32_e32 16, v77
	s_cbranch_execz .LBB60_284
; %bb.283:
	v_mul_f64 v[32:33], v[0:1], v[32:33]
	ds_read2_b64 v[78:81], v74 offset0:17 offset1:18
	ds_read2_b64 v[82:85], v74 offset0:19 offset1:20
	;; [unrolled: 1-line block ×7, first 2 shown]
	s_waitcnt lgkmcnt(6)
	v_fma_f64 v[28:29], -v[32:33], v[78:79], v[28:29]
	v_fma_f64 v[30:31], -v[32:33], v[80:81], v[30:31]
	s_waitcnt lgkmcnt(5)
	v_fma_f64 v[24:25], -v[32:33], v[82:83], v[24:25]
	v_fma_f64 v[26:27], -v[32:33], v[84:85], v[26:27]
	;; [unrolled: 3-line block ×7, first 2 shown]
.LBB60_284:
	s_or_b32 exec_lo, exec_lo, s0
	v_lshl_add_u32 v0, v77, 3, v74
	s_barrier
	buffer_gl0_inv
	v_mov_b32_e32 v68, 17
	ds_write_b64 v0, v[28:29]
	s_waitcnt lgkmcnt(0)
	s_barrier
	buffer_gl0_inv
	ds_read_b64 v[0:1], v74 offset:136
	s_cmp_lt_i32 s7, 19
	s_cbranch_scc1 .LBB60_287
; %bb.285:
	v_add3_u32 v69, v75, 0, 0x90
	v_mov_b32_e32 v68, 17
	s_mov_b32 s0, 18
.LBB60_286:                             ; =>This Inner Loop Header: Depth=1
	ds_read_b64 v[78:79], v69
	v_add_nc_u32_e32 v69, 8, v69
	s_waitcnt lgkmcnt(0)
	v_cmp_lt_f64_e64 vcc_lo, |v[0:1]|, |v[78:79]|
	v_cndmask_b32_e32 v1, v1, v79, vcc_lo
	v_cndmask_b32_e32 v0, v0, v78, vcc_lo
	v_cndmask_b32_e64 v68, v68, s0, vcc_lo
	s_add_i32 s0, s0, 1
	s_cmp_lg_u32 s7, s0
	s_cbranch_scc1 .LBB60_286
.LBB60_287:
	s_mov_b32 s0, exec_lo
	s_waitcnt lgkmcnt(0)
	v_cmpx_eq_f64_e32 0, v[0:1]
	s_xor_b32 s0, exec_lo, s0
; %bb.288:
	v_cmp_ne_u32_e32 vcc_lo, 0, v76
	v_cndmask_b32_e32 v76, 18, v76, vcc_lo
; %bb.289:
	s_andn2_saveexec_b32 s0, s0
	s_cbranch_execz .LBB60_291
; %bb.290:
	v_div_scale_f64 v[69:70], null, v[0:1], v[0:1], 1.0
	v_rcp_f64_e32 v[78:79], v[69:70]
	v_fma_f64 v[80:81], -v[69:70], v[78:79], 1.0
	v_fma_f64 v[78:79], v[78:79], v[80:81], v[78:79]
	v_fma_f64 v[80:81], -v[69:70], v[78:79], 1.0
	v_fma_f64 v[78:79], v[78:79], v[80:81], v[78:79]
	v_div_scale_f64 v[80:81], vcc_lo, 1.0, v[0:1], 1.0
	v_mul_f64 v[82:83], v[80:81], v[78:79]
	v_fma_f64 v[69:70], -v[69:70], v[82:83], v[80:81]
	v_div_fmas_f64 v[69:70], v[69:70], v[78:79], v[82:83]
	v_div_fixup_f64 v[0:1], v[69:70], v[0:1], 1.0
.LBB60_291:
	s_or_b32 exec_lo, exec_lo, s0
	s_mov_b32 s0, exec_lo
	v_cmpx_ne_u32_e64 v77, v68
	s_xor_b32 s0, exec_lo, s0
	s_cbranch_execz .LBB60_297
; %bb.292:
	s_mov_b32 s1, exec_lo
	v_cmpx_eq_u32_e32 17, v77
	s_cbranch_execz .LBB60_296
; %bb.293:
	v_cmp_ne_u32_e32 vcc_lo, 17, v68
	s_xor_b32 s2, s6, -1
	s_and_b32 s3, s2, vcc_lo
	s_and_saveexec_b32 s2, s3
	s_cbranch_execz .LBB60_295
; %bb.294:
	v_ashrrev_i32_e32 v69, 31, v68
	v_lshlrev_b64 v[69:70], 2, v[68:69]
	v_add_co_u32 v69, vcc_lo, v4, v69
	v_add_co_ci_u32_e64 v70, null, v5, v70, vcc_lo
	s_clause 0x1
	global_load_dword v71, v[69:70], off
	global_load_dword v77, v[4:5], off offset:68
	s_waitcnt vmcnt(1)
	global_store_dword v[4:5], v71, off offset:68
	s_waitcnt vmcnt(0)
	global_store_dword v[69:70], v77, off
.LBB60_295:
	s_or_b32 exec_lo, exec_lo, s2
	v_mov_b32_e32 v71, v68
	v_mov_b32_e32 v77, v68
.LBB60_296:
	s_or_b32 exec_lo, exec_lo, s1
.LBB60_297:
	s_andn2_saveexec_b32 s0, s0
	s_cbranch_execz .LBB60_299
; %bb.298:
	v_mov_b32_e32 v68, v30
	v_mov_b32_e32 v69, v31
	;; [unrolled: 1-line block ×8, first 2 shown]
	ds_write2_b64 v74, v[68:69], v[77:78] offset0:18 offset1:19
	ds_write2_b64 v74, v[79:80], v[81:82] offset0:20 offset1:21
	v_mov_b32_e32 v68, v20
	v_mov_b32_e32 v69, v21
	;; [unrolled: 1-line block ×8, first 2 shown]
	ds_write2_b64 v74, v[68:69], v[77:78] offset0:22 offset1:23
	v_mov_b32_e32 v77, 17
	v_mov_b32_e32 v83, v12
	;; [unrolled: 1-line block ×9, first 2 shown]
	ds_write2_b64 v74, v[79:80], v[81:82] offset0:24 offset1:25
	ds_write2_b64 v74, v[83:84], v[85:86] offset0:26 offset1:27
	ds_write2_b64 v74, v[87:88], v[89:90] offset0:28 offset1:29
	ds_write_b64 v74, v[66:67] offset:240
.LBB60_299:
	s_or_b32 exec_lo, exec_lo, s0
	s_mov_b32 s0, exec_lo
	s_waitcnt lgkmcnt(0)
	s_waitcnt_vscnt null, 0x0
	s_barrier
	buffer_gl0_inv
	v_cmpx_lt_i32_e32 17, v77
	s_cbranch_execz .LBB60_301
; %bb.300:
	v_mul_f64 v[28:29], v[0:1], v[28:29]
	ds_read2_b64 v[78:81], v74 offset0:18 offset1:19
	ds_read2_b64 v[82:85], v74 offset0:20 offset1:21
	;; [unrolled: 1-line block ×6, first 2 shown]
	ds_read_b64 v[0:1], v74 offset:240
	s_waitcnt lgkmcnt(6)
	v_fma_f64 v[30:31], -v[28:29], v[78:79], v[30:31]
	v_fma_f64 v[24:25], -v[28:29], v[80:81], v[24:25]
	s_waitcnt lgkmcnt(5)
	v_fma_f64 v[26:27], -v[28:29], v[82:83], v[26:27]
	v_fma_f64 v[22:23], -v[28:29], v[84:85], v[22:23]
	;; [unrolled: 3-line block ×6, first 2 shown]
	s_waitcnt lgkmcnt(0)
	v_fma_f64 v[66:67], -v[28:29], v[0:1], v[66:67]
.LBB60_301:
	s_or_b32 exec_lo, exec_lo, s0
	v_lshl_add_u32 v0, v77, 3, v74
	s_barrier
	buffer_gl0_inv
	v_mov_b32_e32 v68, 18
	ds_write_b64 v0, v[30:31]
	s_waitcnt lgkmcnt(0)
	s_barrier
	buffer_gl0_inv
	ds_read_b64 v[0:1], v74 offset:144
	s_cmp_lt_i32 s7, 20
	s_cbranch_scc1 .LBB60_304
; %bb.302:
	v_add3_u32 v69, v75, 0, 0x98
	v_mov_b32_e32 v68, 18
	s_mov_b32 s0, 19
.LBB60_303:                             ; =>This Inner Loop Header: Depth=1
	ds_read_b64 v[78:79], v69
	v_add_nc_u32_e32 v69, 8, v69
	s_waitcnt lgkmcnt(0)
	v_cmp_lt_f64_e64 vcc_lo, |v[0:1]|, |v[78:79]|
	v_cndmask_b32_e32 v1, v1, v79, vcc_lo
	v_cndmask_b32_e32 v0, v0, v78, vcc_lo
	v_cndmask_b32_e64 v68, v68, s0, vcc_lo
	s_add_i32 s0, s0, 1
	s_cmp_lg_u32 s7, s0
	s_cbranch_scc1 .LBB60_303
.LBB60_304:
	s_mov_b32 s0, exec_lo
	s_waitcnt lgkmcnt(0)
	v_cmpx_eq_f64_e32 0, v[0:1]
	s_xor_b32 s0, exec_lo, s0
; %bb.305:
	v_cmp_ne_u32_e32 vcc_lo, 0, v76
	v_cndmask_b32_e32 v76, 19, v76, vcc_lo
; %bb.306:
	s_andn2_saveexec_b32 s0, s0
	s_cbranch_execz .LBB60_308
; %bb.307:
	v_div_scale_f64 v[69:70], null, v[0:1], v[0:1], 1.0
	v_rcp_f64_e32 v[78:79], v[69:70]
	v_fma_f64 v[80:81], -v[69:70], v[78:79], 1.0
	v_fma_f64 v[78:79], v[78:79], v[80:81], v[78:79]
	v_fma_f64 v[80:81], -v[69:70], v[78:79], 1.0
	v_fma_f64 v[78:79], v[78:79], v[80:81], v[78:79]
	v_div_scale_f64 v[80:81], vcc_lo, 1.0, v[0:1], 1.0
	v_mul_f64 v[82:83], v[80:81], v[78:79]
	v_fma_f64 v[69:70], -v[69:70], v[82:83], v[80:81]
	v_div_fmas_f64 v[69:70], v[69:70], v[78:79], v[82:83]
	v_div_fixup_f64 v[0:1], v[69:70], v[0:1], 1.0
.LBB60_308:
	s_or_b32 exec_lo, exec_lo, s0
	s_mov_b32 s0, exec_lo
	v_cmpx_ne_u32_e64 v77, v68
	s_xor_b32 s0, exec_lo, s0
	s_cbranch_execz .LBB60_314
; %bb.309:
	s_mov_b32 s1, exec_lo
	v_cmpx_eq_u32_e32 18, v77
	s_cbranch_execz .LBB60_313
; %bb.310:
	v_cmp_ne_u32_e32 vcc_lo, 18, v68
	s_xor_b32 s2, s6, -1
	s_and_b32 s3, s2, vcc_lo
	s_and_saveexec_b32 s2, s3
	s_cbranch_execz .LBB60_312
; %bb.311:
	v_ashrrev_i32_e32 v69, 31, v68
	v_lshlrev_b64 v[69:70], 2, v[68:69]
	v_add_co_u32 v69, vcc_lo, v4, v69
	v_add_co_ci_u32_e64 v70, null, v5, v70, vcc_lo
	s_clause 0x1
	global_load_dword v71, v[69:70], off
	global_load_dword v77, v[4:5], off offset:72
	s_waitcnt vmcnt(1)
	global_store_dword v[4:5], v71, off offset:72
	s_waitcnt vmcnt(0)
	global_store_dword v[69:70], v77, off
.LBB60_312:
	s_or_b32 exec_lo, exec_lo, s2
	v_mov_b32_e32 v71, v68
	v_mov_b32_e32 v77, v68
.LBB60_313:
	s_or_b32 exec_lo, exec_lo, s1
.LBB60_314:
	s_andn2_saveexec_b32 s0, s0
	s_cbranch_execz .LBB60_316
; %bb.315:
	v_mov_b32_e32 v77, 18
	ds_write2_b64 v74, v[24:25], v[26:27] offset0:19 offset1:20
	ds_write2_b64 v74, v[22:23], v[20:21] offset0:21 offset1:22
	ds_write2_b64 v74, v[18:19], v[16:17] offset0:23 offset1:24
	ds_write2_b64 v74, v[14:15], v[12:13] offset0:25 offset1:26
	ds_write2_b64 v74, v[8:9], v[10:11] offset0:27 offset1:28
	ds_write2_b64 v74, v[6:7], v[66:67] offset0:29 offset1:30
.LBB60_316:
	s_or_b32 exec_lo, exec_lo, s0
	s_mov_b32 s0, exec_lo
	s_waitcnt lgkmcnt(0)
	s_waitcnt_vscnt null, 0x0
	s_barrier
	buffer_gl0_inv
	v_cmpx_lt_i32_e32 18, v77
	s_cbranch_execz .LBB60_318
; %bb.317:
	v_mul_f64 v[30:31], v[0:1], v[30:31]
	ds_read2_b64 v[78:81], v74 offset0:19 offset1:20
	ds_read2_b64 v[82:85], v74 offset0:21 offset1:22
	;; [unrolled: 1-line block ×6, first 2 shown]
	s_waitcnt lgkmcnt(5)
	v_fma_f64 v[24:25], -v[30:31], v[78:79], v[24:25]
	v_fma_f64 v[26:27], -v[30:31], v[80:81], v[26:27]
	s_waitcnt lgkmcnt(4)
	v_fma_f64 v[22:23], -v[30:31], v[82:83], v[22:23]
	v_fma_f64 v[20:21], -v[30:31], v[84:85], v[20:21]
	;; [unrolled: 3-line block ×6, first 2 shown]
.LBB60_318:
	s_or_b32 exec_lo, exec_lo, s0
	v_lshl_add_u32 v0, v77, 3, v74
	s_barrier
	buffer_gl0_inv
	v_mov_b32_e32 v68, 19
	ds_write_b64 v0, v[24:25]
	s_waitcnt lgkmcnt(0)
	s_barrier
	buffer_gl0_inv
	ds_read_b64 v[0:1], v74 offset:152
	s_cmp_lt_i32 s7, 21
	s_cbranch_scc1 .LBB60_321
; %bb.319:
	v_add3_u32 v69, v75, 0, 0xa0
	v_mov_b32_e32 v68, 19
	s_mov_b32 s0, 20
.LBB60_320:                             ; =>This Inner Loop Header: Depth=1
	ds_read_b64 v[78:79], v69
	v_add_nc_u32_e32 v69, 8, v69
	s_waitcnt lgkmcnt(0)
	v_cmp_lt_f64_e64 vcc_lo, |v[0:1]|, |v[78:79]|
	v_cndmask_b32_e32 v1, v1, v79, vcc_lo
	v_cndmask_b32_e32 v0, v0, v78, vcc_lo
	v_cndmask_b32_e64 v68, v68, s0, vcc_lo
	s_add_i32 s0, s0, 1
	s_cmp_lg_u32 s7, s0
	s_cbranch_scc1 .LBB60_320
.LBB60_321:
	s_mov_b32 s0, exec_lo
	s_waitcnt lgkmcnt(0)
	v_cmpx_eq_f64_e32 0, v[0:1]
	s_xor_b32 s0, exec_lo, s0
; %bb.322:
	v_cmp_ne_u32_e32 vcc_lo, 0, v76
	v_cndmask_b32_e32 v76, 20, v76, vcc_lo
; %bb.323:
	s_andn2_saveexec_b32 s0, s0
	s_cbranch_execz .LBB60_325
; %bb.324:
	v_div_scale_f64 v[69:70], null, v[0:1], v[0:1], 1.0
	v_rcp_f64_e32 v[78:79], v[69:70]
	v_fma_f64 v[80:81], -v[69:70], v[78:79], 1.0
	v_fma_f64 v[78:79], v[78:79], v[80:81], v[78:79]
	v_fma_f64 v[80:81], -v[69:70], v[78:79], 1.0
	v_fma_f64 v[78:79], v[78:79], v[80:81], v[78:79]
	v_div_scale_f64 v[80:81], vcc_lo, 1.0, v[0:1], 1.0
	v_mul_f64 v[82:83], v[80:81], v[78:79]
	v_fma_f64 v[69:70], -v[69:70], v[82:83], v[80:81]
	v_div_fmas_f64 v[69:70], v[69:70], v[78:79], v[82:83]
	v_div_fixup_f64 v[0:1], v[69:70], v[0:1], 1.0
.LBB60_325:
	s_or_b32 exec_lo, exec_lo, s0
	s_mov_b32 s0, exec_lo
	v_cmpx_ne_u32_e64 v77, v68
	s_xor_b32 s0, exec_lo, s0
	s_cbranch_execz .LBB60_331
; %bb.326:
	s_mov_b32 s1, exec_lo
	v_cmpx_eq_u32_e32 19, v77
	s_cbranch_execz .LBB60_330
; %bb.327:
	v_cmp_ne_u32_e32 vcc_lo, 19, v68
	s_xor_b32 s2, s6, -1
	s_and_b32 s3, s2, vcc_lo
	s_and_saveexec_b32 s2, s3
	s_cbranch_execz .LBB60_329
; %bb.328:
	v_ashrrev_i32_e32 v69, 31, v68
	v_lshlrev_b64 v[69:70], 2, v[68:69]
	v_add_co_u32 v69, vcc_lo, v4, v69
	v_add_co_ci_u32_e64 v70, null, v5, v70, vcc_lo
	s_clause 0x1
	global_load_dword v71, v[69:70], off
	global_load_dword v77, v[4:5], off offset:76
	s_waitcnt vmcnt(1)
	global_store_dword v[4:5], v71, off offset:76
	s_waitcnt vmcnt(0)
	global_store_dword v[69:70], v77, off
.LBB60_329:
	s_or_b32 exec_lo, exec_lo, s2
	v_mov_b32_e32 v71, v68
	v_mov_b32_e32 v77, v68
.LBB60_330:
	s_or_b32 exec_lo, exec_lo, s1
.LBB60_331:
	s_andn2_saveexec_b32 s0, s0
	s_cbranch_execz .LBB60_333
; %bb.332:
	v_mov_b32_e32 v68, v26
	v_mov_b32_e32 v69, v27
	;; [unrolled: 1-line block ×8, first 2 shown]
	ds_write2_b64 v74, v[68:69], v[77:78] offset0:20 offset1:21
	v_mov_b32_e32 v68, v18
	v_mov_b32_e32 v69, v19
	;; [unrolled: 1-line block ×13, first 2 shown]
	ds_write2_b64 v74, v[79:80], v[68:69] offset0:22 offset1:23
	ds_write2_b64 v74, v[81:82], v[83:84] offset0:24 offset1:25
	;; [unrolled: 1-line block ×4, first 2 shown]
	ds_write_b64 v74, v[66:67] offset:240
.LBB60_333:
	s_or_b32 exec_lo, exec_lo, s0
	s_mov_b32 s0, exec_lo
	s_waitcnt lgkmcnt(0)
	s_waitcnt_vscnt null, 0x0
	s_barrier
	buffer_gl0_inv
	v_cmpx_lt_i32_e32 19, v77
	s_cbranch_execz .LBB60_335
; %bb.334:
	v_mul_f64 v[24:25], v[0:1], v[24:25]
	ds_read2_b64 v[78:81], v74 offset0:20 offset1:21
	ds_read2_b64 v[82:85], v74 offset0:22 offset1:23
	;; [unrolled: 1-line block ×5, first 2 shown]
	ds_read_b64 v[0:1], v74 offset:240
	s_waitcnt lgkmcnt(5)
	v_fma_f64 v[26:27], -v[24:25], v[78:79], v[26:27]
	v_fma_f64 v[22:23], -v[24:25], v[80:81], v[22:23]
	s_waitcnt lgkmcnt(4)
	v_fma_f64 v[20:21], -v[24:25], v[82:83], v[20:21]
	v_fma_f64 v[18:19], -v[24:25], v[84:85], v[18:19]
	s_waitcnt lgkmcnt(3)
	v_fma_f64 v[16:17], -v[24:25], v[86:87], v[16:17]
	v_fma_f64 v[14:15], -v[24:25], v[88:89], v[14:15]
	s_waitcnt lgkmcnt(2)
	v_fma_f64 v[12:13], -v[24:25], v[90:91], v[12:13]
	v_fma_f64 v[8:9], -v[24:25], v[92:93], v[8:9]
	s_waitcnt lgkmcnt(1)
	v_fma_f64 v[10:11], -v[24:25], v[94:95], v[10:11]
	v_fma_f64 v[6:7], -v[24:25], v[96:97], v[6:7]
	s_waitcnt lgkmcnt(0)
	v_fma_f64 v[66:67], -v[24:25], v[0:1], v[66:67]
.LBB60_335:
	s_or_b32 exec_lo, exec_lo, s0
	v_lshl_add_u32 v0, v77, 3, v74
	s_barrier
	buffer_gl0_inv
	v_mov_b32_e32 v68, 20
	ds_write_b64 v0, v[26:27]
	s_waitcnt lgkmcnt(0)
	s_barrier
	buffer_gl0_inv
	ds_read_b64 v[0:1], v74 offset:160
	s_cmp_lt_i32 s7, 22
	s_cbranch_scc1 .LBB60_338
; %bb.336:
	v_add3_u32 v69, v75, 0, 0xa8
	v_mov_b32_e32 v68, 20
	s_mov_b32 s0, 21
.LBB60_337:                             ; =>This Inner Loop Header: Depth=1
	ds_read_b64 v[78:79], v69
	v_add_nc_u32_e32 v69, 8, v69
	s_waitcnt lgkmcnt(0)
	v_cmp_lt_f64_e64 vcc_lo, |v[0:1]|, |v[78:79]|
	v_cndmask_b32_e32 v1, v1, v79, vcc_lo
	v_cndmask_b32_e32 v0, v0, v78, vcc_lo
	v_cndmask_b32_e64 v68, v68, s0, vcc_lo
	s_add_i32 s0, s0, 1
	s_cmp_lg_u32 s7, s0
	s_cbranch_scc1 .LBB60_337
.LBB60_338:
	s_mov_b32 s0, exec_lo
	s_waitcnt lgkmcnt(0)
	v_cmpx_eq_f64_e32 0, v[0:1]
	s_xor_b32 s0, exec_lo, s0
; %bb.339:
	v_cmp_ne_u32_e32 vcc_lo, 0, v76
	v_cndmask_b32_e32 v76, 21, v76, vcc_lo
; %bb.340:
	s_andn2_saveexec_b32 s0, s0
	s_cbranch_execz .LBB60_342
; %bb.341:
	v_div_scale_f64 v[69:70], null, v[0:1], v[0:1], 1.0
	v_rcp_f64_e32 v[78:79], v[69:70]
	v_fma_f64 v[80:81], -v[69:70], v[78:79], 1.0
	v_fma_f64 v[78:79], v[78:79], v[80:81], v[78:79]
	v_fma_f64 v[80:81], -v[69:70], v[78:79], 1.0
	v_fma_f64 v[78:79], v[78:79], v[80:81], v[78:79]
	v_div_scale_f64 v[80:81], vcc_lo, 1.0, v[0:1], 1.0
	v_mul_f64 v[82:83], v[80:81], v[78:79]
	v_fma_f64 v[69:70], -v[69:70], v[82:83], v[80:81]
	v_div_fmas_f64 v[69:70], v[69:70], v[78:79], v[82:83]
	v_div_fixup_f64 v[0:1], v[69:70], v[0:1], 1.0
.LBB60_342:
	s_or_b32 exec_lo, exec_lo, s0
	s_mov_b32 s0, exec_lo
	v_cmpx_ne_u32_e64 v77, v68
	s_xor_b32 s0, exec_lo, s0
	s_cbranch_execz .LBB60_348
; %bb.343:
	s_mov_b32 s1, exec_lo
	v_cmpx_eq_u32_e32 20, v77
	s_cbranch_execz .LBB60_347
; %bb.344:
	v_cmp_ne_u32_e32 vcc_lo, 20, v68
	s_xor_b32 s2, s6, -1
	s_and_b32 s3, s2, vcc_lo
	s_and_saveexec_b32 s2, s3
	s_cbranch_execz .LBB60_346
; %bb.345:
	v_ashrrev_i32_e32 v69, 31, v68
	v_lshlrev_b64 v[69:70], 2, v[68:69]
	v_add_co_u32 v69, vcc_lo, v4, v69
	v_add_co_ci_u32_e64 v70, null, v5, v70, vcc_lo
	s_clause 0x1
	global_load_dword v71, v[69:70], off
	global_load_dword v77, v[4:5], off offset:80
	s_waitcnt vmcnt(1)
	global_store_dword v[4:5], v71, off offset:80
	s_waitcnt vmcnt(0)
	global_store_dword v[69:70], v77, off
.LBB60_346:
	s_or_b32 exec_lo, exec_lo, s2
	v_mov_b32_e32 v71, v68
	v_mov_b32_e32 v77, v68
.LBB60_347:
	s_or_b32 exec_lo, exec_lo, s1
.LBB60_348:
	s_andn2_saveexec_b32 s0, s0
	s_cbranch_execz .LBB60_350
; %bb.349:
	v_mov_b32_e32 v77, 20
	ds_write2_b64 v74, v[22:23], v[20:21] offset0:21 offset1:22
	ds_write2_b64 v74, v[18:19], v[16:17] offset0:23 offset1:24
	;; [unrolled: 1-line block ×5, first 2 shown]
.LBB60_350:
	s_or_b32 exec_lo, exec_lo, s0
	s_mov_b32 s0, exec_lo
	s_waitcnt lgkmcnt(0)
	s_waitcnt_vscnt null, 0x0
	s_barrier
	buffer_gl0_inv
	v_cmpx_lt_i32_e32 20, v77
	s_cbranch_execz .LBB60_352
; %bb.351:
	v_mul_f64 v[26:27], v[0:1], v[26:27]
	ds_read2_b64 v[78:81], v74 offset0:21 offset1:22
	ds_read2_b64 v[82:85], v74 offset0:23 offset1:24
	;; [unrolled: 1-line block ×5, first 2 shown]
	s_waitcnt lgkmcnt(4)
	v_fma_f64 v[22:23], -v[26:27], v[78:79], v[22:23]
	v_fma_f64 v[20:21], -v[26:27], v[80:81], v[20:21]
	s_waitcnt lgkmcnt(3)
	v_fma_f64 v[18:19], -v[26:27], v[82:83], v[18:19]
	v_fma_f64 v[16:17], -v[26:27], v[84:85], v[16:17]
	;; [unrolled: 3-line block ×5, first 2 shown]
.LBB60_352:
	s_or_b32 exec_lo, exec_lo, s0
	v_lshl_add_u32 v0, v77, 3, v74
	s_barrier
	buffer_gl0_inv
	v_mov_b32_e32 v68, 21
	ds_write_b64 v0, v[22:23]
	s_waitcnt lgkmcnt(0)
	s_barrier
	buffer_gl0_inv
	ds_read_b64 v[0:1], v74 offset:168
	s_cmp_lt_i32 s7, 23
	s_cbranch_scc1 .LBB60_355
; %bb.353:
	v_add3_u32 v69, v75, 0, 0xb0
	v_mov_b32_e32 v68, 21
	s_mov_b32 s0, 22
.LBB60_354:                             ; =>This Inner Loop Header: Depth=1
	ds_read_b64 v[78:79], v69
	v_add_nc_u32_e32 v69, 8, v69
	s_waitcnt lgkmcnt(0)
	v_cmp_lt_f64_e64 vcc_lo, |v[0:1]|, |v[78:79]|
	v_cndmask_b32_e32 v1, v1, v79, vcc_lo
	v_cndmask_b32_e32 v0, v0, v78, vcc_lo
	v_cndmask_b32_e64 v68, v68, s0, vcc_lo
	s_add_i32 s0, s0, 1
	s_cmp_lg_u32 s7, s0
	s_cbranch_scc1 .LBB60_354
.LBB60_355:
	s_mov_b32 s0, exec_lo
	s_waitcnt lgkmcnt(0)
	v_cmpx_eq_f64_e32 0, v[0:1]
	s_xor_b32 s0, exec_lo, s0
; %bb.356:
	v_cmp_ne_u32_e32 vcc_lo, 0, v76
	v_cndmask_b32_e32 v76, 22, v76, vcc_lo
; %bb.357:
	s_andn2_saveexec_b32 s0, s0
	s_cbranch_execz .LBB60_359
; %bb.358:
	v_div_scale_f64 v[69:70], null, v[0:1], v[0:1], 1.0
	v_rcp_f64_e32 v[78:79], v[69:70]
	v_fma_f64 v[80:81], -v[69:70], v[78:79], 1.0
	v_fma_f64 v[78:79], v[78:79], v[80:81], v[78:79]
	v_fma_f64 v[80:81], -v[69:70], v[78:79], 1.0
	v_fma_f64 v[78:79], v[78:79], v[80:81], v[78:79]
	v_div_scale_f64 v[80:81], vcc_lo, 1.0, v[0:1], 1.0
	v_mul_f64 v[82:83], v[80:81], v[78:79]
	v_fma_f64 v[69:70], -v[69:70], v[82:83], v[80:81]
	v_div_fmas_f64 v[69:70], v[69:70], v[78:79], v[82:83]
	v_div_fixup_f64 v[0:1], v[69:70], v[0:1], 1.0
.LBB60_359:
	s_or_b32 exec_lo, exec_lo, s0
	s_mov_b32 s0, exec_lo
	v_cmpx_ne_u32_e64 v77, v68
	s_xor_b32 s0, exec_lo, s0
	s_cbranch_execz .LBB60_365
; %bb.360:
	s_mov_b32 s1, exec_lo
	v_cmpx_eq_u32_e32 21, v77
	s_cbranch_execz .LBB60_364
; %bb.361:
	v_cmp_ne_u32_e32 vcc_lo, 21, v68
	s_xor_b32 s2, s6, -1
	s_and_b32 s3, s2, vcc_lo
	s_and_saveexec_b32 s2, s3
	s_cbranch_execz .LBB60_363
; %bb.362:
	v_ashrrev_i32_e32 v69, 31, v68
	v_lshlrev_b64 v[69:70], 2, v[68:69]
	v_add_co_u32 v69, vcc_lo, v4, v69
	v_add_co_ci_u32_e64 v70, null, v5, v70, vcc_lo
	s_clause 0x1
	global_load_dword v71, v[69:70], off
	global_load_dword v77, v[4:5], off offset:84
	s_waitcnt vmcnt(1)
	global_store_dword v[4:5], v71, off offset:84
	s_waitcnt vmcnt(0)
	global_store_dword v[69:70], v77, off
.LBB60_363:
	s_or_b32 exec_lo, exec_lo, s2
	v_mov_b32_e32 v71, v68
	v_mov_b32_e32 v77, v68
.LBB60_364:
	s_or_b32 exec_lo, exec_lo, s1
.LBB60_365:
	s_andn2_saveexec_b32 s0, s0
	s_cbranch_execz .LBB60_367
; %bb.366:
	v_mov_b32_e32 v68, v20
	v_mov_b32_e32 v69, v21
	;; [unrolled: 1-line block ×8, first 2 shown]
	ds_write2_b64 v74, v[68:69], v[77:78] offset0:22 offset1:23
	v_mov_b32_e32 v77, 21
	v_mov_b32_e32 v83, v12
	;; [unrolled: 1-line block ×9, first 2 shown]
	ds_write2_b64 v74, v[79:80], v[81:82] offset0:24 offset1:25
	ds_write2_b64 v74, v[83:84], v[85:86] offset0:26 offset1:27
	;; [unrolled: 1-line block ×3, first 2 shown]
	ds_write_b64 v74, v[66:67] offset:240
.LBB60_367:
	s_or_b32 exec_lo, exec_lo, s0
	s_mov_b32 s0, exec_lo
	s_waitcnt lgkmcnt(0)
	s_waitcnt_vscnt null, 0x0
	s_barrier
	buffer_gl0_inv
	v_cmpx_lt_i32_e32 21, v77
	s_cbranch_execz .LBB60_369
; %bb.368:
	v_mul_f64 v[22:23], v[0:1], v[22:23]
	ds_read2_b64 v[78:81], v74 offset0:22 offset1:23
	ds_read2_b64 v[82:85], v74 offset0:24 offset1:25
	;; [unrolled: 1-line block ×4, first 2 shown]
	ds_read_b64 v[0:1], v74 offset:240
	s_waitcnt lgkmcnt(4)
	v_fma_f64 v[20:21], -v[22:23], v[78:79], v[20:21]
	v_fma_f64 v[18:19], -v[22:23], v[80:81], v[18:19]
	s_waitcnt lgkmcnt(3)
	v_fma_f64 v[16:17], -v[22:23], v[82:83], v[16:17]
	v_fma_f64 v[14:15], -v[22:23], v[84:85], v[14:15]
	;; [unrolled: 3-line block ×4, first 2 shown]
	s_waitcnt lgkmcnt(0)
	v_fma_f64 v[66:67], -v[22:23], v[0:1], v[66:67]
.LBB60_369:
	s_or_b32 exec_lo, exec_lo, s0
	v_lshl_add_u32 v0, v77, 3, v74
	s_barrier
	buffer_gl0_inv
	v_mov_b32_e32 v68, 22
	ds_write_b64 v0, v[20:21]
	s_waitcnt lgkmcnt(0)
	s_barrier
	buffer_gl0_inv
	ds_read_b64 v[0:1], v74 offset:176
	s_cmp_lt_i32 s7, 24
	s_cbranch_scc1 .LBB60_372
; %bb.370:
	v_add3_u32 v69, v75, 0, 0xb8
	v_mov_b32_e32 v68, 22
	s_mov_b32 s0, 23
.LBB60_371:                             ; =>This Inner Loop Header: Depth=1
	ds_read_b64 v[78:79], v69
	v_add_nc_u32_e32 v69, 8, v69
	s_waitcnt lgkmcnt(0)
	v_cmp_lt_f64_e64 vcc_lo, |v[0:1]|, |v[78:79]|
	v_cndmask_b32_e32 v1, v1, v79, vcc_lo
	v_cndmask_b32_e32 v0, v0, v78, vcc_lo
	v_cndmask_b32_e64 v68, v68, s0, vcc_lo
	s_add_i32 s0, s0, 1
	s_cmp_lg_u32 s7, s0
	s_cbranch_scc1 .LBB60_371
.LBB60_372:
	s_mov_b32 s0, exec_lo
	s_waitcnt lgkmcnt(0)
	v_cmpx_eq_f64_e32 0, v[0:1]
	s_xor_b32 s0, exec_lo, s0
; %bb.373:
	v_cmp_ne_u32_e32 vcc_lo, 0, v76
	v_cndmask_b32_e32 v76, 23, v76, vcc_lo
; %bb.374:
	s_andn2_saveexec_b32 s0, s0
	s_cbranch_execz .LBB60_376
; %bb.375:
	v_div_scale_f64 v[69:70], null, v[0:1], v[0:1], 1.0
	v_rcp_f64_e32 v[78:79], v[69:70]
	v_fma_f64 v[80:81], -v[69:70], v[78:79], 1.0
	v_fma_f64 v[78:79], v[78:79], v[80:81], v[78:79]
	v_fma_f64 v[80:81], -v[69:70], v[78:79], 1.0
	v_fma_f64 v[78:79], v[78:79], v[80:81], v[78:79]
	v_div_scale_f64 v[80:81], vcc_lo, 1.0, v[0:1], 1.0
	v_mul_f64 v[82:83], v[80:81], v[78:79]
	v_fma_f64 v[69:70], -v[69:70], v[82:83], v[80:81]
	v_div_fmas_f64 v[69:70], v[69:70], v[78:79], v[82:83]
	v_div_fixup_f64 v[0:1], v[69:70], v[0:1], 1.0
.LBB60_376:
	s_or_b32 exec_lo, exec_lo, s0
	s_mov_b32 s0, exec_lo
	v_cmpx_ne_u32_e64 v77, v68
	s_xor_b32 s0, exec_lo, s0
	s_cbranch_execz .LBB60_382
; %bb.377:
	s_mov_b32 s1, exec_lo
	v_cmpx_eq_u32_e32 22, v77
	s_cbranch_execz .LBB60_381
; %bb.378:
	v_cmp_ne_u32_e32 vcc_lo, 22, v68
	s_xor_b32 s2, s6, -1
	s_and_b32 s3, s2, vcc_lo
	s_and_saveexec_b32 s2, s3
	s_cbranch_execz .LBB60_380
; %bb.379:
	v_ashrrev_i32_e32 v69, 31, v68
	v_lshlrev_b64 v[69:70], 2, v[68:69]
	v_add_co_u32 v69, vcc_lo, v4, v69
	v_add_co_ci_u32_e64 v70, null, v5, v70, vcc_lo
	s_clause 0x1
	global_load_dword v71, v[69:70], off
	global_load_dword v77, v[4:5], off offset:88
	s_waitcnt vmcnt(1)
	global_store_dword v[4:5], v71, off offset:88
	s_waitcnt vmcnt(0)
	global_store_dword v[69:70], v77, off
.LBB60_380:
	s_or_b32 exec_lo, exec_lo, s2
	v_mov_b32_e32 v71, v68
	v_mov_b32_e32 v77, v68
.LBB60_381:
	s_or_b32 exec_lo, exec_lo, s1
.LBB60_382:
	s_andn2_saveexec_b32 s0, s0
	s_cbranch_execz .LBB60_384
; %bb.383:
	v_mov_b32_e32 v77, 22
	ds_write2_b64 v74, v[18:19], v[16:17] offset0:23 offset1:24
	ds_write2_b64 v74, v[14:15], v[12:13] offset0:25 offset1:26
	ds_write2_b64 v74, v[8:9], v[10:11] offset0:27 offset1:28
	ds_write2_b64 v74, v[6:7], v[66:67] offset0:29 offset1:30
.LBB60_384:
	s_or_b32 exec_lo, exec_lo, s0
	s_mov_b32 s0, exec_lo
	s_waitcnt lgkmcnt(0)
	s_waitcnt_vscnt null, 0x0
	s_barrier
	buffer_gl0_inv
	v_cmpx_lt_i32_e32 22, v77
	s_cbranch_execz .LBB60_386
; %bb.385:
	v_mul_f64 v[20:21], v[0:1], v[20:21]
	ds_read2_b64 v[78:81], v74 offset0:23 offset1:24
	ds_read2_b64 v[82:85], v74 offset0:25 offset1:26
	;; [unrolled: 1-line block ×4, first 2 shown]
	s_waitcnt lgkmcnt(3)
	v_fma_f64 v[18:19], -v[20:21], v[78:79], v[18:19]
	v_fma_f64 v[16:17], -v[20:21], v[80:81], v[16:17]
	s_waitcnt lgkmcnt(2)
	v_fma_f64 v[14:15], -v[20:21], v[82:83], v[14:15]
	v_fma_f64 v[12:13], -v[20:21], v[84:85], v[12:13]
	;; [unrolled: 3-line block ×4, first 2 shown]
.LBB60_386:
	s_or_b32 exec_lo, exec_lo, s0
	v_lshl_add_u32 v0, v77, 3, v74
	s_barrier
	buffer_gl0_inv
	v_mov_b32_e32 v68, 23
	ds_write_b64 v0, v[18:19]
	s_waitcnt lgkmcnt(0)
	s_barrier
	buffer_gl0_inv
	ds_read_b64 v[0:1], v74 offset:184
	s_cmp_lt_i32 s7, 25
	s_cbranch_scc1 .LBB60_389
; %bb.387:
	v_add3_u32 v69, v75, 0, 0xc0
	v_mov_b32_e32 v68, 23
	s_mov_b32 s0, 24
.LBB60_388:                             ; =>This Inner Loop Header: Depth=1
	ds_read_b64 v[78:79], v69
	v_add_nc_u32_e32 v69, 8, v69
	s_waitcnt lgkmcnt(0)
	v_cmp_lt_f64_e64 vcc_lo, |v[0:1]|, |v[78:79]|
	v_cndmask_b32_e32 v1, v1, v79, vcc_lo
	v_cndmask_b32_e32 v0, v0, v78, vcc_lo
	v_cndmask_b32_e64 v68, v68, s0, vcc_lo
	s_add_i32 s0, s0, 1
	s_cmp_lg_u32 s7, s0
	s_cbranch_scc1 .LBB60_388
.LBB60_389:
	s_mov_b32 s0, exec_lo
	s_waitcnt lgkmcnt(0)
	v_cmpx_eq_f64_e32 0, v[0:1]
	s_xor_b32 s0, exec_lo, s0
; %bb.390:
	v_cmp_ne_u32_e32 vcc_lo, 0, v76
	v_cndmask_b32_e32 v76, 24, v76, vcc_lo
; %bb.391:
	s_andn2_saveexec_b32 s0, s0
	s_cbranch_execz .LBB60_393
; %bb.392:
	v_div_scale_f64 v[69:70], null, v[0:1], v[0:1], 1.0
	v_rcp_f64_e32 v[78:79], v[69:70]
	v_fma_f64 v[80:81], -v[69:70], v[78:79], 1.0
	v_fma_f64 v[78:79], v[78:79], v[80:81], v[78:79]
	v_fma_f64 v[80:81], -v[69:70], v[78:79], 1.0
	v_fma_f64 v[78:79], v[78:79], v[80:81], v[78:79]
	v_div_scale_f64 v[80:81], vcc_lo, 1.0, v[0:1], 1.0
	v_mul_f64 v[82:83], v[80:81], v[78:79]
	v_fma_f64 v[69:70], -v[69:70], v[82:83], v[80:81]
	v_div_fmas_f64 v[69:70], v[69:70], v[78:79], v[82:83]
	v_div_fixup_f64 v[0:1], v[69:70], v[0:1], 1.0
.LBB60_393:
	s_or_b32 exec_lo, exec_lo, s0
	s_mov_b32 s0, exec_lo
	v_cmpx_ne_u32_e64 v77, v68
	s_xor_b32 s0, exec_lo, s0
	s_cbranch_execz .LBB60_399
; %bb.394:
	s_mov_b32 s1, exec_lo
	v_cmpx_eq_u32_e32 23, v77
	s_cbranch_execz .LBB60_398
; %bb.395:
	v_cmp_ne_u32_e32 vcc_lo, 23, v68
	s_xor_b32 s2, s6, -1
	s_and_b32 s3, s2, vcc_lo
	s_and_saveexec_b32 s2, s3
	s_cbranch_execz .LBB60_397
; %bb.396:
	v_ashrrev_i32_e32 v69, 31, v68
	v_lshlrev_b64 v[69:70], 2, v[68:69]
	v_add_co_u32 v69, vcc_lo, v4, v69
	v_add_co_ci_u32_e64 v70, null, v5, v70, vcc_lo
	s_clause 0x1
	global_load_dword v71, v[69:70], off
	global_load_dword v77, v[4:5], off offset:92
	s_waitcnt vmcnt(1)
	global_store_dword v[4:5], v71, off offset:92
	s_waitcnt vmcnt(0)
	global_store_dword v[69:70], v77, off
.LBB60_397:
	s_or_b32 exec_lo, exec_lo, s2
	v_mov_b32_e32 v71, v68
	v_mov_b32_e32 v77, v68
.LBB60_398:
	s_or_b32 exec_lo, exec_lo, s1
.LBB60_399:
	s_andn2_saveexec_b32 s0, s0
	s_cbranch_execz .LBB60_401
; %bb.400:
	v_mov_b32_e32 v68, v16
	v_mov_b32_e32 v69, v17
	;; [unrolled: 1-line block ×13, first 2 shown]
	ds_write2_b64 v74, v[68:69], v[78:79] offset0:24 offset1:25
	ds_write2_b64 v74, v[80:81], v[82:83] offset0:26 offset1:27
	;; [unrolled: 1-line block ×3, first 2 shown]
	ds_write_b64 v74, v[66:67] offset:240
.LBB60_401:
	s_or_b32 exec_lo, exec_lo, s0
	s_mov_b32 s0, exec_lo
	s_waitcnt lgkmcnt(0)
	s_waitcnt_vscnt null, 0x0
	s_barrier
	buffer_gl0_inv
	v_cmpx_lt_i32_e32 23, v77
	s_cbranch_execz .LBB60_403
; %bb.402:
	v_mul_f64 v[18:19], v[0:1], v[18:19]
	ds_read2_b64 v[78:81], v74 offset0:24 offset1:25
	ds_read2_b64 v[82:85], v74 offset0:26 offset1:27
	;; [unrolled: 1-line block ×3, first 2 shown]
	ds_read_b64 v[0:1], v74 offset:240
	s_waitcnt lgkmcnt(3)
	v_fma_f64 v[16:17], -v[18:19], v[78:79], v[16:17]
	v_fma_f64 v[14:15], -v[18:19], v[80:81], v[14:15]
	s_waitcnt lgkmcnt(2)
	v_fma_f64 v[12:13], -v[18:19], v[82:83], v[12:13]
	v_fma_f64 v[8:9], -v[18:19], v[84:85], v[8:9]
	;; [unrolled: 3-line block ×3, first 2 shown]
	s_waitcnt lgkmcnt(0)
	v_fma_f64 v[66:67], -v[18:19], v[0:1], v[66:67]
.LBB60_403:
	s_or_b32 exec_lo, exec_lo, s0
	v_lshl_add_u32 v0, v77, 3, v74
	s_barrier
	buffer_gl0_inv
	v_mov_b32_e32 v68, 24
	ds_write_b64 v0, v[16:17]
	s_waitcnt lgkmcnt(0)
	s_barrier
	buffer_gl0_inv
	ds_read_b64 v[0:1], v74 offset:192
	s_cmp_lt_i32 s7, 26
	s_cbranch_scc1 .LBB60_406
; %bb.404:
	v_add3_u32 v69, v75, 0, 0xc8
	v_mov_b32_e32 v68, 24
	s_mov_b32 s0, 25
.LBB60_405:                             ; =>This Inner Loop Header: Depth=1
	ds_read_b64 v[78:79], v69
	v_add_nc_u32_e32 v69, 8, v69
	s_waitcnt lgkmcnt(0)
	v_cmp_lt_f64_e64 vcc_lo, |v[0:1]|, |v[78:79]|
	v_cndmask_b32_e32 v1, v1, v79, vcc_lo
	v_cndmask_b32_e32 v0, v0, v78, vcc_lo
	v_cndmask_b32_e64 v68, v68, s0, vcc_lo
	s_add_i32 s0, s0, 1
	s_cmp_lg_u32 s7, s0
	s_cbranch_scc1 .LBB60_405
.LBB60_406:
	s_mov_b32 s0, exec_lo
	s_waitcnt lgkmcnt(0)
	v_cmpx_eq_f64_e32 0, v[0:1]
	s_xor_b32 s0, exec_lo, s0
; %bb.407:
	v_cmp_ne_u32_e32 vcc_lo, 0, v76
	v_cndmask_b32_e32 v76, 25, v76, vcc_lo
; %bb.408:
	s_andn2_saveexec_b32 s0, s0
	s_cbranch_execz .LBB60_410
; %bb.409:
	v_div_scale_f64 v[69:70], null, v[0:1], v[0:1], 1.0
	v_rcp_f64_e32 v[78:79], v[69:70]
	v_fma_f64 v[80:81], -v[69:70], v[78:79], 1.0
	v_fma_f64 v[78:79], v[78:79], v[80:81], v[78:79]
	v_fma_f64 v[80:81], -v[69:70], v[78:79], 1.0
	v_fma_f64 v[78:79], v[78:79], v[80:81], v[78:79]
	v_div_scale_f64 v[80:81], vcc_lo, 1.0, v[0:1], 1.0
	v_mul_f64 v[82:83], v[80:81], v[78:79]
	v_fma_f64 v[69:70], -v[69:70], v[82:83], v[80:81]
	v_div_fmas_f64 v[69:70], v[69:70], v[78:79], v[82:83]
	v_div_fixup_f64 v[0:1], v[69:70], v[0:1], 1.0
.LBB60_410:
	s_or_b32 exec_lo, exec_lo, s0
	s_mov_b32 s0, exec_lo
	v_cmpx_ne_u32_e64 v77, v68
	s_xor_b32 s0, exec_lo, s0
	s_cbranch_execz .LBB60_416
; %bb.411:
	s_mov_b32 s1, exec_lo
	v_cmpx_eq_u32_e32 24, v77
	s_cbranch_execz .LBB60_415
; %bb.412:
	v_cmp_ne_u32_e32 vcc_lo, 24, v68
	s_xor_b32 s2, s6, -1
	s_and_b32 s3, s2, vcc_lo
	s_and_saveexec_b32 s2, s3
	s_cbranch_execz .LBB60_414
; %bb.413:
	v_ashrrev_i32_e32 v69, 31, v68
	v_lshlrev_b64 v[69:70], 2, v[68:69]
	v_add_co_u32 v69, vcc_lo, v4, v69
	v_add_co_ci_u32_e64 v70, null, v5, v70, vcc_lo
	s_clause 0x1
	global_load_dword v71, v[69:70], off
	global_load_dword v77, v[4:5], off offset:96
	s_waitcnt vmcnt(1)
	global_store_dword v[4:5], v71, off offset:96
	s_waitcnt vmcnt(0)
	global_store_dword v[69:70], v77, off
.LBB60_414:
	s_or_b32 exec_lo, exec_lo, s2
	v_mov_b32_e32 v71, v68
	v_mov_b32_e32 v77, v68
.LBB60_415:
	s_or_b32 exec_lo, exec_lo, s1
.LBB60_416:
	s_andn2_saveexec_b32 s0, s0
	s_cbranch_execz .LBB60_418
; %bb.417:
	v_mov_b32_e32 v77, 24
	ds_write2_b64 v74, v[14:15], v[12:13] offset0:25 offset1:26
	ds_write2_b64 v74, v[8:9], v[10:11] offset0:27 offset1:28
	;; [unrolled: 1-line block ×3, first 2 shown]
.LBB60_418:
	s_or_b32 exec_lo, exec_lo, s0
	s_mov_b32 s0, exec_lo
	s_waitcnt lgkmcnt(0)
	s_waitcnt_vscnt null, 0x0
	s_barrier
	buffer_gl0_inv
	v_cmpx_lt_i32_e32 24, v77
	s_cbranch_execz .LBB60_420
; %bb.419:
	v_mul_f64 v[16:17], v[0:1], v[16:17]
	ds_read2_b64 v[78:81], v74 offset0:25 offset1:26
	ds_read2_b64 v[82:85], v74 offset0:27 offset1:28
	;; [unrolled: 1-line block ×3, first 2 shown]
	s_waitcnt lgkmcnt(2)
	v_fma_f64 v[14:15], -v[16:17], v[78:79], v[14:15]
	v_fma_f64 v[12:13], -v[16:17], v[80:81], v[12:13]
	s_waitcnt lgkmcnt(1)
	v_fma_f64 v[8:9], -v[16:17], v[82:83], v[8:9]
	v_fma_f64 v[10:11], -v[16:17], v[84:85], v[10:11]
	;; [unrolled: 3-line block ×3, first 2 shown]
.LBB60_420:
	s_or_b32 exec_lo, exec_lo, s0
	v_lshl_add_u32 v0, v77, 3, v74
	s_barrier
	buffer_gl0_inv
	v_mov_b32_e32 v68, 25
	ds_write_b64 v0, v[14:15]
	s_waitcnt lgkmcnt(0)
	s_barrier
	buffer_gl0_inv
	ds_read_b64 v[0:1], v74 offset:200
	s_cmp_lt_i32 s7, 27
	s_cbranch_scc1 .LBB60_423
; %bb.421:
	v_add3_u32 v69, v75, 0, 0xd0
	v_mov_b32_e32 v68, 25
	s_mov_b32 s0, 26
.LBB60_422:                             ; =>This Inner Loop Header: Depth=1
	ds_read_b64 v[78:79], v69
	v_add_nc_u32_e32 v69, 8, v69
	s_waitcnt lgkmcnt(0)
	v_cmp_lt_f64_e64 vcc_lo, |v[0:1]|, |v[78:79]|
	v_cndmask_b32_e32 v1, v1, v79, vcc_lo
	v_cndmask_b32_e32 v0, v0, v78, vcc_lo
	v_cndmask_b32_e64 v68, v68, s0, vcc_lo
	s_add_i32 s0, s0, 1
	s_cmp_lg_u32 s7, s0
	s_cbranch_scc1 .LBB60_422
.LBB60_423:
	s_mov_b32 s0, exec_lo
	s_waitcnt lgkmcnt(0)
	v_cmpx_eq_f64_e32 0, v[0:1]
	s_xor_b32 s0, exec_lo, s0
; %bb.424:
	v_cmp_ne_u32_e32 vcc_lo, 0, v76
	v_cndmask_b32_e32 v76, 26, v76, vcc_lo
; %bb.425:
	s_andn2_saveexec_b32 s0, s0
	s_cbranch_execz .LBB60_427
; %bb.426:
	v_div_scale_f64 v[69:70], null, v[0:1], v[0:1], 1.0
	v_rcp_f64_e32 v[78:79], v[69:70]
	v_fma_f64 v[80:81], -v[69:70], v[78:79], 1.0
	v_fma_f64 v[78:79], v[78:79], v[80:81], v[78:79]
	v_fma_f64 v[80:81], -v[69:70], v[78:79], 1.0
	v_fma_f64 v[78:79], v[78:79], v[80:81], v[78:79]
	v_div_scale_f64 v[80:81], vcc_lo, 1.0, v[0:1], 1.0
	v_mul_f64 v[82:83], v[80:81], v[78:79]
	v_fma_f64 v[69:70], -v[69:70], v[82:83], v[80:81]
	v_div_fmas_f64 v[69:70], v[69:70], v[78:79], v[82:83]
	v_div_fixup_f64 v[0:1], v[69:70], v[0:1], 1.0
.LBB60_427:
	s_or_b32 exec_lo, exec_lo, s0
	s_mov_b32 s0, exec_lo
	v_cmpx_ne_u32_e64 v77, v68
	s_xor_b32 s0, exec_lo, s0
	s_cbranch_execz .LBB60_433
; %bb.428:
	s_mov_b32 s1, exec_lo
	v_cmpx_eq_u32_e32 25, v77
	s_cbranch_execz .LBB60_432
; %bb.429:
	v_cmp_ne_u32_e32 vcc_lo, 25, v68
	s_xor_b32 s2, s6, -1
	s_and_b32 s3, s2, vcc_lo
	s_and_saveexec_b32 s2, s3
	s_cbranch_execz .LBB60_431
; %bb.430:
	v_ashrrev_i32_e32 v69, 31, v68
	v_lshlrev_b64 v[69:70], 2, v[68:69]
	v_add_co_u32 v69, vcc_lo, v4, v69
	v_add_co_ci_u32_e64 v70, null, v5, v70, vcc_lo
	s_clause 0x1
	global_load_dword v71, v[69:70], off
	global_load_dword v77, v[4:5], off offset:100
	s_waitcnt vmcnt(1)
	global_store_dword v[4:5], v71, off offset:100
	s_waitcnt vmcnt(0)
	global_store_dword v[69:70], v77, off
.LBB60_431:
	s_or_b32 exec_lo, exec_lo, s2
	v_mov_b32_e32 v71, v68
	v_mov_b32_e32 v77, v68
.LBB60_432:
	s_or_b32 exec_lo, exec_lo, s1
.LBB60_433:
	s_andn2_saveexec_b32 s0, s0
	s_cbranch_execz .LBB60_435
; %bb.434:
	v_mov_b32_e32 v68, v12
	v_mov_b32_e32 v69, v13
	;; [unrolled: 1-line block ×9, first 2 shown]
	ds_write2_b64 v74, v[68:69], v[78:79] offset0:26 offset1:27
	ds_write2_b64 v74, v[80:81], v[82:83] offset0:28 offset1:29
	ds_write_b64 v74, v[66:67] offset:240
.LBB60_435:
	s_or_b32 exec_lo, exec_lo, s0
	s_mov_b32 s0, exec_lo
	s_waitcnt lgkmcnt(0)
	s_waitcnt_vscnt null, 0x0
	s_barrier
	buffer_gl0_inv
	v_cmpx_lt_i32_e32 25, v77
	s_cbranch_execz .LBB60_437
; %bb.436:
	v_mul_f64 v[14:15], v[0:1], v[14:15]
	ds_read2_b64 v[78:81], v74 offset0:26 offset1:27
	ds_read2_b64 v[82:85], v74 offset0:28 offset1:29
	ds_read_b64 v[0:1], v74 offset:240
	s_waitcnt lgkmcnt(2)
	v_fma_f64 v[12:13], -v[14:15], v[78:79], v[12:13]
	v_fma_f64 v[8:9], -v[14:15], v[80:81], v[8:9]
	s_waitcnt lgkmcnt(1)
	v_fma_f64 v[10:11], -v[14:15], v[82:83], v[10:11]
	v_fma_f64 v[6:7], -v[14:15], v[84:85], v[6:7]
	s_waitcnt lgkmcnt(0)
	v_fma_f64 v[66:67], -v[14:15], v[0:1], v[66:67]
.LBB60_437:
	s_or_b32 exec_lo, exec_lo, s0
	v_lshl_add_u32 v0, v77, 3, v74
	s_barrier
	buffer_gl0_inv
	v_mov_b32_e32 v68, 26
	ds_write_b64 v0, v[12:13]
	s_waitcnt lgkmcnt(0)
	s_barrier
	buffer_gl0_inv
	ds_read_b64 v[0:1], v74 offset:208
	s_cmp_lt_i32 s7, 28
	s_cbranch_scc1 .LBB60_440
; %bb.438:
	v_add3_u32 v69, v75, 0, 0xd8
	v_mov_b32_e32 v68, 26
	s_mov_b32 s0, 27
.LBB60_439:                             ; =>This Inner Loop Header: Depth=1
	ds_read_b64 v[78:79], v69
	v_add_nc_u32_e32 v69, 8, v69
	s_waitcnt lgkmcnt(0)
	v_cmp_lt_f64_e64 vcc_lo, |v[0:1]|, |v[78:79]|
	v_cndmask_b32_e32 v1, v1, v79, vcc_lo
	v_cndmask_b32_e32 v0, v0, v78, vcc_lo
	v_cndmask_b32_e64 v68, v68, s0, vcc_lo
	s_add_i32 s0, s0, 1
	s_cmp_lg_u32 s7, s0
	s_cbranch_scc1 .LBB60_439
.LBB60_440:
	s_mov_b32 s0, exec_lo
	s_waitcnt lgkmcnt(0)
	v_cmpx_eq_f64_e32 0, v[0:1]
	s_xor_b32 s0, exec_lo, s0
; %bb.441:
	v_cmp_ne_u32_e32 vcc_lo, 0, v76
	v_cndmask_b32_e32 v76, 27, v76, vcc_lo
; %bb.442:
	s_andn2_saveexec_b32 s0, s0
	s_cbranch_execz .LBB60_444
; %bb.443:
	v_div_scale_f64 v[69:70], null, v[0:1], v[0:1], 1.0
	v_rcp_f64_e32 v[78:79], v[69:70]
	v_fma_f64 v[80:81], -v[69:70], v[78:79], 1.0
	v_fma_f64 v[78:79], v[78:79], v[80:81], v[78:79]
	v_fma_f64 v[80:81], -v[69:70], v[78:79], 1.0
	v_fma_f64 v[78:79], v[78:79], v[80:81], v[78:79]
	v_div_scale_f64 v[80:81], vcc_lo, 1.0, v[0:1], 1.0
	v_mul_f64 v[82:83], v[80:81], v[78:79]
	v_fma_f64 v[69:70], -v[69:70], v[82:83], v[80:81]
	v_div_fmas_f64 v[69:70], v[69:70], v[78:79], v[82:83]
	v_div_fixup_f64 v[0:1], v[69:70], v[0:1], 1.0
.LBB60_444:
	s_or_b32 exec_lo, exec_lo, s0
	s_mov_b32 s0, exec_lo
	v_cmpx_ne_u32_e64 v77, v68
	s_xor_b32 s0, exec_lo, s0
	s_cbranch_execz .LBB60_450
; %bb.445:
	s_mov_b32 s1, exec_lo
	v_cmpx_eq_u32_e32 26, v77
	s_cbranch_execz .LBB60_449
; %bb.446:
	v_cmp_ne_u32_e32 vcc_lo, 26, v68
	s_xor_b32 s2, s6, -1
	s_and_b32 s3, s2, vcc_lo
	s_and_saveexec_b32 s2, s3
	s_cbranch_execz .LBB60_448
; %bb.447:
	v_ashrrev_i32_e32 v69, 31, v68
	v_lshlrev_b64 v[69:70], 2, v[68:69]
	v_add_co_u32 v69, vcc_lo, v4, v69
	v_add_co_ci_u32_e64 v70, null, v5, v70, vcc_lo
	s_clause 0x1
	global_load_dword v71, v[69:70], off
	global_load_dword v77, v[4:5], off offset:104
	s_waitcnt vmcnt(1)
	global_store_dword v[4:5], v71, off offset:104
	s_waitcnt vmcnt(0)
	global_store_dword v[69:70], v77, off
.LBB60_448:
	s_or_b32 exec_lo, exec_lo, s2
	v_mov_b32_e32 v71, v68
	v_mov_b32_e32 v77, v68
.LBB60_449:
	s_or_b32 exec_lo, exec_lo, s1
.LBB60_450:
	s_andn2_saveexec_b32 s0, s0
	s_cbranch_execz .LBB60_452
; %bb.451:
	v_mov_b32_e32 v77, 26
	ds_write2_b64 v74, v[8:9], v[10:11] offset0:27 offset1:28
	ds_write2_b64 v74, v[6:7], v[66:67] offset0:29 offset1:30
.LBB60_452:
	s_or_b32 exec_lo, exec_lo, s0
	s_mov_b32 s0, exec_lo
	s_waitcnt lgkmcnt(0)
	s_waitcnt_vscnt null, 0x0
	s_barrier
	buffer_gl0_inv
	v_cmpx_lt_i32_e32 26, v77
	s_cbranch_execz .LBB60_454
; %bb.453:
	v_mul_f64 v[12:13], v[0:1], v[12:13]
	ds_read2_b64 v[78:81], v74 offset0:27 offset1:28
	ds_read2_b64 v[82:85], v74 offset0:29 offset1:30
	s_waitcnt lgkmcnt(1)
	v_fma_f64 v[8:9], -v[12:13], v[78:79], v[8:9]
	v_fma_f64 v[10:11], -v[12:13], v[80:81], v[10:11]
	s_waitcnt lgkmcnt(0)
	v_fma_f64 v[6:7], -v[12:13], v[82:83], v[6:7]
	v_fma_f64 v[66:67], -v[12:13], v[84:85], v[66:67]
.LBB60_454:
	s_or_b32 exec_lo, exec_lo, s0
	v_lshl_add_u32 v0, v77, 3, v74
	s_barrier
	buffer_gl0_inv
	v_mov_b32_e32 v68, 27
	ds_write_b64 v0, v[8:9]
	s_waitcnt lgkmcnt(0)
	s_barrier
	buffer_gl0_inv
	ds_read_b64 v[0:1], v74 offset:216
	s_cmp_lt_i32 s7, 29
	s_cbranch_scc1 .LBB60_457
; %bb.455:
	v_add3_u32 v69, v75, 0, 0xe0
	v_mov_b32_e32 v68, 27
	s_mov_b32 s0, 28
.LBB60_456:                             ; =>This Inner Loop Header: Depth=1
	ds_read_b64 v[78:79], v69
	v_add_nc_u32_e32 v69, 8, v69
	s_waitcnt lgkmcnt(0)
	v_cmp_lt_f64_e64 vcc_lo, |v[0:1]|, |v[78:79]|
	v_cndmask_b32_e32 v1, v1, v79, vcc_lo
	v_cndmask_b32_e32 v0, v0, v78, vcc_lo
	v_cndmask_b32_e64 v68, v68, s0, vcc_lo
	s_add_i32 s0, s0, 1
	s_cmp_lg_u32 s7, s0
	s_cbranch_scc1 .LBB60_456
.LBB60_457:
	s_mov_b32 s0, exec_lo
	s_waitcnt lgkmcnt(0)
	v_cmpx_eq_f64_e32 0, v[0:1]
	s_xor_b32 s0, exec_lo, s0
; %bb.458:
	v_cmp_ne_u32_e32 vcc_lo, 0, v76
	v_cndmask_b32_e32 v76, 28, v76, vcc_lo
; %bb.459:
	s_andn2_saveexec_b32 s0, s0
	s_cbranch_execz .LBB60_461
; %bb.460:
	v_div_scale_f64 v[69:70], null, v[0:1], v[0:1], 1.0
	v_rcp_f64_e32 v[78:79], v[69:70]
	v_fma_f64 v[80:81], -v[69:70], v[78:79], 1.0
	v_fma_f64 v[78:79], v[78:79], v[80:81], v[78:79]
	v_fma_f64 v[80:81], -v[69:70], v[78:79], 1.0
	v_fma_f64 v[78:79], v[78:79], v[80:81], v[78:79]
	v_div_scale_f64 v[80:81], vcc_lo, 1.0, v[0:1], 1.0
	v_mul_f64 v[82:83], v[80:81], v[78:79]
	v_fma_f64 v[69:70], -v[69:70], v[82:83], v[80:81]
	v_div_fmas_f64 v[69:70], v[69:70], v[78:79], v[82:83]
	v_div_fixup_f64 v[0:1], v[69:70], v[0:1], 1.0
.LBB60_461:
	s_or_b32 exec_lo, exec_lo, s0
	s_mov_b32 s0, exec_lo
	v_cmpx_ne_u32_e64 v77, v68
	s_xor_b32 s0, exec_lo, s0
	s_cbranch_execz .LBB60_467
; %bb.462:
	s_mov_b32 s1, exec_lo
	v_cmpx_eq_u32_e32 27, v77
	s_cbranch_execz .LBB60_466
; %bb.463:
	v_cmp_ne_u32_e32 vcc_lo, 27, v68
	s_xor_b32 s2, s6, -1
	s_and_b32 s3, s2, vcc_lo
	s_and_saveexec_b32 s2, s3
	s_cbranch_execz .LBB60_465
; %bb.464:
	v_ashrrev_i32_e32 v69, 31, v68
	v_lshlrev_b64 v[69:70], 2, v[68:69]
	v_add_co_u32 v69, vcc_lo, v4, v69
	v_add_co_ci_u32_e64 v70, null, v5, v70, vcc_lo
	s_clause 0x1
	global_load_dword v71, v[69:70], off
	global_load_dword v77, v[4:5], off offset:108
	s_waitcnt vmcnt(1)
	global_store_dword v[4:5], v71, off offset:108
	s_waitcnt vmcnt(0)
	global_store_dword v[69:70], v77, off
.LBB60_465:
	s_or_b32 exec_lo, exec_lo, s2
	v_mov_b32_e32 v71, v68
	v_mov_b32_e32 v77, v68
.LBB60_466:
	s_or_b32 exec_lo, exec_lo, s1
.LBB60_467:
	s_andn2_saveexec_b32 s0, s0
	s_cbranch_execz .LBB60_469
; %bb.468:
	v_mov_b32_e32 v68, v10
	v_mov_b32_e32 v69, v11
	;; [unrolled: 1-line block ×5, first 2 shown]
	ds_write2_b64 v74, v[68:69], v[78:79] offset0:28 offset1:29
	ds_write_b64 v74, v[66:67] offset:240
.LBB60_469:
	s_or_b32 exec_lo, exec_lo, s0
	s_mov_b32 s0, exec_lo
	s_waitcnt lgkmcnt(0)
	s_waitcnt_vscnt null, 0x0
	s_barrier
	buffer_gl0_inv
	v_cmpx_lt_i32_e32 27, v77
	s_cbranch_execz .LBB60_471
; %bb.470:
	v_mul_f64 v[8:9], v[0:1], v[8:9]
	ds_read2_b64 v[78:81], v74 offset0:28 offset1:29
	ds_read_b64 v[0:1], v74 offset:240
	s_waitcnt lgkmcnt(1)
	v_fma_f64 v[10:11], -v[8:9], v[78:79], v[10:11]
	v_fma_f64 v[6:7], -v[8:9], v[80:81], v[6:7]
	s_waitcnt lgkmcnt(0)
	v_fma_f64 v[66:67], -v[8:9], v[0:1], v[66:67]
.LBB60_471:
	s_or_b32 exec_lo, exec_lo, s0
	v_lshl_add_u32 v0, v77, 3, v74
	s_barrier
	buffer_gl0_inv
	v_mov_b32_e32 v68, 28
	ds_write_b64 v0, v[10:11]
	s_waitcnt lgkmcnt(0)
	s_barrier
	buffer_gl0_inv
	ds_read_b64 v[0:1], v74 offset:224
	s_cmp_lt_i32 s7, 30
	s_cbranch_scc1 .LBB60_474
; %bb.472:
	v_add3_u32 v69, v75, 0, 0xe8
	v_mov_b32_e32 v68, 28
	s_mov_b32 s0, 29
.LBB60_473:                             ; =>This Inner Loop Header: Depth=1
	ds_read_b64 v[78:79], v69
	v_add_nc_u32_e32 v69, 8, v69
	s_waitcnt lgkmcnt(0)
	v_cmp_lt_f64_e64 vcc_lo, |v[0:1]|, |v[78:79]|
	v_cndmask_b32_e32 v1, v1, v79, vcc_lo
	v_cndmask_b32_e32 v0, v0, v78, vcc_lo
	v_cndmask_b32_e64 v68, v68, s0, vcc_lo
	s_add_i32 s0, s0, 1
	s_cmp_lg_u32 s7, s0
	s_cbranch_scc1 .LBB60_473
.LBB60_474:
	s_mov_b32 s0, exec_lo
	s_waitcnt lgkmcnt(0)
	v_cmpx_eq_f64_e32 0, v[0:1]
	s_xor_b32 s0, exec_lo, s0
; %bb.475:
	v_cmp_ne_u32_e32 vcc_lo, 0, v76
	v_cndmask_b32_e32 v76, 29, v76, vcc_lo
; %bb.476:
	s_andn2_saveexec_b32 s0, s0
	s_cbranch_execz .LBB60_478
; %bb.477:
	v_div_scale_f64 v[69:70], null, v[0:1], v[0:1], 1.0
	v_rcp_f64_e32 v[78:79], v[69:70]
	v_fma_f64 v[80:81], -v[69:70], v[78:79], 1.0
	v_fma_f64 v[78:79], v[78:79], v[80:81], v[78:79]
	v_fma_f64 v[80:81], -v[69:70], v[78:79], 1.0
	v_fma_f64 v[78:79], v[78:79], v[80:81], v[78:79]
	v_div_scale_f64 v[80:81], vcc_lo, 1.0, v[0:1], 1.0
	v_mul_f64 v[82:83], v[80:81], v[78:79]
	v_fma_f64 v[69:70], -v[69:70], v[82:83], v[80:81]
	v_div_fmas_f64 v[69:70], v[69:70], v[78:79], v[82:83]
	v_div_fixup_f64 v[0:1], v[69:70], v[0:1], 1.0
.LBB60_478:
	s_or_b32 exec_lo, exec_lo, s0
	s_mov_b32 s0, exec_lo
	v_cmpx_ne_u32_e64 v77, v68
	s_xor_b32 s0, exec_lo, s0
	s_cbranch_execz .LBB60_484
; %bb.479:
	s_mov_b32 s1, exec_lo
	v_cmpx_eq_u32_e32 28, v77
	s_cbranch_execz .LBB60_483
; %bb.480:
	v_cmp_ne_u32_e32 vcc_lo, 28, v68
	s_xor_b32 s2, s6, -1
	s_and_b32 s3, s2, vcc_lo
	s_and_saveexec_b32 s2, s3
	s_cbranch_execz .LBB60_482
; %bb.481:
	v_ashrrev_i32_e32 v69, 31, v68
	v_lshlrev_b64 v[69:70], 2, v[68:69]
	v_add_co_u32 v69, vcc_lo, v4, v69
	v_add_co_ci_u32_e64 v70, null, v5, v70, vcc_lo
	s_clause 0x1
	global_load_dword v71, v[69:70], off
	global_load_dword v77, v[4:5], off offset:112
	s_waitcnt vmcnt(1)
	global_store_dword v[4:5], v71, off offset:112
	s_waitcnt vmcnt(0)
	global_store_dword v[69:70], v77, off
.LBB60_482:
	s_or_b32 exec_lo, exec_lo, s2
	v_mov_b32_e32 v71, v68
	v_mov_b32_e32 v77, v68
.LBB60_483:
	s_or_b32 exec_lo, exec_lo, s1
.LBB60_484:
	s_andn2_saveexec_b32 s0, s0
; %bb.485:
	v_mov_b32_e32 v77, 28
	ds_write2_b64 v74, v[6:7], v[66:67] offset0:29 offset1:30
; %bb.486:
	s_or_b32 exec_lo, exec_lo, s0
	s_mov_b32 s0, exec_lo
	s_waitcnt lgkmcnt(0)
	s_waitcnt_vscnt null, 0x0
	s_barrier
	buffer_gl0_inv
	v_cmpx_lt_i32_e32 28, v77
	s_cbranch_execz .LBB60_488
; %bb.487:
	v_mul_f64 v[10:11], v[0:1], v[10:11]
	ds_read2_b64 v[78:81], v74 offset0:29 offset1:30
	s_waitcnt lgkmcnt(0)
	v_fma_f64 v[6:7], -v[10:11], v[78:79], v[6:7]
	v_fma_f64 v[66:67], -v[10:11], v[80:81], v[66:67]
.LBB60_488:
	s_or_b32 exec_lo, exec_lo, s0
	v_lshl_add_u32 v0, v77, 3, v74
	s_barrier
	buffer_gl0_inv
	v_mov_b32_e32 v68, 29
	ds_write_b64 v0, v[6:7]
	s_waitcnt lgkmcnt(0)
	s_barrier
	buffer_gl0_inv
	ds_read_b64 v[0:1], v74 offset:232
	s_cmp_lt_i32 s7, 31
	s_cbranch_scc1 .LBB60_491
; %bb.489:
	v_add3_u32 v69, v75, 0, 0xf0
	v_mov_b32_e32 v68, 29
	s_mov_b32 s0, 30
.LBB60_490:                             ; =>This Inner Loop Header: Depth=1
	ds_read_b64 v[78:79], v69
	v_add_nc_u32_e32 v69, 8, v69
	s_waitcnt lgkmcnt(0)
	v_cmp_lt_f64_e64 vcc_lo, |v[0:1]|, |v[78:79]|
	v_cndmask_b32_e32 v1, v1, v79, vcc_lo
	v_cndmask_b32_e32 v0, v0, v78, vcc_lo
	v_cndmask_b32_e64 v68, v68, s0, vcc_lo
	s_add_i32 s0, s0, 1
	s_cmp_lg_u32 s7, s0
	s_cbranch_scc1 .LBB60_490
.LBB60_491:
	s_mov_b32 s0, exec_lo
	s_waitcnt lgkmcnt(0)
	v_cmpx_eq_f64_e32 0, v[0:1]
	s_xor_b32 s0, exec_lo, s0
; %bb.492:
	v_cmp_ne_u32_e32 vcc_lo, 0, v76
	v_cndmask_b32_e32 v76, 30, v76, vcc_lo
; %bb.493:
	s_andn2_saveexec_b32 s0, s0
	s_cbranch_execz .LBB60_495
; %bb.494:
	v_div_scale_f64 v[69:70], null, v[0:1], v[0:1], 1.0
	v_rcp_f64_e32 v[78:79], v[69:70]
	v_fma_f64 v[80:81], -v[69:70], v[78:79], 1.0
	v_fma_f64 v[78:79], v[78:79], v[80:81], v[78:79]
	v_fma_f64 v[80:81], -v[69:70], v[78:79], 1.0
	v_fma_f64 v[78:79], v[78:79], v[80:81], v[78:79]
	v_div_scale_f64 v[80:81], vcc_lo, 1.0, v[0:1], 1.0
	v_mul_f64 v[82:83], v[80:81], v[78:79]
	v_fma_f64 v[69:70], -v[69:70], v[82:83], v[80:81]
	v_div_fmas_f64 v[69:70], v[69:70], v[78:79], v[82:83]
	v_div_fixup_f64 v[0:1], v[69:70], v[0:1], 1.0
.LBB60_495:
	s_or_b32 exec_lo, exec_lo, s0
	s_mov_b32 s0, exec_lo
	v_cmpx_ne_u32_e64 v77, v68
	s_xor_b32 s0, exec_lo, s0
	s_cbranch_execz .LBB60_501
; %bb.496:
	s_mov_b32 s1, exec_lo
	v_cmpx_eq_u32_e32 29, v77
	s_cbranch_execz .LBB60_500
; %bb.497:
	v_cmp_ne_u32_e32 vcc_lo, 29, v68
	s_xor_b32 s2, s6, -1
	s_and_b32 s3, s2, vcc_lo
	s_and_saveexec_b32 s2, s3
	s_cbranch_execz .LBB60_499
; %bb.498:
	v_ashrrev_i32_e32 v69, 31, v68
	v_lshlrev_b64 v[69:70], 2, v[68:69]
	v_add_co_u32 v69, vcc_lo, v4, v69
	v_add_co_ci_u32_e64 v70, null, v5, v70, vcc_lo
	s_clause 0x1
	global_load_dword v71, v[69:70], off
	global_load_dword v77, v[4:5], off offset:116
	s_waitcnt vmcnt(1)
	global_store_dword v[4:5], v71, off offset:116
	s_waitcnt vmcnt(0)
	global_store_dword v[69:70], v77, off
.LBB60_499:
	s_or_b32 exec_lo, exec_lo, s2
	v_mov_b32_e32 v71, v68
	v_mov_b32_e32 v77, v68
.LBB60_500:
	s_or_b32 exec_lo, exec_lo, s1
.LBB60_501:
	s_andn2_saveexec_b32 s0, s0
; %bb.502:
	v_mov_b32_e32 v77, 29
	ds_write_b64 v74, v[66:67] offset:240
; %bb.503:
	s_or_b32 exec_lo, exec_lo, s0
	s_mov_b32 s0, exec_lo
	s_waitcnt lgkmcnt(0)
	s_waitcnt_vscnt null, 0x0
	s_barrier
	buffer_gl0_inv
	v_cmpx_lt_i32_e32 29, v77
	s_cbranch_execz .LBB60_505
; %bb.504:
	v_mul_f64 v[6:7], v[0:1], v[6:7]
	ds_read_b64 v[0:1], v74 offset:240
	s_waitcnt lgkmcnt(0)
	v_fma_f64 v[66:67], -v[6:7], v[0:1], v[66:67]
.LBB60_505:
	s_or_b32 exec_lo, exec_lo, s0
	v_lshl_add_u32 v0, v77, 3, v74
	s_barrier
	buffer_gl0_inv
	v_mov_b32_e32 v68, 30
	ds_write_b64 v0, v[66:67]
	s_waitcnt lgkmcnt(0)
	s_barrier
	buffer_gl0_inv
	ds_read_b64 v[0:1], v74 offset:240
	s_cmp_lt_i32 s7, 32
	s_cbranch_scc1 .LBB60_508
; %bb.506:
	v_add3_u32 v69, v75, 0, 0xf8
	v_mov_b32_e32 v68, 30
	s_mov_b32 s0, 31
.LBB60_507:                             ; =>This Inner Loop Header: Depth=1
	ds_read_b64 v[74:75], v69
	v_add_nc_u32_e32 v69, 8, v69
	s_waitcnt lgkmcnt(0)
	v_cmp_lt_f64_e64 vcc_lo, |v[0:1]|, |v[74:75]|
	v_cndmask_b32_e32 v1, v1, v75, vcc_lo
	v_cndmask_b32_e32 v0, v0, v74, vcc_lo
	v_cndmask_b32_e64 v68, v68, s0, vcc_lo
	s_add_i32 s0, s0, 1
	s_cmp_lg_u32 s7, s0
	s_cbranch_scc1 .LBB60_507
.LBB60_508:
	s_mov_b32 s0, exec_lo
	s_waitcnt lgkmcnt(0)
	v_cmpx_eq_f64_e32 0, v[0:1]
	s_xor_b32 s0, exec_lo, s0
; %bb.509:
	v_cmp_ne_u32_e32 vcc_lo, 0, v76
	v_cndmask_b32_e32 v76, 31, v76, vcc_lo
; %bb.510:
	s_andn2_saveexec_b32 s0, s0
	s_cbranch_execz .LBB60_512
; %bb.511:
	v_div_scale_f64 v[69:70], null, v[0:1], v[0:1], 1.0
	v_rcp_f64_e32 v[74:75], v[69:70]
	v_fma_f64 v[78:79], -v[69:70], v[74:75], 1.0
	v_fma_f64 v[74:75], v[74:75], v[78:79], v[74:75]
	v_fma_f64 v[78:79], -v[69:70], v[74:75], 1.0
	v_fma_f64 v[74:75], v[74:75], v[78:79], v[74:75]
	v_div_scale_f64 v[78:79], vcc_lo, 1.0, v[0:1], 1.0
	v_mul_f64 v[80:81], v[78:79], v[74:75]
	v_fma_f64 v[69:70], -v[69:70], v[80:81], v[78:79]
	v_div_fmas_f64 v[69:70], v[69:70], v[74:75], v[80:81]
	v_div_fixup_f64 v[0:1], v[69:70], v[0:1], 1.0
.LBB60_512:
	s_or_b32 exec_lo, exec_lo, s0
	v_mov_b32_e32 v69, 30
	s_mov_b32 s0, exec_lo
	v_cmpx_ne_u32_e64 v77, v68
	s_cbranch_execz .LBB60_518
; %bb.513:
	s_mov_b32 s1, exec_lo
	v_cmpx_eq_u32_e32 30, v77
	s_cbranch_execz .LBB60_517
; %bb.514:
	v_cmp_ne_u32_e32 vcc_lo, 30, v68
	s_xor_b32 s2, s6, -1
	s_and_b32 s3, s2, vcc_lo
	s_and_saveexec_b32 s2, s3
	s_cbranch_execz .LBB60_516
; %bb.515:
	v_ashrrev_i32_e32 v69, 31, v68
	v_lshlrev_b64 v[69:70], 2, v[68:69]
	v_add_co_u32 v69, vcc_lo, v4, v69
	v_add_co_ci_u32_e64 v70, null, v5, v70, vcc_lo
	s_clause 0x1
	global_load_dword v71, v[69:70], off
	global_load_dword v74, v[4:5], off offset:120
	s_waitcnt vmcnt(1)
	global_store_dword v[4:5], v71, off offset:120
	s_waitcnt vmcnt(0)
	global_store_dword v[69:70], v74, off
.LBB60_516:
	s_or_b32 exec_lo, exec_lo, s2
	v_mov_b32_e32 v71, v68
	v_mov_b32_e32 v77, v68
.LBB60_517:
	s_or_b32 exec_lo, exec_lo, s1
	v_mov_b32_e32 v69, v77
.LBB60_518:
	s_or_b32 exec_lo, exec_lo, s0
	s_load_dwordx8 s[0:7], s[4:5], 0x28
	v_ashrrev_i32_e32 v70, 31, v69
	s_mov_b32 s9, exec_lo
	s_waitcnt lgkmcnt(0)
	s_waitcnt_vscnt null, 0x0
	s_barrier
	buffer_gl0_inv
	s_barrier
	buffer_gl0_inv
	v_cmpx_gt_i32_e32 31, v69
	s_cbranch_execz .LBB60_520
; %bb.519:
	v_mul_lo_u32 v68, s5, v2
	v_mul_lo_u32 v74, s4, v3
	v_mad_u64_u32 v[4:5], null, s4, v2, 0
	s_lshl_b64 s[2:3], s[2:3], 2
	v_add3_u32 v5, v5, v74, v68
	v_lshlrev_b64 v[4:5], 2, v[4:5]
	v_add_co_u32 v68, vcc_lo, s0, v4
	v_add_co_ci_u32_e64 v74, null, s1, v5, vcc_lo
	v_lshlrev_b64 v[4:5], 2, v[69:70]
	v_add_co_u32 v68, vcc_lo, v68, s2
	v_add_co_ci_u32_e64 v74, null, s3, v74, vcc_lo
	v_add_co_u32 v4, vcc_lo, v68, v4
	v_add_co_ci_u32_e64 v5, null, v74, v5, vcc_lo
	v_add3_u32 v68, v71, s13, 1
	global_store_dword v[4:5], v68, off
.LBB60_520:
	s_or_b32 exec_lo, exec_lo, s9
	s_mov_b32 s1, exec_lo
	v_cmpx_eq_u32_e32 0, v69
	s_cbranch_execz .LBB60_523
; %bb.521:
	v_lshlrev_b64 v[2:3], 2, v[2:3]
	v_cmp_ne_u32_e64 s0, 0, v76
	v_add_co_u32 v2, vcc_lo, s6, v2
	v_add_co_ci_u32_e64 v3, null, s7, v3, vcc_lo
	global_load_dword v4, v[2:3], off
	s_waitcnt vmcnt(0)
	v_cmp_eq_u32_e32 vcc_lo, 0, v4
	s_and_b32 s0, vcc_lo, s0
	s_and_b32 exec_lo, exec_lo, s0
	s_cbranch_execz .LBB60_523
; %bb.522:
	v_add_nc_u32_e32 v4, s13, v76
	global_store_dword v[2:3], v4, off
.LBB60_523:
	s_or_b32 exec_lo, exec_lo, s1
	v_mul_f64 v[0:1], v[0:1], v[66:67]
	v_add3_u32 v2, s8, s8, v69
	v_lshlrev_b64 v[4:5], 3, v[69:70]
	v_add_nc_u32_e32 v68, s8, v2
	v_ashrrev_i32_e32 v3, 31, v2
	v_add_co_u32 v4, vcc_lo, v72, v4
	v_add_co_ci_u32_e64 v5, null, v73, v5, vcc_lo
	v_cmp_lt_i32_e32 vcc_lo, 30, v69
	v_ashrrev_i32_e32 v69, 31, v68
	v_lshlrev_b64 v[2:3], 3, v[2:3]
	flat_store_dwordx2 v[4:5], v[64:65]
	v_add_nc_u32_e32 v70, s8, v68
	v_add_co_u32 v4, s0, v4, s10
	v_lshlrev_b64 v[64:65], 3, v[68:69]
	v_add_co_ci_u32_e64 v5, null, s11, v5, s0
	v_cndmask_b32_e32 v1, v67, v1, vcc_lo
	v_cndmask_b32_e32 v0, v66, v0, vcc_lo
	v_add_co_u32 v2, vcc_lo, v72, v2
	v_add_co_ci_u32_e64 v3, null, v73, v3, vcc_lo
	v_add_co_u32 v64, vcc_lo, v72, v64
	v_add_nc_u32_e32 v66, s8, v70
	v_add_co_ci_u32_e64 v65, null, v73, v65, vcc_lo
	v_ashrrev_i32_e32 v71, 31, v70
	flat_store_dwordx2 v[4:5], v[62:63]
	flat_store_dwordx2 v[2:3], v[60:61]
	flat_store_dwordx2 v[64:65], v[58:59]
	v_add_nc_u32_e32 v58, s8, v66
	v_ashrrev_i32_e32 v67, 31, v66
	v_lshlrev_b64 v[4:5], 3, v[70:71]
	v_add_nc_u32_e32 v60, s8, v58
	v_lshlrev_b64 v[2:3], 3, v[66:67]
	v_ashrrev_i32_e32 v59, 31, v58
	v_add_co_u32 v4, vcc_lo, v72, v4
	v_add_nc_u32_e32 v62, s8, v60
	v_add_co_ci_u32_e64 v5, null, v73, v5, vcc_lo
	v_add_co_u32 v2, vcc_lo, v72, v2
	v_ashrrev_i32_e32 v61, 31, v60
	v_add_co_ci_u32_e64 v3, null, v73, v3, vcc_lo
	v_ashrrev_i32_e32 v63, 31, v62
	v_lshlrev_b64 v[58:59], 3, v[58:59]
	flat_store_dwordx2 v[4:5], v[56:57]
	flat_store_dwordx2 v[2:3], v[54:55]
	v_lshlrev_b64 v[2:3], 3, v[60:61]
	v_add_nc_u32_e32 v56, s8, v62
	v_lshlrev_b64 v[54:55], 3, v[62:63]
	v_add_co_u32 v4, vcc_lo, v72, v58
	v_add_co_ci_u32_e64 v5, null, v73, v59, vcc_lo
	v_add_co_u32 v2, vcc_lo, v72, v2
	v_add_co_ci_u32_e64 v3, null, v73, v3, vcc_lo
	v_add_co_u32 v54, vcc_lo, v72, v54
	v_add_nc_u32_e32 v58, s8, v56
	v_add_co_ci_u32_e64 v55, null, v73, v55, vcc_lo
	v_ashrrev_i32_e32 v57, 31, v56
	flat_store_dwordx2 v[4:5], v[52:53]
	flat_store_dwordx2 v[2:3], v[48:49]
	flat_store_dwordx2 v[54:55], v[50:51]
	v_add_nc_u32_e32 v48, s8, v58
	v_ashrrev_i32_e32 v59, 31, v58
	v_lshlrev_b64 v[4:5], 3, v[56:57]
	v_add_nc_u32_e32 v50, s8, v48
	v_lshlrev_b64 v[2:3], 3, v[58:59]
	v_ashrrev_i32_e32 v49, 31, v48
	v_add_co_u32 v4, vcc_lo, v72, v4
	v_add_nc_u32_e32 v52, s8, v50
	v_add_co_ci_u32_e64 v5, null, v73, v5, vcc_lo
	v_add_co_u32 v2, vcc_lo, v72, v2
	v_ashrrev_i32_e32 v51, 31, v50
	v_add_co_ci_u32_e64 v3, null, v73, v3, vcc_lo
	v_ashrrev_i32_e32 v53, 31, v52
	v_lshlrev_b64 v[48:49], 3, v[48:49]
	flat_store_dwordx2 v[4:5], v[44:45]
	flat_store_dwordx2 v[2:3], v[46:47]
	v_lshlrev_b64 v[2:3], 3, v[50:51]
	v_add_nc_u32_e32 v46, s8, v52
	v_lshlrev_b64 v[44:45], 3, v[52:53]
	v_add_co_u32 v4, vcc_lo, v72, v48
	v_add_co_ci_u32_e64 v5, null, v73, v49, vcc_lo
	;; [unrolled: 30-line block ×4, first 2 shown]
	v_add_co_u32 v2, vcc_lo, v72, v2
	v_add_nc_u32_e32 v28, s8, v26
	v_add_co_ci_u32_e64 v3, null, v73, v3, vcc_lo
	v_add_co_u32 v24, vcc_lo, v72, v24
	v_ashrrev_i32_e32 v27, 31, v26
	v_add_co_ci_u32_e64 v25, null, v73, v25, vcc_lo
	v_ashrrev_i32_e32 v29, 31, v28
	flat_store_dwordx2 v[4:5], v[22:23]
	v_lshlrev_b64 v[4:5], 3, v[26:27]
	flat_store_dwordx2 v[2:3], v[20:21]
	flat_store_dwordx2 v[24:25], v[18:19]
	v_add_nc_u32_e32 v18, s8, v28
	v_lshlrev_b64 v[2:3], 3, v[28:29]
	v_add_co_u32 v4, vcc_lo, v72, v4
	v_add_nc_u32_e32 v20, s8, v18
	v_add_co_ci_u32_e64 v5, null, v73, v5, vcc_lo
	v_add_co_u32 v2, vcc_lo, v72, v2
	v_add_co_ci_u32_e64 v3, null, v73, v3, vcc_lo
	v_add_nc_u32_e32 v22, s8, v20
	v_ashrrev_i32_e32 v19, 31, v18
	flat_store_dwordx2 v[4:5], v[16:17]
	flat_store_dwordx2 v[2:3], v[14:15]
	v_ashrrev_i32_e32 v21, 31, v20
	v_add_nc_u32_e32 v14, s8, v22
	v_lshlrev_b64 v[4:5], 3, v[18:19]
	v_ashrrev_i32_e32 v23, 31, v22
	v_lshlrev_b64 v[2:3], 3, v[20:21]
	v_add_nc_u32_e32 v18, s8, v14
	v_ashrrev_i32_e32 v15, 31, v14
	v_lshlrev_b64 v[16:17], 3, v[22:23]
	v_add_co_u32 v4, vcc_lo, v72, v4
	v_ashrrev_i32_e32 v19, 31, v18
	v_lshlrev_b64 v[14:15], 3, v[14:15]
	v_add_co_ci_u32_e64 v5, null, v73, v5, vcc_lo
	v_add_co_u32 v2, vcc_lo, v72, v2
	v_lshlrev_b64 v[18:19], 3, v[18:19]
	v_add_co_ci_u32_e64 v3, null, v73, v3, vcc_lo
	v_add_co_u32 v16, vcc_lo, v72, v16
	v_add_co_ci_u32_e64 v17, null, v73, v17, vcc_lo
	v_add_co_u32 v14, vcc_lo, v72, v14
	;; [unrolled: 2-line block ×3, first 2 shown]
	v_add_co_ci_u32_e64 v19, null, v73, v19, vcc_lo
	flat_store_dwordx2 v[4:5], v[12:13]
	flat_store_dwordx2 v[2:3], v[8:9]
	;; [unrolled: 1-line block ×5, first 2 shown]
.LBB60_524:
	s_endpgm
	.section	.rodata,"a",@progbits
	.p2align	6, 0x0
	.amdhsa_kernel _ZN9rocsolver6v33100L18getf2_small_kernelILi31EdiiPKPdEEvT1_T3_lS5_lPS5_llPT2_S5_S5_S7_l
		.amdhsa_group_segment_fixed_size 0
		.amdhsa_private_segment_fixed_size 0
		.amdhsa_kernarg_size 352
		.amdhsa_user_sgpr_count 6
		.amdhsa_user_sgpr_private_segment_buffer 1
		.amdhsa_user_sgpr_dispatch_ptr 0
		.amdhsa_user_sgpr_queue_ptr 0
		.amdhsa_user_sgpr_kernarg_segment_ptr 1
		.amdhsa_user_sgpr_dispatch_id 0
		.amdhsa_user_sgpr_flat_scratch_init 0
		.amdhsa_user_sgpr_private_segment_size 0
		.amdhsa_wavefront_size32 1
		.amdhsa_uses_dynamic_stack 0
		.amdhsa_system_sgpr_private_segment_wavefront_offset 0
		.amdhsa_system_sgpr_workgroup_id_x 1
		.amdhsa_system_sgpr_workgroup_id_y 1
		.amdhsa_system_sgpr_workgroup_id_z 0
		.amdhsa_system_sgpr_workgroup_info 0
		.amdhsa_system_vgpr_workitem_id 1
		.amdhsa_next_free_vgpr 138
		.amdhsa_next_free_sgpr 14
		.amdhsa_reserve_vcc 1
		.amdhsa_reserve_flat_scratch 1
		.amdhsa_float_round_mode_32 0
		.amdhsa_float_round_mode_16_64 0
		.amdhsa_float_denorm_mode_32 3
		.amdhsa_float_denorm_mode_16_64 3
		.amdhsa_dx10_clamp 1
		.amdhsa_ieee_mode 1
		.amdhsa_fp16_overflow 0
		.amdhsa_workgroup_processor_mode 1
		.amdhsa_memory_ordered 1
		.amdhsa_forward_progress 1
		.amdhsa_shared_vgpr_count 0
		.amdhsa_exception_fp_ieee_invalid_op 0
		.amdhsa_exception_fp_denorm_src 0
		.amdhsa_exception_fp_ieee_div_zero 0
		.amdhsa_exception_fp_ieee_overflow 0
		.amdhsa_exception_fp_ieee_underflow 0
		.amdhsa_exception_fp_ieee_inexact 0
		.amdhsa_exception_int_div_zero 0
	.end_amdhsa_kernel
	.section	.text._ZN9rocsolver6v33100L18getf2_small_kernelILi31EdiiPKPdEEvT1_T3_lS5_lPS5_llPT2_S5_S5_S7_l,"axG",@progbits,_ZN9rocsolver6v33100L18getf2_small_kernelILi31EdiiPKPdEEvT1_T3_lS5_lPS5_llPT2_S5_S5_S7_l,comdat
.Lfunc_end60:
	.size	_ZN9rocsolver6v33100L18getf2_small_kernelILi31EdiiPKPdEEvT1_T3_lS5_lPS5_llPT2_S5_S5_S7_l, .Lfunc_end60-_ZN9rocsolver6v33100L18getf2_small_kernelILi31EdiiPKPdEEvT1_T3_lS5_lPS5_llPT2_S5_S5_S7_l
                                        ; -- End function
	.set _ZN9rocsolver6v33100L18getf2_small_kernelILi31EdiiPKPdEEvT1_T3_lS5_lPS5_llPT2_S5_S5_S7_l.num_vgpr, 138
	.set _ZN9rocsolver6v33100L18getf2_small_kernelILi31EdiiPKPdEEvT1_T3_lS5_lPS5_llPT2_S5_S5_S7_l.num_agpr, 0
	.set _ZN9rocsolver6v33100L18getf2_small_kernelILi31EdiiPKPdEEvT1_T3_lS5_lPS5_llPT2_S5_S5_S7_l.numbered_sgpr, 14
	.set _ZN9rocsolver6v33100L18getf2_small_kernelILi31EdiiPKPdEEvT1_T3_lS5_lPS5_llPT2_S5_S5_S7_l.num_named_barrier, 0
	.set _ZN9rocsolver6v33100L18getf2_small_kernelILi31EdiiPKPdEEvT1_T3_lS5_lPS5_llPT2_S5_S5_S7_l.private_seg_size, 0
	.set _ZN9rocsolver6v33100L18getf2_small_kernelILi31EdiiPKPdEEvT1_T3_lS5_lPS5_llPT2_S5_S5_S7_l.uses_vcc, 1
	.set _ZN9rocsolver6v33100L18getf2_small_kernelILi31EdiiPKPdEEvT1_T3_lS5_lPS5_llPT2_S5_S5_S7_l.uses_flat_scratch, 1
	.set _ZN9rocsolver6v33100L18getf2_small_kernelILi31EdiiPKPdEEvT1_T3_lS5_lPS5_llPT2_S5_S5_S7_l.has_dyn_sized_stack, 0
	.set _ZN9rocsolver6v33100L18getf2_small_kernelILi31EdiiPKPdEEvT1_T3_lS5_lPS5_llPT2_S5_S5_S7_l.has_recursion, 0
	.set _ZN9rocsolver6v33100L18getf2_small_kernelILi31EdiiPKPdEEvT1_T3_lS5_lPS5_llPT2_S5_S5_S7_l.has_indirect_call, 0
	.section	.AMDGPU.csdata,"",@progbits
; Kernel info:
; codeLenInByte = 27244
; TotalNumSgprs: 16
; NumVgprs: 138
; ScratchSize: 0
; MemoryBound: 0
; FloatMode: 240
; IeeeMode: 1
; LDSByteSize: 0 bytes/workgroup (compile time only)
; SGPRBlocks: 0
; VGPRBlocks: 17
; NumSGPRsForWavesPerEU: 16
; NumVGPRsForWavesPerEU: 138
; Occupancy: 7
; WaveLimiterHint : 1
; COMPUTE_PGM_RSRC2:SCRATCH_EN: 0
; COMPUTE_PGM_RSRC2:USER_SGPR: 6
; COMPUTE_PGM_RSRC2:TRAP_HANDLER: 0
; COMPUTE_PGM_RSRC2:TGID_X_EN: 1
; COMPUTE_PGM_RSRC2:TGID_Y_EN: 1
; COMPUTE_PGM_RSRC2:TGID_Z_EN: 0
; COMPUTE_PGM_RSRC2:TIDIG_COMP_CNT: 1
	.section	.text._ZN9rocsolver6v33100L23getf2_npvt_small_kernelILi31EdiiPKPdEEvT1_T3_lS5_lPT2_S5_S5_,"axG",@progbits,_ZN9rocsolver6v33100L23getf2_npvt_small_kernelILi31EdiiPKPdEEvT1_T3_lS5_lPT2_S5_S5_,comdat
	.globl	_ZN9rocsolver6v33100L23getf2_npvt_small_kernelILi31EdiiPKPdEEvT1_T3_lS5_lPT2_S5_S5_ ; -- Begin function _ZN9rocsolver6v33100L23getf2_npvt_small_kernelILi31EdiiPKPdEEvT1_T3_lS5_lPT2_S5_S5_
	.p2align	8
	.type	_ZN9rocsolver6v33100L23getf2_npvt_small_kernelILi31EdiiPKPdEEvT1_T3_lS5_lPT2_S5_S5_,@function
_ZN9rocsolver6v33100L23getf2_npvt_small_kernelILi31EdiiPKPdEEvT1_T3_lS5_lPT2_S5_S5_: ; @_ZN9rocsolver6v33100L23getf2_npvt_small_kernelILi31EdiiPKPdEEvT1_T3_lS5_lPT2_S5_S5_
; %bb.0:
	s_clause 0x1
	s_load_dword s0, s[4:5], 0x44
	s_load_dwordx2 s[8:9], s[4:5], 0x30
	s_waitcnt lgkmcnt(0)
	s_lshr_b32 s10, s0, 16
	s_mov_b32 s0, exec_lo
	v_mad_u64_u32 v[2:3], null, s7, s10, v[1:2]
	v_cmpx_gt_i32_e64 s8, v2
	s_cbranch_execz .LBB61_158
; %bb.1:
	s_clause 0x1
	s_load_dwordx4 s[0:3], s[4:5], 0x8
	s_load_dword s6, s[4:5], 0x18
	v_ashrrev_i32_e32 v3, 31, v2
	v_lshlrev_b32_e32 v66, 3, v0
	v_lshlrev_b32_e32 v128, 3, v1
	s_mulk_i32 s10, 0xf8
	v_mad_u32_u24 v188, 0xf8, v1, 0
	v_lshlrev_b64 v[4:5], 3, v[2:3]
	v_add3_u32 v1, 0, s10, v128
	s_waitcnt lgkmcnt(0)
	v_add_co_u32 v4, vcc_lo, s0, v4
	v_add_co_ci_u32_e64 v5, null, s1, v5, vcc_lo
	v_add3_u32 v6, s6, s6, v0
	s_lshl_b64 s[2:3], s[2:3], 3
	s_ashr_i32 s7, s6, 31
	global_load_dwordx2 v[4:5], v[4:5], off
	s_lshl_b64 s[0:1], s[6:7], 3
	v_add_nc_u32_e32 v8, s6, v6
	v_ashrrev_i32_e32 v7, 31, v6
	v_add_nc_u32_e32 v10, s6, v8
	v_ashrrev_i32_e32 v9, 31, v8
	v_lshlrev_b64 v[6:7], 3, v[6:7]
	v_add_nc_u32_e32 v12, s6, v10
	v_ashrrev_i32_e32 v11, 31, v10
	v_lshlrev_b64 v[8:9], 3, v[8:9]
	;; [unrolled: 3-line block ×26, first 2 shown]
	v_ashrrev_i32_e32 v61, 31, v60
	v_add_nc_u32_e32 v62, s6, v60
	v_lshlrev_b64 v[58:59], 3, v[58:59]
	v_lshlrev_b64 v[60:61], 3, v[60:61]
	v_ashrrev_i32_e32 v63, 31, v62
	v_lshlrev_b64 v[64:65], 3, v[62:63]
	s_waitcnt vmcnt(0)
	v_add_co_u32 v67, vcc_lo, v4, s2
	v_add_co_ci_u32_e64 v68, null, s3, v5, vcc_lo
	v_add_co_u32 v4, vcc_lo, v67, v6
	v_add_co_ci_u32_e64 v5, null, v68, v7, vcc_lo
	;; [unrolled: 2-line block ×32, first 2 shown]
	s_clause 0x1e
	flat_load_dwordx2 v[110:111], v[8:9]
	flat_load_dwordx2 v[94:95], v[10:11]
	flat_load_dwordx2 v[108:109], v[12:13]
	flat_load_dwordx2 v[92:93], v[14:15]
	flat_load_dwordx2 v[106:107], v[16:17]
	flat_load_dwordx2 v[90:91], v[18:19]
	flat_load_dwordx2 v[104:105], v[20:21]
	flat_load_dwordx2 v[88:89], v[22:23]
	flat_load_dwordx2 v[102:103], v[24:25]
	flat_load_dwordx2 v[86:87], v[26:27]
	flat_load_dwordx2 v[100:101], v[28:29]
	flat_load_dwordx2 v[84:85], v[30:31]
	flat_load_dwordx2 v[98:99], v[32:33]
	flat_load_dwordx2 v[82:83], v[34:35]
	flat_load_dwordx2 v[96:97], v[38:39]
	flat_load_dwordx2 v[72:73], v[36:37]
	flat_load_dwordx2 v[80:81], v[40:41]
	flat_load_dwordx2 v[70:71], v[42:43]
	flat_load_dwordx2 v[78:79], v[44:45]
	flat_load_dwordx2 v[68:69], v[46:47]
	flat_load_dwordx2 v[76:77], v[48:49]
	flat_load_dwordx2 v[66:67], v[50:51]
	flat_load_dwordx2 v[74:75], v[52:53]
	flat_load_dwordx2 v[64:65], v[54:55]
	flat_load_dwordx2 v[120:121], v[62:63]
	flat_load_dwordx2 v[124:125], v[112:113]
	flat_load_dwordx2 v[126:127], v[4:5]
	flat_load_dwordx2 v[122:123], v[6:7]
	flat_load_dwordx2 v[116:117], v[56:57]
	flat_load_dwordx2 v[114:115], v[58:59]
	flat_load_dwordx2 v[118:119], v[60:61]
	v_cmp_ne_u32_e64 s1, 0, v0
	v_cmp_eq_u32_e64 s0, 0, v0
	s_and_saveexec_b32 s2, s0
	s_cbranch_execz .LBB61_4
; %bb.2:
	s_waitcnt vmcnt(6) lgkmcnt(6)
	ds_write_b64 v1, v[120:121]
	s_waitcnt vmcnt(4) lgkmcnt(5)
	ds_write2_b64 v188, v[124:125], v[126:127] offset0:1 offset1:2
	s_waitcnt vmcnt(3) lgkmcnt(5)
	ds_write2_b64 v188, v[122:123], v[110:111] offset0:3 offset1:4
	ds_write2_b64 v188, v[94:95], v[108:109] offset0:5 offset1:6
	;; [unrolled: 1-line block ×12, first 2 shown]
	s_waitcnt vmcnt(2) lgkmcnt(16)
	ds_write2_b64 v188, v[64:65], v[116:117] offset0:27 offset1:28
	s_waitcnt vmcnt(0) lgkmcnt(15)
	ds_write2_b64 v188, v[114:115], v[118:119] offset0:29 offset1:30
	ds_read_b64 v[128:129], v1
	s_waitcnt lgkmcnt(0)
	v_cmp_neq_f64_e32 vcc_lo, 0, v[128:129]
	s_and_b32 exec_lo, exec_lo, vcc_lo
	s_cbranch_execz .LBB61_4
; %bb.3:
	v_div_scale_f64 v[130:131], null, v[128:129], v[128:129], 1.0
	v_rcp_f64_e32 v[132:133], v[130:131]
	v_fma_f64 v[134:135], -v[130:131], v[132:133], 1.0
	v_fma_f64 v[132:133], v[132:133], v[134:135], v[132:133]
	v_fma_f64 v[134:135], -v[130:131], v[132:133], 1.0
	v_fma_f64 v[132:133], v[132:133], v[134:135], v[132:133]
	v_div_scale_f64 v[134:135], vcc_lo, 1.0, v[128:129], 1.0
	v_mul_f64 v[136:137], v[134:135], v[132:133]
	v_fma_f64 v[130:131], -v[130:131], v[136:137], v[134:135]
	v_div_fmas_f64 v[130:131], v[130:131], v[132:133], v[136:137]
	v_div_fixup_f64 v[128:129], v[130:131], v[128:129], 1.0
	ds_write_b64 v1, v[128:129]
.LBB61_4:
	s_or_b32 exec_lo, exec_lo, s2
	s_waitcnt vmcnt(0) lgkmcnt(0)
	s_barrier
	buffer_gl0_inv
	ds_read_b64 v[128:129], v1
	s_and_saveexec_b32 s2, s1
	s_cbranch_execz .LBB61_6
; %bb.5:
	s_waitcnt lgkmcnt(0)
	v_mul_f64 v[120:121], v[128:129], v[120:121]
	ds_read2_b64 v[130:133], v188 offset0:1 offset1:2
	ds_read2_b64 v[134:137], v188 offset0:3 offset1:4
	;; [unrolled: 1-line block ×14, first 2 shown]
	s_waitcnt lgkmcnt(13)
	v_fma_f64 v[124:125], -v[120:121], v[130:131], v[124:125]
	v_fma_f64 v[126:127], -v[120:121], v[132:133], v[126:127]
	ds_read2_b64 v[130:133], v188 offset0:29 offset1:30
	s_waitcnt lgkmcnt(13)
	v_fma_f64 v[122:123], -v[120:121], v[134:135], v[122:123]
	v_fma_f64 v[110:111], -v[120:121], v[136:137], v[110:111]
	s_waitcnt lgkmcnt(12)
	v_fma_f64 v[94:95], -v[120:121], v[138:139], v[94:95]
	v_fma_f64 v[108:109], -v[120:121], v[140:141], v[108:109]
	;; [unrolled: 3-line block ×14, first 2 shown]
.LBB61_6:
	s_or_b32 exec_lo, exec_lo, s2
	s_mov_b32 s1, exec_lo
	s_waitcnt lgkmcnt(0)
	s_barrier
	buffer_gl0_inv
	v_cmpx_eq_u32_e32 1, v0
	s_cbranch_execz .LBB61_9
; %bb.7:
	v_mov_b32_e32 v130, v126
	v_mov_b32_e32 v131, v127
	;; [unrolled: 1-line block ×16, first 2 shown]
	ds_write_b64 v1, v[124:125]
	ds_write2_b64 v188, v[130:131], v[132:133] offset0:2 offset1:3
	ds_write2_b64 v188, v[134:135], v[136:137] offset0:4 offset1:5
	;; [unrolled: 1-line block ×4, first 2 shown]
	v_mov_b32_e32 v130, v104
	v_mov_b32_e32 v131, v105
	;; [unrolled: 1-line block ×20, first 2 shown]
	ds_write2_b64 v188, v[130:131], v[132:133] offset0:10 offset1:11
	ds_write2_b64 v188, v[134:135], v[136:137] offset0:12 offset1:13
	;; [unrolled: 1-line block ×5, first 2 shown]
	v_mov_b32_e32 v130, v80
	v_mov_b32_e32 v131, v81
	;; [unrolled: 1-line block ×20, first 2 shown]
	ds_write2_b64 v188, v[130:131], v[132:133] offset0:20 offset1:21
	ds_write2_b64 v188, v[134:135], v[136:137] offset0:22 offset1:23
	;; [unrolled: 1-line block ×5, first 2 shown]
	ds_write_b64 v188, v[118:119] offset:240
	ds_read_b64 v[130:131], v1
	s_waitcnt lgkmcnt(0)
	v_cmp_neq_f64_e32 vcc_lo, 0, v[130:131]
	s_and_b32 exec_lo, exec_lo, vcc_lo
	s_cbranch_execz .LBB61_9
; %bb.8:
	v_div_scale_f64 v[132:133], null, v[130:131], v[130:131], 1.0
	v_rcp_f64_e32 v[134:135], v[132:133]
	v_fma_f64 v[136:137], -v[132:133], v[134:135], 1.0
	v_fma_f64 v[134:135], v[134:135], v[136:137], v[134:135]
	v_fma_f64 v[136:137], -v[132:133], v[134:135], 1.0
	v_fma_f64 v[134:135], v[134:135], v[136:137], v[134:135]
	v_div_scale_f64 v[136:137], vcc_lo, 1.0, v[130:131], 1.0
	v_mul_f64 v[138:139], v[136:137], v[134:135]
	v_fma_f64 v[132:133], -v[132:133], v[138:139], v[136:137]
	v_div_fmas_f64 v[132:133], v[132:133], v[134:135], v[138:139]
	v_div_fixup_f64 v[130:131], v[132:133], v[130:131], 1.0
	ds_write_b64 v1, v[130:131]
.LBB61_9:
	s_or_b32 exec_lo, exec_lo, s1
	s_waitcnt lgkmcnt(0)
	s_barrier
	buffer_gl0_inv
	ds_read_b64 v[130:131], v1
	s_mov_b32 s1, exec_lo
	v_cmpx_lt_u32_e32 1, v0
	s_cbranch_execz .LBB61_11
; %bb.10:
	s_waitcnt lgkmcnt(0)
	v_mul_f64 v[124:125], v[130:131], v[124:125]
	ds_read2_b64 v[132:135], v188 offset0:2 offset1:3
	ds_read2_b64 v[136:139], v188 offset0:4 offset1:5
	;; [unrolled: 1-line block ×14, first 2 shown]
	s_waitcnt lgkmcnt(13)
	v_fma_f64 v[126:127], -v[124:125], v[132:133], v[126:127]
	ds_read_b64 v[132:133], v188 offset:240
	v_fma_f64 v[122:123], -v[124:125], v[134:135], v[122:123]
	s_waitcnt lgkmcnt(13)
	v_fma_f64 v[110:111], -v[124:125], v[136:137], v[110:111]
	v_fma_f64 v[94:95], -v[124:125], v[138:139], v[94:95]
	s_waitcnt lgkmcnt(12)
	v_fma_f64 v[108:109], -v[124:125], v[140:141], v[108:109]
	;; [unrolled: 3-line block ×14, first 2 shown]
.LBB61_11:
	s_or_b32 exec_lo, exec_lo, s1
	s_mov_b32 s1, exec_lo
	s_waitcnt lgkmcnt(0)
	s_barrier
	buffer_gl0_inv
	v_cmpx_eq_u32_e32 2, v0
	s_cbranch_execz .LBB61_14
; %bb.12:
	ds_write_b64 v1, v[126:127]
	ds_write2_b64 v188, v[122:123], v[110:111] offset0:3 offset1:4
	ds_write2_b64 v188, v[94:95], v[108:109] offset0:5 offset1:6
	;; [unrolled: 1-line block ×14, first 2 shown]
	ds_read_b64 v[132:133], v1
	s_waitcnt lgkmcnt(0)
	v_cmp_neq_f64_e32 vcc_lo, 0, v[132:133]
	s_and_b32 exec_lo, exec_lo, vcc_lo
	s_cbranch_execz .LBB61_14
; %bb.13:
	v_div_scale_f64 v[134:135], null, v[132:133], v[132:133], 1.0
	v_rcp_f64_e32 v[136:137], v[134:135]
	v_fma_f64 v[138:139], -v[134:135], v[136:137], 1.0
	v_fma_f64 v[136:137], v[136:137], v[138:139], v[136:137]
	v_fma_f64 v[138:139], -v[134:135], v[136:137], 1.0
	v_fma_f64 v[136:137], v[136:137], v[138:139], v[136:137]
	v_div_scale_f64 v[138:139], vcc_lo, 1.0, v[132:133], 1.0
	v_mul_f64 v[140:141], v[138:139], v[136:137]
	v_fma_f64 v[134:135], -v[134:135], v[140:141], v[138:139]
	v_div_fmas_f64 v[134:135], v[134:135], v[136:137], v[140:141]
	v_div_fixup_f64 v[132:133], v[134:135], v[132:133], 1.0
	ds_write_b64 v1, v[132:133]
.LBB61_14:
	s_or_b32 exec_lo, exec_lo, s1
	s_waitcnt lgkmcnt(0)
	s_barrier
	buffer_gl0_inv
	ds_read_b64 v[132:133], v1
	s_mov_b32 s1, exec_lo
	v_cmpx_lt_u32_e32 2, v0
	s_cbranch_execz .LBB61_16
; %bb.15:
	s_waitcnt lgkmcnt(0)
	v_mul_f64 v[126:127], v[132:133], v[126:127]
	ds_read2_b64 v[134:137], v188 offset0:3 offset1:4
	ds_read2_b64 v[138:141], v188 offset0:5 offset1:6
	;; [unrolled: 1-line block ×14, first 2 shown]
	s_waitcnt lgkmcnt(13)
	v_fma_f64 v[122:123], -v[126:127], v[134:135], v[122:123]
	v_fma_f64 v[110:111], -v[126:127], v[136:137], v[110:111]
	s_waitcnt lgkmcnt(12)
	v_fma_f64 v[94:95], -v[126:127], v[138:139], v[94:95]
	v_fma_f64 v[108:109], -v[126:127], v[140:141], v[108:109]
	;; [unrolled: 3-line block ×14, first 2 shown]
.LBB61_16:
	s_or_b32 exec_lo, exec_lo, s1
	s_mov_b32 s1, exec_lo
	s_waitcnt lgkmcnt(0)
	s_barrier
	buffer_gl0_inv
	v_cmpx_eq_u32_e32 3, v0
	s_cbranch_execz .LBB61_19
; %bb.17:
	v_mov_b32_e32 v134, v110
	v_mov_b32_e32 v135, v111
	v_mov_b32_e32 v136, v94
	v_mov_b32_e32 v137, v95
	v_mov_b32_e32 v138, v108
	v_mov_b32_e32 v139, v109
	v_mov_b32_e32 v140, v92
	v_mov_b32_e32 v141, v93
	v_mov_b32_e32 v142, v106
	v_mov_b32_e32 v143, v107
	v_mov_b32_e32 v144, v90
	v_mov_b32_e32 v145, v91
	ds_write_b64 v1, v[122:123]
	ds_write2_b64 v188, v[134:135], v[136:137] offset0:4 offset1:5
	ds_write2_b64 v188, v[138:139], v[140:141] offset0:6 offset1:7
	;; [unrolled: 1-line block ×3, first 2 shown]
	v_mov_b32_e32 v134, v104
	v_mov_b32_e32 v135, v105
	;; [unrolled: 1-line block ×20, first 2 shown]
	ds_write2_b64 v188, v[134:135], v[136:137] offset0:10 offset1:11
	ds_write2_b64 v188, v[138:139], v[140:141] offset0:12 offset1:13
	;; [unrolled: 1-line block ×5, first 2 shown]
	v_mov_b32_e32 v134, v80
	v_mov_b32_e32 v135, v81
	;; [unrolled: 1-line block ×20, first 2 shown]
	ds_write2_b64 v188, v[134:135], v[136:137] offset0:20 offset1:21
	ds_write2_b64 v188, v[138:139], v[140:141] offset0:22 offset1:23
	;; [unrolled: 1-line block ×5, first 2 shown]
	ds_write_b64 v188, v[118:119] offset:240
	ds_read_b64 v[134:135], v1
	s_waitcnt lgkmcnt(0)
	v_cmp_neq_f64_e32 vcc_lo, 0, v[134:135]
	s_and_b32 exec_lo, exec_lo, vcc_lo
	s_cbranch_execz .LBB61_19
; %bb.18:
	v_div_scale_f64 v[136:137], null, v[134:135], v[134:135], 1.0
	v_rcp_f64_e32 v[138:139], v[136:137]
	v_fma_f64 v[140:141], -v[136:137], v[138:139], 1.0
	v_fma_f64 v[138:139], v[138:139], v[140:141], v[138:139]
	v_fma_f64 v[140:141], -v[136:137], v[138:139], 1.0
	v_fma_f64 v[138:139], v[138:139], v[140:141], v[138:139]
	v_div_scale_f64 v[140:141], vcc_lo, 1.0, v[134:135], 1.0
	v_mul_f64 v[142:143], v[140:141], v[138:139]
	v_fma_f64 v[136:137], -v[136:137], v[142:143], v[140:141]
	v_div_fmas_f64 v[136:137], v[136:137], v[138:139], v[142:143]
	v_div_fixup_f64 v[134:135], v[136:137], v[134:135], 1.0
	ds_write_b64 v1, v[134:135]
.LBB61_19:
	s_or_b32 exec_lo, exec_lo, s1
	s_waitcnt lgkmcnt(0)
	s_barrier
	buffer_gl0_inv
	ds_read_b64 v[134:135], v1
	s_mov_b32 s1, exec_lo
	v_cmpx_lt_u32_e32 3, v0
	s_cbranch_execz .LBB61_21
; %bb.20:
	s_waitcnt lgkmcnt(0)
	v_mul_f64 v[122:123], v[134:135], v[122:123]
	ds_read2_b64 v[136:139], v188 offset0:4 offset1:5
	ds_read2_b64 v[140:143], v188 offset0:6 offset1:7
	;; [unrolled: 1-line block ×13, first 2 shown]
	ds_read_b64 v[189:190], v188 offset:240
	s_waitcnt lgkmcnt(13)
	v_fma_f64 v[110:111], -v[122:123], v[136:137], v[110:111]
	v_fma_f64 v[94:95], -v[122:123], v[138:139], v[94:95]
	s_waitcnt lgkmcnt(12)
	v_fma_f64 v[108:109], -v[122:123], v[140:141], v[108:109]
	v_fma_f64 v[92:93], -v[122:123], v[142:143], v[92:93]
	;; [unrolled: 3-line block ×13, first 2 shown]
	s_waitcnt lgkmcnt(0)
	v_fma_f64 v[118:119], -v[122:123], v[189:190], v[118:119]
.LBB61_21:
	s_or_b32 exec_lo, exec_lo, s1
	s_mov_b32 s1, exec_lo
	s_waitcnt lgkmcnt(0)
	s_barrier
	buffer_gl0_inv
	v_cmpx_eq_u32_e32 4, v0
	s_cbranch_execz .LBB61_24
; %bb.22:
	ds_write_b64 v1, v[110:111]
	ds_write2_b64 v188, v[94:95], v[108:109] offset0:5 offset1:6
	ds_write2_b64 v188, v[92:93], v[106:107] offset0:7 offset1:8
	;; [unrolled: 1-line block ×13, first 2 shown]
	ds_read_b64 v[136:137], v1
	s_waitcnt lgkmcnt(0)
	v_cmp_neq_f64_e32 vcc_lo, 0, v[136:137]
	s_and_b32 exec_lo, exec_lo, vcc_lo
	s_cbranch_execz .LBB61_24
; %bb.23:
	v_div_scale_f64 v[138:139], null, v[136:137], v[136:137], 1.0
	v_rcp_f64_e32 v[140:141], v[138:139]
	v_fma_f64 v[142:143], -v[138:139], v[140:141], 1.0
	v_fma_f64 v[140:141], v[140:141], v[142:143], v[140:141]
	v_fma_f64 v[142:143], -v[138:139], v[140:141], 1.0
	v_fma_f64 v[140:141], v[140:141], v[142:143], v[140:141]
	v_div_scale_f64 v[142:143], vcc_lo, 1.0, v[136:137], 1.0
	v_mul_f64 v[144:145], v[142:143], v[140:141]
	v_fma_f64 v[138:139], -v[138:139], v[144:145], v[142:143]
	v_div_fmas_f64 v[138:139], v[138:139], v[140:141], v[144:145]
	v_div_fixup_f64 v[136:137], v[138:139], v[136:137], 1.0
	ds_write_b64 v1, v[136:137]
.LBB61_24:
	s_or_b32 exec_lo, exec_lo, s1
	s_waitcnt lgkmcnt(0)
	s_barrier
	buffer_gl0_inv
	ds_read_b64 v[136:137], v1
	s_mov_b32 s1, exec_lo
	v_cmpx_lt_u32_e32 4, v0
	s_cbranch_execz .LBB61_26
; %bb.25:
	s_waitcnt lgkmcnt(0)
	v_mul_f64 v[110:111], v[136:137], v[110:111]
	ds_read2_b64 v[138:141], v188 offset0:5 offset1:6
	ds_read2_b64 v[142:145], v188 offset0:7 offset1:8
	;; [unrolled: 1-line block ×13, first 2 shown]
	s_waitcnt lgkmcnt(12)
	v_fma_f64 v[94:95], -v[110:111], v[138:139], v[94:95]
	v_fma_f64 v[108:109], -v[110:111], v[140:141], v[108:109]
	s_waitcnt lgkmcnt(11)
	v_fma_f64 v[92:93], -v[110:111], v[142:143], v[92:93]
	v_fma_f64 v[106:107], -v[110:111], v[144:145], v[106:107]
	;; [unrolled: 3-line block ×13, first 2 shown]
.LBB61_26:
	s_or_b32 exec_lo, exec_lo, s1
	s_mov_b32 s1, exec_lo
	s_waitcnt lgkmcnt(0)
	s_barrier
	buffer_gl0_inv
	v_cmpx_eq_u32_e32 5, v0
	s_cbranch_execz .LBB61_29
; %bb.27:
	v_mov_b32_e32 v138, v108
	v_mov_b32_e32 v139, v109
	v_mov_b32_e32 v140, v92
	v_mov_b32_e32 v141, v93
	v_mov_b32_e32 v142, v106
	v_mov_b32_e32 v143, v107
	v_mov_b32_e32 v144, v90
	v_mov_b32_e32 v145, v91
	ds_write_b64 v1, v[94:95]
	ds_write2_b64 v188, v[138:139], v[140:141] offset0:6 offset1:7
	ds_write2_b64 v188, v[142:143], v[144:145] offset0:8 offset1:9
	v_mov_b32_e32 v138, v104
	v_mov_b32_e32 v139, v105
	;; [unrolled: 1-line block ×20, first 2 shown]
	ds_write2_b64 v188, v[138:139], v[140:141] offset0:10 offset1:11
	ds_write2_b64 v188, v[142:143], v[144:145] offset0:12 offset1:13
	;; [unrolled: 1-line block ×5, first 2 shown]
	v_mov_b32_e32 v138, v80
	v_mov_b32_e32 v139, v81
	;; [unrolled: 1-line block ×20, first 2 shown]
	ds_write2_b64 v188, v[138:139], v[140:141] offset0:20 offset1:21
	ds_write2_b64 v188, v[142:143], v[144:145] offset0:22 offset1:23
	;; [unrolled: 1-line block ×5, first 2 shown]
	ds_write_b64 v188, v[118:119] offset:240
	ds_read_b64 v[138:139], v1
	s_waitcnt lgkmcnt(0)
	v_cmp_neq_f64_e32 vcc_lo, 0, v[138:139]
	s_and_b32 exec_lo, exec_lo, vcc_lo
	s_cbranch_execz .LBB61_29
; %bb.28:
	v_div_scale_f64 v[140:141], null, v[138:139], v[138:139], 1.0
	v_rcp_f64_e32 v[142:143], v[140:141]
	v_fma_f64 v[144:145], -v[140:141], v[142:143], 1.0
	v_fma_f64 v[142:143], v[142:143], v[144:145], v[142:143]
	v_fma_f64 v[144:145], -v[140:141], v[142:143], 1.0
	v_fma_f64 v[142:143], v[142:143], v[144:145], v[142:143]
	v_div_scale_f64 v[144:145], vcc_lo, 1.0, v[138:139], 1.0
	v_mul_f64 v[146:147], v[144:145], v[142:143]
	v_fma_f64 v[140:141], -v[140:141], v[146:147], v[144:145]
	v_div_fmas_f64 v[140:141], v[140:141], v[142:143], v[146:147]
	v_div_fixup_f64 v[138:139], v[140:141], v[138:139], 1.0
	ds_write_b64 v1, v[138:139]
.LBB61_29:
	s_or_b32 exec_lo, exec_lo, s1
	s_waitcnt lgkmcnt(0)
	s_barrier
	buffer_gl0_inv
	ds_read_b64 v[138:139], v1
	s_mov_b32 s1, exec_lo
	v_cmpx_lt_u32_e32 5, v0
	s_cbranch_execz .LBB61_31
; %bb.30:
	s_waitcnt lgkmcnt(0)
	v_mul_f64 v[94:95], v[138:139], v[94:95]
	ds_read2_b64 v[140:143], v188 offset0:6 offset1:7
	ds_read2_b64 v[144:147], v188 offset0:8 offset1:9
	;; [unrolled: 1-line block ×12, first 2 shown]
	ds_read_b64 v[189:190], v188 offset:240
	s_waitcnt lgkmcnt(12)
	v_fma_f64 v[108:109], -v[94:95], v[140:141], v[108:109]
	v_fma_f64 v[92:93], -v[94:95], v[142:143], v[92:93]
	s_waitcnt lgkmcnt(11)
	v_fma_f64 v[106:107], -v[94:95], v[144:145], v[106:107]
	v_fma_f64 v[90:91], -v[94:95], v[146:147], v[90:91]
	;; [unrolled: 3-line block ×12, first 2 shown]
	s_waitcnt lgkmcnt(0)
	v_fma_f64 v[118:119], -v[94:95], v[189:190], v[118:119]
.LBB61_31:
	s_or_b32 exec_lo, exec_lo, s1
	s_mov_b32 s1, exec_lo
	s_waitcnt lgkmcnt(0)
	s_barrier
	buffer_gl0_inv
	v_cmpx_eq_u32_e32 6, v0
	s_cbranch_execz .LBB61_34
; %bb.32:
	ds_write_b64 v1, v[108:109]
	ds_write2_b64 v188, v[92:93], v[106:107] offset0:7 offset1:8
	ds_write2_b64 v188, v[90:91], v[104:105] offset0:9 offset1:10
	;; [unrolled: 1-line block ×12, first 2 shown]
	ds_read_b64 v[140:141], v1
	s_waitcnt lgkmcnt(0)
	v_cmp_neq_f64_e32 vcc_lo, 0, v[140:141]
	s_and_b32 exec_lo, exec_lo, vcc_lo
	s_cbranch_execz .LBB61_34
; %bb.33:
	v_div_scale_f64 v[142:143], null, v[140:141], v[140:141], 1.0
	v_rcp_f64_e32 v[144:145], v[142:143]
	v_fma_f64 v[146:147], -v[142:143], v[144:145], 1.0
	v_fma_f64 v[144:145], v[144:145], v[146:147], v[144:145]
	v_fma_f64 v[146:147], -v[142:143], v[144:145], 1.0
	v_fma_f64 v[144:145], v[144:145], v[146:147], v[144:145]
	v_div_scale_f64 v[146:147], vcc_lo, 1.0, v[140:141], 1.0
	v_mul_f64 v[148:149], v[146:147], v[144:145]
	v_fma_f64 v[142:143], -v[142:143], v[148:149], v[146:147]
	v_div_fmas_f64 v[142:143], v[142:143], v[144:145], v[148:149]
	v_div_fixup_f64 v[140:141], v[142:143], v[140:141], 1.0
	ds_write_b64 v1, v[140:141]
.LBB61_34:
	s_or_b32 exec_lo, exec_lo, s1
	s_waitcnt lgkmcnt(0)
	s_barrier
	buffer_gl0_inv
	ds_read_b64 v[140:141], v1
	s_mov_b32 s1, exec_lo
	v_cmpx_lt_u32_e32 6, v0
	s_cbranch_execz .LBB61_36
; %bb.35:
	s_waitcnt lgkmcnt(0)
	v_mul_f64 v[108:109], v[140:141], v[108:109]
	ds_read2_b64 v[142:145], v188 offset0:7 offset1:8
	ds_read2_b64 v[146:149], v188 offset0:9 offset1:10
	;; [unrolled: 1-line block ×12, first 2 shown]
	s_waitcnt lgkmcnt(11)
	v_fma_f64 v[92:93], -v[108:109], v[142:143], v[92:93]
	v_fma_f64 v[106:107], -v[108:109], v[144:145], v[106:107]
	s_waitcnt lgkmcnt(10)
	v_fma_f64 v[90:91], -v[108:109], v[146:147], v[90:91]
	v_fma_f64 v[104:105], -v[108:109], v[148:149], v[104:105]
	;; [unrolled: 3-line block ×12, first 2 shown]
.LBB61_36:
	s_or_b32 exec_lo, exec_lo, s1
	s_mov_b32 s1, exec_lo
	s_waitcnt lgkmcnt(0)
	s_barrier
	buffer_gl0_inv
	v_cmpx_eq_u32_e32 7, v0
	s_cbranch_execz .LBB61_39
; %bb.37:
	v_mov_b32_e32 v142, v106
	v_mov_b32_e32 v143, v107
	;; [unrolled: 1-line block ×4, first 2 shown]
	ds_write_b64 v1, v[92:93]
	ds_write2_b64 v188, v[142:143], v[144:145] offset0:8 offset1:9
	v_mov_b32_e32 v142, v104
	v_mov_b32_e32 v143, v105
	;; [unrolled: 1-line block ×20, first 2 shown]
	ds_write2_b64 v188, v[142:143], v[144:145] offset0:10 offset1:11
	ds_write2_b64 v188, v[146:147], v[148:149] offset0:12 offset1:13
	;; [unrolled: 1-line block ×5, first 2 shown]
	v_mov_b32_e32 v142, v80
	v_mov_b32_e32 v143, v81
	v_mov_b32_e32 v144, v70
	v_mov_b32_e32 v145, v71
	v_mov_b32_e32 v146, v78
	v_mov_b32_e32 v147, v79
	v_mov_b32_e32 v148, v68
	v_mov_b32_e32 v149, v69
	v_mov_b32_e32 v150, v76
	v_mov_b32_e32 v151, v77
	v_mov_b32_e32 v152, v66
	v_mov_b32_e32 v153, v67
	v_mov_b32_e32 v154, v74
	v_mov_b32_e32 v155, v75
	v_mov_b32_e32 v156, v64
	v_mov_b32_e32 v157, v65
	v_mov_b32_e32 v158, v116
	v_mov_b32_e32 v159, v117
	v_mov_b32_e32 v160, v114
	v_mov_b32_e32 v161, v115
	ds_write2_b64 v188, v[142:143], v[144:145] offset0:20 offset1:21
	ds_write2_b64 v188, v[146:147], v[148:149] offset0:22 offset1:23
	ds_write2_b64 v188, v[150:151], v[152:153] offset0:24 offset1:25
	ds_write2_b64 v188, v[154:155], v[156:157] offset0:26 offset1:27
	ds_write2_b64 v188, v[158:159], v[160:161] offset0:28 offset1:29
	ds_write_b64 v188, v[118:119] offset:240
	ds_read_b64 v[142:143], v1
	s_waitcnt lgkmcnt(0)
	v_cmp_neq_f64_e32 vcc_lo, 0, v[142:143]
	s_and_b32 exec_lo, exec_lo, vcc_lo
	s_cbranch_execz .LBB61_39
; %bb.38:
	v_div_scale_f64 v[144:145], null, v[142:143], v[142:143], 1.0
	v_rcp_f64_e32 v[146:147], v[144:145]
	v_fma_f64 v[148:149], -v[144:145], v[146:147], 1.0
	v_fma_f64 v[146:147], v[146:147], v[148:149], v[146:147]
	v_fma_f64 v[148:149], -v[144:145], v[146:147], 1.0
	v_fma_f64 v[146:147], v[146:147], v[148:149], v[146:147]
	v_div_scale_f64 v[148:149], vcc_lo, 1.0, v[142:143], 1.0
	v_mul_f64 v[150:151], v[148:149], v[146:147]
	v_fma_f64 v[144:145], -v[144:145], v[150:151], v[148:149]
	v_div_fmas_f64 v[144:145], v[144:145], v[146:147], v[150:151]
	v_div_fixup_f64 v[142:143], v[144:145], v[142:143], 1.0
	ds_write_b64 v1, v[142:143]
.LBB61_39:
	s_or_b32 exec_lo, exec_lo, s1
	s_waitcnt lgkmcnt(0)
	s_barrier
	buffer_gl0_inv
	ds_read_b64 v[142:143], v1
	s_mov_b32 s1, exec_lo
	v_cmpx_lt_u32_e32 7, v0
	s_cbranch_execz .LBB61_41
; %bb.40:
	s_waitcnt lgkmcnt(0)
	v_mul_f64 v[92:93], v[142:143], v[92:93]
	ds_read2_b64 v[144:147], v188 offset0:8 offset1:9
	ds_read2_b64 v[148:151], v188 offset0:10 offset1:11
	ds_read2_b64 v[152:155], v188 offset0:12 offset1:13
	ds_read2_b64 v[156:159], v188 offset0:14 offset1:15
	ds_read2_b64 v[160:163], v188 offset0:16 offset1:17
	ds_read2_b64 v[164:167], v188 offset0:18 offset1:19
	ds_read2_b64 v[168:171], v188 offset0:20 offset1:21
	ds_read2_b64 v[172:175], v188 offset0:22 offset1:23
	ds_read2_b64 v[176:179], v188 offset0:24 offset1:25
	ds_read2_b64 v[180:183], v188 offset0:26 offset1:27
	ds_read2_b64 v[184:187], v188 offset0:28 offset1:29
	ds_read_b64 v[189:190], v188 offset:240
	s_waitcnt lgkmcnt(11)
	v_fma_f64 v[106:107], -v[92:93], v[144:145], v[106:107]
	v_fma_f64 v[90:91], -v[92:93], v[146:147], v[90:91]
	s_waitcnt lgkmcnt(10)
	v_fma_f64 v[104:105], -v[92:93], v[148:149], v[104:105]
	v_fma_f64 v[88:89], -v[92:93], v[150:151], v[88:89]
	;; [unrolled: 3-line block ×11, first 2 shown]
	s_waitcnt lgkmcnt(0)
	v_fma_f64 v[118:119], -v[92:93], v[189:190], v[118:119]
.LBB61_41:
	s_or_b32 exec_lo, exec_lo, s1
	s_mov_b32 s1, exec_lo
	s_waitcnt lgkmcnt(0)
	s_barrier
	buffer_gl0_inv
	v_cmpx_eq_u32_e32 8, v0
	s_cbranch_execz .LBB61_44
; %bb.42:
	ds_write_b64 v1, v[106:107]
	ds_write2_b64 v188, v[90:91], v[104:105] offset0:9 offset1:10
	ds_write2_b64 v188, v[88:89], v[102:103] offset0:11 offset1:12
	;; [unrolled: 1-line block ×11, first 2 shown]
	ds_read_b64 v[144:145], v1
	s_waitcnt lgkmcnt(0)
	v_cmp_neq_f64_e32 vcc_lo, 0, v[144:145]
	s_and_b32 exec_lo, exec_lo, vcc_lo
	s_cbranch_execz .LBB61_44
; %bb.43:
	v_div_scale_f64 v[146:147], null, v[144:145], v[144:145], 1.0
	v_rcp_f64_e32 v[148:149], v[146:147]
	v_fma_f64 v[150:151], -v[146:147], v[148:149], 1.0
	v_fma_f64 v[148:149], v[148:149], v[150:151], v[148:149]
	v_fma_f64 v[150:151], -v[146:147], v[148:149], 1.0
	v_fma_f64 v[148:149], v[148:149], v[150:151], v[148:149]
	v_div_scale_f64 v[150:151], vcc_lo, 1.0, v[144:145], 1.0
	v_mul_f64 v[152:153], v[150:151], v[148:149]
	v_fma_f64 v[146:147], -v[146:147], v[152:153], v[150:151]
	v_div_fmas_f64 v[146:147], v[146:147], v[148:149], v[152:153]
	v_div_fixup_f64 v[144:145], v[146:147], v[144:145], 1.0
	ds_write_b64 v1, v[144:145]
.LBB61_44:
	s_or_b32 exec_lo, exec_lo, s1
	s_waitcnt lgkmcnt(0)
	s_barrier
	buffer_gl0_inv
	ds_read_b64 v[144:145], v1
	s_mov_b32 s1, exec_lo
	v_cmpx_lt_u32_e32 8, v0
	s_cbranch_execz .LBB61_46
; %bb.45:
	s_waitcnt lgkmcnt(0)
	v_mul_f64 v[106:107], v[144:145], v[106:107]
	ds_read2_b64 v[146:149], v188 offset0:9 offset1:10
	ds_read2_b64 v[150:153], v188 offset0:11 offset1:12
	ds_read2_b64 v[154:157], v188 offset0:13 offset1:14
	ds_read2_b64 v[158:161], v188 offset0:15 offset1:16
	ds_read2_b64 v[162:165], v188 offset0:17 offset1:18
	ds_read2_b64 v[166:169], v188 offset0:19 offset1:20
	ds_read2_b64 v[170:173], v188 offset0:21 offset1:22
	ds_read2_b64 v[174:177], v188 offset0:23 offset1:24
	ds_read2_b64 v[178:181], v188 offset0:25 offset1:26
	ds_read2_b64 v[182:185], v188 offset0:27 offset1:28
	ds_read2_b64 v[189:192], v188 offset0:29 offset1:30
	s_waitcnt lgkmcnt(10)
	v_fma_f64 v[90:91], -v[106:107], v[146:147], v[90:91]
	v_fma_f64 v[104:105], -v[106:107], v[148:149], v[104:105]
	s_waitcnt lgkmcnt(9)
	v_fma_f64 v[88:89], -v[106:107], v[150:151], v[88:89]
	v_fma_f64 v[102:103], -v[106:107], v[152:153], v[102:103]
	;; [unrolled: 3-line block ×11, first 2 shown]
.LBB61_46:
	s_or_b32 exec_lo, exec_lo, s1
	s_mov_b32 s1, exec_lo
	s_waitcnt lgkmcnt(0)
	s_barrier
	buffer_gl0_inv
	v_cmpx_eq_u32_e32 9, v0
	s_cbranch_execz .LBB61_49
; %bb.47:
	v_mov_b32_e32 v146, v104
	v_mov_b32_e32 v147, v105
	;; [unrolled: 1-line block ×20, first 2 shown]
	ds_write_b64 v1, v[90:91]
	ds_write2_b64 v188, v[146:147], v[148:149] offset0:10 offset1:11
	ds_write2_b64 v188, v[150:151], v[152:153] offset0:12 offset1:13
	;; [unrolled: 1-line block ×5, first 2 shown]
	v_mov_b32_e32 v146, v80
	v_mov_b32_e32 v147, v81
	;; [unrolled: 1-line block ×20, first 2 shown]
	ds_write2_b64 v188, v[146:147], v[148:149] offset0:20 offset1:21
	ds_write2_b64 v188, v[150:151], v[152:153] offset0:22 offset1:23
	ds_write2_b64 v188, v[154:155], v[156:157] offset0:24 offset1:25
	ds_write2_b64 v188, v[158:159], v[160:161] offset0:26 offset1:27
	ds_write2_b64 v188, v[162:163], v[164:165] offset0:28 offset1:29
	ds_write_b64 v188, v[118:119] offset:240
	ds_read_b64 v[146:147], v1
	s_waitcnt lgkmcnt(0)
	v_cmp_neq_f64_e32 vcc_lo, 0, v[146:147]
	s_and_b32 exec_lo, exec_lo, vcc_lo
	s_cbranch_execz .LBB61_49
; %bb.48:
	v_div_scale_f64 v[148:149], null, v[146:147], v[146:147], 1.0
	v_rcp_f64_e32 v[150:151], v[148:149]
	v_fma_f64 v[152:153], -v[148:149], v[150:151], 1.0
	v_fma_f64 v[150:151], v[150:151], v[152:153], v[150:151]
	v_fma_f64 v[152:153], -v[148:149], v[150:151], 1.0
	v_fma_f64 v[150:151], v[150:151], v[152:153], v[150:151]
	v_div_scale_f64 v[152:153], vcc_lo, 1.0, v[146:147], 1.0
	v_mul_f64 v[154:155], v[152:153], v[150:151]
	v_fma_f64 v[148:149], -v[148:149], v[154:155], v[152:153]
	v_div_fmas_f64 v[148:149], v[148:149], v[150:151], v[154:155]
	v_div_fixup_f64 v[146:147], v[148:149], v[146:147], 1.0
	ds_write_b64 v1, v[146:147]
.LBB61_49:
	s_or_b32 exec_lo, exec_lo, s1
	s_waitcnt lgkmcnt(0)
	s_barrier
	buffer_gl0_inv
	ds_read_b64 v[146:147], v1
	s_mov_b32 s1, exec_lo
	v_cmpx_lt_u32_e32 9, v0
	s_cbranch_execz .LBB61_51
; %bb.50:
	s_waitcnt lgkmcnt(0)
	v_mul_f64 v[90:91], v[146:147], v[90:91]
	ds_read2_b64 v[148:151], v188 offset0:10 offset1:11
	ds_read2_b64 v[152:155], v188 offset0:12 offset1:13
	ds_read2_b64 v[156:159], v188 offset0:14 offset1:15
	ds_read2_b64 v[160:163], v188 offset0:16 offset1:17
	ds_read2_b64 v[164:167], v188 offset0:18 offset1:19
	ds_read2_b64 v[168:171], v188 offset0:20 offset1:21
	ds_read2_b64 v[172:175], v188 offset0:22 offset1:23
	ds_read2_b64 v[176:179], v188 offset0:24 offset1:25
	ds_read2_b64 v[180:183], v188 offset0:26 offset1:27
	ds_read2_b64 v[184:187], v188 offset0:28 offset1:29
	ds_read_b64 v[189:190], v188 offset:240
	s_waitcnt lgkmcnt(10)
	v_fma_f64 v[104:105], -v[90:91], v[148:149], v[104:105]
	v_fma_f64 v[88:89], -v[90:91], v[150:151], v[88:89]
	s_waitcnt lgkmcnt(9)
	v_fma_f64 v[102:103], -v[90:91], v[152:153], v[102:103]
	v_fma_f64 v[86:87], -v[90:91], v[154:155], v[86:87]
	s_waitcnt lgkmcnt(8)
	v_fma_f64 v[100:101], -v[90:91], v[156:157], v[100:101]
	v_fma_f64 v[84:85], -v[90:91], v[158:159], v[84:85]
	s_waitcnt lgkmcnt(7)
	v_fma_f64 v[98:99], -v[90:91], v[160:161], v[98:99]
	v_fma_f64 v[82:83], -v[90:91], v[162:163], v[82:83]
	s_waitcnt lgkmcnt(6)
	v_fma_f64 v[96:97], -v[90:91], v[164:165], v[96:97]
	v_fma_f64 v[72:73], -v[90:91], v[166:167], v[72:73]
	s_waitcnt lgkmcnt(5)
	v_fma_f64 v[80:81], -v[90:91], v[168:169], v[80:81]
	v_fma_f64 v[70:71], -v[90:91], v[170:171], v[70:71]
	s_waitcnt lgkmcnt(4)
	v_fma_f64 v[78:79], -v[90:91], v[172:173], v[78:79]
	v_fma_f64 v[68:69], -v[90:91], v[174:175], v[68:69]
	s_waitcnt lgkmcnt(3)
	v_fma_f64 v[76:77], -v[90:91], v[176:177], v[76:77]
	v_fma_f64 v[66:67], -v[90:91], v[178:179], v[66:67]
	s_waitcnt lgkmcnt(2)
	v_fma_f64 v[74:75], -v[90:91], v[180:181], v[74:75]
	v_fma_f64 v[64:65], -v[90:91], v[182:183], v[64:65]
	s_waitcnt lgkmcnt(1)
	v_fma_f64 v[116:117], -v[90:91], v[184:185], v[116:117]
	v_fma_f64 v[114:115], -v[90:91], v[186:187], v[114:115]
	s_waitcnt lgkmcnt(0)
	v_fma_f64 v[118:119], -v[90:91], v[189:190], v[118:119]
.LBB61_51:
	s_or_b32 exec_lo, exec_lo, s1
	s_mov_b32 s1, exec_lo
	s_waitcnt lgkmcnt(0)
	s_barrier
	buffer_gl0_inv
	v_cmpx_eq_u32_e32 10, v0
	s_cbranch_execz .LBB61_54
; %bb.52:
	ds_write_b64 v1, v[104:105]
	ds_write2_b64 v188, v[88:89], v[102:103] offset0:11 offset1:12
	ds_write2_b64 v188, v[86:87], v[100:101] offset0:13 offset1:14
	;; [unrolled: 1-line block ×10, first 2 shown]
	ds_read_b64 v[148:149], v1
	s_waitcnt lgkmcnt(0)
	v_cmp_neq_f64_e32 vcc_lo, 0, v[148:149]
	s_and_b32 exec_lo, exec_lo, vcc_lo
	s_cbranch_execz .LBB61_54
; %bb.53:
	v_div_scale_f64 v[150:151], null, v[148:149], v[148:149], 1.0
	v_rcp_f64_e32 v[152:153], v[150:151]
	v_fma_f64 v[154:155], -v[150:151], v[152:153], 1.0
	v_fma_f64 v[152:153], v[152:153], v[154:155], v[152:153]
	v_fma_f64 v[154:155], -v[150:151], v[152:153], 1.0
	v_fma_f64 v[152:153], v[152:153], v[154:155], v[152:153]
	v_div_scale_f64 v[154:155], vcc_lo, 1.0, v[148:149], 1.0
	v_mul_f64 v[156:157], v[154:155], v[152:153]
	v_fma_f64 v[150:151], -v[150:151], v[156:157], v[154:155]
	v_div_fmas_f64 v[150:151], v[150:151], v[152:153], v[156:157]
	v_div_fixup_f64 v[148:149], v[150:151], v[148:149], 1.0
	ds_write_b64 v1, v[148:149]
.LBB61_54:
	s_or_b32 exec_lo, exec_lo, s1
	s_waitcnt lgkmcnt(0)
	s_barrier
	buffer_gl0_inv
	ds_read_b64 v[148:149], v1
	s_mov_b32 s1, exec_lo
	v_cmpx_lt_u32_e32 10, v0
	s_cbranch_execz .LBB61_56
; %bb.55:
	s_waitcnt lgkmcnt(0)
	v_mul_f64 v[104:105], v[148:149], v[104:105]
	ds_read2_b64 v[150:153], v188 offset0:11 offset1:12
	ds_read2_b64 v[154:157], v188 offset0:13 offset1:14
	ds_read2_b64 v[158:161], v188 offset0:15 offset1:16
	ds_read2_b64 v[162:165], v188 offset0:17 offset1:18
	ds_read2_b64 v[166:169], v188 offset0:19 offset1:20
	ds_read2_b64 v[170:173], v188 offset0:21 offset1:22
	ds_read2_b64 v[174:177], v188 offset0:23 offset1:24
	ds_read2_b64 v[178:181], v188 offset0:25 offset1:26
	ds_read2_b64 v[182:185], v188 offset0:27 offset1:28
	ds_read2_b64 v[189:192], v188 offset0:29 offset1:30
	s_waitcnt lgkmcnt(9)
	v_fma_f64 v[88:89], -v[104:105], v[150:151], v[88:89]
	v_fma_f64 v[102:103], -v[104:105], v[152:153], v[102:103]
	s_waitcnt lgkmcnt(8)
	v_fma_f64 v[86:87], -v[104:105], v[154:155], v[86:87]
	v_fma_f64 v[100:101], -v[104:105], v[156:157], v[100:101]
	;; [unrolled: 3-line block ×10, first 2 shown]
.LBB61_56:
	s_or_b32 exec_lo, exec_lo, s1
	s_mov_b32 s1, exec_lo
	s_waitcnt lgkmcnt(0)
	s_barrier
	buffer_gl0_inv
	v_cmpx_eq_u32_e32 11, v0
	s_cbranch_execz .LBB61_59
; %bb.57:
	v_mov_b32_e32 v150, v102
	v_mov_b32_e32 v151, v103
	;; [unrolled: 1-line block ×16, first 2 shown]
	ds_write_b64 v1, v[88:89]
	ds_write2_b64 v188, v[150:151], v[152:153] offset0:12 offset1:13
	ds_write2_b64 v188, v[154:155], v[156:157] offset0:14 offset1:15
	;; [unrolled: 1-line block ×4, first 2 shown]
	v_mov_b32_e32 v150, v80
	v_mov_b32_e32 v151, v81
	;; [unrolled: 1-line block ×20, first 2 shown]
	ds_write2_b64 v188, v[150:151], v[152:153] offset0:20 offset1:21
	ds_write2_b64 v188, v[154:155], v[156:157] offset0:22 offset1:23
	;; [unrolled: 1-line block ×5, first 2 shown]
	ds_write_b64 v188, v[118:119] offset:240
	ds_read_b64 v[150:151], v1
	s_waitcnt lgkmcnt(0)
	v_cmp_neq_f64_e32 vcc_lo, 0, v[150:151]
	s_and_b32 exec_lo, exec_lo, vcc_lo
	s_cbranch_execz .LBB61_59
; %bb.58:
	v_div_scale_f64 v[152:153], null, v[150:151], v[150:151], 1.0
	v_rcp_f64_e32 v[154:155], v[152:153]
	v_fma_f64 v[156:157], -v[152:153], v[154:155], 1.0
	v_fma_f64 v[154:155], v[154:155], v[156:157], v[154:155]
	v_fma_f64 v[156:157], -v[152:153], v[154:155], 1.0
	v_fma_f64 v[154:155], v[154:155], v[156:157], v[154:155]
	v_div_scale_f64 v[156:157], vcc_lo, 1.0, v[150:151], 1.0
	v_mul_f64 v[158:159], v[156:157], v[154:155]
	v_fma_f64 v[152:153], -v[152:153], v[158:159], v[156:157]
	v_div_fmas_f64 v[152:153], v[152:153], v[154:155], v[158:159]
	v_div_fixup_f64 v[150:151], v[152:153], v[150:151], 1.0
	ds_write_b64 v1, v[150:151]
.LBB61_59:
	s_or_b32 exec_lo, exec_lo, s1
	s_waitcnt lgkmcnt(0)
	s_barrier
	buffer_gl0_inv
	ds_read_b64 v[150:151], v1
	s_mov_b32 s1, exec_lo
	v_cmpx_lt_u32_e32 11, v0
	s_cbranch_execz .LBB61_61
; %bb.60:
	s_waitcnt lgkmcnt(0)
	v_mul_f64 v[88:89], v[150:151], v[88:89]
	ds_read2_b64 v[152:155], v188 offset0:12 offset1:13
	ds_read2_b64 v[156:159], v188 offset0:14 offset1:15
	;; [unrolled: 1-line block ×9, first 2 shown]
	ds_read_b64 v[189:190], v188 offset:240
	s_waitcnt lgkmcnt(9)
	v_fma_f64 v[102:103], -v[88:89], v[152:153], v[102:103]
	v_fma_f64 v[86:87], -v[88:89], v[154:155], v[86:87]
	s_waitcnt lgkmcnt(8)
	v_fma_f64 v[100:101], -v[88:89], v[156:157], v[100:101]
	v_fma_f64 v[84:85], -v[88:89], v[158:159], v[84:85]
	;; [unrolled: 3-line block ×9, first 2 shown]
	s_waitcnt lgkmcnt(0)
	v_fma_f64 v[118:119], -v[88:89], v[189:190], v[118:119]
.LBB61_61:
	s_or_b32 exec_lo, exec_lo, s1
	s_mov_b32 s1, exec_lo
	s_waitcnt lgkmcnt(0)
	s_barrier
	buffer_gl0_inv
	v_cmpx_eq_u32_e32 12, v0
	s_cbranch_execz .LBB61_64
; %bb.62:
	ds_write_b64 v1, v[102:103]
	ds_write2_b64 v188, v[86:87], v[100:101] offset0:13 offset1:14
	ds_write2_b64 v188, v[84:85], v[98:99] offset0:15 offset1:16
	;; [unrolled: 1-line block ×9, first 2 shown]
	ds_read_b64 v[152:153], v1
	s_waitcnt lgkmcnt(0)
	v_cmp_neq_f64_e32 vcc_lo, 0, v[152:153]
	s_and_b32 exec_lo, exec_lo, vcc_lo
	s_cbranch_execz .LBB61_64
; %bb.63:
	v_div_scale_f64 v[154:155], null, v[152:153], v[152:153], 1.0
	v_rcp_f64_e32 v[156:157], v[154:155]
	v_fma_f64 v[158:159], -v[154:155], v[156:157], 1.0
	v_fma_f64 v[156:157], v[156:157], v[158:159], v[156:157]
	v_fma_f64 v[158:159], -v[154:155], v[156:157], 1.0
	v_fma_f64 v[156:157], v[156:157], v[158:159], v[156:157]
	v_div_scale_f64 v[158:159], vcc_lo, 1.0, v[152:153], 1.0
	v_mul_f64 v[160:161], v[158:159], v[156:157]
	v_fma_f64 v[154:155], -v[154:155], v[160:161], v[158:159]
	v_div_fmas_f64 v[154:155], v[154:155], v[156:157], v[160:161]
	v_div_fixup_f64 v[152:153], v[154:155], v[152:153], 1.0
	ds_write_b64 v1, v[152:153]
.LBB61_64:
	s_or_b32 exec_lo, exec_lo, s1
	s_waitcnt lgkmcnt(0)
	s_barrier
	buffer_gl0_inv
	ds_read_b64 v[152:153], v1
	s_mov_b32 s1, exec_lo
	v_cmpx_lt_u32_e32 12, v0
	s_cbranch_execz .LBB61_66
; %bb.65:
	s_waitcnt lgkmcnt(0)
	v_mul_f64 v[102:103], v[152:153], v[102:103]
	ds_read2_b64 v[154:157], v188 offset0:13 offset1:14
	ds_read2_b64 v[158:161], v188 offset0:15 offset1:16
	;; [unrolled: 1-line block ×9, first 2 shown]
	s_waitcnt lgkmcnt(8)
	v_fma_f64 v[86:87], -v[102:103], v[154:155], v[86:87]
	v_fma_f64 v[100:101], -v[102:103], v[156:157], v[100:101]
	s_waitcnt lgkmcnt(7)
	v_fma_f64 v[84:85], -v[102:103], v[158:159], v[84:85]
	v_fma_f64 v[98:99], -v[102:103], v[160:161], v[98:99]
	;; [unrolled: 3-line block ×9, first 2 shown]
.LBB61_66:
	s_or_b32 exec_lo, exec_lo, s1
	s_mov_b32 s1, exec_lo
	s_waitcnt lgkmcnt(0)
	s_barrier
	buffer_gl0_inv
	v_cmpx_eq_u32_e32 13, v0
	s_cbranch_execz .LBB61_69
; %bb.67:
	v_mov_b32_e32 v154, v100
	v_mov_b32_e32 v155, v101
	;; [unrolled: 1-line block ×12, first 2 shown]
	ds_write_b64 v1, v[86:87]
	ds_write2_b64 v188, v[154:155], v[156:157] offset0:14 offset1:15
	ds_write2_b64 v188, v[158:159], v[160:161] offset0:16 offset1:17
	;; [unrolled: 1-line block ×3, first 2 shown]
	v_mov_b32_e32 v154, v80
	v_mov_b32_e32 v155, v81
	;; [unrolled: 1-line block ×20, first 2 shown]
	ds_write2_b64 v188, v[154:155], v[156:157] offset0:20 offset1:21
	ds_write2_b64 v188, v[158:159], v[160:161] offset0:22 offset1:23
	;; [unrolled: 1-line block ×5, first 2 shown]
	ds_write_b64 v188, v[118:119] offset:240
	ds_read_b64 v[154:155], v1
	s_waitcnt lgkmcnt(0)
	v_cmp_neq_f64_e32 vcc_lo, 0, v[154:155]
	s_and_b32 exec_lo, exec_lo, vcc_lo
	s_cbranch_execz .LBB61_69
; %bb.68:
	v_div_scale_f64 v[156:157], null, v[154:155], v[154:155], 1.0
	v_rcp_f64_e32 v[158:159], v[156:157]
	v_fma_f64 v[160:161], -v[156:157], v[158:159], 1.0
	v_fma_f64 v[158:159], v[158:159], v[160:161], v[158:159]
	v_fma_f64 v[160:161], -v[156:157], v[158:159], 1.0
	v_fma_f64 v[158:159], v[158:159], v[160:161], v[158:159]
	v_div_scale_f64 v[160:161], vcc_lo, 1.0, v[154:155], 1.0
	v_mul_f64 v[162:163], v[160:161], v[158:159]
	v_fma_f64 v[156:157], -v[156:157], v[162:163], v[160:161]
	v_div_fmas_f64 v[156:157], v[156:157], v[158:159], v[162:163]
	v_div_fixup_f64 v[154:155], v[156:157], v[154:155], 1.0
	ds_write_b64 v1, v[154:155]
.LBB61_69:
	s_or_b32 exec_lo, exec_lo, s1
	s_waitcnt lgkmcnt(0)
	s_barrier
	buffer_gl0_inv
	ds_read_b64 v[154:155], v1
	s_mov_b32 s1, exec_lo
	v_cmpx_lt_u32_e32 13, v0
	s_cbranch_execz .LBB61_71
; %bb.70:
	s_waitcnt lgkmcnt(0)
	v_mul_f64 v[86:87], v[154:155], v[86:87]
	ds_read2_b64 v[156:159], v188 offset0:14 offset1:15
	ds_read2_b64 v[160:163], v188 offset0:16 offset1:17
	;; [unrolled: 1-line block ×8, first 2 shown]
	ds_read_b64 v[189:190], v188 offset:240
	s_waitcnt lgkmcnt(8)
	v_fma_f64 v[100:101], -v[86:87], v[156:157], v[100:101]
	v_fma_f64 v[84:85], -v[86:87], v[158:159], v[84:85]
	s_waitcnt lgkmcnt(7)
	v_fma_f64 v[98:99], -v[86:87], v[160:161], v[98:99]
	v_fma_f64 v[82:83], -v[86:87], v[162:163], v[82:83]
	;; [unrolled: 3-line block ×8, first 2 shown]
	s_waitcnt lgkmcnt(0)
	v_fma_f64 v[118:119], -v[86:87], v[189:190], v[118:119]
.LBB61_71:
	s_or_b32 exec_lo, exec_lo, s1
	s_mov_b32 s1, exec_lo
	s_waitcnt lgkmcnt(0)
	s_barrier
	buffer_gl0_inv
	v_cmpx_eq_u32_e32 14, v0
	s_cbranch_execz .LBB61_74
; %bb.72:
	ds_write_b64 v1, v[100:101]
	ds_write2_b64 v188, v[84:85], v[98:99] offset0:15 offset1:16
	ds_write2_b64 v188, v[82:83], v[96:97] offset0:17 offset1:18
	;; [unrolled: 1-line block ×8, first 2 shown]
	ds_read_b64 v[156:157], v1
	s_waitcnt lgkmcnt(0)
	v_cmp_neq_f64_e32 vcc_lo, 0, v[156:157]
	s_and_b32 exec_lo, exec_lo, vcc_lo
	s_cbranch_execz .LBB61_74
; %bb.73:
	v_div_scale_f64 v[158:159], null, v[156:157], v[156:157], 1.0
	v_rcp_f64_e32 v[160:161], v[158:159]
	v_fma_f64 v[162:163], -v[158:159], v[160:161], 1.0
	v_fma_f64 v[160:161], v[160:161], v[162:163], v[160:161]
	v_fma_f64 v[162:163], -v[158:159], v[160:161], 1.0
	v_fma_f64 v[160:161], v[160:161], v[162:163], v[160:161]
	v_div_scale_f64 v[162:163], vcc_lo, 1.0, v[156:157], 1.0
	v_mul_f64 v[164:165], v[162:163], v[160:161]
	v_fma_f64 v[158:159], -v[158:159], v[164:165], v[162:163]
	v_div_fmas_f64 v[158:159], v[158:159], v[160:161], v[164:165]
	v_div_fixup_f64 v[156:157], v[158:159], v[156:157], 1.0
	ds_write_b64 v1, v[156:157]
.LBB61_74:
	s_or_b32 exec_lo, exec_lo, s1
	s_waitcnt lgkmcnt(0)
	s_barrier
	buffer_gl0_inv
	ds_read_b64 v[156:157], v1
	s_mov_b32 s1, exec_lo
	v_cmpx_lt_u32_e32 14, v0
	s_cbranch_execz .LBB61_76
; %bb.75:
	s_waitcnt lgkmcnt(0)
	v_mul_f64 v[100:101], v[156:157], v[100:101]
	ds_read2_b64 v[158:161], v188 offset0:15 offset1:16
	ds_read2_b64 v[162:165], v188 offset0:17 offset1:18
	;; [unrolled: 1-line block ×8, first 2 shown]
	s_waitcnt lgkmcnt(7)
	v_fma_f64 v[84:85], -v[100:101], v[158:159], v[84:85]
	v_fma_f64 v[98:99], -v[100:101], v[160:161], v[98:99]
	s_waitcnt lgkmcnt(6)
	v_fma_f64 v[82:83], -v[100:101], v[162:163], v[82:83]
	v_fma_f64 v[96:97], -v[100:101], v[164:165], v[96:97]
	;; [unrolled: 3-line block ×8, first 2 shown]
.LBB61_76:
	s_or_b32 exec_lo, exec_lo, s1
	s_mov_b32 s1, exec_lo
	s_waitcnt lgkmcnt(0)
	s_barrier
	buffer_gl0_inv
	v_cmpx_eq_u32_e32 15, v0
	s_cbranch_execz .LBB61_79
; %bb.77:
	v_mov_b32_e32 v158, v98
	v_mov_b32_e32 v159, v99
	v_mov_b32_e32 v160, v82
	v_mov_b32_e32 v161, v83
	v_mov_b32_e32 v162, v96
	v_mov_b32_e32 v163, v97
	v_mov_b32_e32 v164, v72
	v_mov_b32_e32 v165, v73
	ds_write_b64 v1, v[84:85]
	ds_write2_b64 v188, v[158:159], v[160:161] offset0:16 offset1:17
	ds_write2_b64 v188, v[162:163], v[164:165] offset0:18 offset1:19
	v_mov_b32_e32 v158, v80
	v_mov_b32_e32 v159, v81
	;; [unrolled: 1-line block ×20, first 2 shown]
	ds_write2_b64 v188, v[158:159], v[160:161] offset0:20 offset1:21
	ds_write2_b64 v188, v[162:163], v[164:165] offset0:22 offset1:23
	;; [unrolled: 1-line block ×5, first 2 shown]
	ds_write_b64 v188, v[118:119] offset:240
	ds_read_b64 v[158:159], v1
	s_waitcnt lgkmcnt(0)
	v_cmp_neq_f64_e32 vcc_lo, 0, v[158:159]
	s_and_b32 exec_lo, exec_lo, vcc_lo
	s_cbranch_execz .LBB61_79
; %bb.78:
	v_div_scale_f64 v[160:161], null, v[158:159], v[158:159], 1.0
	v_rcp_f64_e32 v[162:163], v[160:161]
	v_fma_f64 v[164:165], -v[160:161], v[162:163], 1.0
	v_fma_f64 v[162:163], v[162:163], v[164:165], v[162:163]
	v_fma_f64 v[164:165], -v[160:161], v[162:163], 1.0
	v_fma_f64 v[162:163], v[162:163], v[164:165], v[162:163]
	v_div_scale_f64 v[164:165], vcc_lo, 1.0, v[158:159], 1.0
	v_mul_f64 v[166:167], v[164:165], v[162:163]
	v_fma_f64 v[160:161], -v[160:161], v[166:167], v[164:165]
	v_div_fmas_f64 v[160:161], v[160:161], v[162:163], v[166:167]
	v_div_fixup_f64 v[158:159], v[160:161], v[158:159], 1.0
	ds_write_b64 v1, v[158:159]
.LBB61_79:
	s_or_b32 exec_lo, exec_lo, s1
	s_waitcnt lgkmcnt(0)
	s_barrier
	buffer_gl0_inv
	ds_read_b64 v[158:159], v1
	s_mov_b32 s1, exec_lo
	v_cmpx_lt_u32_e32 15, v0
	s_cbranch_execz .LBB61_81
; %bb.80:
	s_waitcnt lgkmcnt(0)
	v_mul_f64 v[84:85], v[158:159], v[84:85]
	ds_read2_b64 v[160:163], v188 offset0:16 offset1:17
	ds_read2_b64 v[164:167], v188 offset0:18 offset1:19
	;; [unrolled: 1-line block ×7, first 2 shown]
	ds_read_b64 v[189:190], v188 offset:240
	s_waitcnt lgkmcnt(7)
	v_fma_f64 v[98:99], -v[84:85], v[160:161], v[98:99]
	v_fma_f64 v[82:83], -v[84:85], v[162:163], v[82:83]
	s_waitcnt lgkmcnt(6)
	v_fma_f64 v[96:97], -v[84:85], v[164:165], v[96:97]
	v_fma_f64 v[72:73], -v[84:85], v[166:167], v[72:73]
	;; [unrolled: 3-line block ×7, first 2 shown]
	s_waitcnt lgkmcnt(0)
	v_fma_f64 v[118:119], -v[84:85], v[189:190], v[118:119]
.LBB61_81:
	s_or_b32 exec_lo, exec_lo, s1
	s_mov_b32 s1, exec_lo
	s_waitcnt lgkmcnt(0)
	s_barrier
	buffer_gl0_inv
	v_cmpx_eq_u32_e32 16, v0
	s_cbranch_execz .LBB61_84
; %bb.82:
	ds_write_b64 v1, v[98:99]
	ds_write2_b64 v188, v[82:83], v[96:97] offset0:17 offset1:18
	ds_write2_b64 v188, v[72:73], v[80:81] offset0:19 offset1:20
	;; [unrolled: 1-line block ×7, first 2 shown]
	ds_read_b64 v[160:161], v1
	s_waitcnt lgkmcnt(0)
	v_cmp_neq_f64_e32 vcc_lo, 0, v[160:161]
	s_and_b32 exec_lo, exec_lo, vcc_lo
	s_cbranch_execz .LBB61_84
; %bb.83:
	v_div_scale_f64 v[162:163], null, v[160:161], v[160:161], 1.0
	v_rcp_f64_e32 v[164:165], v[162:163]
	v_fma_f64 v[166:167], -v[162:163], v[164:165], 1.0
	v_fma_f64 v[164:165], v[164:165], v[166:167], v[164:165]
	v_fma_f64 v[166:167], -v[162:163], v[164:165], 1.0
	v_fma_f64 v[164:165], v[164:165], v[166:167], v[164:165]
	v_div_scale_f64 v[166:167], vcc_lo, 1.0, v[160:161], 1.0
	v_mul_f64 v[168:169], v[166:167], v[164:165]
	v_fma_f64 v[162:163], -v[162:163], v[168:169], v[166:167]
	v_div_fmas_f64 v[162:163], v[162:163], v[164:165], v[168:169]
	v_div_fixup_f64 v[160:161], v[162:163], v[160:161], 1.0
	ds_write_b64 v1, v[160:161]
.LBB61_84:
	s_or_b32 exec_lo, exec_lo, s1
	s_waitcnt lgkmcnt(0)
	s_barrier
	buffer_gl0_inv
	ds_read_b64 v[160:161], v1
	s_mov_b32 s1, exec_lo
	v_cmpx_lt_u32_e32 16, v0
	s_cbranch_execz .LBB61_86
; %bb.85:
	s_waitcnt lgkmcnt(0)
	v_mul_f64 v[98:99], v[160:161], v[98:99]
	ds_read2_b64 v[162:165], v188 offset0:17 offset1:18
	ds_read2_b64 v[166:169], v188 offset0:19 offset1:20
	;; [unrolled: 1-line block ×7, first 2 shown]
	s_waitcnt lgkmcnt(6)
	v_fma_f64 v[82:83], -v[98:99], v[162:163], v[82:83]
	v_fma_f64 v[96:97], -v[98:99], v[164:165], v[96:97]
	s_waitcnt lgkmcnt(5)
	v_fma_f64 v[72:73], -v[98:99], v[166:167], v[72:73]
	v_fma_f64 v[80:81], -v[98:99], v[168:169], v[80:81]
	;; [unrolled: 3-line block ×7, first 2 shown]
.LBB61_86:
	s_or_b32 exec_lo, exec_lo, s1
	s_mov_b32 s1, exec_lo
	s_waitcnt lgkmcnt(0)
	s_barrier
	buffer_gl0_inv
	v_cmpx_eq_u32_e32 17, v0
	s_cbranch_execz .LBB61_89
; %bb.87:
	v_mov_b32_e32 v162, v96
	v_mov_b32_e32 v163, v97
	v_mov_b32_e32 v164, v72
	v_mov_b32_e32 v165, v73
	ds_write_b64 v1, v[82:83]
	ds_write2_b64 v188, v[162:163], v[164:165] offset0:18 offset1:19
	v_mov_b32_e32 v162, v80
	v_mov_b32_e32 v163, v81
	;; [unrolled: 1-line block ×20, first 2 shown]
	ds_write2_b64 v188, v[162:163], v[164:165] offset0:20 offset1:21
	ds_write2_b64 v188, v[166:167], v[168:169] offset0:22 offset1:23
	;; [unrolled: 1-line block ×5, first 2 shown]
	ds_write_b64 v188, v[118:119] offset:240
	ds_read_b64 v[162:163], v1
	s_waitcnt lgkmcnt(0)
	v_cmp_neq_f64_e32 vcc_lo, 0, v[162:163]
	s_and_b32 exec_lo, exec_lo, vcc_lo
	s_cbranch_execz .LBB61_89
; %bb.88:
	v_div_scale_f64 v[164:165], null, v[162:163], v[162:163], 1.0
	v_rcp_f64_e32 v[166:167], v[164:165]
	v_fma_f64 v[168:169], -v[164:165], v[166:167], 1.0
	v_fma_f64 v[166:167], v[166:167], v[168:169], v[166:167]
	v_fma_f64 v[168:169], -v[164:165], v[166:167], 1.0
	v_fma_f64 v[166:167], v[166:167], v[168:169], v[166:167]
	v_div_scale_f64 v[168:169], vcc_lo, 1.0, v[162:163], 1.0
	v_mul_f64 v[170:171], v[168:169], v[166:167]
	v_fma_f64 v[164:165], -v[164:165], v[170:171], v[168:169]
	v_div_fmas_f64 v[164:165], v[164:165], v[166:167], v[170:171]
	v_div_fixup_f64 v[162:163], v[164:165], v[162:163], 1.0
	ds_write_b64 v1, v[162:163]
.LBB61_89:
	s_or_b32 exec_lo, exec_lo, s1
	s_waitcnt lgkmcnt(0)
	s_barrier
	buffer_gl0_inv
	ds_read_b64 v[162:163], v1
	s_mov_b32 s1, exec_lo
	v_cmpx_lt_u32_e32 17, v0
	s_cbranch_execz .LBB61_91
; %bb.90:
	s_waitcnt lgkmcnt(0)
	v_mul_f64 v[82:83], v[162:163], v[82:83]
	ds_read2_b64 v[164:167], v188 offset0:18 offset1:19
	ds_read2_b64 v[168:171], v188 offset0:20 offset1:21
	;; [unrolled: 1-line block ×6, first 2 shown]
	ds_read_b64 v[189:190], v188 offset:240
	s_waitcnt lgkmcnt(6)
	v_fma_f64 v[96:97], -v[82:83], v[164:165], v[96:97]
	v_fma_f64 v[72:73], -v[82:83], v[166:167], v[72:73]
	s_waitcnt lgkmcnt(5)
	v_fma_f64 v[80:81], -v[82:83], v[168:169], v[80:81]
	v_fma_f64 v[70:71], -v[82:83], v[170:171], v[70:71]
	;; [unrolled: 3-line block ×6, first 2 shown]
	s_waitcnt lgkmcnt(0)
	v_fma_f64 v[118:119], -v[82:83], v[189:190], v[118:119]
.LBB61_91:
	s_or_b32 exec_lo, exec_lo, s1
	s_mov_b32 s1, exec_lo
	s_waitcnt lgkmcnt(0)
	s_barrier
	buffer_gl0_inv
	v_cmpx_eq_u32_e32 18, v0
	s_cbranch_execz .LBB61_94
; %bb.92:
	ds_write_b64 v1, v[96:97]
	ds_write2_b64 v188, v[72:73], v[80:81] offset0:19 offset1:20
	ds_write2_b64 v188, v[70:71], v[78:79] offset0:21 offset1:22
	;; [unrolled: 1-line block ×6, first 2 shown]
	ds_read_b64 v[164:165], v1
	s_waitcnt lgkmcnt(0)
	v_cmp_neq_f64_e32 vcc_lo, 0, v[164:165]
	s_and_b32 exec_lo, exec_lo, vcc_lo
	s_cbranch_execz .LBB61_94
; %bb.93:
	v_div_scale_f64 v[166:167], null, v[164:165], v[164:165], 1.0
	v_rcp_f64_e32 v[168:169], v[166:167]
	v_fma_f64 v[170:171], -v[166:167], v[168:169], 1.0
	v_fma_f64 v[168:169], v[168:169], v[170:171], v[168:169]
	v_fma_f64 v[170:171], -v[166:167], v[168:169], 1.0
	v_fma_f64 v[168:169], v[168:169], v[170:171], v[168:169]
	v_div_scale_f64 v[170:171], vcc_lo, 1.0, v[164:165], 1.0
	v_mul_f64 v[172:173], v[170:171], v[168:169]
	v_fma_f64 v[166:167], -v[166:167], v[172:173], v[170:171]
	v_div_fmas_f64 v[166:167], v[166:167], v[168:169], v[172:173]
	v_div_fixup_f64 v[164:165], v[166:167], v[164:165], 1.0
	ds_write_b64 v1, v[164:165]
.LBB61_94:
	s_or_b32 exec_lo, exec_lo, s1
	s_waitcnt lgkmcnt(0)
	s_barrier
	buffer_gl0_inv
	ds_read_b64 v[164:165], v1
	s_mov_b32 s1, exec_lo
	v_cmpx_lt_u32_e32 18, v0
	s_cbranch_execz .LBB61_96
; %bb.95:
	s_waitcnt lgkmcnt(0)
	v_mul_f64 v[96:97], v[164:165], v[96:97]
	ds_read2_b64 v[166:169], v188 offset0:19 offset1:20
	ds_read2_b64 v[170:173], v188 offset0:21 offset1:22
	;; [unrolled: 1-line block ×6, first 2 shown]
	s_waitcnt lgkmcnt(5)
	v_fma_f64 v[72:73], -v[96:97], v[166:167], v[72:73]
	v_fma_f64 v[80:81], -v[96:97], v[168:169], v[80:81]
	s_waitcnt lgkmcnt(4)
	v_fma_f64 v[70:71], -v[96:97], v[170:171], v[70:71]
	v_fma_f64 v[78:79], -v[96:97], v[172:173], v[78:79]
	;; [unrolled: 3-line block ×6, first 2 shown]
.LBB61_96:
	s_or_b32 exec_lo, exec_lo, s1
	s_mov_b32 s1, exec_lo
	s_waitcnt lgkmcnt(0)
	s_barrier
	buffer_gl0_inv
	v_cmpx_eq_u32_e32 19, v0
	s_cbranch_execz .LBB61_99
; %bb.97:
	v_mov_b32_e32 v166, v80
	v_mov_b32_e32 v167, v81
	;; [unrolled: 1-line block ×20, first 2 shown]
	ds_write_b64 v1, v[72:73]
	ds_write2_b64 v188, v[166:167], v[168:169] offset0:20 offset1:21
	ds_write2_b64 v188, v[170:171], v[172:173] offset0:22 offset1:23
	;; [unrolled: 1-line block ×5, first 2 shown]
	ds_write_b64 v188, v[118:119] offset:240
	ds_read_b64 v[166:167], v1
	s_waitcnt lgkmcnt(0)
	v_cmp_neq_f64_e32 vcc_lo, 0, v[166:167]
	s_and_b32 exec_lo, exec_lo, vcc_lo
	s_cbranch_execz .LBB61_99
; %bb.98:
	v_div_scale_f64 v[168:169], null, v[166:167], v[166:167], 1.0
	v_rcp_f64_e32 v[170:171], v[168:169]
	v_fma_f64 v[172:173], -v[168:169], v[170:171], 1.0
	v_fma_f64 v[170:171], v[170:171], v[172:173], v[170:171]
	v_fma_f64 v[172:173], -v[168:169], v[170:171], 1.0
	v_fma_f64 v[170:171], v[170:171], v[172:173], v[170:171]
	v_div_scale_f64 v[172:173], vcc_lo, 1.0, v[166:167], 1.0
	v_mul_f64 v[174:175], v[172:173], v[170:171]
	v_fma_f64 v[168:169], -v[168:169], v[174:175], v[172:173]
	v_div_fmas_f64 v[168:169], v[168:169], v[170:171], v[174:175]
	v_div_fixup_f64 v[166:167], v[168:169], v[166:167], 1.0
	ds_write_b64 v1, v[166:167]
.LBB61_99:
	s_or_b32 exec_lo, exec_lo, s1
	s_waitcnt lgkmcnt(0)
	s_barrier
	buffer_gl0_inv
	ds_read_b64 v[166:167], v1
	s_mov_b32 s1, exec_lo
	v_cmpx_lt_u32_e32 19, v0
	s_cbranch_execz .LBB61_101
; %bb.100:
	s_waitcnt lgkmcnt(0)
	v_mul_f64 v[72:73], v[166:167], v[72:73]
	ds_read2_b64 v[168:171], v188 offset0:20 offset1:21
	ds_read2_b64 v[172:175], v188 offset0:22 offset1:23
	;; [unrolled: 1-line block ×5, first 2 shown]
	ds_read_b64 v[189:190], v188 offset:240
	s_waitcnt lgkmcnt(5)
	v_fma_f64 v[80:81], -v[72:73], v[168:169], v[80:81]
	v_fma_f64 v[70:71], -v[72:73], v[170:171], v[70:71]
	s_waitcnt lgkmcnt(4)
	v_fma_f64 v[78:79], -v[72:73], v[172:173], v[78:79]
	v_fma_f64 v[68:69], -v[72:73], v[174:175], v[68:69]
	;; [unrolled: 3-line block ×5, first 2 shown]
	s_waitcnt lgkmcnt(0)
	v_fma_f64 v[118:119], -v[72:73], v[189:190], v[118:119]
.LBB61_101:
	s_or_b32 exec_lo, exec_lo, s1
	s_mov_b32 s1, exec_lo
	s_waitcnt lgkmcnt(0)
	s_barrier
	buffer_gl0_inv
	v_cmpx_eq_u32_e32 20, v0
	s_cbranch_execz .LBB61_104
; %bb.102:
	ds_write_b64 v1, v[80:81]
	ds_write2_b64 v188, v[70:71], v[78:79] offset0:21 offset1:22
	ds_write2_b64 v188, v[68:69], v[76:77] offset0:23 offset1:24
	;; [unrolled: 1-line block ×5, first 2 shown]
	ds_read_b64 v[168:169], v1
	s_waitcnt lgkmcnt(0)
	v_cmp_neq_f64_e32 vcc_lo, 0, v[168:169]
	s_and_b32 exec_lo, exec_lo, vcc_lo
	s_cbranch_execz .LBB61_104
; %bb.103:
	v_div_scale_f64 v[170:171], null, v[168:169], v[168:169], 1.0
	v_rcp_f64_e32 v[172:173], v[170:171]
	v_fma_f64 v[174:175], -v[170:171], v[172:173], 1.0
	v_fma_f64 v[172:173], v[172:173], v[174:175], v[172:173]
	v_fma_f64 v[174:175], -v[170:171], v[172:173], 1.0
	v_fma_f64 v[172:173], v[172:173], v[174:175], v[172:173]
	v_div_scale_f64 v[174:175], vcc_lo, 1.0, v[168:169], 1.0
	v_mul_f64 v[176:177], v[174:175], v[172:173]
	v_fma_f64 v[170:171], -v[170:171], v[176:177], v[174:175]
	v_div_fmas_f64 v[170:171], v[170:171], v[172:173], v[176:177]
	v_div_fixup_f64 v[168:169], v[170:171], v[168:169], 1.0
	ds_write_b64 v1, v[168:169]
.LBB61_104:
	s_or_b32 exec_lo, exec_lo, s1
	s_waitcnt lgkmcnt(0)
	s_barrier
	buffer_gl0_inv
	ds_read_b64 v[168:169], v1
	s_mov_b32 s1, exec_lo
	v_cmpx_lt_u32_e32 20, v0
	s_cbranch_execz .LBB61_106
; %bb.105:
	s_waitcnt lgkmcnt(0)
	v_mul_f64 v[80:81], v[168:169], v[80:81]
	ds_read2_b64 v[170:173], v188 offset0:21 offset1:22
	ds_read2_b64 v[174:177], v188 offset0:23 offset1:24
	;; [unrolled: 1-line block ×5, first 2 shown]
	s_waitcnt lgkmcnt(4)
	v_fma_f64 v[70:71], -v[80:81], v[170:171], v[70:71]
	v_fma_f64 v[78:79], -v[80:81], v[172:173], v[78:79]
	s_waitcnt lgkmcnt(3)
	v_fma_f64 v[68:69], -v[80:81], v[174:175], v[68:69]
	v_fma_f64 v[76:77], -v[80:81], v[176:177], v[76:77]
	;; [unrolled: 3-line block ×5, first 2 shown]
.LBB61_106:
	s_or_b32 exec_lo, exec_lo, s1
	s_mov_b32 s1, exec_lo
	s_waitcnt lgkmcnt(0)
	s_barrier
	buffer_gl0_inv
	v_cmpx_eq_u32_e32 21, v0
	s_cbranch_execz .LBB61_109
; %bb.107:
	v_mov_b32_e32 v170, v78
	v_mov_b32_e32 v171, v79
	;; [unrolled: 1-line block ×16, first 2 shown]
	ds_write_b64 v1, v[70:71]
	ds_write2_b64 v188, v[170:171], v[172:173] offset0:22 offset1:23
	ds_write2_b64 v188, v[174:175], v[176:177] offset0:24 offset1:25
	;; [unrolled: 1-line block ×4, first 2 shown]
	ds_write_b64 v188, v[118:119] offset:240
	ds_read_b64 v[170:171], v1
	s_waitcnt lgkmcnt(0)
	v_cmp_neq_f64_e32 vcc_lo, 0, v[170:171]
	s_and_b32 exec_lo, exec_lo, vcc_lo
	s_cbranch_execz .LBB61_109
; %bb.108:
	v_div_scale_f64 v[172:173], null, v[170:171], v[170:171], 1.0
	v_rcp_f64_e32 v[174:175], v[172:173]
	v_fma_f64 v[176:177], -v[172:173], v[174:175], 1.0
	v_fma_f64 v[174:175], v[174:175], v[176:177], v[174:175]
	v_fma_f64 v[176:177], -v[172:173], v[174:175], 1.0
	v_fma_f64 v[174:175], v[174:175], v[176:177], v[174:175]
	v_div_scale_f64 v[176:177], vcc_lo, 1.0, v[170:171], 1.0
	v_mul_f64 v[178:179], v[176:177], v[174:175]
	v_fma_f64 v[172:173], -v[172:173], v[178:179], v[176:177]
	v_div_fmas_f64 v[172:173], v[172:173], v[174:175], v[178:179]
	v_div_fixup_f64 v[170:171], v[172:173], v[170:171], 1.0
	ds_write_b64 v1, v[170:171]
.LBB61_109:
	s_or_b32 exec_lo, exec_lo, s1
	s_waitcnt lgkmcnt(0)
	s_barrier
	buffer_gl0_inv
	ds_read_b64 v[170:171], v1
	s_mov_b32 s1, exec_lo
	v_cmpx_lt_u32_e32 21, v0
	s_cbranch_execz .LBB61_111
; %bb.110:
	s_waitcnt lgkmcnt(0)
	v_mul_f64 v[70:71], v[170:171], v[70:71]
	ds_read2_b64 v[172:175], v188 offset0:22 offset1:23
	ds_read2_b64 v[176:179], v188 offset0:24 offset1:25
	;; [unrolled: 1-line block ×4, first 2 shown]
	ds_read_b64 v[189:190], v188 offset:240
	s_waitcnt lgkmcnt(4)
	v_fma_f64 v[78:79], -v[70:71], v[172:173], v[78:79]
	v_fma_f64 v[68:69], -v[70:71], v[174:175], v[68:69]
	s_waitcnt lgkmcnt(3)
	v_fma_f64 v[76:77], -v[70:71], v[176:177], v[76:77]
	v_fma_f64 v[66:67], -v[70:71], v[178:179], v[66:67]
	;; [unrolled: 3-line block ×4, first 2 shown]
	s_waitcnt lgkmcnt(0)
	v_fma_f64 v[118:119], -v[70:71], v[189:190], v[118:119]
.LBB61_111:
	s_or_b32 exec_lo, exec_lo, s1
	s_mov_b32 s1, exec_lo
	s_waitcnt lgkmcnt(0)
	s_barrier
	buffer_gl0_inv
	v_cmpx_eq_u32_e32 22, v0
	s_cbranch_execz .LBB61_114
; %bb.112:
	ds_write_b64 v1, v[78:79]
	ds_write2_b64 v188, v[68:69], v[76:77] offset0:23 offset1:24
	ds_write2_b64 v188, v[66:67], v[74:75] offset0:25 offset1:26
	;; [unrolled: 1-line block ×4, first 2 shown]
	ds_read_b64 v[172:173], v1
	s_waitcnt lgkmcnt(0)
	v_cmp_neq_f64_e32 vcc_lo, 0, v[172:173]
	s_and_b32 exec_lo, exec_lo, vcc_lo
	s_cbranch_execz .LBB61_114
; %bb.113:
	v_div_scale_f64 v[174:175], null, v[172:173], v[172:173], 1.0
	v_rcp_f64_e32 v[176:177], v[174:175]
	v_fma_f64 v[178:179], -v[174:175], v[176:177], 1.0
	v_fma_f64 v[176:177], v[176:177], v[178:179], v[176:177]
	v_fma_f64 v[178:179], -v[174:175], v[176:177], 1.0
	v_fma_f64 v[176:177], v[176:177], v[178:179], v[176:177]
	v_div_scale_f64 v[178:179], vcc_lo, 1.0, v[172:173], 1.0
	v_mul_f64 v[180:181], v[178:179], v[176:177]
	v_fma_f64 v[174:175], -v[174:175], v[180:181], v[178:179]
	v_div_fmas_f64 v[174:175], v[174:175], v[176:177], v[180:181]
	v_div_fixup_f64 v[172:173], v[174:175], v[172:173], 1.0
	ds_write_b64 v1, v[172:173]
.LBB61_114:
	s_or_b32 exec_lo, exec_lo, s1
	s_waitcnt lgkmcnt(0)
	s_barrier
	buffer_gl0_inv
	ds_read_b64 v[172:173], v1
	s_mov_b32 s1, exec_lo
	v_cmpx_lt_u32_e32 22, v0
	s_cbranch_execz .LBB61_116
; %bb.115:
	s_waitcnt lgkmcnt(0)
	v_mul_f64 v[78:79], v[172:173], v[78:79]
	ds_read2_b64 v[174:177], v188 offset0:23 offset1:24
	ds_read2_b64 v[178:181], v188 offset0:25 offset1:26
	;; [unrolled: 1-line block ×4, first 2 shown]
	s_waitcnt lgkmcnt(3)
	v_fma_f64 v[68:69], -v[78:79], v[174:175], v[68:69]
	v_fma_f64 v[76:77], -v[78:79], v[176:177], v[76:77]
	s_waitcnt lgkmcnt(2)
	v_fma_f64 v[66:67], -v[78:79], v[178:179], v[66:67]
	v_fma_f64 v[74:75], -v[78:79], v[180:181], v[74:75]
	;; [unrolled: 3-line block ×4, first 2 shown]
.LBB61_116:
	s_or_b32 exec_lo, exec_lo, s1
	s_mov_b32 s1, exec_lo
	s_waitcnt lgkmcnt(0)
	s_barrier
	buffer_gl0_inv
	v_cmpx_eq_u32_e32 23, v0
	s_cbranch_execz .LBB61_119
; %bb.117:
	v_mov_b32_e32 v174, v76
	v_mov_b32_e32 v175, v77
	;; [unrolled: 1-line block ×12, first 2 shown]
	ds_write_b64 v1, v[68:69]
	ds_write2_b64 v188, v[174:175], v[176:177] offset0:24 offset1:25
	ds_write2_b64 v188, v[178:179], v[180:181] offset0:26 offset1:27
	;; [unrolled: 1-line block ×3, first 2 shown]
	ds_write_b64 v188, v[118:119] offset:240
	ds_read_b64 v[174:175], v1
	s_waitcnt lgkmcnt(0)
	v_cmp_neq_f64_e32 vcc_lo, 0, v[174:175]
	s_and_b32 exec_lo, exec_lo, vcc_lo
	s_cbranch_execz .LBB61_119
; %bb.118:
	v_div_scale_f64 v[176:177], null, v[174:175], v[174:175], 1.0
	v_rcp_f64_e32 v[178:179], v[176:177]
	v_fma_f64 v[180:181], -v[176:177], v[178:179], 1.0
	v_fma_f64 v[178:179], v[178:179], v[180:181], v[178:179]
	v_fma_f64 v[180:181], -v[176:177], v[178:179], 1.0
	v_fma_f64 v[178:179], v[178:179], v[180:181], v[178:179]
	v_div_scale_f64 v[180:181], vcc_lo, 1.0, v[174:175], 1.0
	v_mul_f64 v[182:183], v[180:181], v[178:179]
	v_fma_f64 v[176:177], -v[176:177], v[182:183], v[180:181]
	v_div_fmas_f64 v[176:177], v[176:177], v[178:179], v[182:183]
	v_div_fixup_f64 v[174:175], v[176:177], v[174:175], 1.0
	ds_write_b64 v1, v[174:175]
.LBB61_119:
	s_or_b32 exec_lo, exec_lo, s1
	s_waitcnt lgkmcnt(0)
	s_barrier
	buffer_gl0_inv
	ds_read_b64 v[174:175], v1
	s_mov_b32 s1, exec_lo
	v_cmpx_lt_u32_e32 23, v0
	s_cbranch_execz .LBB61_121
; %bb.120:
	s_waitcnt lgkmcnt(0)
	v_mul_f64 v[68:69], v[174:175], v[68:69]
	ds_read2_b64 v[176:179], v188 offset0:24 offset1:25
	ds_read2_b64 v[180:183], v188 offset0:26 offset1:27
	;; [unrolled: 1-line block ×3, first 2 shown]
	ds_read_b64 v[189:190], v188 offset:240
	s_waitcnt lgkmcnt(3)
	v_fma_f64 v[76:77], -v[68:69], v[176:177], v[76:77]
	v_fma_f64 v[66:67], -v[68:69], v[178:179], v[66:67]
	s_waitcnt lgkmcnt(2)
	v_fma_f64 v[74:75], -v[68:69], v[180:181], v[74:75]
	v_fma_f64 v[64:65], -v[68:69], v[182:183], v[64:65]
	;; [unrolled: 3-line block ×3, first 2 shown]
	s_waitcnt lgkmcnt(0)
	v_fma_f64 v[118:119], -v[68:69], v[189:190], v[118:119]
.LBB61_121:
	s_or_b32 exec_lo, exec_lo, s1
	s_mov_b32 s1, exec_lo
	s_waitcnt lgkmcnt(0)
	s_barrier
	buffer_gl0_inv
	v_cmpx_eq_u32_e32 24, v0
	s_cbranch_execz .LBB61_124
; %bb.122:
	ds_write_b64 v1, v[76:77]
	ds_write2_b64 v188, v[66:67], v[74:75] offset0:25 offset1:26
	ds_write2_b64 v188, v[64:65], v[116:117] offset0:27 offset1:28
	;; [unrolled: 1-line block ×3, first 2 shown]
	ds_read_b64 v[176:177], v1
	s_waitcnt lgkmcnt(0)
	v_cmp_neq_f64_e32 vcc_lo, 0, v[176:177]
	s_and_b32 exec_lo, exec_lo, vcc_lo
	s_cbranch_execz .LBB61_124
; %bb.123:
	v_div_scale_f64 v[178:179], null, v[176:177], v[176:177], 1.0
	v_rcp_f64_e32 v[180:181], v[178:179]
	v_fma_f64 v[182:183], -v[178:179], v[180:181], 1.0
	v_fma_f64 v[180:181], v[180:181], v[182:183], v[180:181]
	v_fma_f64 v[182:183], -v[178:179], v[180:181], 1.0
	v_fma_f64 v[180:181], v[180:181], v[182:183], v[180:181]
	v_div_scale_f64 v[182:183], vcc_lo, 1.0, v[176:177], 1.0
	v_mul_f64 v[184:185], v[182:183], v[180:181]
	v_fma_f64 v[178:179], -v[178:179], v[184:185], v[182:183]
	v_div_fmas_f64 v[178:179], v[178:179], v[180:181], v[184:185]
	v_div_fixup_f64 v[176:177], v[178:179], v[176:177], 1.0
	ds_write_b64 v1, v[176:177]
.LBB61_124:
	s_or_b32 exec_lo, exec_lo, s1
	s_waitcnt lgkmcnt(0)
	s_barrier
	buffer_gl0_inv
	ds_read_b64 v[176:177], v1
	s_mov_b32 s1, exec_lo
	v_cmpx_lt_u32_e32 24, v0
	s_cbranch_execz .LBB61_126
; %bb.125:
	s_waitcnt lgkmcnt(0)
	v_mul_f64 v[76:77], v[176:177], v[76:77]
	ds_read2_b64 v[178:181], v188 offset0:25 offset1:26
	ds_read2_b64 v[182:185], v188 offset0:27 offset1:28
	;; [unrolled: 1-line block ×3, first 2 shown]
	s_waitcnt lgkmcnt(2)
	v_fma_f64 v[66:67], -v[76:77], v[178:179], v[66:67]
	v_fma_f64 v[74:75], -v[76:77], v[180:181], v[74:75]
	s_waitcnt lgkmcnt(1)
	v_fma_f64 v[64:65], -v[76:77], v[182:183], v[64:65]
	v_fma_f64 v[116:117], -v[76:77], v[184:185], v[116:117]
	;; [unrolled: 3-line block ×3, first 2 shown]
.LBB61_126:
	s_or_b32 exec_lo, exec_lo, s1
	s_mov_b32 s1, exec_lo
	s_waitcnt lgkmcnt(0)
	s_barrier
	buffer_gl0_inv
	v_cmpx_eq_u32_e32 25, v0
	s_cbranch_execz .LBB61_129
; %bb.127:
	v_mov_b32_e32 v178, v74
	v_mov_b32_e32 v179, v75
	;; [unrolled: 1-line block ×8, first 2 shown]
	ds_write_b64 v1, v[66:67]
	ds_write2_b64 v188, v[178:179], v[180:181] offset0:26 offset1:27
	ds_write2_b64 v188, v[182:183], v[184:185] offset0:28 offset1:29
	ds_write_b64 v188, v[118:119] offset:240
	ds_read_b64 v[178:179], v1
	s_waitcnt lgkmcnt(0)
	v_cmp_neq_f64_e32 vcc_lo, 0, v[178:179]
	s_and_b32 exec_lo, exec_lo, vcc_lo
	s_cbranch_execz .LBB61_129
; %bb.128:
	v_div_scale_f64 v[180:181], null, v[178:179], v[178:179], 1.0
	v_rcp_f64_e32 v[182:183], v[180:181]
	v_fma_f64 v[184:185], -v[180:181], v[182:183], 1.0
	v_fma_f64 v[182:183], v[182:183], v[184:185], v[182:183]
	v_fma_f64 v[184:185], -v[180:181], v[182:183], 1.0
	v_fma_f64 v[182:183], v[182:183], v[184:185], v[182:183]
	v_div_scale_f64 v[184:185], vcc_lo, 1.0, v[178:179], 1.0
	v_mul_f64 v[186:187], v[184:185], v[182:183]
	v_fma_f64 v[180:181], -v[180:181], v[186:187], v[184:185]
	v_div_fmas_f64 v[180:181], v[180:181], v[182:183], v[186:187]
	v_div_fixup_f64 v[178:179], v[180:181], v[178:179], 1.0
	ds_write_b64 v1, v[178:179]
.LBB61_129:
	s_or_b32 exec_lo, exec_lo, s1
	s_waitcnt lgkmcnt(0)
	s_barrier
	buffer_gl0_inv
	ds_read_b64 v[178:179], v1
	s_mov_b32 s1, exec_lo
	v_cmpx_lt_u32_e32 25, v0
	s_cbranch_execz .LBB61_131
; %bb.130:
	s_waitcnt lgkmcnt(0)
	v_mul_f64 v[66:67], v[178:179], v[66:67]
	ds_read2_b64 v[180:183], v188 offset0:26 offset1:27
	ds_read2_b64 v[184:187], v188 offset0:28 offset1:29
	ds_read_b64 v[189:190], v188 offset:240
	s_waitcnt lgkmcnt(2)
	v_fma_f64 v[74:75], -v[66:67], v[180:181], v[74:75]
	v_fma_f64 v[64:65], -v[66:67], v[182:183], v[64:65]
	s_waitcnt lgkmcnt(1)
	v_fma_f64 v[116:117], -v[66:67], v[184:185], v[116:117]
	v_fma_f64 v[114:115], -v[66:67], v[186:187], v[114:115]
	s_waitcnt lgkmcnt(0)
	v_fma_f64 v[118:119], -v[66:67], v[189:190], v[118:119]
.LBB61_131:
	s_or_b32 exec_lo, exec_lo, s1
	s_mov_b32 s1, exec_lo
	s_waitcnt lgkmcnt(0)
	s_barrier
	buffer_gl0_inv
	v_cmpx_eq_u32_e32 26, v0
	s_cbranch_execz .LBB61_134
; %bb.132:
	ds_write_b64 v1, v[74:75]
	ds_write2_b64 v188, v[64:65], v[116:117] offset0:27 offset1:28
	ds_write2_b64 v188, v[114:115], v[118:119] offset0:29 offset1:30
	ds_read_b64 v[180:181], v1
	s_waitcnt lgkmcnt(0)
	v_cmp_neq_f64_e32 vcc_lo, 0, v[180:181]
	s_and_b32 exec_lo, exec_lo, vcc_lo
	s_cbranch_execz .LBB61_134
; %bb.133:
	v_div_scale_f64 v[182:183], null, v[180:181], v[180:181], 1.0
	v_rcp_f64_e32 v[184:185], v[182:183]
	v_fma_f64 v[186:187], -v[182:183], v[184:185], 1.0
	v_fma_f64 v[184:185], v[184:185], v[186:187], v[184:185]
	v_fma_f64 v[186:187], -v[182:183], v[184:185], 1.0
	v_fma_f64 v[184:185], v[184:185], v[186:187], v[184:185]
	v_div_scale_f64 v[186:187], vcc_lo, 1.0, v[180:181], 1.0
	v_mul_f64 v[189:190], v[186:187], v[184:185]
	v_fma_f64 v[182:183], -v[182:183], v[189:190], v[186:187]
	v_div_fmas_f64 v[182:183], v[182:183], v[184:185], v[189:190]
	v_div_fixup_f64 v[180:181], v[182:183], v[180:181], 1.0
	ds_write_b64 v1, v[180:181]
.LBB61_134:
	s_or_b32 exec_lo, exec_lo, s1
	s_waitcnt lgkmcnt(0)
	s_barrier
	buffer_gl0_inv
	ds_read_b64 v[180:181], v1
	s_mov_b32 s1, exec_lo
	v_cmpx_lt_u32_e32 26, v0
	s_cbranch_execz .LBB61_136
; %bb.135:
	s_waitcnt lgkmcnt(0)
	v_mul_f64 v[74:75], v[180:181], v[74:75]
	ds_read2_b64 v[182:185], v188 offset0:27 offset1:28
	ds_read2_b64 v[189:192], v188 offset0:29 offset1:30
	s_waitcnt lgkmcnt(1)
	v_fma_f64 v[64:65], -v[74:75], v[182:183], v[64:65]
	v_fma_f64 v[116:117], -v[74:75], v[184:185], v[116:117]
	s_waitcnt lgkmcnt(0)
	v_fma_f64 v[114:115], -v[74:75], v[189:190], v[114:115]
	v_fma_f64 v[118:119], -v[74:75], v[191:192], v[118:119]
.LBB61_136:
	s_or_b32 exec_lo, exec_lo, s1
	s_mov_b32 s1, exec_lo
	s_waitcnt lgkmcnt(0)
	s_barrier
	buffer_gl0_inv
	v_cmpx_eq_u32_e32 27, v0
	s_cbranch_execz .LBB61_139
; %bb.137:
	v_mov_b32_e32 v182, v116
	v_mov_b32_e32 v183, v117
	;; [unrolled: 1-line block ×4, first 2 shown]
	ds_write_b64 v1, v[64:65]
	ds_write2_b64 v188, v[182:183], v[184:185] offset0:28 offset1:29
	ds_write_b64 v188, v[118:119] offset:240
	ds_read_b64 v[182:183], v1
	s_waitcnt lgkmcnt(0)
	v_cmp_neq_f64_e32 vcc_lo, 0, v[182:183]
	s_and_b32 exec_lo, exec_lo, vcc_lo
	s_cbranch_execz .LBB61_139
; %bb.138:
	v_div_scale_f64 v[184:185], null, v[182:183], v[182:183], 1.0
	v_rcp_f64_e32 v[186:187], v[184:185]
	v_fma_f64 v[189:190], -v[184:185], v[186:187], 1.0
	v_fma_f64 v[186:187], v[186:187], v[189:190], v[186:187]
	v_fma_f64 v[189:190], -v[184:185], v[186:187], 1.0
	v_fma_f64 v[186:187], v[186:187], v[189:190], v[186:187]
	v_div_scale_f64 v[189:190], vcc_lo, 1.0, v[182:183], 1.0
	v_mul_f64 v[191:192], v[189:190], v[186:187]
	v_fma_f64 v[184:185], -v[184:185], v[191:192], v[189:190]
	v_div_fmas_f64 v[184:185], v[184:185], v[186:187], v[191:192]
	v_div_fixup_f64 v[182:183], v[184:185], v[182:183], 1.0
	ds_write_b64 v1, v[182:183]
.LBB61_139:
	s_or_b32 exec_lo, exec_lo, s1
	s_waitcnt lgkmcnt(0)
	s_barrier
	buffer_gl0_inv
	ds_read_b64 v[182:183], v1
	s_mov_b32 s1, exec_lo
	v_cmpx_lt_u32_e32 27, v0
	s_cbranch_execz .LBB61_141
; %bb.140:
	s_waitcnt lgkmcnt(0)
	v_mul_f64 v[64:65], v[182:183], v[64:65]
	ds_read2_b64 v[184:187], v188 offset0:28 offset1:29
	ds_read_b64 v[189:190], v188 offset:240
	s_waitcnt lgkmcnt(1)
	v_fma_f64 v[116:117], -v[64:65], v[184:185], v[116:117]
	v_fma_f64 v[114:115], -v[64:65], v[186:187], v[114:115]
	s_waitcnt lgkmcnt(0)
	v_fma_f64 v[118:119], -v[64:65], v[189:190], v[118:119]
.LBB61_141:
	s_or_b32 exec_lo, exec_lo, s1
	s_mov_b32 s1, exec_lo
	s_waitcnt lgkmcnt(0)
	s_barrier
	buffer_gl0_inv
	v_cmpx_eq_u32_e32 28, v0
	s_cbranch_execz .LBB61_144
; %bb.142:
	ds_write_b64 v1, v[116:117]
	ds_write2_b64 v188, v[114:115], v[118:119] offset0:29 offset1:30
	ds_read_b64 v[184:185], v1
	s_waitcnt lgkmcnt(0)
	v_cmp_neq_f64_e32 vcc_lo, 0, v[184:185]
	s_and_b32 exec_lo, exec_lo, vcc_lo
	s_cbranch_execz .LBB61_144
; %bb.143:
	v_div_scale_f64 v[186:187], null, v[184:185], v[184:185], 1.0
	v_rcp_f64_e32 v[189:190], v[186:187]
	v_fma_f64 v[191:192], -v[186:187], v[189:190], 1.0
	v_fma_f64 v[189:190], v[189:190], v[191:192], v[189:190]
	v_fma_f64 v[191:192], -v[186:187], v[189:190], 1.0
	v_fma_f64 v[189:190], v[189:190], v[191:192], v[189:190]
	v_div_scale_f64 v[191:192], vcc_lo, 1.0, v[184:185], 1.0
	v_mul_f64 v[193:194], v[191:192], v[189:190]
	v_fma_f64 v[186:187], -v[186:187], v[193:194], v[191:192]
	v_div_fmas_f64 v[186:187], v[186:187], v[189:190], v[193:194]
	v_div_fixup_f64 v[184:185], v[186:187], v[184:185], 1.0
	ds_write_b64 v1, v[184:185]
.LBB61_144:
	s_or_b32 exec_lo, exec_lo, s1
	s_waitcnt lgkmcnt(0)
	s_barrier
	buffer_gl0_inv
	ds_read_b64 v[184:185], v1
	s_mov_b32 s1, exec_lo
	v_cmpx_lt_u32_e32 28, v0
	s_cbranch_execz .LBB61_146
; %bb.145:
	s_waitcnt lgkmcnt(0)
	v_mul_f64 v[116:117], v[184:185], v[116:117]
	ds_read2_b64 v[189:192], v188 offset0:29 offset1:30
	s_waitcnt lgkmcnt(0)
	v_fma_f64 v[114:115], -v[116:117], v[189:190], v[114:115]
	v_fma_f64 v[118:119], -v[116:117], v[191:192], v[118:119]
.LBB61_146:
	s_or_b32 exec_lo, exec_lo, s1
	s_mov_b32 s1, exec_lo
	s_waitcnt lgkmcnt(0)
	s_barrier
	buffer_gl0_inv
	v_cmpx_eq_u32_e32 29, v0
	s_cbranch_execz .LBB61_149
; %bb.147:
	ds_write_b64 v1, v[114:115]
	ds_write_b64 v188, v[118:119] offset:240
	ds_read_b64 v[186:187], v1
	s_waitcnt lgkmcnt(0)
	v_cmp_neq_f64_e32 vcc_lo, 0, v[186:187]
	s_and_b32 exec_lo, exec_lo, vcc_lo
	s_cbranch_execz .LBB61_149
; %bb.148:
	v_div_scale_f64 v[189:190], null, v[186:187], v[186:187], 1.0
	v_rcp_f64_e32 v[191:192], v[189:190]
	v_fma_f64 v[193:194], -v[189:190], v[191:192], 1.0
	v_fma_f64 v[191:192], v[191:192], v[193:194], v[191:192]
	v_fma_f64 v[193:194], -v[189:190], v[191:192], 1.0
	v_fma_f64 v[191:192], v[191:192], v[193:194], v[191:192]
	v_div_scale_f64 v[193:194], vcc_lo, 1.0, v[186:187], 1.0
	v_mul_f64 v[195:196], v[193:194], v[191:192]
	v_fma_f64 v[189:190], -v[189:190], v[195:196], v[193:194]
	v_div_fmas_f64 v[189:190], v[189:190], v[191:192], v[195:196]
	v_div_fixup_f64 v[186:187], v[189:190], v[186:187], 1.0
	ds_write_b64 v1, v[186:187]
.LBB61_149:
	s_or_b32 exec_lo, exec_lo, s1
	s_waitcnt lgkmcnt(0)
	s_barrier
	buffer_gl0_inv
	ds_read_b64 v[186:187], v1
	s_mov_b32 s1, exec_lo
	v_cmpx_lt_u32_e32 29, v0
	s_cbranch_execz .LBB61_151
; %bb.150:
	s_waitcnt lgkmcnt(0)
	v_mul_f64 v[114:115], v[186:187], v[114:115]
	ds_read_b64 v[188:189], v188 offset:240
	s_waitcnt lgkmcnt(0)
	v_fma_f64 v[118:119], -v[114:115], v[188:189], v[118:119]
.LBB61_151:
	s_or_b32 exec_lo, exec_lo, s1
	s_mov_b32 s1, exec_lo
	s_waitcnt lgkmcnt(0)
	s_barrier
	buffer_gl0_inv
	v_cmpx_eq_u32_e32 30, v0
	s_cbranch_execz .LBB61_154
; %bb.152:
	v_cmp_neq_f64_e32 vcc_lo, 0, v[118:119]
	ds_write_b64 v1, v[118:119]
	s_and_b32 exec_lo, exec_lo, vcc_lo
	s_cbranch_execz .LBB61_154
; %bb.153:
	v_div_scale_f64 v[188:189], null, v[118:119], v[118:119], 1.0
	v_rcp_f64_e32 v[190:191], v[188:189]
	v_fma_f64 v[192:193], -v[188:189], v[190:191], 1.0
	v_fma_f64 v[190:191], v[190:191], v[192:193], v[190:191]
	v_fma_f64 v[192:193], -v[188:189], v[190:191], 1.0
	v_fma_f64 v[190:191], v[190:191], v[192:193], v[190:191]
	v_div_scale_f64 v[192:193], vcc_lo, 1.0, v[118:119], 1.0
	v_mul_f64 v[194:195], v[192:193], v[190:191]
	v_fma_f64 v[188:189], -v[188:189], v[194:195], v[192:193]
	v_div_fmas_f64 v[188:189], v[188:189], v[190:191], v[194:195]
	v_div_fixup_f64 v[188:189], v[188:189], v[118:119], 1.0
	ds_write_b64 v1, v[188:189]
.LBB61_154:
	s_or_b32 exec_lo, exec_lo, s1
	s_waitcnt lgkmcnt(0)
	s_barrier
	buffer_gl0_inv
	ds_read_b64 v[188:189], v1
	s_waitcnt lgkmcnt(0)
	s_barrier
	buffer_gl0_inv
	s_and_saveexec_b32 s6, s0
	s_cbranch_execz .LBB61_157
; %bb.155:
	v_cmp_eq_f64_e32 vcc_lo, 0, v[128:129]
	v_cmp_neq_f64_e64 s0, 0, v[130:131]
	v_cmp_eq_f64_e64 s1, 0, v[132:133]
	v_lshlrev_b64 v[1:2], 2, v[2:3]
	v_cmp_eq_f64_e64 s2, 0, v[134:135]
	s_load_dwordx2 s[4:5], s[4:5], 0x28
	v_cndmask_b32_e64 v3, 0, 1, vcc_lo
	s_or_b32 vcc_lo, s0, vcc_lo
	v_cmp_eq_f64_e64 s0, 0, v[136:137]
	s_waitcnt lgkmcnt(0)
	v_add_co_u32 v1, s3, s4, v1
	v_cndmask_b32_e32 v3, 2, v3, vcc_lo
	v_add_co_ci_u32_e64 v2, null, s5, v2, s3
	v_cmp_eq_u32_e32 vcc_lo, 0, v3
	global_load_dword v128, v[1:2], off
	s_and_b32 s1, s1, vcc_lo
	v_cndmask_b32_e64 v3, v3, 3, s1
	v_cmp_eq_f64_e64 s1, 0, v[138:139]
	v_cmp_eq_u32_e32 vcc_lo, 0, v3
	s_and_b32 s2, s2, vcc_lo
	v_cndmask_b32_e64 v3, v3, 4, s2
	v_cmp_eq_f64_e64 s2, 0, v[140:141]
	v_cmp_eq_u32_e32 vcc_lo, 0, v3
	;; [unrolled: 4-line block ×26, first 2 shown]
	s_and_b32 s0, s0, vcc_lo
	v_cndmask_b32_e64 v3, v3, 29, s0
	v_cmp_eq_u32_e32 vcc_lo, 0, v3
	s_and_b32 s0, s1, vcc_lo
	v_cndmask_b32_e64 v3, v3, 30, s0
	v_cmp_eq_u32_e32 vcc_lo, 0, v3
	s_and_b32 s0, s2, vcc_lo
	s_waitcnt vmcnt(0)
	v_cmp_eq_u32_e32 vcc_lo, 0, v128
	v_cndmask_b32_e64 v3, v3, 31, s0
	v_cmp_ne_u32_e64 s0, 0, v3
	s_and_b32 s0, vcc_lo, s0
	s_and_b32 exec_lo, exec_lo, s0
	s_cbranch_execz .LBB61_157
; %bb.156:
	v_add_nc_u32_e32 v3, s9, v3
	global_store_dword v[1:2], v3, off
.LBB61_157:
	s_or_b32 exec_lo, exec_lo, s6
	v_mul_f64 v[1:2], v[188:189], v[118:119]
	v_cmp_lt_u32_e32 vcc_lo, 30, v0
	flat_store_dwordx2 v[62:63], v[120:121]
	flat_store_dwordx2 v[112:113], v[124:125]
	;; [unrolled: 1-line block ×19, first 2 shown]
	v_cndmask_b32_e32 v2, v119, v2, vcc_lo
	v_cndmask_b32_e32 v1, v118, v1, vcc_lo
	flat_store_dwordx2 v[36:37], v[72:73]
	flat_store_dwordx2 v[40:41], v[80:81]
	;; [unrolled: 1-line block ×12, first 2 shown]
.LBB61_158:
	s_endpgm
	.section	.rodata,"a",@progbits
	.p2align	6, 0x0
	.amdhsa_kernel _ZN9rocsolver6v33100L23getf2_npvt_small_kernelILi31EdiiPKPdEEvT1_T3_lS5_lPT2_S5_S5_
		.amdhsa_group_segment_fixed_size 0
		.amdhsa_private_segment_fixed_size 0
		.amdhsa_kernarg_size 312
		.amdhsa_user_sgpr_count 6
		.amdhsa_user_sgpr_private_segment_buffer 1
		.amdhsa_user_sgpr_dispatch_ptr 0
		.amdhsa_user_sgpr_queue_ptr 0
		.amdhsa_user_sgpr_kernarg_segment_ptr 1
		.amdhsa_user_sgpr_dispatch_id 0
		.amdhsa_user_sgpr_flat_scratch_init 0
		.amdhsa_user_sgpr_private_segment_size 0
		.amdhsa_wavefront_size32 1
		.amdhsa_uses_dynamic_stack 0
		.amdhsa_system_sgpr_private_segment_wavefront_offset 0
		.amdhsa_system_sgpr_workgroup_id_x 1
		.amdhsa_system_sgpr_workgroup_id_y 1
		.amdhsa_system_sgpr_workgroup_id_z 0
		.amdhsa_system_sgpr_workgroup_info 0
		.amdhsa_system_vgpr_workitem_id 1
		.amdhsa_next_free_vgpr 197
		.amdhsa_next_free_sgpr 11
		.amdhsa_reserve_vcc 1
		.amdhsa_reserve_flat_scratch 1
		.amdhsa_float_round_mode_32 0
		.amdhsa_float_round_mode_16_64 0
		.amdhsa_float_denorm_mode_32 3
		.amdhsa_float_denorm_mode_16_64 3
		.amdhsa_dx10_clamp 1
		.amdhsa_ieee_mode 1
		.amdhsa_fp16_overflow 0
		.amdhsa_workgroup_processor_mode 1
		.amdhsa_memory_ordered 1
		.amdhsa_forward_progress 1
		.amdhsa_shared_vgpr_count 0
		.amdhsa_exception_fp_ieee_invalid_op 0
		.amdhsa_exception_fp_denorm_src 0
		.amdhsa_exception_fp_ieee_div_zero 0
		.amdhsa_exception_fp_ieee_overflow 0
		.amdhsa_exception_fp_ieee_underflow 0
		.amdhsa_exception_fp_ieee_inexact 0
		.amdhsa_exception_int_div_zero 0
	.end_amdhsa_kernel
	.section	.text._ZN9rocsolver6v33100L23getf2_npvt_small_kernelILi31EdiiPKPdEEvT1_T3_lS5_lPT2_S5_S5_,"axG",@progbits,_ZN9rocsolver6v33100L23getf2_npvt_small_kernelILi31EdiiPKPdEEvT1_T3_lS5_lPT2_S5_S5_,comdat
.Lfunc_end61:
	.size	_ZN9rocsolver6v33100L23getf2_npvt_small_kernelILi31EdiiPKPdEEvT1_T3_lS5_lPT2_S5_S5_, .Lfunc_end61-_ZN9rocsolver6v33100L23getf2_npvt_small_kernelILi31EdiiPKPdEEvT1_T3_lS5_lPT2_S5_S5_
                                        ; -- End function
	.set _ZN9rocsolver6v33100L23getf2_npvt_small_kernelILi31EdiiPKPdEEvT1_T3_lS5_lPT2_S5_S5_.num_vgpr, 197
	.set _ZN9rocsolver6v33100L23getf2_npvt_small_kernelILi31EdiiPKPdEEvT1_T3_lS5_lPT2_S5_S5_.num_agpr, 0
	.set _ZN9rocsolver6v33100L23getf2_npvt_small_kernelILi31EdiiPKPdEEvT1_T3_lS5_lPT2_S5_S5_.numbered_sgpr, 11
	.set _ZN9rocsolver6v33100L23getf2_npvt_small_kernelILi31EdiiPKPdEEvT1_T3_lS5_lPT2_S5_S5_.num_named_barrier, 0
	.set _ZN9rocsolver6v33100L23getf2_npvt_small_kernelILi31EdiiPKPdEEvT1_T3_lS5_lPT2_S5_S5_.private_seg_size, 0
	.set _ZN9rocsolver6v33100L23getf2_npvt_small_kernelILi31EdiiPKPdEEvT1_T3_lS5_lPT2_S5_S5_.uses_vcc, 1
	.set _ZN9rocsolver6v33100L23getf2_npvt_small_kernelILi31EdiiPKPdEEvT1_T3_lS5_lPT2_S5_S5_.uses_flat_scratch, 1
	.set _ZN9rocsolver6v33100L23getf2_npvt_small_kernelILi31EdiiPKPdEEvT1_T3_lS5_lPT2_S5_S5_.has_dyn_sized_stack, 0
	.set _ZN9rocsolver6v33100L23getf2_npvt_small_kernelILi31EdiiPKPdEEvT1_T3_lS5_lPT2_S5_S5_.has_recursion, 0
	.set _ZN9rocsolver6v33100L23getf2_npvt_small_kernelILi31EdiiPKPdEEvT1_T3_lS5_lPT2_S5_S5_.has_indirect_call, 0
	.section	.AMDGPU.csdata,"",@progbits
; Kernel info:
; codeLenInByte = 19120
; TotalNumSgprs: 13
; NumVgprs: 197
; ScratchSize: 0
; MemoryBound: 0
; FloatMode: 240
; IeeeMode: 1
; LDSByteSize: 0 bytes/workgroup (compile time only)
; SGPRBlocks: 0
; VGPRBlocks: 24
; NumSGPRsForWavesPerEU: 13
; NumVGPRsForWavesPerEU: 197
; Occupancy: 4
; WaveLimiterHint : 1
; COMPUTE_PGM_RSRC2:SCRATCH_EN: 0
; COMPUTE_PGM_RSRC2:USER_SGPR: 6
; COMPUTE_PGM_RSRC2:TRAP_HANDLER: 0
; COMPUTE_PGM_RSRC2:TGID_X_EN: 1
; COMPUTE_PGM_RSRC2:TGID_Y_EN: 1
; COMPUTE_PGM_RSRC2:TGID_Z_EN: 0
; COMPUTE_PGM_RSRC2:TIDIG_COMP_CNT: 1
	.section	.text._ZN9rocsolver6v33100L18getf2_small_kernelILi32EdiiPKPdEEvT1_T3_lS5_lPS5_llPT2_S5_S5_S7_l,"axG",@progbits,_ZN9rocsolver6v33100L18getf2_small_kernelILi32EdiiPKPdEEvT1_T3_lS5_lPS5_llPT2_S5_S5_S7_l,comdat
	.globl	_ZN9rocsolver6v33100L18getf2_small_kernelILi32EdiiPKPdEEvT1_T3_lS5_lPS5_llPT2_S5_S5_S7_l ; -- Begin function _ZN9rocsolver6v33100L18getf2_small_kernelILi32EdiiPKPdEEvT1_T3_lS5_lPS5_llPT2_S5_S5_S7_l
	.p2align	8
	.type	_ZN9rocsolver6v33100L18getf2_small_kernelILi32EdiiPKPdEEvT1_T3_lS5_lPS5_llPT2_S5_S5_S7_l,@function
_ZN9rocsolver6v33100L18getf2_small_kernelILi32EdiiPKPdEEvT1_T3_lS5_lPS5_llPT2_S5_S5_S7_l: ; @_ZN9rocsolver6v33100L18getf2_small_kernelILi32EdiiPKPdEEvT1_T3_lS5_lPS5_llPT2_S5_S5_S7_l
; %bb.0:
	s_clause 0x1
	s_load_dword s0, s[4:5], 0x6c
	s_load_dwordx2 s[12:13], s[4:5], 0x48
	s_waitcnt lgkmcnt(0)
	s_lshr_b32 s0, s0, 16
	v_mad_u64_u32 v[2:3], null, s7, s0, v[1:2]
	s_mov_b32 s0, exec_lo
	v_cmpx_gt_i32_e64 s12, v2
	s_cbranch_execz .LBB62_541
; %bb.1:
	s_clause 0x1
	s_load_dwordx4 s[0:3], s[4:5], 0x8
	s_load_dwordx4 s[8:11], s[4:5], 0x50
	v_ashrrev_i32_e32 v3, 31, v2
	v_lshlrev_b64 v[4:5], 3, v[2:3]
	s_waitcnt lgkmcnt(0)
	v_add_co_u32 v4, vcc_lo, s0, v4
	v_add_co_ci_u32_e64 v5, null, s1, v5, vcc_lo
	s_cmp_eq_u64 s[8:9], 0
	s_cselect_b32 s6, -1, 0
	global_load_dwordx2 v[6:7], v[4:5], off
	v_mov_b32_e32 v4, 0
	v_mov_b32_e32 v5, 0
	s_and_b32 vcc_lo, exec_lo, s6
	s_cbranch_vccnz .LBB62_3
; %bb.2:
	v_mul_lo_u32 v8, s11, v2
	v_mul_lo_u32 v9, s10, v3
	v_mad_u64_u32 v[4:5], null, s10, v2, 0
	v_add3_u32 v5, v5, v9, v8
	v_lshlrev_b64 v[4:5], 2, v[4:5]
	v_add_co_u32 v4, vcc_lo, s8, v4
	v_add_co_ci_u32_e64 v5, null, s9, v5, vcc_lo
.LBB62_3:
	s_clause 0x1
	s_load_dword s8, s[4:5], 0x18
	s_load_dword s7, s[4:5], 0x0
	s_lshl_b64 s[0:1], s[2:3], 3
	v_lshlrev_b32_e32 v102, 3, v0
	s_waitcnt vmcnt(0)
	v_add_co_u32 v74, vcc_lo, v6, s0
	v_add_co_ci_u32_e64 v75, null, s1, v7, vcc_lo
	s_waitcnt lgkmcnt(0)
	v_add3_u32 v8, s8, s8, v0
	s_ashr_i32 s9, s8, 31
	s_max_i32 s0, s7, 32
	s_lshl_b64 s[10:11], s[8:9], 3
	v_mul_lo_u32 v1, s0, v1
	v_add_nc_u32_e32 v10, s8, v8
	v_ashrrev_i32_e32 v9, 31, v8
	s_cmp_lt_i32 s7, 2
	v_ashrrev_i32_e32 v11, 31, v10
	v_add_nc_u32_e32 v12, s8, v10
	v_lshlrev_b64 v[8:9], 3, v[8:9]
	v_lshlrev_b64 v[6:7], 3, v[10:11]
	v_add_nc_u32_e32 v10, s8, v12
	v_ashrrev_i32_e32 v13, 31, v12
	v_add_co_u32 v8, vcc_lo, v74, v8
	v_add_co_ci_u32_e64 v9, null, v75, v9, vcc_lo
	v_add_nc_u32_e32 v14, s8, v10
	v_ashrrev_i32_e32 v11, 31, v10
	v_lshlrev_b64 v[12:13], 3, v[12:13]
	v_add_co_u32 v6, vcc_lo, v74, v6
	v_add_nc_u32_e32 v16, s8, v14
	v_ashrrev_i32_e32 v15, 31, v14
	v_lshlrev_b64 v[10:11], 3, v[10:11]
	v_add_co_ci_u32_e64 v7, null, v75, v7, vcc_lo
	v_add_nc_u32_e32 v18, s8, v16
	v_ashrrev_i32_e32 v17, 31, v16
	v_lshlrev_b64 v[14:15], 3, v[14:15]
	v_add_co_u32 v12, vcc_lo, v74, v12
	v_add_nc_u32_e32 v20, s8, v18
	v_ashrrev_i32_e32 v19, 31, v18
	v_lshlrev_b64 v[16:17], 3, v[16:17]
	v_add_co_ci_u32_e64 v13, null, v75, v13, vcc_lo
	v_add_nc_u32_e32 v22, s8, v20
	v_ashrrev_i32_e32 v21, 31, v20
	v_add_co_u32 v10, vcc_lo, v74, v10
	v_lshlrev_b64 v[18:19], 3, v[18:19]
	v_add_nc_u32_e32 v24, s8, v22
	v_ashrrev_i32_e32 v23, 31, v22
	v_add_co_ci_u32_e64 v11, null, v75, v11, vcc_lo
	v_add_co_u32 v14, vcc_lo, v74, v14
	v_add_nc_u32_e32 v26, s8, v24
	v_ashrrev_i32_e32 v25, 31, v24
	v_lshlrev_b64 v[20:21], 3, v[20:21]
	v_add_co_ci_u32_e64 v15, null, v75, v15, vcc_lo
	v_add_nc_u32_e32 v28, s8, v26
	v_ashrrev_i32_e32 v27, 31, v26
	v_add_co_u32 v16, vcc_lo, v74, v16
	v_lshlrev_b64 v[22:23], 3, v[22:23]
	v_add_nc_u32_e32 v30, s8, v28
	v_ashrrev_i32_e32 v29, 31, v28
	v_add_co_ci_u32_e64 v17, null, v75, v17, vcc_lo
	v_add_co_u32 v18, vcc_lo, v74, v18
	v_add_nc_u32_e32 v32, s8, v30
	v_lshlrev_b64 v[24:25], 3, v[24:25]
	v_ashrrev_i32_e32 v31, 31, v30
	v_add_co_ci_u32_e64 v19, null, v75, v19, vcc_lo
	v_add_nc_u32_e32 v34, s8, v32
	v_add_co_u32 v20, vcc_lo, v74, v20
	v_lshlrev_b64 v[26:27], 3, v[26:27]
	v_ashrrev_i32_e32 v33, 31, v32
	v_add_nc_u32_e32 v36, s8, v34
	v_add_co_ci_u32_e64 v21, null, v75, v21, vcc_lo
	v_add_co_u32 v22, vcc_lo, v74, v22
	v_lshlrev_b64 v[28:29], 3, v[28:29]
	v_ashrrev_i32_e32 v35, 31, v34
	v_add_co_ci_u32_e64 v23, null, v75, v23, vcc_lo
	v_add_co_u32 v24, vcc_lo, v74, v24
	v_lshlrev_b64 v[30:31], 3, v[30:31]
	v_add_co_ci_u32_e64 v25, null, v75, v25, vcc_lo
	v_add_co_u32 v26, vcc_lo, v74, v26
	v_lshlrev_b64 v[32:33], 3, v[32:33]
	v_add_nc_u32_e32 v38, s8, v36
	v_add_co_ci_u32_e64 v27, null, v75, v27, vcc_lo
	v_add_co_u32 v28, vcc_lo, v74, v28
	v_lshlrev_b64 v[34:35], 3, v[34:35]
	v_ashrrev_i32_e32 v37, 31, v36
	v_add_co_ci_u32_e64 v29, null, v75, v29, vcc_lo
	v_add_co_u32 v30, vcc_lo, v74, v30
	v_ashrrev_i32_e32 v39, 31, v38
	v_add_nc_u32_e32 v40, s8, v38
	v_add_co_ci_u32_e64 v31, null, v75, v31, vcc_lo
	v_add_co_u32 v32, vcc_lo, v74, v32
	v_lshlrev_b64 v[36:37], 3, v[36:37]
	v_add_co_ci_u32_e64 v33, null, v75, v33, vcc_lo
	v_add_co_u32 v68, vcc_lo, v74, v34
	v_add_co_ci_u32_e64 v69, null, v75, v35, vcc_lo
	v_lshlrev_b64 v[34:35], 3, v[38:39]
	v_ashrrev_i32_e32 v41, 31, v40
	v_add_nc_u32_e32 v38, s8, v40
	v_add_co_u32 v70, vcc_lo, v74, v36
	v_add_co_ci_u32_e64 v71, null, v75, v37, vcc_lo
	v_lshlrev_b64 v[36:37], 3, v[40:41]
	v_ashrrev_i32_e32 v39, 31, v38
	v_add_nc_u32_e32 v40, s8, v38
	;; [unrolled: 5-line block ×10, first 2 shown]
	v_add_co_u32 v90, vcc_lo, v74, v34
	v_add_co_ci_u32_e64 v91, null, v75, v35, vcc_lo
	v_lshlrev_b64 v[34:35], 3, v[38:39]
	v_add_nc_u32_e32 v38, s8, v40
	v_ashrrev_i32_e32 v41, 31, v40
	v_add_co_u32 v92, vcc_lo, v74, v36
	v_add_co_ci_u32_e64 v93, null, v75, v37, vcc_lo
	v_ashrrev_i32_e32 v39, 31, v38
	v_lshlrev_b64 v[36:37], 3, v[40:41]
	v_add_co_u32 v94, vcc_lo, v74, v34
	v_add_co_ci_u32_e64 v95, null, v75, v35, vcc_lo
	v_lshlrev_b64 v[34:35], 3, v[38:39]
	v_add_nc_u32_e32 v38, s8, v38
	v_add_co_u32 v96, vcc_lo, v74, v36
	v_add_co_ci_u32_e64 v97, null, v75, v37, vcc_lo
	v_ashrrev_i32_e32 v39, 31, v38
	v_add_co_u32 v98, vcc_lo, v74, v34
	v_add_co_ci_u32_e64 v99, null, v75, v35, vcc_lo
	v_add_co_u32 v36, vcc_lo, v74, v102
	v_add_co_ci_u32_e64 v37, null, 0, v75, vcc_lo
	v_lshlrev_b64 v[34:35], 3, v[38:39]
	v_add_co_u32 v38, vcc_lo, v36, s10
	v_add_co_ci_u32_e64 v39, null, s11, v37, vcc_lo
	v_add_co_u32 v100, vcc_lo, v74, v34
	v_add_co_ci_u32_e64 v101, null, v75, v35, vcc_lo
	s_clause 0x1f
	flat_load_dwordx2 v[66:67], v[36:37]
	flat_load_dwordx2 v[64:65], v[38:39]
	;; [unrolled: 1-line block ×32, first 2 shown]
	v_lshl_add_u32 v76, v1, 3, 0
	v_lshlrev_b32_e32 v77, 3, v1
	v_mov_b32_e32 v72, 0
	v_add_nc_u32_e32 v70, v76, v102
	s_waitcnt vmcnt(31) lgkmcnt(31)
	ds_write_b64 v70, v[66:67]
	s_waitcnt vmcnt(0) lgkmcnt(0)
	s_barrier
	buffer_gl0_inv
	ds_read_b64 v[70:71], v76
	s_cbranch_scc1 .LBB62_6
; %bb.4:
	v_add3_u32 v1, v77, 0, 8
	v_mov_b32_e32 v72, 0
	s_mov_b32 s0, 1
.LBB62_5:                               ; =>This Inner Loop Header: Depth=1
	ds_read_b64 v[78:79], v1
	v_add_nc_u32_e32 v1, 8, v1
	s_waitcnt lgkmcnt(0)
	v_cmp_lt_f64_e64 vcc_lo, |v[70:71]|, |v[78:79]|
	v_cndmask_b32_e32 v71, v71, v79, vcc_lo
	v_cndmask_b32_e32 v70, v70, v78, vcc_lo
	v_cndmask_b32_e64 v72, v72, s0, vcc_lo
	s_add_i32 s0, s0, 1
	s_cmp_eq_u32 s7, s0
	s_cbranch_scc0 .LBB62_5
.LBB62_6:
	s_mov_b32 s0, exec_lo
                                        ; implicit-def: $vgpr79
	v_cmpx_ne_u32_e64 v0, v72
	s_xor_b32 s0, exec_lo, s0
	s_cbranch_execz .LBB62_12
; %bb.7:
	s_mov_b32 s1, exec_lo
	v_cmpx_eq_u32_e32 0, v0
	s_cbranch_execz .LBB62_11
; %bb.8:
	v_cmp_ne_u32_e32 vcc_lo, 0, v72
	s_xor_b32 s2, s6, -1
	s_and_b32 s3, s2, vcc_lo
	s_and_saveexec_b32 s2, s3
	s_cbranch_execz .LBB62_10
; %bb.9:
	v_ashrrev_i32_e32 v73, 31, v72
	v_lshlrev_b64 v[0:1], 2, v[72:73]
	v_add_co_u32 v0, vcc_lo, v4, v0
	v_add_co_ci_u32_e64 v1, null, v5, v1, vcc_lo
	s_clause 0x1
	global_load_dword v73, v[0:1], off
	global_load_dword v78, v[4:5], off
	s_waitcnt vmcnt(1)
	global_store_dword v[4:5], v73, off
	s_waitcnt vmcnt(0)
	global_store_dword v[0:1], v78, off
.LBB62_10:
	s_or_b32 exec_lo, exec_lo, s2
	v_mov_b32_e32 v0, v72
.LBB62_11:
	s_or_b32 exec_lo, exec_lo, s1
	v_mov_b32_e32 v79, v0
                                        ; implicit-def: $vgpr0
.LBB62_12:
	s_or_saveexec_b32 s0, s0
	v_mov_b32_e32 v73, v79
	s_xor_b32 exec_lo, exec_lo, s0
	s_cbranch_execz .LBB62_14
; %bb.13:
	v_mov_b32_e32 v79, 0
	v_mov_b32_e32 v73, v0
	ds_write2_b64 v76, v[64:65], v[62:63] offset0:1 offset1:2
	ds_write2_b64 v76, v[58:59], v[60:61] offset0:3 offset1:4
	ds_write2_b64 v76, v[54:55], v[56:57] offset0:5 offset1:6
	ds_write2_b64 v76, v[52:53], v[50:51] offset0:7 offset1:8
	ds_write2_b64 v76, v[48:49], v[46:47] offset0:9 offset1:10
	ds_write2_b64 v76, v[44:45], v[42:43] offset0:11 offset1:12
	ds_write2_b64 v76, v[38:39], v[40:41] offset0:13 offset1:14
	ds_write2_b64 v76, v[34:35], v[36:37] offset0:15 offset1:16
	ds_write2_b64 v76, v[32:33], v[30:31] offset0:17 offset1:18
	ds_write2_b64 v76, v[28:29], v[26:27] offset0:19 offset1:20
	ds_write2_b64 v76, v[24:25], v[22:23] offset0:21 offset1:22
	ds_write2_b64 v76, v[18:19], v[20:21] offset0:23 offset1:24
	ds_write2_b64 v76, v[16:17], v[14:15] offset0:25 offset1:26
	ds_write2_b64 v76, v[8:9], v[12:13] offset0:27 offset1:28
	ds_write2_b64 v76, v[6:7], v[10:11] offset0:29 offset1:30
	ds_write_b64 v76, v[68:69] offset:248
.LBB62_14:
	s_or_b32 exec_lo, exec_lo, s0
	s_waitcnt lgkmcnt(0)
	v_cmp_eq_f64_e64 s0, 0, v[70:71]
	s_mov_b32 s1, exec_lo
	s_waitcnt_vscnt null, 0x0
	s_barrier
	buffer_gl0_inv
	v_cmpx_lt_i32_e32 0, v79
	s_cbranch_execz .LBB62_16
; %bb.15:
	v_div_scale_f64 v[0:1], null, v[70:71], v[70:71], 1.0
	v_div_scale_f64 v[84:85], vcc_lo, 1.0, v[70:71], 1.0
	v_rcp_f64_e32 v[80:81], v[0:1]
	v_fma_f64 v[82:83], -v[0:1], v[80:81], 1.0
	v_fma_f64 v[80:81], v[80:81], v[82:83], v[80:81]
	v_fma_f64 v[82:83], -v[0:1], v[80:81], 1.0
	v_fma_f64 v[80:81], v[80:81], v[82:83], v[80:81]
	v_mul_f64 v[82:83], v[84:85], v[80:81]
	v_fma_f64 v[0:1], -v[0:1], v[82:83], v[84:85]
	v_div_fmas_f64 v[0:1], v[0:1], v[80:81], v[82:83]
	v_div_fixup_f64 v[0:1], v[0:1], v[70:71], 1.0
	v_cndmask_b32_e64 v1, v1, v71, s0
	v_cndmask_b32_e64 v0, v0, v70, s0
	v_mul_f64 v[66:67], v[0:1], v[66:67]
	ds_read2_b64 v[80:83], v76 offset0:1 offset1:2
	ds_read2_b64 v[84:87], v76 offset0:3 offset1:4
	;; [unrolled: 1-line block ×15, first 2 shown]
	ds_read_b64 v[0:1], v76 offset:248
	s_waitcnt lgkmcnt(15)
	v_fma_f64 v[64:65], -v[66:67], v[80:81], v[64:65]
	v_fma_f64 v[62:63], -v[66:67], v[82:83], v[62:63]
	s_waitcnt lgkmcnt(14)
	v_fma_f64 v[58:59], -v[66:67], v[84:85], v[58:59]
	v_fma_f64 v[60:61], -v[66:67], v[86:87], v[60:61]
	;; [unrolled: 3-line block ×15, first 2 shown]
	s_waitcnt lgkmcnt(0)
	v_fma_f64 v[68:69], -v[66:67], v[0:1], v[68:69]
.LBB62_16:
	s_or_b32 exec_lo, exec_lo, s1
	v_lshl_add_u32 v0, v79, 3, v76
	s_barrier
	buffer_gl0_inv
	v_mov_b32_e32 v70, 1
	ds_write_b64 v0, v[64:65]
	s_waitcnt lgkmcnt(0)
	s_barrier
	buffer_gl0_inv
	ds_read_b64 v[0:1], v76 offset:8
	s_cmp_lt_i32 s7, 3
	s_cbranch_scc1 .LBB62_19
; %bb.17:
	v_add3_u32 v71, v77, 0, 16
	v_mov_b32_e32 v70, 1
	s_mov_b32 s1, 2
.LBB62_18:                              ; =>This Inner Loop Header: Depth=1
	ds_read_b64 v[80:81], v71
	v_add_nc_u32_e32 v71, 8, v71
	s_waitcnt lgkmcnt(0)
	v_cmp_lt_f64_e64 vcc_lo, |v[0:1]|, |v[80:81]|
	v_cndmask_b32_e32 v1, v1, v81, vcc_lo
	v_cndmask_b32_e32 v0, v0, v80, vcc_lo
	v_cndmask_b32_e64 v70, v70, s1, vcc_lo
	s_add_i32 s1, s1, 1
	s_cmp_lg_u32 s7, s1
	s_cbranch_scc1 .LBB62_18
.LBB62_19:
	s_mov_b32 s1, exec_lo
	v_cmpx_ne_u32_e64 v79, v70
	s_xor_b32 s1, exec_lo, s1
	s_cbranch_execz .LBB62_25
; %bb.20:
	s_mov_b32 s2, exec_lo
	v_cmpx_eq_u32_e32 1, v79
	s_cbranch_execz .LBB62_24
; %bb.21:
	v_cmp_ne_u32_e32 vcc_lo, 1, v70
	s_xor_b32 s3, s6, -1
	s_and_b32 s9, s3, vcc_lo
	s_and_saveexec_b32 s3, s9
	s_cbranch_execz .LBB62_23
; %bb.22:
	v_ashrrev_i32_e32 v71, 31, v70
	v_lshlrev_b64 v[71:72], 2, v[70:71]
	v_add_co_u32 v71, vcc_lo, v4, v71
	v_add_co_ci_u32_e64 v72, null, v5, v72, vcc_lo
	s_clause 0x1
	global_load_dword v73, v[71:72], off
	global_load_dword v78, v[4:5], off offset:4
	s_waitcnt vmcnt(1)
	global_store_dword v[4:5], v73, off offset:4
	s_waitcnt vmcnt(0)
	global_store_dword v[71:72], v78, off
.LBB62_23:
	s_or_b32 exec_lo, exec_lo, s3
	v_mov_b32_e32 v73, v70
	v_mov_b32_e32 v79, v70
.LBB62_24:
	s_or_b32 exec_lo, exec_lo, s2
.LBB62_25:
	s_andn2_saveexec_b32 s1, s1
	s_cbranch_execz .LBB62_27
; %bb.26:
	v_mov_b32_e32 v70, v62
	v_mov_b32_e32 v71, v63
	;; [unrolled: 1-line block ×8, first 2 shown]
	ds_write2_b64 v76, v[70:71], v[78:79] offset0:2 offset1:3
	v_mov_b32_e32 v70, v54
	v_mov_b32_e32 v71, v55
	;; [unrolled: 1-line block ×16, first 2 shown]
	ds_write2_b64 v76, v[80:81], v[70:71] offset0:4 offset1:5
	ds_write2_b64 v76, v[78:79], v[82:83] offset0:6 offset1:7
	;; [unrolled: 1-line block ×5, first 2 shown]
	v_mov_b32_e32 v70, v40
	v_mov_b32_e32 v71, v41
	;; [unrolled: 1-line block ×20, first 2 shown]
	ds_write2_b64 v76, v[70:71], v[78:79] offset0:14 offset1:15
	ds_write2_b64 v76, v[80:81], v[82:83] offset0:16 offset1:17
	;; [unrolled: 1-line block ×5, first 2 shown]
	v_mov_b32_e32 v70, v20
	v_mov_b32_e32 v71, v21
	;; [unrolled: 1-line block ×15, first 2 shown]
	ds_write2_b64 v76, v[70:71], v[80:81] offset0:24 offset1:25
	ds_write2_b64 v76, v[82:83], v[84:85] offset0:26 offset1:27
	;; [unrolled: 1-line block ×4, first 2 shown]
.LBB62_27:
	s_or_b32 exec_lo, exec_lo, s1
	s_waitcnt lgkmcnt(0)
	v_cmp_neq_f64_e64 s1, 0, v[0:1]
	s_mov_b32 s2, exec_lo
	s_waitcnt_vscnt null, 0x0
	s_barrier
	buffer_gl0_inv
	v_cmpx_lt_i32_e32 1, v79
	s_cbranch_execz .LBB62_29
; %bb.28:
	v_div_scale_f64 v[70:71], null, v[0:1], v[0:1], 1.0
	v_div_scale_f64 v[84:85], vcc_lo, 1.0, v[0:1], 1.0
	v_rcp_f64_e32 v[80:81], v[70:71]
	v_fma_f64 v[82:83], -v[70:71], v[80:81], 1.0
	v_fma_f64 v[80:81], v[80:81], v[82:83], v[80:81]
	v_fma_f64 v[82:83], -v[70:71], v[80:81], 1.0
	v_fma_f64 v[80:81], v[80:81], v[82:83], v[80:81]
	v_mul_f64 v[82:83], v[84:85], v[80:81]
	v_fma_f64 v[70:71], -v[70:71], v[82:83], v[84:85]
	v_div_fmas_f64 v[70:71], v[70:71], v[80:81], v[82:83]
	ds_read2_b64 v[80:83], v76 offset0:2 offset1:3
	ds_read2_b64 v[84:87], v76 offset0:4 offset1:5
	;; [unrolled: 1-line block ×15, first 2 shown]
	v_div_fixup_f64 v[70:71], v[70:71], v[0:1], 1.0
	v_cndmask_b32_e64 v1, v1, v71, s1
	v_cndmask_b32_e64 v0, v0, v70, s1
	v_mul_f64 v[64:65], v[0:1], v[64:65]
	s_waitcnt lgkmcnt(14)
	v_fma_f64 v[62:63], -v[64:65], v[80:81], v[62:63]
	v_fma_f64 v[58:59], -v[64:65], v[82:83], v[58:59]
	s_waitcnt lgkmcnt(13)
	v_fma_f64 v[60:61], -v[64:65], v[84:85], v[60:61]
	v_fma_f64 v[54:55], -v[64:65], v[86:87], v[54:55]
	;; [unrolled: 3-line block ×15, first 2 shown]
.LBB62_29:
	s_or_b32 exec_lo, exec_lo, s2
	v_lshl_add_u32 v0, v79, 3, v76
	s_barrier
	buffer_gl0_inv
	v_mov_b32_e32 v70, 2
	ds_write_b64 v0, v[62:63]
	s_waitcnt lgkmcnt(0)
	s_barrier
	buffer_gl0_inv
	ds_read_b64 v[0:1], v76 offset:16
	s_cmp_lt_i32 s7, 4
	s_mov_b32 s2, 3
	s_cbranch_scc1 .LBB62_32
; %bb.30:
	v_add3_u32 v71, v77, 0, 24
	v_mov_b32_e32 v70, 2
.LBB62_31:                              ; =>This Inner Loop Header: Depth=1
	ds_read_b64 v[80:81], v71
	v_add_nc_u32_e32 v71, 8, v71
	s_waitcnt lgkmcnt(0)
	v_cmp_lt_f64_e64 vcc_lo, |v[0:1]|, |v[80:81]|
	v_cndmask_b32_e32 v1, v1, v81, vcc_lo
	v_cndmask_b32_e32 v0, v0, v80, vcc_lo
	v_cndmask_b32_e64 v70, v70, s2, vcc_lo
	s_add_i32 s2, s2, 1
	s_cmp_lg_u32 s7, s2
	s_cbranch_scc1 .LBB62_31
.LBB62_32:
	v_cndmask_b32_e64 v71, 2, 1, s0
	v_cndmask_b32_e64 v72, 0, 1, s0
	s_mov_b32 s0, exec_lo
	v_cndmask_b32_e64 v78, v71, v72, s1
	s_waitcnt lgkmcnt(0)
	v_cmpx_eq_f64_e32 0, v[0:1]
	s_xor_b32 s0, exec_lo, s0
; %bb.33:
	v_cmp_ne_u32_e32 vcc_lo, 0, v78
	v_cndmask_b32_e32 v78, 3, v78, vcc_lo
; %bb.34:
	s_andn2_saveexec_b32 s0, s0
	s_cbranch_execz .LBB62_36
; %bb.35:
	v_div_scale_f64 v[71:72], null, v[0:1], v[0:1], 1.0
	v_rcp_f64_e32 v[80:81], v[71:72]
	v_fma_f64 v[82:83], -v[71:72], v[80:81], 1.0
	v_fma_f64 v[80:81], v[80:81], v[82:83], v[80:81]
	v_fma_f64 v[82:83], -v[71:72], v[80:81], 1.0
	v_fma_f64 v[80:81], v[80:81], v[82:83], v[80:81]
	v_div_scale_f64 v[82:83], vcc_lo, 1.0, v[0:1], 1.0
	v_mul_f64 v[84:85], v[82:83], v[80:81]
	v_fma_f64 v[71:72], -v[71:72], v[84:85], v[82:83]
	v_div_fmas_f64 v[71:72], v[71:72], v[80:81], v[84:85]
	v_div_fixup_f64 v[0:1], v[71:72], v[0:1], 1.0
.LBB62_36:
	s_or_b32 exec_lo, exec_lo, s0
	s_mov_b32 s0, exec_lo
	v_cmpx_ne_u32_e64 v79, v70
	s_xor_b32 s0, exec_lo, s0
	s_cbranch_execz .LBB62_42
; %bb.37:
	s_mov_b32 s1, exec_lo
	v_cmpx_eq_u32_e32 2, v79
	s_cbranch_execz .LBB62_41
; %bb.38:
	v_cmp_ne_u32_e32 vcc_lo, 2, v70
	s_xor_b32 s2, s6, -1
	s_and_b32 s3, s2, vcc_lo
	s_and_saveexec_b32 s2, s3
	s_cbranch_execz .LBB62_40
; %bb.39:
	v_ashrrev_i32_e32 v71, 31, v70
	v_lshlrev_b64 v[71:72], 2, v[70:71]
	v_add_co_u32 v71, vcc_lo, v4, v71
	v_add_co_ci_u32_e64 v72, null, v5, v72, vcc_lo
	s_clause 0x1
	global_load_dword v73, v[71:72], off
	global_load_dword v79, v[4:5], off offset:8
	s_waitcnt vmcnt(1)
	global_store_dword v[4:5], v73, off offset:8
	s_waitcnt vmcnt(0)
	global_store_dword v[71:72], v79, off
.LBB62_40:
	s_or_b32 exec_lo, exec_lo, s2
	v_mov_b32_e32 v73, v70
	v_mov_b32_e32 v79, v70
.LBB62_41:
	s_or_b32 exec_lo, exec_lo, s1
.LBB62_42:
	s_andn2_saveexec_b32 s0, s0
	s_cbranch_execz .LBB62_44
; %bb.43:
	v_mov_b32_e32 v79, 2
	ds_write2_b64 v76, v[58:59], v[60:61] offset0:3 offset1:4
	ds_write2_b64 v76, v[54:55], v[56:57] offset0:5 offset1:6
	;; [unrolled: 1-line block ×14, first 2 shown]
	ds_write_b64 v76, v[68:69] offset:248
.LBB62_44:
	s_or_b32 exec_lo, exec_lo, s0
	s_mov_b32 s0, exec_lo
	s_waitcnt lgkmcnt(0)
	s_waitcnt_vscnt null, 0x0
	s_barrier
	buffer_gl0_inv
	v_cmpx_lt_i32_e32 2, v79
	s_cbranch_execz .LBB62_46
; %bb.45:
	v_mul_f64 v[62:63], v[0:1], v[62:63]
	ds_read2_b64 v[80:83], v76 offset0:3 offset1:4
	ds_read2_b64 v[84:87], v76 offset0:5 offset1:6
	;; [unrolled: 1-line block ×14, first 2 shown]
	ds_read_b64 v[0:1], v76 offset:248
	s_waitcnt lgkmcnt(14)
	v_fma_f64 v[58:59], -v[62:63], v[80:81], v[58:59]
	v_fma_f64 v[60:61], -v[62:63], v[82:83], v[60:61]
	s_waitcnt lgkmcnt(13)
	v_fma_f64 v[54:55], -v[62:63], v[84:85], v[54:55]
	v_fma_f64 v[56:57], -v[62:63], v[86:87], v[56:57]
	;; [unrolled: 3-line block ×14, first 2 shown]
	s_waitcnt lgkmcnt(0)
	v_fma_f64 v[68:69], -v[62:63], v[0:1], v[68:69]
.LBB62_46:
	s_or_b32 exec_lo, exec_lo, s0
	v_lshl_add_u32 v0, v79, 3, v76
	s_barrier
	buffer_gl0_inv
	v_mov_b32_e32 v70, 3
	ds_write_b64 v0, v[58:59]
	s_waitcnt lgkmcnt(0)
	s_barrier
	buffer_gl0_inv
	ds_read_b64 v[0:1], v76 offset:24
	s_cmp_lt_i32 s7, 5
	s_cbranch_scc1 .LBB62_49
; %bb.47:
	v_mov_b32_e32 v70, 3
	v_add3_u32 v71, v77, 0, 32
	s_mov_b32 s0, 4
.LBB62_48:                              ; =>This Inner Loop Header: Depth=1
	ds_read_b64 v[80:81], v71
	v_add_nc_u32_e32 v71, 8, v71
	s_waitcnt lgkmcnt(0)
	v_cmp_lt_f64_e64 vcc_lo, |v[0:1]|, |v[80:81]|
	v_cndmask_b32_e32 v1, v1, v81, vcc_lo
	v_cndmask_b32_e32 v0, v0, v80, vcc_lo
	v_cndmask_b32_e64 v70, v70, s0, vcc_lo
	s_add_i32 s0, s0, 1
	s_cmp_lg_u32 s7, s0
	s_cbranch_scc1 .LBB62_48
.LBB62_49:
	s_mov_b32 s0, exec_lo
	s_waitcnt lgkmcnt(0)
	v_cmpx_eq_f64_e32 0, v[0:1]
	s_xor_b32 s0, exec_lo, s0
; %bb.50:
	v_cmp_ne_u32_e32 vcc_lo, 0, v78
	v_cndmask_b32_e32 v78, 4, v78, vcc_lo
; %bb.51:
	s_andn2_saveexec_b32 s0, s0
	s_cbranch_execz .LBB62_53
; %bb.52:
	v_div_scale_f64 v[71:72], null, v[0:1], v[0:1], 1.0
	v_rcp_f64_e32 v[80:81], v[71:72]
	v_fma_f64 v[82:83], -v[71:72], v[80:81], 1.0
	v_fma_f64 v[80:81], v[80:81], v[82:83], v[80:81]
	v_fma_f64 v[82:83], -v[71:72], v[80:81], 1.0
	v_fma_f64 v[80:81], v[80:81], v[82:83], v[80:81]
	v_div_scale_f64 v[82:83], vcc_lo, 1.0, v[0:1], 1.0
	v_mul_f64 v[84:85], v[82:83], v[80:81]
	v_fma_f64 v[71:72], -v[71:72], v[84:85], v[82:83]
	v_div_fmas_f64 v[71:72], v[71:72], v[80:81], v[84:85]
	v_div_fixup_f64 v[0:1], v[71:72], v[0:1], 1.0
.LBB62_53:
	s_or_b32 exec_lo, exec_lo, s0
	s_mov_b32 s0, exec_lo
	v_cmpx_ne_u32_e64 v79, v70
	s_xor_b32 s0, exec_lo, s0
	s_cbranch_execz .LBB62_59
; %bb.54:
	s_mov_b32 s1, exec_lo
	v_cmpx_eq_u32_e32 3, v79
	s_cbranch_execz .LBB62_58
; %bb.55:
	v_cmp_ne_u32_e32 vcc_lo, 3, v70
	s_xor_b32 s2, s6, -1
	s_and_b32 s3, s2, vcc_lo
	s_and_saveexec_b32 s2, s3
	s_cbranch_execz .LBB62_57
; %bb.56:
	v_ashrrev_i32_e32 v71, 31, v70
	v_lshlrev_b64 v[71:72], 2, v[70:71]
	v_add_co_u32 v71, vcc_lo, v4, v71
	v_add_co_ci_u32_e64 v72, null, v5, v72, vcc_lo
	s_clause 0x1
	global_load_dword v73, v[71:72], off
	global_load_dword v79, v[4:5], off offset:12
	s_waitcnt vmcnt(1)
	global_store_dword v[4:5], v73, off offset:12
	s_waitcnt vmcnt(0)
	global_store_dword v[71:72], v79, off
.LBB62_57:
	s_or_b32 exec_lo, exec_lo, s2
	v_mov_b32_e32 v73, v70
	v_mov_b32_e32 v79, v70
.LBB62_58:
	s_or_b32 exec_lo, exec_lo, s1
.LBB62_59:
	s_andn2_saveexec_b32 s0, s0
	s_cbranch_execz .LBB62_61
; %bb.60:
	v_mov_b32_e32 v70, v60
	v_mov_b32_e32 v71, v61
	;; [unrolled: 1-line block ×20, first 2 shown]
	ds_write2_b64 v76, v[70:71], v[79:80] offset0:4 offset1:5
	ds_write2_b64 v76, v[81:82], v[83:84] offset0:6 offset1:7
	;; [unrolled: 1-line block ×5, first 2 shown]
	v_mov_b32_e32 v70, v40
	v_mov_b32_e32 v71, v41
	;; [unrolled: 1-line block ×20, first 2 shown]
	ds_write2_b64 v76, v[70:71], v[79:80] offset0:14 offset1:15
	ds_write2_b64 v76, v[81:82], v[83:84] offset0:16 offset1:17
	;; [unrolled: 1-line block ×5, first 2 shown]
	v_mov_b32_e32 v70, v20
	v_mov_b32_e32 v71, v21
	;; [unrolled: 1-line block ×15, first 2 shown]
	ds_write2_b64 v76, v[70:71], v[80:81] offset0:24 offset1:25
	ds_write2_b64 v76, v[82:83], v[84:85] offset0:26 offset1:27
	;; [unrolled: 1-line block ×4, first 2 shown]
.LBB62_61:
	s_or_b32 exec_lo, exec_lo, s0
	s_mov_b32 s0, exec_lo
	s_waitcnt lgkmcnt(0)
	s_waitcnt_vscnt null, 0x0
	s_barrier
	buffer_gl0_inv
	v_cmpx_lt_i32_e32 3, v79
	s_cbranch_execz .LBB62_63
; %bb.62:
	v_mul_f64 v[58:59], v[0:1], v[58:59]
	ds_read2_b64 v[80:83], v76 offset0:4 offset1:5
	ds_read2_b64 v[84:87], v76 offset0:6 offset1:7
	ds_read2_b64 v[88:91], v76 offset0:8 offset1:9
	ds_read2_b64 v[92:95], v76 offset0:10 offset1:11
	ds_read2_b64 v[96:99], v76 offset0:12 offset1:13
	ds_read2_b64 v[100:103], v76 offset0:14 offset1:15
	ds_read2_b64 v[104:107], v76 offset0:16 offset1:17
	ds_read2_b64 v[108:111], v76 offset0:18 offset1:19
	ds_read2_b64 v[112:115], v76 offset0:20 offset1:21
	ds_read2_b64 v[116:119], v76 offset0:22 offset1:23
	ds_read2_b64 v[120:123], v76 offset0:24 offset1:25
	ds_read2_b64 v[124:127], v76 offset0:26 offset1:27
	ds_read2_b64 v[128:131], v76 offset0:28 offset1:29
	ds_read2_b64 v[132:135], v76 offset0:30 offset1:31
	s_waitcnt lgkmcnt(13)
	v_fma_f64 v[60:61], -v[58:59], v[80:81], v[60:61]
	v_fma_f64 v[54:55], -v[58:59], v[82:83], v[54:55]
	s_waitcnt lgkmcnt(12)
	v_fma_f64 v[56:57], -v[58:59], v[84:85], v[56:57]
	v_fma_f64 v[52:53], -v[58:59], v[86:87], v[52:53]
	;; [unrolled: 3-line block ×14, first 2 shown]
.LBB62_63:
	s_or_b32 exec_lo, exec_lo, s0
	v_lshl_add_u32 v0, v79, 3, v76
	s_barrier
	buffer_gl0_inv
	v_mov_b32_e32 v70, 4
	ds_write_b64 v0, v[60:61]
	s_waitcnt lgkmcnt(0)
	s_barrier
	buffer_gl0_inv
	ds_read_b64 v[0:1], v76 offset:32
	s_cmp_lt_i32 s7, 6
	s_cbranch_scc1 .LBB62_66
; %bb.64:
	v_add3_u32 v71, v77, 0, 40
	v_mov_b32_e32 v70, 4
	s_mov_b32 s0, 5
.LBB62_65:                              ; =>This Inner Loop Header: Depth=1
	ds_read_b64 v[80:81], v71
	v_add_nc_u32_e32 v71, 8, v71
	s_waitcnt lgkmcnt(0)
	v_cmp_lt_f64_e64 vcc_lo, |v[0:1]|, |v[80:81]|
	v_cndmask_b32_e32 v1, v1, v81, vcc_lo
	v_cndmask_b32_e32 v0, v0, v80, vcc_lo
	v_cndmask_b32_e64 v70, v70, s0, vcc_lo
	s_add_i32 s0, s0, 1
	s_cmp_lg_u32 s7, s0
	s_cbranch_scc1 .LBB62_65
.LBB62_66:
	s_mov_b32 s0, exec_lo
	s_waitcnt lgkmcnt(0)
	v_cmpx_eq_f64_e32 0, v[0:1]
	s_xor_b32 s0, exec_lo, s0
; %bb.67:
	v_cmp_ne_u32_e32 vcc_lo, 0, v78
	v_cndmask_b32_e32 v78, 5, v78, vcc_lo
; %bb.68:
	s_andn2_saveexec_b32 s0, s0
	s_cbranch_execz .LBB62_70
; %bb.69:
	v_div_scale_f64 v[71:72], null, v[0:1], v[0:1], 1.0
	v_rcp_f64_e32 v[80:81], v[71:72]
	v_fma_f64 v[82:83], -v[71:72], v[80:81], 1.0
	v_fma_f64 v[80:81], v[80:81], v[82:83], v[80:81]
	v_fma_f64 v[82:83], -v[71:72], v[80:81], 1.0
	v_fma_f64 v[80:81], v[80:81], v[82:83], v[80:81]
	v_div_scale_f64 v[82:83], vcc_lo, 1.0, v[0:1], 1.0
	v_mul_f64 v[84:85], v[82:83], v[80:81]
	v_fma_f64 v[71:72], -v[71:72], v[84:85], v[82:83]
	v_div_fmas_f64 v[71:72], v[71:72], v[80:81], v[84:85]
	v_div_fixup_f64 v[0:1], v[71:72], v[0:1], 1.0
.LBB62_70:
	s_or_b32 exec_lo, exec_lo, s0
	s_mov_b32 s0, exec_lo
	v_cmpx_ne_u32_e64 v79, v70
	s_xor_b32 s0, exec_lo, s0
	s_cbranch_execz .LBB62_76
; %bb.71:
	s_mov_b32 s1, exec_lo
	v_cmpx_eq_u32_e32 4, v79
	s_cbranch_execz .LBB62_75
; %bb.72:
	v_cmp_ne_u32_e32 vcc_lo, 4, v70
	s_xor_b32 s2, s6, -1
	s_and_b32 s3, s2, vcc_lo
	s_and_saveexec_b32 s2, s3
	s_cbranch_execz .LBB62_74
; %bb.73:
	v_ashrrev_i32_e32 v71, 31, v70
	v_lshlrev_b64 v[71:72], 2, v[70:71]
	v_add_co_u32 v71, vcc_lo, v4, v71
	v_add_co_ci_u32_e64 v72, null, v5, v72, vcc_lo
	s_clause 0x1
	global_load_dword v73, v[71:72], off
	global_load_dword v79, v[4:5], off offset:16
	s_waitcnt vmcnt(1)
	global_store_dword v[4:5], v73, off offset:16
	s_waitcnt vmcnt(0)
	global_store_dword v[71:72], v79, off
.LBB62_74:
	s_or_b32 exec_lo, exec_lo, s2
	v_mov_b32_e32 v73, v70
	v_mov_b32_e32 v79, v70
.LBB62_75:
	s_or_b32 exec_lo, exec_lo, s1
.LBB62_76:
	s_andn2_saveexec_b32 s0, s0
	s_cbranch_execz .LBB62_78
; %bb.77:
	v_mov_b32_e32 v79, 4
	ds_write2_b64 v76, v[54:55], v[56:57] offset0:5 offset1:6
	ds_write2_b64 v76, v[52:53], v[50:51] offset0:7 offset1:8
	;; [unrolled: 1-line block ×13, first 2 shown]
	ds_write_b64 v76, v[68:69] offset:248
.LBB62_78:
	s_or_b32 exec_lo, exec_lo, s0
	s_mov_b32 s0, exec_lo
	s_waitcnt lgkmcnt(0)
	s_waitcnt_vscnt null, 0x0
	s_barrier
	buffer_gl0_inv
	v_cmpx_lt_i32_e32 4, v79
	s_cbranch_execz .LBB62_80
; %bb.79:
	v_mul_f64 v[60:61], v[0:1], v[60:61]
	ds_read2_b64 v[80:83], v76 offset0:5 offset1:6
	ds_read2_b64 v[84:87], v76 offset0:7 offset1:8
	;; [unrolled: 1-line block ×13, first 2 shown]
	ds_read_b64 v[0:1], v76 offset:248
	s_waitcnt lgkmcnt(13)
	v_fma_f64 v[54:55], -v[60:61], v[80:81], v[54:55]
	v_fma_f64 v[56:57], -v[60:61], v[82:83], v[56:57]
	s_waitcnt lgkmcnt(12)
	v_fma_f64 v[52:53], -v[60:61], v[84:85], v[52:53]
	v_fma_f64 v[50:51], -v[60:61], v[86:87], v[50:51]
	;; [unrolled: 3-line block ×13, first 2 shown]
	s_waitcnt lgkmcnt(0)
	v_fma_f64 v[68:69], -v[60:61], v[0:1], v[68:69]
.LBB62_80:
	s_or_b32 exec_lo, exec_lo, s0
	v_lshl_add_u32 v0, v79, 3, v76
	s_barrier
	buffer_gl0_inv
	v_mov_b32_e32 v70, 5
	ds_write_b64 v0, v[54:55]
	s_waitcnt lgkmcnt(0)
	s_barrier
	buffer_gl0_inv
	ds_read_b64 v[0:1], v76 offset:40
	s_cmp_lt_i32 s7, 7
	s_cbranch_scc1 .LBB62_83
; %bb.81:
	v_add3_u32 v71, v77, 0, 48
	v_mov_b32_e32 v70, 5
	s_mov_b32 s0, 6
.LBB62_82:                              ; =>This Inner Loop Header: Depth=1
	ds_read_b64 v[80:81], v71
	v_add_nc_u32_e32 v71, 8, v71
	s_waitcnt lgkmcnt(0)
	v_cmp_lt_f64_e64 vcc_lo, |v[0:1]|, |v[80:81]|
	v_cndmask_b32_e32 v1, v1, v81, vcc_lo
	v_cndmask_b32_e32 v0, v0, v80, vcc_lo
	v_cndmask_b32_e64 v70, v70, s0, vcc_lo
	s_add_i32 s0, s0, 1
	s_cmp_lg_u32 s7, s0
	s_cbranch_scc1 .LBB62_82
.LBB62_83:
	s_mov_b32 s0, exec_lo
	s_waitcnt lgkmcnt(0)
	v_cmpx_eq_f64_e32 0, v[0:1]
	s_xor_b32 s0, exec_lo, s0
; %bb.84:
	v_cmp_ne_u32_e32 vcc_lo, 0, v78
	v_cndmask_b32_e32 v78, 6, v78, vcc_lo
; %bb.85:
	s_andn2_saveexec_b32 s0, s0
	s_cbranch_execz .LBB62_87
; %bb.86:
	v_div_scale_f64 v[71:72], null, v[0:1], v[0:1], 1.0
	v_rcp_f64_e32 v[80:81], v[71:72]
	v_fma_f64 v[82:83], -v[71:72], v[80:81], 1.0
	v_fma_f64 v[80:81], v[80:81], v[82:83], v[80:81]
	v_fma_f64 v[82:83], -v[71:72], v[80:81], 1.0
	v_fma_f64 v[80:81], v[80:81], v[82:83], v[80:81]
	v_div_scale_f64 v[82:83], vcc_lo, 1.0, v[0:1], 1.0
	v_mul_f64 v[84:85], v[82:83], v[80:81]
	v_fma_f64 v[71:72], -v[71:72], v[84:85], v[82:83]
	v_div_fmas_f64 v[71:72], v[71:72], v[80:81], v[84:85]
	v_div_fixup_f64 v[0:1], v[71:72], v[0:1], 1.0
.LBB62_87:
	s_or_b32 exec_lo, exec_lo, s0
	s_mov_b32 s0, exec_lo
	v_cmpx_ne_u32_e64 v79, v70
	s_xor_b32 s0, exec_lo, s0
	s_cbranch_execz .LBB62_93
; %bb.88:
	s_mov_b32 s1, exec_lo
	v_cmpx_eq_u32_e32 5, v79
	s_cbranch_execz .LBB62_92
; %bb.89:
	v_cmp_ne_u32_e32 vcc_lo, 5, v70
	s_xor_b32 s2, s6, -1
	s_and_b32 s3, s2, vcc_lo
	s_and_saveexec_b32 s2, s3
	s_cbranch_execz .LBB62_91
; %bb.90:
	v_ashrrev_i32_e32 v71, 31, v70
	v_lshlrev_b64 v[71:72], 2, v[70:71]
	v_add_co_u32 v71, vcc_lo, v4, v71
	v_add_co_ci_u32_e64 v72, null, v5, v72, vcc_lo
	s_clause 0x1
	global_load_dword v73, v[71:72], off
	global_load_dword v79, v[4:5], off offset:20
	s_waitcnt vmcnt(1)
	global_store_dword v[4:5], v73, off offset:20
	s_waitcnt vmcnt(0)
	global_store_dword v[71:72], v79, off
.LBB62_91:
	s_or_b32 exec_lo, exec_lo, s2
	v_mov_b32_e32 v73, v70
	v_mov_b32_e32 v79, v70
.LBB62_92:
	s_or_b32 exec_lo, exec_lo, s1
.LBB62_93:
	s_andn2_saveexec_b32 s0, s0
	s_cbranch_execz .LBB62_95
; %bb.94:
	v_mov_b32_e32 v70, v56
	v_mov_b32_e32 v71, v57
	;; [unrolled: 1-line block ×16, first 2 shown]
	ds_write2_b64 v76, v[70:71], v[79:80] offset0:6 offset1:7
	ds_write2_b64 v76, v[81:82], v[83:84] offset0:8 offset1:9
	;; [unrolled: 1-line block ×4, first 2 shown]
	v_mov_b32_e32 v70, v40
	v_mov_b32_e32 v71, v41
	v_mov_b32_e32 v79, v34
	v_mov_b32_e32 v80, v35
	v_mov_b32_e32 v81, v36
	v_mov_b32_e32 v82, v37
	v_mov_b32_e32 v83, v32
	v_mov_b32_e32 v84, v33
	v_mov_b32_e32 v85, v30
	v_mov_b32_e32 v86, v31
	v_mov_b32_e32 v87, v28
	v_mov_b32_e32 v88, v29
	v_mov_b32_e32 v89, v26
	v_mov_b32_e32 v90, v27
	v_mov_b32_e32 v91, v24
	v_mov_b32_e32 v92, v25
	v_mov_b32_e32 v93, v22
	v_mov_b32_e32 v94, v23
	v_mov_b32_e32 v95, v18
	v_mov_b32_e32 v96, v19
	ds_write2_b64 v76, v[70:71], v[79:80] offset0:14 offset1:15
	ds_write2_b64 v76, v[81:82], v[83:84] offset0:16 offset1:17
	;; [unrolled: 1-line block ×5, first 2 shown]
	v_mov_b32_e32 v70, v20
	v_mov_b32_e32 v71, v21
	v_mov_b32_e32 v80, v16
	v_mov_b32_e32 v81, v17
	v_mov_b32_e32 v79, 5
	v_mov_b32_e32 v82, v14
	v_mov_b32_e32 v83, v15
	v_mov_b32_e32 v84, v8
	v_mov_b32_e32 v85, v9
	v_mov_b32_e32 v86, v12
	v_mov_b32_e32 v87, v13
	v_mov_b32_e32 v88, v6
	v_mov_b32_e32 v89, v7
	v_mov_b32_e32 v90, v10
	v_mov_b32_e32 v91, v11
	ds_write2_b64 v76, v[70:71], v[80:81] offset0:24 offset1:25
	ds_write2_b64 v76, v[82:83], v[84:85] offset0:26 offset1:27
	;; [unrolled: 1-line block ×4, first 2 shown]
.LBB62_95:
	s_or_b32 exec_lo, exec_lo, s0
	s_mov_b32 s0, exec_lo
	s_waitcnt lgkmcnt(0)
	s_waitcnt_vscnt null, 0x0
	s_barrier
	buffer_gl0_inv
	v_cmpx_lt_i32_e32 5, v79
	s_cbranch_execz .LBB62_97
; %bb.96:
	v_mul_f64 v[54:55], v[0:1], v[54:55]
	ds_read2_b64 v[80:83], v76 offset0:6 offset1:7
	ds_read2_b64 v[84:87], v76 offset0:8 offset1:9
	;; [unrolled: 1-line block ×13, first 2 shown]
	s_waitcnt lgkmcnt(12)
	v_fma_f64 v[56:57], -v[54:55], v[80:81], v[56:57]
	v_fma_f64 v[52:53], -v[54:55], v[82:83], v[52:53]
	s_waitcnt lgkmcnt(11)
	v_fma_f64 v[50:51], -v[54:55], v[84:85], v[50:51]
	v_fma_f64 v[48:49], -v[54:55], v[86:87], v[48:49]
	;; [unrolled: 3-line block ×13, first 2 shown]
.LBB62_97:
	s_or_b32 exec_lo, exec_lo, s0
	v_lshl_add_u32 v0, v79, 3, v76
	s_barrier
	buffer_gl0_inv
	v_mov_b32_e32 v70, 6
	ds_write_b64 v0, v[56:57]
	s_waitcnt lgkmcnt(0)
	s_barrier
	buffer_gl0_inv
	ds_read_b64 v[0:1], v76 offset:48
	s_cmp_lt_i32 s7, 8
	s_cbranch_scc1 .LBB62_100
; %bb.98:
	v_add3_u32 v71, v77, 0, 56
	v_mov_b32_e32 v70, 6
	s_mov_b32 s0, 7
.LBB62_99:                              ; =>This Inner Loop Header: Depth=1
	ds_read_b64 v[80:81], v71
	v_add_nc_u32_e32 v71, 8, v71
	s_waitcnt lgkmcnt(0)
	v_cmp_lt_f64_e64 vcc_lo, |v[0:1]|, |v[80:81]|
	v_cndmask_b32_e32 v1, v1, v81, vcc_lo
	v_cndmask_b32_e32 v0, v0, v80, vcc_lo
	v_cndmask_b32_e64 v70, v70, s0, vcc_lo
	s_add_i32 s0, s0, 1
	s_cmp_lg_u32 s7, s0
	s_cbranch_scc1 .LBB62_99
.LBB62_100:
	s_mov_b32 s0, exec_lo
	s_waitcnt lgkmcnt(0)
	v_cmpx_eq_f64_e32 0, v[0:1]
	s_xor_b32 s0, exec_lo, s0
; %bb.101:
	v_cmp_ne_u32_e32 vcc_lo, 0, v78
	v_cndmask_b32_e32 v78, 7, v78, vcc_lo
; %bb.102:
	s_andn2_saveexec_b32 s0, s0
	s_cbranch_execz .LBB62_104
; %bb.103:
	v_div_scale_f64 v[71:72], null, v[0:1], v[0:1], 1.0
	v_rcp_f64_e32 v[80:81], v[71:72]
	v_fma_f64 v[82:83], -v[71:72], v[80:81], 1.0
	v_fma_f64 v[80:81], v[80:81], v[82:83], v[80:81]
	v_fma_f64 v[82:83], -v[71:72], v[80:81], 1.0
	v_fma_f64 v[80:81], v[80:81], v[82:83], v[80:81]
	v_div_scale_f64 v[82:83], vcc_lo, 1.0, v[0:1], 1.0
	v_mul_f64 v[84:85], v[82:83], v[80:81]
	v_fma_f64 v[71:72], -v[71:72], v[84:85], v[82:83]
	v_div_fmas_f64 v[71:72], v[71:72], v[80:81], v[84:85]
	v_div_fixup_f64 v[0:1], v[71:72], v[0:1], 1.0
.LBB62_104:
	s_or_b32 exec_lo, exec_lo, s0
	s_mov_b32 s0, exec_lo
	v_cmpx_ne_u32_e64 v79, v70
	s_xor_b32 s0, exec_lo, s0
	s_cbranch_execz .LBB62_110
; %bb.105:
	s_mov_b32 s1, exec_lo
	v_cmpx_eq_u32_e32 6, v79
	s_cbranch_execz .LBB62_109
; %bb.106:
	v_cmp_ne_u32_e32 vcc_lo, 6, v70
	s_xor_b32 s2, s6, -1
	s_and_b32 s3, s2, vcc_lo
	s_and_saveexec_b32 s2, s3
	s_cbranch_execz .LBB62_108
; %bb.107:
	v_ashrrev_i32_e32 v71, 31, v70
	v_lshlrev_b64 v[71:72], 2, v[70:71]
	v_add_co_u32 v71, vcc_lo, v4, v71
	v_add_co_ci_u32_e64 v72, null, v5, v72, vcc_lo
	s_clause 0x1
	global_load_dword v73, v[71:72], off
	global_load_dword v79, v[4:5], off offset:24
	s_waitcnt vmcnt(1)
	global_store_dword v[4:5], v73, off offset:24
	s_waitcnt vmcnt(0)
	global_store_dword v[71:72], v79, off
.LBB62_108:
	s_or_b32 exec_lo, exec_lo, s2
	v_mov_b32_e32 v73, v70
	v_mov_b32_e32 v79, v70
.LBB62_109:
	s_or_b32 exec_lo, exec_lo, s1
.LBB62_110:
	s_andn2_saveexec_b32 s0, s0
	s_cbranch_execz .LBB62_112
; %bb.111:
	v_mov_b32_e32 v79, 6
	ds_write2_b64 v76, v[52:53], v[50:51] offset0:7 offset1:8
	ds_write2_b64 v76, v[48:49], v[46:47] offset0:9 offset1:10
	;; [unrolled: 1-line block ×12, first 2 shown]
	ds_write_b64 v76, v[68:69] offset:248
.LBB62_112:
	s_or_b32 exec_lo, exec_lo, s0
	s_mov_b32 s0, exec_lo
	s_waitcnt lgkmcnt(0)
	s_waitcnt_vscnt null, 0x0
	s_barrier
	buffer_gl0_inv
	v_cmpx_lt_i32_e32 6, v79
	s_cbranch_execz .LBB62_114
; %bb.113:
	v_mul_f64 v[56:57], v[0:1], v[56:57]
	ds_read2_b64 v[80:83], v76 offset0:7 offset1:8
	ds_read2_b64 v[84:87], v76 offset0:9 offset1:10
	;; [unrolled: 1-line block ×12, first 2 shown]
	ds_read_b64 v[0:1], v76 offset:248
	s_waitcnt lgkmcnt(12)
	v_fma_f64 v[52:53], -v[56:57], v[80:81], v[52:53]
	v_fma_f64 v[50:51], -v[56:57], v[82:83], v[50:51]
	s_waitcnt lgkmcnt(11)
	v_fma_f64 v[48:49], -v[56:57], v[84:85], v[48:49]
	v_fma_f64 v[46:47], -v[56:57], v[86:87], v[46:47]
	s_waitcnt lgkmcnt(10)
	v_fma_f64 v[44:45], -v[56:57], v[88:89], v[44:45]
	v_fma_f64 v[42:43], -v[56:57], v[90:91], v[42:43]
	s_waitcnt lgkmcnt(9)
	v_fma_f64 v[38:39], -v[56:57], v[92:93], v[38:39]
	v_fma_f64 v[40:41], -v[56:57], v[94:95], v[40:41]
	s_waitcnt lgkmcnt(8)
	v_fma_f64 v[34:35], -v[56:57], v[96:97], v[34:35]
	v_fma_f64 v[36:37], -v[56:57], v[98:99], v[36:37]
	s_waitcnt lgkmcnt(7)
	v_fma_f64 v[32:33], -v[56:57], v[100:101], v[32:33]
	v_fma_f64 v[30:31], -v[56:57], v[102:103], v[30:31]
	s_waitcnt lgkmcnt(6)
	v_fma_f64 v[28:29], -v[56:57], v[104:105], v[28:29]
	v_fma_f64 v[26:27], -v[56:57], v[106:107], v[26:27]
	s_waitcnt lgkmcnt(5)
	v_fma_f64 v[24:25], -v[56:57], v[108:109], v[24:25]
	v_fma_f64 v[22:23], -v[56:57], v[110:111], v[22:23]
	s_waitcnt lgkmcnt(4)
	v_fma_f64 v[18:19], -v[56:57], v[112:113], v[18:19]
	v_fma_f64 v[20:21], -v[56:57], v[114:115], v[20:21]
	s_waitcnt lgkmcnt(3)
	v_fma_f64 v[16:17], -v[56:57], v[116:117], v[16:17]
	v_fma_f64 v[14:15], -v[56:57], v[118:119], v[14:15]
	s_waitcnt lgkmcnt(2)
	v_fma_f64 v[8:9], -v[56:57], v[120:121], v[8:9]
	v_fma_f64 v[12:13], -v[56:57], v[122:123], v[12:13]
	s_waitcnt lgkmcnt(1)
	v_fma_f64 v[6:7], -v[56:57], v[124:125], v[6:7]
	v_fma_f64 v[10:11], -v[56:57], v[126:127], v[10:11]
	s_waitcnt lgkmcnt(0)
	v_fma_f64 v[68:69], -v[56:57], v[0:1], v[68:69]
.LBB62_114:
	s_or_b32 exec_lo, exec_lo, s0
	v_lshl_add_u32 v0, v79, 3, v76
	s_barrier
	buffer_gl0_inv
	v_mov_b32_e32 v70, 7
	ds_write_b64 v0, v[52:53]
	s_waitcnt lgkmcnt(0)
	s_barrier
	buffer_gl0_inv
	ds_read_b64 v[0:1], v76 offset:56
	s_cmp_lt_i32 s7, 9
	s_cbranch_scc1 .LBB62_117
; %bb.115:
	v_add3_u32 v71, v77, 0, 64
	v_mov_b32_e32 v70, 7
	s_mov_b32 s0, 8
.LBB62_116:                             ; =>This Inner Loop Header: Depth=1
	ds_read_b64 v[80:81], v71
	v_add_nc_u32_e32 v71, 8, v71
	s_waitcnt lgkmcnt(0)
	v_cmp_lt_f64_e64 vcc_lo, |v[0:1]|, |v[80:81]|
	v_cndmask_b32_e32 v1, v1, v81, vcc_lo
	v_cndmask_b32_e32 v0, v0, v80, vcc_lo
	v_cndmask_b32_e64 v70, v70, s0, vcc_lo
	s_add_i32 s0, s0, 1
	s_cmp_lg_u32 s7, s0
	s_cbranch_scc1 .LBB62_116
.LBB62_117:
	s_mov_b32 s0, exec_lo
	s_waitcnt lgkmcnt(0)
	v_cmpx_eq_f64_e32 0, v[0:1]
	s_xor_b32 s0, exec_lo, s0
; %bb.118:
	v_cmp_ne_u32_e32 vcc_lo, 0, v78
	v_cndmask_b32_e32 v78, 8, v78, vcc_lo
; %bb.119:
	s_andn2_saveexec_b32 s0, s0
	s_cbranch_execz .LBB62_121
; %bb.120:
	v_div_scale_f64 v[71:72], null, v[0:1], v[0:1], 1.0
	v_rcp_f64_e32 v[80:81], v[71:72]
	v_fma_f64 v[82:83], -v[71:72], v[80:81], 1.0
	v_fma_f64 v[80:81], v[80:81], v[82:83], v[80:81]
	v_fma_f64 v[82:83], -v[71:72], v[80:81], 1.0
	v_fma_f64 v[80:81], v[80:81], v[82:83], v[80:81]
	v_div_scale_f64 v[82:83], vcc_lo, 1.0, v[0:1], 1.0
	v_mul_f64 v[84:85], v[82:83], v[80:81]
	v_fma_f64 v[71:72], -v[71:72], v[84:85], v[82:83]
	v_div_fmas_f64 v[71:72], v[71:72], v[80:81], v[84:85]
	v_div_fixup_f64 v[0:1], v[71:72], v[0:1], 1.0
.LBB62_121:
	s_or_b32 exec_lo, exec_lo, s0
	s_mov_b32 s0, exec_lo
	v_cmpx_ne_u32_e64 v79, v70
	s_xor_b32 s0, exec_lo, s0
	s_cbranch_execz .LBB62_127
; %bb.122:
	s_mov_b32 s1, exec_lo
	v_cmpx_eq_u32_e32 7, v79
	s_cbranch_execz .LBB62_126
; %bb.123:
	v_cmp_ne_u32_e32 vcc_lo, 7, v70
	s_xor_b32 s2, s6, -1
	s_and_b32 s3, s2, vcc_lo
	s_and_saveexec_b32 s2, s3
	s_cbranch_execz .LBB62_125
; %bb.124:
	v_ashrrev_i32_e32 v71, 31, v70
	v_lshlrev_b64 v[71:72], 2, v[70:71]
	v_add_co_u32 v71, vcc_lo, v4, v71
	v_add_co_ci_u32_e64 v72, null, v5, v72, vcc_lo
	s_clause 0x1
	global_load_dword v73, v[71:72], off
	global_load_dword v79, v[4:5], off offset:28
	s_waitcnt vmcnt(1)
	global_store_dword v[4:5], v73, off offset:28
	s_waitcnt vmcnt(0)
	global_store_dword v[71:72], v79, off
.LBB62_125:
	s_or_b32 exec_lo, exec_lo, s2
	v_mov_b32_e32 v73, v70
	v_mov_b32_e32 v79, v70
.LBB62_126:
	s_or_b32 exec_lo, exec_lo, s1
.LBB62_127:
	s_andn2_saveexec_b32 s0, s0
	s_cbranch_execz .LBB62_129
; %bb.128:
	v_mov_b32_e32 v70, v50
	v_mov_b32_e32 v71, v51
	;; [unrolled: 1-line block ×12, first 2 shown]
	ds_write2_b64 v76, v[70:71], v[79:80] offset0:8 offset1:9
	ds_write2_b64 v76, v[81:82], v[83:84] offset0:10 offset1:11
	;; [unrolled: 1-line block ×3, first 2 shown]
	v_mov_b32_e32 v70, v40
	v_mov_b32_e32 v71, v41
	;; [unrolled: 1-line block ×20, first 2 shown]
	ds_write2_b64 v76, v[70:71], v[79:80] offset0:14 offset1:15
	ds_write2_b64 v76, v[81:82], v[83:84] offset0:16 offset1:17
	;; [unrolled: 1-line block ×5, first 2 shown]
	v_mov_b32_e32 v70, v20
	v_mov_b32_e32 v71, v21
	;; [unrolled: 1-line block ×15, first 2 shown]
	ds_write2_b64 v76, v[70:71], v[80:81] offset0:24 offset1:25
	ds_write2_b64 v76, v[82:83], v[84:85] offset0:26 offset1:27
	;; [unrolled: 1-line block ×4, first 2 shown]
.LBB62_129:
	s_or_b32 exec_lo, exec_lo, s0
	s_mov_b32 s0, exec_lo
	s_waitcnt lgkmcnt(0)
	s_waitcnt_vscnt null, 0x0
	s_barrier
	buffer_gl0_inv
	v_cmpx_lt_i32_e32 7, v79
	s_cbranch_execz .LBB62_131
; %bb.130:
	v_mul_f64 v[52:53], v[0:1], v[52:53]
	ds_read2_b64 v[80:83], v76 offset0:8 offset1:9
	ds_read2_b64 v[84:87], v76 offset0:10 offset1:11
	ds_read2_b64 v[88:91], v76 offset0:12 offset1:13
	ds_read2_b64 v[92:95], v76 offset0:14 offset1:15
	ds_read2_b64 v[96:99], v76 offset0:16 offset1:17
	ds_read2_b64 v[100:103], v76 offset0:18 offset1:19
	ds_read2_b64 v[104:107], v76 offset0:20 offset1:21
	ds_read2_b64 v[108:111], v76 offset0:22 offset1:23
	ds_read2_b64 v[112:115], v76 offset0:24 offset1:25
	ds_read2_b64 v[116:119], v76 offset0:26 offset1:27
	ds_read2_b64 v[120:123], v76 offset0:28 offset1:29
	ds_read2_b64 v[124:127], v76 offset0:30 offset1:31
	s_waitcnt lgkmcnt(11)
	v_fma_f64 v[50:51], -v[52:53], v[80:81], v[50:51]
	v_fma_f64 v[48:49], -v[52:53], v[82:83], v[48:49]
	s_waitcnt lgkmcnt(10)
	v_fma_f64 v[46:47], -v[52:53], v[84:85], v[46:47]
	v_fma_f64 v[44:45], -v[52:53], v[86:87], v[44:45]
	;; [unrolled: 3-line block ×12, first 2 shown]
.LBB62_131:
	s_or_b32 exec_lo, exec_lo, s0
	v_lshl_add_u32 v0, v79, 3, v76
	s_barrier
	buffer_gl0_inv
	v_mov_b32_e32 v70, 8
	ds_write_b64 v0, v[50:51]
	s_waitcnt lgkmcnt(0)
	s_barrier
	buffer_gl0_inv
	ds_read_b64 v[0:1], v76 offset:64
	s_cmp_lt_i32 s7, 10
	s_cbranch_scc1 .LBB62_134
; %bb.132:
	v_add3_u32 v71, v77, 0, 0x48
	v_mov_b32_e32 v70, 8
	s_mov_b32 s0, 9
.LBB62_133:                             ; =>This Inner Loop Header: Depth=1
	ds_read_b64 v[80:81], v71
	v_add_nc_u32_e32 v71, 8, v71
	s_waitcnt lgkmcnt(0)
	v_cmp_lt_f64_e64 vcc_lo, |v[0:1]|, |v[80:81]|
	v_cndmask_b32_e32 v1, v1, v81, vcc_lo
	v_cndmask_b32_e32 v0, v0, v80, vcc_lo
	v_cndmask_b32_e64 v70, v70, s0, vcc_lo
	s_add_i32 s0, s0, 1
	s_cmp_lg_u32 s7, s0
	s_cbranch_scc1 .LBB62_133
.LBB62_134:
	s_mov_b32 s0, exec_lo
	s_waitcnt lgkmcnt(0)
	v_cmpx_eq_f64_e32 0, v[0:1]
	s_xor_b32 s0, exec_lo, s0
; %bb.135:
	v_cmp_ne_u32_e32 vcc_lo, 0, v78
	v_cndmask_b32_e32 v78, 9, v78, vcc_lo
; %bb.136:
	s_andn2_saveexec_b32 s0, s0
	s_cbranch_execz .LBB62_138
; %bb.137:
	v_div_scale_f64 v[71:72], null, v[0:1], v[0:1], 1.0
	v_rcp_f64_e32 v[80:81], v[71:72]
	v_fma_f64 v[82:83], -v[71:72], v[80:81], 1.0
	v_fma_f64 v[80:81], v[80:81], v[82:83], v[80:81]
	v_fma_f64 v[82:83], -v[71:72], v[80:81], 1.0
	v_fma_f64 v[80:81], v[80:81], v[82:83], v[80:81]
	v_div_scale_f64 v[82:83], vcc_lo, 1.0, v[0:1], 1.0
	v_mul_f64 v[84:85], v[82:83], v[80:81]
	v_fma_f64 v[71:72], -v[71:72], v[84:85], v[82:83]
	v_div_fmas_f64 v[71:72], v[71:72], v[80:81], v[84:85]
	v_div_fixup_f64 v[0:1], v[71:72], v[0:1], 1.0
.LBB62_138:
	s_or_b32 exec_lo, exec_lo, s0
	s_mov_b32 s0, exec_lo
	v_cmpx_ne_u32_e64 v79, v70
	s_xor_b32 s0, exec_lo, s0
	s_cbranch_execz .LBB62_144
; %bb.139:
	s_mov_b32 s1, exec_lo
	v_cmpx_eq_u32_e32 8, v79
	s_cbranch_execz .LBB62_143
; %bb.140:
	v_cmp_ne_u32_e32 vcc_lo, 8, v70
	s_xor_b32 s2, s6, -1
	s_and_b32 s3, s2, vcc_lo
	s_and_saveexec_b32 s2, s3
	s_cbranch_execz .LBB62_142
; %bb.141:
	v_ashrrev_i32_e32 v71, 31, v70
	v_lshlrev_b64 v[71:72], 2, v[70:71]
	v_add_co_u32 v71, vcc_lo, v4, v71
	v_add_co_ci_u32_e64 v72, null, v5, v72, vcc_lo
	s_clause 0x1
	global_load_dword v73, v[71:72], off
	global_load_dword v79, v[4:5], off offset:32
	s_waitcnt vmcnt(1)
	global_store_dword v[4:5], v73, off offset:32
	s_waitcnt vmcnt(0)
	global_store_dword v[71:72], v79, off
.LBB62_142:
	s_or_b32 exec_lo, exec_lo, s2
	v_mov_b32_e32 v73, v70
	v_mov_b32_e32 v79, v70
.LBB62_143:
	s_or_b32 exec_lo, exec_lo, s1
.LBB62_144:
	s_andn2_saveexec_b32 s0, s0
	s_cbranch_execz .LBB62_146
; %bb.145:
	v_mov_b32_e32 v79, 8
	ds_write2_b64 v76, v[48:49], v[46:47] offset0:9 offset1:10
	ds_write2_b64 v76, v[44:45], v[42:43] offset0:11 offset1:12
	;; [unrolled: 1-line block ×11, first 2 shown]
	ds_write_b64 v76, v[68:69] offset:248
.LBB62_146:
	s_or_b32 exec_lo, exec_lo, s0
	s_mov_b32 s0, exec_lo
	s_waitcnt lgkmcnt(0)
	s_waitcnt_vscnt null, 0x0
	s_barrier
	buffer_gl0_inv
	v_cmpx_lt_i32_e32 8, v79
	s_cbranch_execz .LBB62_148
; %bb.147:
	v_mul_f64 v[50:51], v[0:1], v[50:51]
	ds_read2_b64 v[80:83], v76 offset0:9 offset1:10
	ds_read2_b64 v[84:87], v76 offset0:11 offset1:12
	;; [unrolled: 1-line block ×11, first 2 shown]
	ds_read_b64 v[0:1], v76 offset:248
	s_waitcnt lgkmcnt(11)
	v_fma_f64 v[48:49], -v[50:51], v[80:81], v[48:49]
	v_fma_f64 v[46:47], -v[50:51], v[82:83], v[46:47]
	s_waitcnt lgkmcnt(10)
	v_fma_f64 v[44:45], -v[50:51], v[84:85], v[44:45]
	v_fma_f64 v[42:43], -v[50:51], v[86:87], v[42:43]
	;; [unrolled: 3-line block ×11, first 2 shown]
	s_waitcnt lgkmcnt(0)
	v_fma_f64 v[68:69], -v[50:51], v[0:1], v[68:69]
.LBB62_148:
	s_or_b32 exec_lo, exec_lo, s0
	v_lshl_add_u32 v0, v79, 3, v76
	s_barrier
	buffer_gl0_inv
	v_mov_b32_e32 v70, 9
	ds_write_b64 v0, v[48:49]
	s_waitcnt lgkmcnt(0)
	s_barrier
	buffer_gl0_inv
	ds_read_b64 v[0:1], v76 offset:72
	s_cmp_lt_i32 s7, 11
	s_cbranch_scc1 .LBB62_151
; %bb.149:
	v_add3_u32 v71, v77, 0, 0x50
	v_mov_b32_e32 v70, 9
	s_mov_b32 s0, 10
.LBB62_150:                             ; =>This Inner Loop Header: Depth=1
	ds_read_b64 v[80:81], v71
	v_add_nc_u32_e32 v71, 8, v71
	s_waitcnt lgkmcnt(0)
	v_cmp_lt_f64_e64 vcc_lo, |v[0:1]|, |v[80:81]|
	v_cndmask_b32_e32 v1, v1, v81, vcc_lo
	v_cndmask_b32_e32 v0, v0, v80, vcc_lo
	v_cndmask_b32_e64 v70, v70, s0, vcc_lo
	s_add_i32 s0, s0, 1
	s_cmp_lg_u32 s7, s0
	s_cbranch_scc1 .LBB62_150
.LBB62_151:
	s_mov_b32 s0, exec_lo
	s_waitcnt lgkmcnt(0)
	v_cmpx_eq_f64_e32 0, v[0:1]
	s_xor_b32 s0, exec_lo, s0
; %bb.152:
	v_cmp_ne_u32_e32 vcc_lo, 0, v78
	v_cndmask_b32_e32 v78, 10, v78, vcc_lo
; %bb.153:
	s_andn2_saveexec_b32 s0, s0
	s_cbranch_execz .LBB62_155
; %bb.154:
	v_div_scale_f64 v[71:72], null, v[0:1], v[0:1], 1.0
	v_rcp_f64_e32 v[80:81], v[71:72]
	v_fma_f64 v[82:83], -v[71:72], v[80:81], 1.0
	v_fma_f64 v[80:81], v[80:81], v[82:83], v[80:81]
	v_fma_f64 v[82:83], -v[71:72], v[80:81], 1.0
	v_fma_f64 v[80:81], v[80:81], v[82:83], v[80:81]
	v_div_scale_f64 v[82:83], vcc_lo, 1.0, v[0:1], 1.0
	v_mul_f64 v[84:85], v[82:83], v[80:81]
	v_fma_f64 v[71:72], -v[71:72], v[84:85], v[82:83]
	v_div_fmas_f64 v[71:72], v[71:72], v[80:81], v[84:85]
	v_div_fixup_f64 v[0:1], v[71:72], v[0:1], 1.0
.LBB62_155:
	s_or_b32 exec_lo, exec_lo, s0
	s_mov_b32 s0, exec_lo
	v_cmpx_ne_u32_e64 v79, v70
	s_xor_b32 s0, exec_lo, s0
	s_cbranch_execz .LBB62_161
; %bb.156:
	s_mov_b32 s1, exec_lo
	v_cmpx_eq_u32_e32 9, v79
	s_cbranch_execz .LBB62_160
; %bb.157:
	v_cmp_ne_u32_e32 vcc_lo, 9, v70
	s_xor_b32 s2, s6, -1
	s_and_b32 s3, s2, vcc_lo
	s_and_saveexec_b32 s2, s3
	s_cbranch_execz .LBB62_159
; %bb.158:
	v_ashrrev_i32_e32 v71, 31, v70
	v_lshlrev_b64 v[71:72], 2, v[70:71]
	v_add_co_u32 v71, vcc_lo, v4, v71
	v_add_co_ci_u32_e64 v72, null, v5, v72, vcc_lo
	s_clause 0x1
	global_load_dword v73, v[71:72], off
	global_load_dword v79, v[4:5], off offset:36
	s_waitcnt vmcnt(1)
	global_store_dword v[4:5], v73, off offset:36
	s_waitcnt vmcnt(0)
	global_store_dword v[71:72], v79, off
.LBB62_159:
	s_or_b32 exec_lo, exec_lo, s2
	v_mov_b32_e32 v73, v70
	v_mov_b32_e32 v79, v70
.LBB62_160:
	s_or_b32 exec_lo, exec_lo, s1
.LBB62_161:
	s_andn2_saveexec_b32 s0, s0
	s_cbranch_execz .LBB62_163
; %bb.162:
	v_mov_b32_e32 v70, v46
	v_mov_b32_e32 v71, v47
	;; [unrolled: 1-line block ×8, first 2 shown]
	ds_write2_b64 v76, v[70:71], v[79:80] offset0:10 offset1:11
	ds_write2_b64 v76, v[81:82], v[83:84] offset0:12 offset1:13
	v_mov_b32_e32 v70, v40
	v_mov_b32_e32 v71, v41
	;; [unrolled: 1-line block ×20, first 2 shown]
	ds_write2_b64 v76, v[70:71], v[79:80] offset0:14 offset1:15
	ds_write2_b64 v76, v[81:82], v[83:84] offset0:16 offset1:17
	;; [unrolled: 1-line block ×5, first 2 shown]
	v_mov_b32_e32 v70, v20
	v_mov_b32_e32 v71, v21
	;; [unrolled: 1-line block ×15, first 2 shown]
	ds_write2_b64 v76, v[70:71], v[80:81] offset0:24 offset1:25
	ds_write2_b64 v76, v[82:83], v[84:85] offset0:26 offset1:27
	;; [unrolled: 1-line block ×4, first 2 shown]
.LBB62_163:
	s_or_b32 exec_lo, exec_lo, s0
	s_mov_b32 s0, exec_lo
	s_waitcnt lgkmcnt(0)
	s_waitcnt_vscnt null, 0x0
	s_barrier
	buffer_gl0_inv
	v_cmpx_lt_i32_e32 9, v79
	s_cbranch_execz .LBB62_165
; %bb.164:
	v_mul_f64 v[48:49], v[0:1], v[48:49]
	ds_read2_b64 v[80:83], v76 offset0:10 offset1:11
	ds_read2_b64 v[84:87], v76 offset0:12 offset1:13
	;; [unrolled: 1-line block ×11, first 2 shown]
	s_waitcnt lgkmcnt(10)
	v_fma_f64 v[46:47], -v[48:49], v[80:81], v[46:47]
	v_fma_f64 v[44:45], -v[48:49], v[82:83], v[44:45]
	s_waitcnt lgkmcnt(9)
	v_fma_f64 v[42:43], -v[48:49], v[84:85], v[42:43]
	v_fma_f64 v[38:39], -v[48:49], v[86:87], v[38:39]
	;; [unrolled: 3-line block ×11, first 2 shown]
.LBB62_165:
	s_or_b32 exec_lo, exec_lo, s0
	v_lshl_add_u32 v0, v79, 3, v76
	s_barrier
	buffer_gl0_inv
	v_mov_b32_e32 v70, 10
	ds_write_b64 v0, v[46:47]
	s_waitcnt lgkmcnt(0)
	s_barrier
	buffer_gl0_inv
	ds_read_b64 v[0:1], v76 offset:80
	s_cmp_lt_i32 s7, 12
	s_cbranch_scc1 .LBB62_168
; %bb.166:
	v_add3_u32 v71, v77, 0, 0x58
	v_mov_b32_e32 v70, 10
	s_mov_b32 s0, 11
.LBB62_167:                             ; =>This Inner Loop Header: Depth=1
	ds_read_b64 v[80:81], v71
	v_add_nc_u32_e32 v71, 8, v71
	s_waitcnt lgkmcnt(0)
	v_cmp_lt_f64_e64 vcc_lo, |v[0:1]|, |v[80:81]|
	v_cndmask_b32_e32 v1, v1, v81, vcc_lo
	v_cndmask_b32_e32 v0, v0, v80, vcc_lo
	v_cndmask_b32_e64 v70, v70, s0, vcc_lo
	s_add_i32 s0, s0, 1
	s_cmp_lg_u32 s7, s0
	s_cbranch_scc1 .LBB62_167
.LBB62_168:
	s_mov_b32 s0, exec_lo
	s_waitcnt lgkmcnt(0)
	v_cmpx_eq_f64_e32 0, v[0:1]
	s_xor_b32 s0, exec_lo, s0
; %bb.169:
	v_cmp_ne_u32_e32 vcc_lo, 0, v78
	v_cndmask_b32_e32 v78, 11, v78, vcc_lo
; %bb.170:
	s_andn2_saveexec_b32 s0, s0
	s_cbranch_execz .LBB62_172
; %bb.171:
	v_div_scale_f64 v[71:72], null, v[0:1], v[0:1], 1.0
	v_rcp_f64_e32 v[80:81], v[71:72]
	v_fma_f64 v[82:83], -v[71:72], v[80:81], 1.0
	v_fma_f64 v[80:81], v[80:81], v[82:83], v[80:81]
	v_fma_f64 v[82:83], -v[71:72], v[80:81], 1.0
	v_fma_f64 v[80:81], v[80:81], v[82:83], v[80:81]
	v_div_scale_f64 v[82:83], vcc_lo, 1.0, v[0:1], 1.0
	v_mul_f64 v[84:85], v[82:83], v[80:81]
	v_fma_f64 v[71:72], -v[71:72], v[84:85], v[82:83]
	v_div_fmas_f64 v[71:72], v[71:72], v[80:81], v[84:85]
	v_div_fixup_f64 v[0:1], v[71:72], v[0:1], 1.0
.LBB62_172:
	s_or_b32 exec_lo, exec_lo, s0
	s_mov_b32 s0, exec_lo
	v_cmpx_ne_u32_e64 v79, v70
	s_xor_b32 s0, exec_lo, s0
	s_cbranch_execz .LBB62_178
; %bb.173:
	s_mov_b32 s1, exec_lo
	v_cmpx_eq_u32_e32 10, v79
	s_cbranch_execz .LBB62_177
; %bb.174:
	v_cmp_ne_u32_e32 vcc_lo, 10, v70
	s_xor_b32 s2, s6, -1
	s_and_b32 s3, s2, vcc_lo
	s_and_saveexec_b32 s2, s3
	s_cbranch_execz .LBB62_176
; %bb.175:
	v_ashrrev_i32_e32 v71, 31, v70
	v_lshlrev_b64 v[71:72], 2, v[70:71]
	v_add_co_u32 v71, vcc_lo, v4, v71
	v_add_co_ci_u32_e64 v72, null, v5, v72, vcc_lo
	s_clause 0x1
	global_load_dword v73, v[71:72], off
	global_load_dword v79, v[4:5], off offset:40
	s_waitcnt vmcnt(1)
	global_store_dword v[4:5], v73, off offset:40
	s_waitcnt vmcnt(0)
	global_store_dword v[71:72], v79, off
.LBB62_176:
	s_or_b32 exec_lo, exec_lo, s2
	v_mov_b32_e32 v73, v70
	v_mov_b32_e32 v79, v70
.LBB62_177:
	s_or_b32 exec_lo, exec_lo, s1
.LBB62_178:
	s_andn2_saveexec_b32 s0, s0
	s_cbranch_execz .LBB62_180
; %bb.179:
	v_mov_b32_e32 v79, 10
	ds_write2_b64 v76, v[44:45], v[42:43] offset0:11 offset1:12
	ds_write2_b64 v76, v[38:39], v[40:41] offset0:13 offset1:14
	;; [unrolled: 1-line block ×10, first 2 shown]
	ds_write_b64 v76, v[68:69] offset:248
.LBB62_180:
	s_or_b32 exec_lo, exec_lo, s0
	s_mov_b32 s0, exec_lo
	s_waitcnt lgkmcnt(0)
	s_waitcnt_vscnt null, 0x0
	s_barrier
	buffer_gl0_inv
	v_cmpx_lt_i32_e32 10, v79
	s_cbranch_execz .LBB62_182
; %bb.181:
	v_mul_f64 v[46:47], v[0:1], v[46:47]
	ds_read2_b64 v[80:83], v76 offset0:11 offset1:12
	ds_read2_b64 v[84:87], v76 offset0:13 offset1:14
	;; [unrolled: 1-line block ×10, first 2 shown]
	ds_read_b64 v[0:1], v76 offset:248
	s_waitcnt lgkmcnt(10)
	v_fma_f64 v[44:45], -v[46:47], v[80:81], v[44:45]
	v_fma_f64 v[42:43], -v[46:47], v[82:83], v[42:43]
	s_waitcnt lgkmcnt(9)
	v_fma_f64 v[38:39], -v[46:47], v[84:85], v[38:39]
	v_fma_f64 v[40:41], -v[46:47], v[86:87], v[40:41]
	s_waitcnt lgkmcnt(8)
	v_fma_f64 v[34:35], -v[46:47], v[88:89], v[34:35]
	v_fma_f64 v[36:37], -v[46:47], v[90:91], v[36:37]
	s_waitcnt lgkmcnt(7)
	v_fma_f64 v[32:33], -v[46:47], v[92:93], v[32:33]
	v_fma_f64 v[30:31], -v[46:47], v[94:95], v[30:31]
	s_waitcnt lgkmcnt(6)
	v_fma_f64 v[28:29], -v[46:47], v[96:97], v[28:29]
	v_fma_f64 v[26:27], -v[46:47], v[98:99], v[26:27]
	s_waitcnt lgkmcnt(5)
	v_fma_f64 v[24:25], -v[46:47], v[100:101], v[24:25]
	v_fma_f64 v[22:23], -v[46:47], v[102:103], v[22:23]
	s_waitcnt lgkmcnt(4)
	v_fma_f64 v[18:19], -v[46:47], v[104:105], v[18:19]
	v_fma_f64 v[20:21], -v[46:47], v[106:107], v[20:21]
	s_waitcnt lgkmcnt(3)
	v_fma_f64 v[16:17], -v[46:47], v[108:109], v[16:17]
	v_fma_f64 v[14:15], -v[46:47], v[110:111], v[14:15]
	s_waitcnt lgkmcnt(2)
	v_fma_f64 v[8:9], -v[46:47], v[112:113], v[8:9]
	v_fma_f64 v[12:13], -v[46:47], v[114:115], v[12:13]
	s_waitcnt lgkmcnt(1)
	v_fma_f64 v[6:7], -v[46:47], v[116:117], v[6:7]
	v_fma_f64 v[10:11], -v[46:47], v[118:119], v[10:11]
	s_waitcnt lgkmcnt(0)
	v_fma_f64 v[68:69], -v[46:47], v[0:1], v[68:69]
.LBB62_182:
	s_or_b32 exec_lo, exec_lo, s0
	v_lshl_add_u32 v0, v79, 3, v76
	s_barrier
	buffer_gl0_inv
	v_mov_b32_e32 v70, 11
	ds_write_b64 v0, v[44:45]
	s_waitcnt lgkmcnt(0)
	s_barrier
	buffer_gl0_inv
	ds_read_b64 v[0:1], v76 offset:88
	s_cmp_lt_i32 s7, 13
	s_cbranch_scc1 .LBB62_185
; %bb.183:
	v_add3_u32 v71, v77, 0, 0x60
	v_mov_b32_e32 v70, 11
	s_mov_b32 s0, 12
.LBB62_184:                             ; =>This Inner Loop Header: Depth=1
	ds_read_b64 v[80:81], v71
	v_add_nc_u32_e32 v71, 8, v71
	s_waitcnt lgkmcnt(0)
	v_cmp_lt_f64_e64 vcc_lo, |v[0:1]|, |v[80:81]|
	v_cndmask_b32_e32 v1, v1, v81, vcc_lo
	v_cndmask_b32_e32 v0, v0, v80, vcc_lo
	v_cndmask_b32_e64 v70, v70, s0, vcc_lo
	s_add_i32 s0, s0, 1
	s_cmp_lg_u32 s7, s0
	s_cbranch_scc1 .LBB62_184
.LBB62_185:
	s_mov_b32 s0, exec_lo
	s_waitcnt lgkmcnt(0)
	v_cmpx_eq_f64_e32 0, v[0:1]
	s_xor_b32 s0, exec_lo, s0
; %bb.186:
	v_cmp_ne_u32_e32 vcc_lo, 0, v78
	v_cndmask_b32_e32 v78, 12, v78, vcc_lo
; %bb.187:
	s_andn2_saveexec_b32 s0, s0
	s_cbranch_execz .LBB62_189
; %bb.188:
	v_div_scale_f64 v[71:72], null, v[0:1], v[0:1], 1.0
	v_rcp_f64_e32 v[80:81], v[71:72]
	v_fma_f64 v[82:83], -v[71:72], v[80:81], 1.0
	v_fma_f64 v[80:81], v[80:81], v[82:83], v[80:81]
	v_fma_f64 v[82:83], -v[71:72], v[80:81], 1.0
	v_fma_f64 v[80:81], v[80:81], v[82:83], v[80:81]
	v_div_scale_f64 v[82:83], vcc_lo, 1.0, v[0:1], 1.0
	v_mul_f64 v[84:85], v[82:83], v[80:81]
	v_fma_f64 v[71:72], -v[71:72], v[84:85], v[82:83]
	v_div_fmas_f64 v[71:72], v[71:72], v[80:81], v[84:85]
	v_div_fixup_f64 v[0:1], v[71:72], v[0:1], 1.0
.LBB62_189:
	s_or_b32 exec_lo, exec_lo, s0
	s_mov_b32 s0, exec_lo
	v_cmpx_ne_u32_e64 v79, v70
	s_xor_b32 s0, exec_lo, s0
	s_cbranch_execz .LBB62_195
; %bb.190:
	s_mov_b32 s1, exec_lo
	v_cmpx_eq_u32_e32 11, v79
	s_cbranch_execz .LBB62_194
; %bb.191:
	v_cmp_ne_u32_e32 vcc_lo, 11, v70
	s_xor_b32 s2, s6, -1
	s_and_b32 s3, s2, vcc_lo
	s_and_saveexec_b32 s2, s3
	s_cbranch_execz .LBB62_193
; %bb.192:
	v_ashrrev_i32_e32 v71, 31, v70
	v_lshlrev_b64 v[71:72], 2, v[70:71]
	v_add_co_u32 v71, vcc_lo, v4, v71
	v_add_co_ci_u32_e64 v72, null, v5, v72, vcc_lo
	s_clause 0x1
	global_load_dword v73, v[71:72], off
	global_load_dword v79, v[4:5], off offset:44
	s_waitcnt vmcnt(1)
	global_store_dword v[4:5], v73, off offset:44
	s_waitcnt vmcnt(0)
	global_store_dword v[71:72], v79, off
.LBB62_193:
	s_or_b32 exec_lo, exec_lo, s2
	v_mov_b32_e32 v73, v70
	v_mov_b32_e32 v79, v70
.LBB62_194:
	s_or_b32 exec_lo, exec_lo, s1
.LBB62_195:
	s_andn2_saveexec_b32 s0, s0
	s_cbranch_execz .LBB62_197
; %bb.196:
	v_mov_b32_e32 v70, v42
	v_mov_b32_e32 v71, v43
	;; [unrolled: 1-line block ×8, first 2 shown]
	ds_write2_b64 v76, v[70:71], v[79:80] offset0:12 offset1:13
	v_mov_b32_e32 v70, v34
	v_mov_b32_e32 v71, v35
	;; [unrolled: 1-line block ×16, first 2 shown]
	ds_write2_b64 v76, v[81:82], v[70:71] offset0:14 offset1:15
	ds_write2_b64 v76, v[79:80], v[83:84] offset0:16 offset1:17
	;; [unrolled: 1-line block ×5, first 2 shown]
	v_mov_b32_e32 v70, v20
	v_mov_b32_e32 v71, v21
	;; [unrolled: 1-line block ×15, first 2 shown]
	ds_write2_b64 v76, v[70:71], v[80:81] offset0:24 offset1:25
	ds_write2_b64 v76, v[82:83], v[84:85] offset0:26 offset1:27
	ds_write2_b64 v76, v[86:87], v[88:89] offset0:28 offset1:29
	ds_write2_b64 v76, v[90:91], v[68:69] offset0:30 offset1:31
.LBB62_197:
	s_or_b32 exec_lo, exec_lo, s0
	s_mov_b32 s0, exec_lo
	s_waitcnt lgkmcnt(0)
	s_waitcnt_vscnt null, 0x0
	s_barrier
	buffer_gl0_inv
	v_cmpx_lt_i32_e32 11, v79
	s_cbranch_execz .LBB62_199
; %bb.198:
	v_mul_f64 v[44:45], v[0:1], v[44:45]
	ds_read2_b64 v[80:83], v76 offset0:12 offset1:13
	ds_read2_b64 v[84:87], v76 offset0:14 offset1:15
	;; [unrolled: 1-line block ×10, first 2 shown]
	s_waitcnt lgkmcnt(9)
	v_fma_f64 v[42:43], -v[44:45], v[80:81], v[42:43]
	v_fma_f64 v[38:39], -v[44:45], v[82:83], v[38:39]
	s_waitcnt lgkmcnt(8)
	v_fma_f64 v[40:41], -v[44:45], v[84:85], v[40:41]
	v_fma_f64 v[34:35], -v[44:45], v[86:87], v[34:35]
	;; [unrolled: 3-line block ×10, first 2 shown]
.LBB62_199:
	s_or_b32 exec_lo, exec_lo, s0
	v_lshl_add_u32 v0, v79, 3, v76
	s_barrier
	buffer_gl0_inv
	v_mov_b32_e32 v70, 12
	ds_write_b64 v0, v[42:43]
	s_waitcnt lgkmcnt(0)
	s_barrier
	buffer_gl0_inv
	ds_read_b64 v[0:1], v76 offset:96
	s_cmp_lt_i32 s7, 14
	s_cbranch_scc1 .LBB62_202
; %bb.200:
	v_add3_u32 v71, v77, 0, 0x68
	v_mov_b32_e32 v70, 12
	s_mov_b32 s0, 13
.LBB62_201:                             ; =>This Inner Loop Header: Depth=1
	ds_read_b64 v[80:81], v71
	v_add_nc_u32_e32 v71, 8, v71
	s_waitcnt lgkmcnt(0)
	v_cmp_lt_f64_e64 vcc_lo, |v[0:1]|, |v[80:81]|
	v_cndmask_b32_e32 v1, v1, v81, vcc_lo
	v_cndmask_b32_e32 v0, v0, v80, vcc_lo
	v_cndmask_b32_e64 v70, v70, s0, vcc_lo
	s_add_i32 s0, s0, 1
	s_cmp_lg_u32 s7, s0
	s_cbranch_scc1 .LBB62_201
.LBB62_202:
	s_mov_b32 s0, exec_lo
	s_waitcnt lgkmcnt(0)
	v_cmpx_eq_f64_e32 0, v[0:1]
	s_xor_b32 s0, exec_lo, s0
; %bb.203:
	v_cmp_ne_u32_e32 vcc_lo, 0, v78
	v_cndmask_b32_e32 v78, 13, v78, vcc_lo
; %bb.204:
	s_andn2_saveexec_b32 s0, s0
	s_cbranch_execz .LBB62_206
; %bb.205:
	v_div_scale_f64 v[71:72], null, v[0:1], v[0:1], 1.0
	v_rcp_f64_e32 v[80:81], v[71:72]
	v_fma_f64 v[82:83], -v[71:72], v[80:81], 1.0
	v_fma_f64 v[80:81], v[80:81], v[82:83], v[80:81]
	v_fma_f64 v[82:83], -v[71:72], v[80:81], 1.0
	v_fma_f64 v[80:81], v[80:81], v[82:83], v[80:81]
	v_div_scale_f64 v[82:83], vcc_lo, 1.0, v[0:1], 1.0
	v_mul_f64 v[84:85], v[82:83], v[80:81]
	v_fma_f64 v[71:72], -v[71:72], v[84:85], v[82:83]
	v_div_fmas_f64 v[71:72], v[71:72], v[80:81], v[84:85]
	v_div_fixup_f64 v[0:1], v[71:72], v[0:1], 1.0
.LBB62_206:
	s_or_b32 exec_lo, exec_lo, s0
	s_mov_b32 s0, exec_lo
	v_cmpx_ne_u32_e64 v79, v70
	s_xor_b32 s0, exec_lo, s0
	s_cbranch_execz .LBB62_212
; %bb.207:
	s_mov_b32 s1, exec_lo
	v_cmpx_eq_u32_e32 12, v79
	s_cbranch_execz .LBB62_211
; %bb.208:
	v_cmp_ne_u32_e32 vcc_lo, 12, v70
	s_xor_b32 s2, s6, -1
	s_and_b32 s3, s2, vcc_lo
	s_and_saveexec_b32 s2, s3
	s_cbranch_execz .LBB62_210
; %bb.209:
	v_ashrrev_i32_e32 v71, 31, v70
	v_lshlrev_b64 v[71:72], 2, v[70:71]
	v_add_co_u32 v71, vcc_lo, v4, v71
	v_add_co_ci_u32_e64 v72, null, v5, v72, vcc_lo
	s_clause 0x1
	global_load_dword v73, v[71:72], off
	global_load_dword v79, v[4:5], off offset:48
	s_waitcnt vmcnt(1)
	global_store_dword v[4:5], v73, off offset:48
	s_waitcnt vmcnt(0)
	global_store_dword v[71:72], v79, off
.LBB62_210:
	s_or_b32 exec_lo, exec_lo, s2
	v_mov_b32_e32 v73, v70
	v_mov_b32_e32 v79, v70
.LBB62_211:
	s_or_b32 exec_lo, exec_lo, s1
.LBB62_212:
	s_andn2_saveexec_b32 s0, s0
	s_cbranch_execz .LBB62_214
; %bb.213:
	v_mov_b32_e32 v79, 12
	ds_write2_b64 v76, v[38:39], v[40:41] offset0:13 offset1:14
	ds_write2_b64 v76, v[34:35], v[36:37] offset0:15 offset1:16
	;; [unrolled: 1-line block ×9, first 2 shown]
	ds_write_b64 v76, v[68:69] offset:248
.LBB62_214:
	s_or_b32 exec_lo, exec_lo, s0
	s_mov_b32 s0, exec_lo
	s_waitcnt lgkmcnt(0)
	s_waitcnt_vscnt null, 0x0
	s_barrier
	buffer_gl0_inv
	v_cmpx_lt_i32_e32 12, v79
	s_cbranch_execz .LBB62_216
; %bb.215:
	v_mul_f64 v[42:43], v[0:1], v[42:43]
	ds_read2_b64 v[80:83], v76 offset0:13 offset1:14
	ds_read2_b64 v[84:87], v76 offset0:15 offset1:16
	;; [unrolled: 1-line block ×9, first 2 shown]
	ds_read_b64 v[0:1], v76 offset:248
	s_waitcnt lgkmcnt(9)
	v_fma_f64 v[38:39], -v[42:43], v[80:81], v[38:39]
	v_fma_f64 v[40:41], -v[42:43], v[82:83], v[40:41]
	s_waitcnt lgkmcnt(8)
	v_fma_f64 v[34:35], -v[42:43], v[84:85], v[34:35]
	v_fma_f64 v[36:37], -v[42:43], v[86:87], v[36:37]
	;; [unrolled: 3-line block ×9, first 2 shown]
	s_waitcnt lgkmcnt(0)
	v_fma_f64 v[68:69], -v[42:43], v[0:1], v[68:69]
.LBB62_216:
	s_or_b32 exec_lo, exec_lo, s0
	v_lshl_add_u32 v0, v79, 3, v76
	s_barrier
	buffer_gl0_inv
	v_mov_b32_e32 v70, 13
	ds_write_b64 v0, v[38:39]
	s_waitcnt lgkmcnt(0)
	s_barrier
	buffer_gl0_inv
	ds_read_b64 v[0:1], v76 offset:104
	s_cmp_lt_i32 s7, 15
	s_cbranch_scc1 .LBB62_219
; %bb.217:
	v_add3_u32 v71, v77, 0, 0x70
	v_mov_b32_e32 v70, 13
	s_mov_b32 s0, 14
.LBB62_218:                             ; =>This Inner Loop Header: Depth=1
	ds_read_b64 v[80:81], v71
	v_add_nc_u32_e32 v71, 8, v71
	s_waitcnt lgkmcnt(0)
	v_cmp_lt_f64_e64 vcc_lo, |v[0:1]|, |v[80:81]|
	v_cndmask_b32_e32 v1, v1, v81, vcc_lo
	v_cndmask_b32_e32 v0, v0, v80, vcc_lo
	v_cndmask_b32_e64 v70, v70, s0, vcc_lo
	s_add_i32 s0, s0, 1
	s_cmp_lg_u32 s7, s0
	s_cbranch_scc1 .LBB62_218
.LBB62_219:
	s_mov_b32 s0, exec_lo
	s_waitcnt lgkmcnt(0)
	v_cmpx_eq_f64_e32 0, v[0:1]
	s_xor_b32 s0, exec_lo, s0
; %bb.220:
	v_cmp_ne_u32_e32 vcc_lo, 0, v78
	v_cndmask_b32_e32 v78, 14, v78, vcc_lo
; %bb.221:
	s_andn2_saveexec_b32 s0, s0
	s_cbranch_execz .LBB62_223
; %bb.222:
	v_div_scale_f64 v[71:72], null, v[0:1], v[0:1], 1.0
	v_rcp_f64_e32 v[80:81], v[71:72]
	v_fma_f64 v[82:83], -v[71:72], v[80:81], 1.0
	v_fma_f64 v[80:81], v[80:81], v[82:83], v[80:81]
	v_fma_f64 v[82:83], -v[71:72], v[80:81], 1.0
	v_fma_f64 v[80:81], v[80:81], v[82:83], v[80:81]
	v_div_scale_f64 v[82:83], vcc_lo, 1.0, v[0:1], 1.0
	v_mul_f64 v[84:85], v[82:83], v[80:81]
	v_fma_f64 v[71:72], -v[71:72], v[84:85], v[82:83]
	v_div_fmas_f64 v[71:72], v[71:72], v[80:81], v[84:85]
	v_div_fixup_f64 v[0:1], v[71:72], v[0:1], 1.0
.LBB62_223:
	s_or_b32 exec_lo, exec_lo, s0
	s_mov_b32 s0, exec_lo
	v_cmpx_ne_u32_e64 v79, v70
	s_xor_b32 s0, exec_lo, s0
	s_cbranch_execz .LBB62_229
; %bb.224:
	s_mov_b32 s1, exec_lo
	v_cmpx_eq_u32_e32 13, v79
	s_cbranch_execz .LBB62_228
; %bb.225:
	v_cmp_ne_u32_e32 vcc_lo, 13, v70
	s_xor_b32 s2, s6, -1
	s_and_b32 s3, s2, vcc_lo
	s_and_saveexec_b32 s2, s3
	s_cbranch_execz .LBB62_227
; %bb.226:
	v_ashrrev_i32_e32 v71, 31, v70
	v_lshlrev_b64 v[71:72], 2, v[70:71]
	v_add_co_u32 v71, vcc_lo, v4, v71
	v_add_co_ci_u32_e64 v72, null, v5, v72, vcc_lo
	s_clause 0x1
	global_load_dword v73, v[71:72], off
	global_load_dword v79, v[4:5], off offset:52
	s_waitcnt vmcnt(1)
	global_store_dword v[4:5], v73, off offset:52
	s_waitcnt vmcnt(0)
	global_store_dword v[71:72], v79, off
.LBB62_227:
	s_or_b32 exec_lo, exec_lo, s2
	v_mov_b32_e32 v73, v70
	v_mov_b32_e32 v79, v70
.LBB62_228:
	s_or_b32 exec_lo, exec_lo, s1
.LBB62_229:
	s_andn2_saveexec_b32 s0, s0
	s_cbranch_execz .LBB62_231
; %bb.230:
	v_mov_b32_e32 v70, v40
	v_mov_b32_e32 v71, v41
	;; [unrolled: 1-line block ×20, first 2 shown]
	ds_write2_b64 v76, v[70:71], v[79:80] offset0:14 offset1:15
	ds_write2_b64 v76, v[81:82], v[83:84] offset0:16 offset1:17
	;; [unrolled: 1-line block ×5, first 2 shown]
	v_mov_b32_e32 v70, v20
	v_mov_b32_e32 v71, v21
	;; [unrolled: 1-line block ×15, first 2 shown]
	ds_write2_b64 v76, v[70:71], v[80:81] offset0:24 offset1:25
	ds_write2_b64 v76, v[82:83], v[84:85] offset0:26 offset1:27
	;; [unrolled: 1-line block ×4, first 2 shown]
.LBB62_231:
	s_or_b32 exec_lo, exec_lo, s0
	s_mov_b32 s0, exec_lo
	s_waitcnt lgkmcnt(0)
	s_waitcnt_vscnt null, 0x0
	s_barrier
	buffer_gl0_inv
	v_cmpx_lt_i32_e32 13, v79
	s_cbranch_execz .LBB62_233
; %bb.232:
	v_mul_f64 v[38:39], v[0:1], v[38:39]
	ds_read2_b64 v[80:83], v76 offset0:14 offset1:15
	ds_read2_b64 v[84:87], v76 offset0:16 offset1:17
	;; [unrolled: 1-line block ×9, first 2 shown]
	s_waitcnt lgkmcnt(8)
	v_fma_f64 v[40:41], -v[38:39], v[80:81], v[40:41]
	v_fma_f64 v[34:35], -v[38:39], v[82:83], v[34:35]
	s_waitcnt lgkmcnt(7)
	v_fma_f64 v[36:37], -v[38:39], v[84:85], v[36:37]
	v_fma_f64 v[32:33], -v[38:39], v[86:87], v[32:33]
	;; [unrolled: 3-line block ×9, first 2 shown]
.LBB62_233:
	s_or_b32 exec_lo, exec_lo, s0
	v_lshl_add_u32 v0, v79, 3, v76
	s_barrier
	buffer_gl0_inv
	v_mov_b32_e32 v70, 14
	ds_write_b64 v0, v[40:41]
	s_waitcnt lgkmcnt(0)
	s_barrier
	buffer_gl0_inv
	ds_read_b64 v[0:1], v76 offset:112
	s_cmp_lt_i32 s7, 16
	s_cbranch_scc1 .LBB62_236
; %bb.234:
	v_add3_u32 v71, v77, 0, 0x78
	v_mov_b32_e32 v70, 14
	s_mov_b32 s0, 15
.LBB62_235:                             ; =>This Inner Loop Header: Depth=1
	ds_read_b64 v[80:81], v71
	v_add_nc_u32_e32 v71, 8, v71
	s_waitcnt lgkmcnt(0)
	v_cmp_lt_f64_e64 vcc_lo, |v[0:1]|, |v[80:81]|
	v_cndmask_b32_e32 v1, v1, v81, vcc_lo
	v_cndmask_b32_e32 v0, v0, v80, vcc_lo
	v_cndmask_b32_e64 v70, v70, s0, vcc_lo
	s_add_i32 s0, s0, 1
	s_cmp_lg_u32 s7, s0
	s_cbranch_scc1 .LBB62_235
.LBB62_236:
	s_mov_b32 s0, exec_lo
	s_waitcnt lgkmcnt(0)
	v_cmpx_eq_f64_e32 0, v[0:1]
	s_xor_b32 s0, exec_lo, s0
; %bb.237:
	v_cmp_ne_u32_e32 vcc_lo, 0, v78
	v_cndmask_b32_e32 v78, 15, v78, vcc_lo
; %bb.238:
	s_andn2_saveexec_b32 s0, s0
	s_cbranch_execz .LBB62_240
; %bb.239:
	v_div_scale_f64 v[71:72], null, v[0:1], v[0:1], 1.0
	v_rcp_f64_e32 v[80:81], v[71:72]
	v_fma_f64 v[82:83], -v[71:72], v[80:81], 1.0
	v_fma_f64 v[80:81], v[80:81], v[82:83], v[80:81]
	v_fma_f64 v[82:83], -v[71:72], v[80:81], 1.0
	v_fma_f64 v[80:81], v[80:81], v[82:83], v[80:81]
	v_div_scale_f64 v[82:83], vcc_lo, 1.0, v[0:1], 1.0
	v_mul_f64 v[84:85], v[82:83], v[80:81]
	v_fma_f64 v[71:72], -v[71:72], v[84:85], v[82:83]
	v_div_fmas_f64 v[71:72], v[71:72], v[80:81], v[84:85]
	v_div_fixup_f64 v[0:1], v[71:72], v[0:1], 1.0
.LBB62_240:
	s_or_b32 exec_lo, exec_lo, s0
	s_mov_b32 s0, exec_lo
	v_cmpx_ne_u32_e64 v79, v70
	s_xor_b32 s0, exec_lo, s0
	s_cbranch_execz .LBB62_246
; %bb.241:
	s_mov_b32 s1, exec_lo
	v_cmpx_eq_u32_e32 14, v79
	s_cbranch_execz .LBB62_245
; %bb.242:
	v_cmp_ne_u32_e32 vcc_lo, 14, v70
	s_xor_b32 s2, s6, -1
	s_and_b32 s3, s2, vcc_lo
	s_and_saveexec_b32 s2, s3
	s_cbranch_execz .LBB62_244
; %bb.243:
	v_ashrrev_i32_e32 v71, 31, v70
	v_lshlrev_b64 v[71:72], 2, v[70:71]
	v_add_co_u32 v71, vcc_lo, v4, v71
	v_add_co_ci_u32_e64 v72, null, v5, v72, vcc_lo
	s_clause 0x1
	global_load_dword v73, v[71:72], off
	global_load_dword v79, v[4:5], off offset:56
	s_waitcnt vmcnt(1)
	global_store_dword v[4:5], v73, off offset:56
	s_waitcnt vmcnt(0)
	global_store_dword v[71:72], v79, off
.LBB62_244:
	s_or_b32 exec_lo, exec_lo, s2
	v_mov_b32_e32 v73, v70
	v_mov_b32_e32 v79, v70
.LBB62_245:
	s_or_b32 exec_lo, exec_lo, s1
.LBB62_246:
	s_andn2_saveexec_b32 s0, s0
	s_cbranch_execz .LBB62_248
; %bb.247:
	v_mov_b32_e32 v79, 14
	ds_write2_b64 v76, v[34:35], v[36:37] offset0:15 offset1:16
	ds_write2_b64 v76, v[32:33], v[30:31] offset0:17 offset1:18
	;; [unrolled: 1-line block ×8, first 2 shown]
	ds_write_b64 v76, v[68:69] offset:248
.LBB62_248:
	s_or_b32 exec_lo, exec_lo, s0
	s_mov_b32 s0, exec_lo
	s_waitcnt lgkmcnt(0)
	s_waitcnt_vscnt null, 0x0
	s_barrier
	buffer_gl0_inv
	v_cmpx_lt_i32_e32 14, v79
	s_cbranch_execz .LBB62_250
; %bb.249:
	v_mul_f64 v[40:41], v[0:1], v[40:41]
	ds_read2_b64 v[80:83], v76 offset0:15 offset1:16
	ds_read2_b64 v[84:87], v76 offset0:17 offset1:18
	;; [unrolled: 1-line block ×8, first 2 shown]
	ds_read_b64 v[0:1], v76 offset:248
	s_waitcnt lgkmcnt(8)
	v_fma_f64 v[34:35], -v[40:41], v[80:81], v[34:35]
	v_fma_f64 v[36:37], -v[40:41], v[82:83], v[36:37]
	s_waitcnt lgkmcnt(7)
	v_fma_f64 v[32:33], -v[40:41], v[84:85], v[32:33]
	v_fma_f64 v[30:31], -v[40:41], v[86:87], v[30:31]
	;; [unrolled: 3-line block ×8, first 2 shown]
	s_waitcnt lgkmcnt(0)
	v_fma_f64 v[68:69], -v[40:41], v[0:1], v[68:69]
.LBB62_250:
	s_or_b32 exec_lo, exec_lo, s0
	v_lshl_add_u32 v0, v79, 3, v76
	s_barrier
	buffer_gl0_inv
	v_mov_b32_e32 v70, 15
	ds_write_b64 v0, v[34:35]
	s_waitcnt lgkmcnt(0)
	s_barrier
	buffer_gl0_inv
	ds_read_b64 v[0:1], v76 offset:120
	s_cmp_lt_i32 s7, 17
	s_cbranch_scc1 .LBB62_253
; %bb.251:
	v_add3_u32 v71, v77, 0, 0x80
	v_mov_b32_e32 v70, 15
	s_mov_b32 s0, 16
.LBB62_252:                             ; =>This Inner Loop Header: Depth=1
	ds_read_b64 v[80:81], v71
	v_add_nc_u32_e32 v71, 8, v71
	s_waitcnt lgkmcnt(0)
	v_cmp_lt_f64_e64 vcc_lo, |v[0:1]|, |v[80:81]|
	v_cndmask_b32_e32 v1, v1, v81, vcc_lo
	v_cndmask_b32_e32 v0, v0, v80, vcc_lo
	v_cndmask_b32_e64 v70, v70, s0, vcc_lo
	s_add_i32 s0, s0, 1
	s_cmp_lg_u32 s7, s0
	s_cbranch_scc1 .LBB62_252
.LBB62_253:
	s_mov_b32 s0, exec_lo
	s_waitcnt lgkmcnt(0)
	v_cmpx_eq_f64_e32 0, v[0:1]
	s_xor_b32 s0, exec_lo, s0
; %bb.254:
	v_cmp_ne_u32_e32 vcc_lo, 0, v78
	v_cndmask_b32_e32 v78, 16, v78, vcc_lo
; %bb.255:
	s_andn2_saveexec_b32 s0, s0
	s_cbranch_execz .LBB62_257
; %bb.256:
	v_div_scale_f64 v[71:72], null, v[0:1], v[0:1], 1.0
	v_rcp_f64_e32 v[80:81], v[71:72]
	v_fma_f64 v[82:83], -v[71:72], v[80:81], 1.0
	v_fma_f64 v[80:81], v[80:81], v[82:83], v[80:81]
	v_fma_f64 v[82:83], -v[71:72], v[80:81], 1.0
	v_fma_f64 v[80:81], v[80:81], v[82:83], v[80:81]
	v_div_scale_f64 v[82:83], vcc_lo, 1.0, v[0:1], 1.0
	v_mul_f64 v[84:85], v[82:83], v[80:81]
	v_fma_f64 v[71:72], -v[71:72], v[84:85], v[82:83]
	v_div_fmas_f64 v[71:72], v[71:72], v[80:81], v[84:85]
	v_div_fixup_f64 v[0:1], v[71:72], v[0:1], 1.0
.LBB62_257:
	s_or_b32 exec_lo, exec_lo, s0
	s_mov_b32 s0, exec_lo
	v_cmpx_ne_u32_e64 v79, v70
	s_xor_b32 s0, exec_lo, s0
	s_cbranch_execz .LBB62_263
; %bb.258:
	s_mov_b32 s1, exec_lo
	v_cmpx_eq_u32_e32 15, v79
	s_cbranch_execz .LBB62_262
; %bb.259:
	v_cmp_ne_u32_e32 vcc_lo, 15, v70
	s_xor_b32 s2, s6, -1
	s_and_b32 s3, s2, vcc_lo
	s_and_saveexec_b32 s2, s3
	s_cbranch_execz .LBB62_261
; %bb.260:
	v_ashrrev_i32_e32 v71, 31, v70
	v_lshlrev_b64 v[71:72], 2, v[70:71]
	v_add_co_u32 v71, vcc_lo, v4, v71
	v_add_co_ci_u32_e64 v72, null, v5, v72, vcc_lo
	s_clause 0x1
	global_load_dword v73, v[71:72], off
	global_load_dword v79, v[4:5], off offset:60
	s_waitcnt vmcnt(1)
	global_store_dword v[4:5], v73, off offset:60
	s_waitcnt vmcnt(0)
	global_store_dword v[71:72], v79, off
.LBB62_261:
	s_or_b32 exec_lo, exec_lo, s2
	v_mov_b32_e32 v73, v70
	v_mov_b32_e32 v79, v70
.LBB62_262:
	s_or_b32 exec_lo, exec_lo, s1
.LBB62_263:
	s_andn2_saveexec_b32 s0, s0
	s_cbranch_execz .LBB62_265
; %bb.264:
	v_mov_b32_e32 v70, v36
	v_mov_b32_e32 v71, v37
	;; [unrolled: 1-line block ×16, first 2 shown]
	ds_write2_b64 v76, v[70:71], v[79:80] offset0:16 offset1:17
	ds_write2_b64 v76, v[81:82], v[83:84] offset0:18 offset1:19
	;; [unrolled: 1-line block ×4, first 2 shown]
	v_mov_b32_e32 v70, v20
	v_mov_b32_e32 v71, v21
	;; [unrolled: 1-line block ×15, first 2 shown]
	ds_write2_b64 v76, v[70:71], v[80:81] offset0:24 offset1:25
	ds_write2_b64 v76, v[82:83], v[84:85] offset0:26 offset1:27
	;; [unrolled: 1-line block ×4, first 2 shown]
.LBB62_265:
	s_or_b32 exec_lo, exec_lo, s0
	s_mov_b32 s0, exec_lo
	s_waitcnt lgkmcnt(0)
	s_waitcnt_vscnt null, 0x0
	s_barrier
	buffer_gl0_inv
	v_cmpx_lt_i32_e32 15, v79
	s_cbranch_execz .LBB62_267
; %bb.266:
	v_mul_f64 v[34:35], v[0:1], v[34:35]
	ds_read2_b64 v[80:83], v76 offset0:16 offset1:17
	ds_read2_b64 v[84:87], v76 offset0:18 offset1:19
	;; [unrolled: 1-line block ×8, first 2 shown]
	s_waitcnt lgkmcnt(7)
	v_fma_f64 v[36:37], -v[34:35], v[80:81], v[36:37]
	v_fma_f64 v[32:33], -v[34:35], v[82:83], v[32:33]
	s_waitcnt lgkmcnt(6)
	v_fma_f64 v[30:31], -v[34:35], v[84:85], v[30:31]
	v_fma_f64 v[28:29], -v[34:35], v[86:87], v[28:29]
	;; [unrolled: 3-line block ×8, first 2 shown]
.LBB62_267:
	s_or_b32 exec_lo, exec_lo, s0
	v_lshl_add_u32 v0, v79, 3, v76
	s_barrier
	buffer_gl0_inv
	v_mov_b32_e32 v70, 16
	ds_write_b64 v0, v[36:37]
	s_waitcnt lgkmcnt(0)
	s_barrier
	buffer_gl0_inv
	ds_read_b64 v[0:1], v76 offset:128
	s_cmp_lt_i32 s7, 18
	s_cbranch_scc1 .LBB62_270
; %bb.268:
	v_add3_u32 v71, v77, 0, 0x88
	v_mov_b32_e32 v70, 16
	s_mov_b32 s0, 17
.LBB62_269:                             ; =>This Inner Loop Header: Depth=1
	ds_read_b64 v[80:81], v71
	v_add_nc_u32_e32 v71, 8, v71
	s_waitcnt lgkmcnt(0)
	v_cmp_lt_f64_e64 vcc_lo, |v[0:1]|, |v[80:81]|
	v_cndmask_b32_e32 v1, v1, v81, vcc_lo
	v_cndmask_b32_e32 v0, v0, v80, vcc_lo
	v_cndmask_b32_e64 v70, v70, s0, vcc_lo
	s_add_i32 s0, s0, 1
	s_cmp_lg_u32 s7, s0
	s_cbranch_scc1 .LBB62_269
.LBB62_270:
	s_mov_b32 s0, exec_lo
	s_waitcnt lgkmcnt(0)
	v_cmpx_eq_f64_e32 0, v[0:1]
	s_xor_b32 s0, exec_lo, s0
; %bb.271:
	v_cmp_ne_u32_e32 vcc_lo, 0, v78
	v_cndmask_b32_e32 v78, 17, v78, vcc_lo
; %bb.272:
	s_andn2_saveexec_b32 s0, s0
	s_cbranch_execz .LBB62_274
; %bb.273:
	v_div_scale_f64 v[71:72], null, v[0:1], v[0:1], 1.0
	v_rcp_f64_e32 v[80:81], v[71:72]
	v_fma_f64 v[82:83], -v[71:72], v[80:81], 1.0
	v_fma_f64 v[80:81], v[80:81], v[82:83], v[80:81]
	v_fma_f64 v[82:83], -v[71:72], v[80:81], 1.0
	v_fma_f64 v[80:81], v[80:81], v[82:83], v[80:81]
	v_div_scale_f64 v[82:83], vcc_lo, 1.0, v[0:1], 1.0
	v_mul_f64 v[84:85], v[82:83], v[80:81]
	v_fma_f64 v[71:72], -v[71:72], v[84:85], v[82:83]
	v_div_fmas_f64 v[71:72], v[71:72], v[80:81], v[84:85]
	v_div_fixup_f64 v[0:1], v[71:72], v[0:1], 1.0
.LBB62_274:
	s_or_b32 exec_lo, exec_lo, s0
	s_mov_b32 s0, exec_lo
	v_cmpx_ne_u32_e64 v79, v70
	s_xor_b32 s0, exec_lo, s0
	s_cbranch_execz .LBB62_280
; %bb.275:
	s_mov_b32 s1, exec_lo
	v_cmpx_eq_u32_e32 16, v79
	s_cbranch_execz .LBB62_279
; %bb.276:
	v_cmp_ne_u32_e32 vcc_lo, 16, v70
	s_xor_b32 s2, s6, -1
	s_and_b32 s3, s2, vcc_lo
	s_and_saveexec_b32 s2, s3
	s_cbranch_execz .LBB62_278
; %bb.277:
	v_ashrrev_i32_e32 v71, 31, v70
	v_lshlrev_b64 v[71:72], 2, v[70:71]
	v_add_co_u32 v71, vcc_lo, v4, v71
	v_add_co_ci_u32_e64 v72, null, v5, v72, vcc_lo
	s_clause 0x1
	global_load_dword v73, v[71:72], off
	global_load_dword v79, v[4:5], off offset:64
	s_waitcnt vmcnt(1)
	global_store_dword v[4:5], v73, off offset:64
	s_waitcnt vmcnt(0)
	global_store_dword v[71:72], v79, off
.LBB62_278:
	s_or_b32 exec_lo, exec_lo, s2
	v_mov_b32_e32 v73, v70
	v_mov_b32_e32 v79, v70
.LBB62_279:
	s_or_b32 exec_lo, exec_lo, s1
.LBB62_280:
	s_andn2_saveexec_b32 s0, s0
	s_cbranch_execz .LBB62_282
; %bb.281:
	v_mov_b32_e32 v79, 16
	ds_write2_b64 v76, v[32:33], v[30:31] offset0:17 offset1:18
	ds_write2_b64 v76, v[28:29], v[26:27] offset0:19 offset1:20
	;; [unrolled: 1-line block ×7, first 2 shown]
	ds_write_b64 v76, v[68:69] offset:248
.LBB62_282:
	s_or_b32 exec_lo, exec_lo, s0
	s_mov_b32 s0, exec_lo
	s_waitcnt lgkmcnt(0)
	s_waitcnt_vscnt null, 0x0
	s_barrier
	buffer_gl0_inv
	v_cmpx_lt_i32_e32 16, v79
	s_cbranch_execz .LBB62_284
; %bb.283:
	v_mul_f64 v[36:37], v[0:1], v[36:37]
	ds_read2_b64 v[80:83], v76 offset0:17 offset1:18
	ds_read2_b64 v[84:87], v76 offset0:19 offset1:20
	;; [unrolled: 1-line block ×7, first 2 shown]
	ds_read_b64 v[0:1], v76 offset:248
	s_waitcnt lgkmcnt(7)
	v_fma_f64 v[32:33], -v[36:37], v[80:81], v[32:33]
	v_fma_f64 v[30:31], -v[36:37], v[82:83], v[30:31]
	s_waitcnt lgkmcnt(6)
	v_fma_f64 v[28:29], -v[36:37], v[84:85], v[28:29]
	v_fma_f64 v[26:27], -v[36:37], v[86:87], v[26:27]
	;; [unrolled: 3-line block ×7, first 2 shown]
	s_waitcnt lgkmcnt(0)
	v_fma_f64 v[68:69], -v[36:37], v[0:1], v[68:69]
.LBB62_284:
	s_or_b32 exec_lo, exec_lo, s0
	v_lshl_add_u32 v0, v79, 3, v76
	s_barrier
	buffer_gl0_inv
	v_mov_b32_e32 v70, 17
	ds_write_b64 v0, v[32:33]
	s_waitcnt lgkmcnt(0)
	s_barrier
	buffer_gl0_inv
	ds_read_b64 v[0:1], v76 offset:136
	s_cmp_lt_i32 s7, 19
	s_cbranch_scc1 .LBB62_287
; %bb.285:
	v_add3_u32 v71, v77, 0, 0x90
	v_mov_b32_e32 v70, 17
	s_mov_b32 s0, 18
.LBB62_286:                             ; =>This Inner Loop Header: Depth=1
	ds_read_b64 v[80:81], v71
	v_add_nc_u32_e32 v71, 8, v71
	s_waitcnt lgkmcnt(0)
	v_cmp_lt_f64_e64 vcc_lo, |v[0:1]|, |v[80:81]|
	v_cndmask_b32_e32 v1, v1, v81, vcc_lo
	v_cndmask_b32_e32 v0, v0, v80, vcc_lo
	v_cndmask_b32_e64 v70, v70, s0, vcc_lo
	s_add_i32 s0, s0, 1
	s_cmp_lg_u32 s7, s0
	s_cbranch_scc1 .LBB62_286
.LBB62_287:
	s_mov_b32 s0, exec_lo
	s_waitcnt lgkmcnt(0)
	v_cmpx_eq_f64_e32 0, v[0:1]
	s_xor_b32 s0, exec_lo, s0
; %bb.288:
	v_cmp_ne_u32_e32 vcc_lo, 0, v78
	v_cndmask_b32_e32 v78, 18, v78, vcc_lo
; %bb.289:
	s_andn2_saveexec_b32 s0, s0
	s_cbranch_execz .LBB62_291
; %bb.290:
	v_div_scale_f64 v[71:72], null, v[0:1], v[0:1], 1.0
	v_rcp_f64_e32 v[80:81], v[71:72]
	v_fma_f64 v[82:83], -v[71:72], v[80:81], 1.0
	v_fma_f64 v[80:81], v[80:81], v[82:83], v[80:81]
	v_fma_f64 v[82:83], -v[71:72], v[80:81], 1.0
	v_fma_f64 v[80:81], v[80:81], v[82:83], v[80:81]
	v_div_scale_f64 v[82:83], vcc_lo, 1.0, v[0:1], 1.0
	v_mul_f64 v[84:85], v[82:83], v[80:81]
	v_fma_f64 v[71:72], -v[71:72], v[84:85], v[82:83]
	v_div_fmas_f64 v[71:72], v[71:72], v[80:81], v[84:85]
	v_div_fixup_f64 v[0:1], v[71:72], v[0:1], 1.0
.LBB62_291:
	s_or_b32 exec_lo, exec_lo, s0
	s_mov_b32 s0, exec_lo
	v_cmpx_ne_u32_e64 v79, v70
	s_xor_b32 s0, exec_lo, s0
	s_cbranch_execz .LBB62_297
; %bb.292:
	s_mov_b32 s1, exec_lo
	v_cmpx_eq_u32_e32 17, v79
	s_cbranch_execz .LBB62_296
; %bb.293:
	v_cmp_ne_u32_e32 vcc_lo, 17, v70
	s_xor_b32 s2, s6, -1
	s_and_b32 s3, s2, vcc_lo
	s_and_saveexec_b32 s2, s3
	s_cbranch_execz .LBB62_295
; %bb.294:
	v_ashrrev_i32_e32 v71, 31, v70
	v_lshlrev_b64 v[71:72], 2, v[70:71]
	v_add_co_u32 v71, vcc_lo, v4, v71
	v_add_co_ci_u32_e64 v72, null, v5, v72, vcc_lo
	s_clause 0x1
	global_load_dword v73, v[71:72], off
	global_load_dword v79, v[4:5], off offset:68
	s_waitcnt vmcnt(1)
	global_store_dword v[4:5], v73, off offset:68
	s_waitcnt vmcnt(0)
	global_store_dword v[71:72], v79, off
.LBB62_295:
	s_or_b32 exec_lo, exec_lo, s2
	v_mov_b32_e32 v73, v70
	v_mov_b32_e32 v79, v70
.LBB62_296:
	s_or_b32 exec_lo, exec_lo, s1
.LBB62_297:
	s_andn2_saveexec_b32 s0, s0
	s_cbranch_execz .LBB62_299
; %bb.298:
	v_mov_b32_e32 v70, v30
	v_mov_b32_e32 v71, v31
	;; [unrolled: 1-line block ×12, first 2 shown]
	ds_write2_b64 v76, v[70:71], v[79:80] offset0:18 offset1:19
	ds_write2_b64 v76, v[81:82], v[83:84] offset0:20 offset1:21
	ds_write2_b64 v76, v[85:86], v[87:88] offset0:22 offset1:23
	v_mov_b32_e32 v70, v20
	v_mov_b32_e32 v71, v21
	;; [unrolled: 1-line block ×15, first 2 shown]
	ds_write2_b64 v76, v[70:71], v[80:81] offset0:24 offset1:25
	ds_write2_b64 v76, v[82:83], v[84:85] offset0:26 offset1:27
	;; [unrolled: 1-line block ×4, first 2 shown]
.LBB62_299:
	s_or_b32 exec_lo, exec_lo, s0
	s_mov_b32 s0, exec_lo
	s_waitcnt lgkmcnt(0)
	s_waitcnt_vscnt null, 0x0
	s_barrier
	buffer_gl0_inv
	v_cmpx_lt_i32_e32 17, v79
	s_cbranch_execz .LBB62_301
; %bb.300:
	v_mul_f64 v[32:33], v[0:1], v[32:33]
	ds_read2_b64 v[80:83], v76 offset0:18 offset1:19
	ds_read2_b64 v[84:87], v76 offset0:20 offset1:21
	;; [unrolled: 1-line block ×7, first 2 shown]
	s_waitcnt lgkmcnt(6)
	v_fma_f64 v[30:31], -v[32:33], v[80:81], v[30:31]
	v_fma_f64 v[28:29], -v[32:33], v[82:83], v[28:29]
	s_waitcnt lgkmcnt(5)
	v_fma_f64 v[26:27], -v[32:33], v[84:85], v[26:27]
	v_fma_f64 v[24:25], -v[32:33], v[86:87], v[24:25]
	;; [unrolled: 3-line block ×7, first 2 shown]
.LBB62_301:
	s_or_b32 exec_lo, exec_lo, s0
	v_lshl_add_u32 v0, v79, 3, v76
	s_barrier
	buffer_gl0_inv
	v_mov_b32_e32 v70, 18
	ds_write_b64 v0, v[30:31]
	s_waitcnt lgkmcnt(0)
	s_barrier
	buffer_gl0_inv
	ds_read_b64 v[0:1], v76 offset:144
	s_cmp_lt_i32 s7, 20
	s_cbranch_scc1 .LBB62_304
; %bb.302:
	v_add3_u32 v71, v77, 0, 0x98
	v_mov_b32_e32 v70, 18
	s_mov_b32 s0, 19
.LBB62_303:                             ; =>This Inner Loop Header: Depth=1
	ds_read_b64 v[80:81], v71
	v_add_nc_u32_e32 v71, 8, v71
	s_waitcnt lgkmcnt(0)
	v_cmp_lt_f64_e64 vcc_lo, |v[0:1]|, |v[80:81]|
	v_cndmask_b32_e32 v1, v1, v81, vcc_lo
	v_cndmask_b32_e32 v0, v0, v80, vcc_lo
	v_cndmask_b32_e64 v70, v70, s0, vcc_lo
	s_add_i32 s0, s0, 1
	s_cmp_lg_u32 s7, s0
	s_cbranch_scc1 .LBB62_303
.LBB62_304:
	s_mov_b32 s0, exec_lo
	s_waitcnt lgkmcnt(0)
	v_cmpx_eq_f64_e32 0, v[0:1]
	s_xor_b32 s0, exec_lo, s0
; %bb.305:
	v_cmp_ne_u32_e32 vcc_lo, 0, v78
	v_cndmask_b32_e32 v78, 19, v78, vcc_lo
; %bb.306:
	s_andn2_saveexec_b32 s0, s0
	s_cbranch_execz .LBB62_308
; %bb.307:
	v_div_scale_f64 v[71:72], null, v[0:1], v[0:1], 1.0
	v_rcp_f64_e32 v[80:81], v[71:72]
	v_fma_f64 v[82:83], -v[71:72], v[80:81], 1.0
	v_fma_f64 v[80:81], v[80:81], v[82:83], v[80:81]
	v_fma_f64 v[82:83], -v[71:72], v[80:81], 1.0
	v_fma_f64 v[80:81], v[80:81], v[82:83], v[80:81]
	v_div_scale_f64 v[82:83], vcc_lo, 1.0, v[0:1], 1.0
	v_mul_f64 v[84:85], v[82:83], v[80:81]
	v_fma_f64 v[71:72], -v[71:72], v[84:85], v[82:83]
	v_div_fmas_f64 v[71:72], v[71:72], v[80:81], v[84:85]
	v_div_fixup_f64 v[0:1], v[71:72], v[0:1], 1.0
.LBB62_308:
	s_or_b32 exec_lo, exec_lo, s0
	s_mov_b32 s0, exec_lo
	v_cmpx_ne_u32_e64 v79, v70
	s_xor_b32 s0, exec_lo, s0
	s_cbranch_execz .LBB62_314
; %bb.309:
	s_mov_b32 s1, exec_lo
	v_cmpx_eq_u32_e32 18, v79
	s_cbranch_execz .LBB62_313
; %bb.310:
	v_cmp_ne_u32_e32 vcc_lo, 18, v70
	s_xor_b32 s2, s6, -1
	s_and_b32 s3, s2, vcc_lo
	s_and_saveexec_b32 s2, s3
	s_cbranch_execz .LBB62_312
; %bb.311:
	v_ashrrev_i32_e32 v71, 31, v70
	v_lshlrev_b64 v[71:72], 2, v[70:71]
	v_add_co_u32 v71, vcc_lo, v4, v71
	v_add_co_ci_u32_e64 v72, null, v5, v72, vcc_lo
	s_clause 0x1
	global_load_dword v73, v[71:72], off
	global_load_dword v79, v[4:5], off offset:72
	s_waitcnt vmcnt(1)
	global_store_dword v[4:5], v73, off offset:72
	s_waitcnt vmcnt(0)
	global_store_dword v[71:72], v79, off
.LBB62_312:
	s_or_b32 exec_lo, exec_lo, s2
	v_mov_b32_e32 v73, v70
	v_mov_b32_e32 v79, v70
.LBB62_313:
	s_or_b32 exec_lo, exec_lo, s1
.LBB62_314:
	s_andn2_saveexec_b32 s0, s0
	s_cbranch_execz .LBB62_316
; %bb.315:
	v_mov_b32_e32 v79, 18
	ds_write2_b64 v76, v[28:29], v[26:27] offset0:19 offset1:20
	ds_write2_b64 v76, v[24:25], v[22:23] offset0:21 offset1:22
	;; [unrolled: 1-line block ×6, first 2 shown]
	ds_write_b64 v76, v[68:69] offset:248
.LBB62_316:
	s_or_b32 exec_lo, exec_lo, s0
	s_mov_b32 s0, exec_lo
	s_waitcnt lgkmcnt(0)
	s_waitcnt_vscnt null, 0x0
	s_barrier
	buffer_gl0_inv
	v_cmpx_lt_i32_e32 18, v79
	s_cbranch_execz .LBB62_318
; %bb.317:
	v_mul_f64 v[30:31], v[0:1], v[30:31]
	ds_read2_b64 v[80:83], v76 offset0:19 offset1:20
	ds_read2_b64 v[84:87], v76 offset0:21 offset1:22
	;; [unrolled: 1-line block ×6, first 2 shown]
	ds_read_b64 v[0:1], v76 offset:248
	s_waitcnt lgkmcnt(6)
	v_fma_f64 v[28:29], -v[30:31], v[80:81], v[28:29]
	v_fma_f64 v[26:27], -v[30:31], v[82:83], v[26:27]
	s_waitcnt lgkmcnt(5)
	v_fma_f64 v[24:25], -v[30:31], v[84:85], v[24:25]
	v_fma_f64 v[22:23], -v[30:31], v[86:87], v[22:23]
	;; [unrolled: 3-line block ×6, first 2 shown]
	s_waitcnt lgkmcnt(0)
	v_fma_f64 v[68:69], -v[30:31], v[0:1], v[68:69]
.LBB62_318:
	s_or_b32 exec_lo, exec_lo, s0
	v_lshl_add_u32 v0, v79, 3, v76
	s_barrier
	buffer_gl0_inv
	v_mov_b32_e32 v70, 19
	ds_write_b64 v0, v[28:29]
	s_waitcnt lgkmcnt(0)
	s_barrier
	buffer_gl0_inv
	ds_read_b64 v[0:1], v76 offset:152
	s_cmp_lt_i32 s7, 21
	s_cbranch_scc1 .LBB62_321
; %bb.319:
	v_add3_u32 v71, v77, 0, 0xa0
	v_mov_b32_e32 v70, 19
	s_mov_b32 s0, 20
.LBB62_320:                             ; =>This Inner Loop Header: Depth=1
	ds_read_b64 v[80:81], v71
	v_add_nc_u32_e32 v71, 8, v71
	s_waitcnt lgkmcnt(0)
	v_cmp_lt_f64_e64 vcc_lo, |v[0:1]|, |v[80:81]|
	v_cndmask_b32_e32 v1, v1, v81, vcc_lo
	v_cndmask_b32_e32 v0, v0, v80, vcc_lo
	v_cndmask_b32_e64 v70, v70, s0, vcc_lo
	s_add_i32 s0, s0, 1
	s_cmp_lg_u32 s7, s0
	s_cbranch_scc1 .LBB62_320
.LBB62_321:
	s_mov_b32 s0, exec_lo
	s_waitcnt lgkmcnt(0)
	v_cmpx_eq_f64_e32 0, v[0:1]
	s_xor_b32 s0, exec_lo, s0
; %bb.322:
	v_cmp_ne_u32_e32 vcc_lo, 0, v78
	v_cndmask_b32_e32 v78, 20, v78, vcc_lo
; %bb.323:
	s_andn2_saveexec_b32 s0, s0
	s_cbranch_execz .LBB62_325
; %bb.324:
	v_div_scale_f64 v[71:72], null, v[0:1], v[0:1], 1.0
	v_rcp_f64_e32 v[80:81], v[71:72]
	v_fma_f64 v[82:83], -v[71:72], v[80:81], 1.0
	v_fma_f64 v[80:81], v[80:81], v[82:83], v[80:81]
	v_fma_f64 v[82:83], -v[71:72], v[80:81], 1.0
	v_fma_f64 v[80:81], v[80:81], v[82:83], v[80:81]
	v_div_scale_f64 v[82:83], vcc_lo, 1.0, v[0:1], 1.0
	v_mul_f64 v[84:85], v[82:83], v[80:81]
	v_fma_f64 v[71:72], -v[71:72], v[84:85], v[82:83]
	v_div_fmas_f64 v[71:72], v[71:72], v[80:81], v[84:85]
	v_div_fixup_f64 v[0:1], v[71:72], v[0:1], 1.0
.LBB62_325:
	s_or_b32 exec_lo, exec_lo, s0
	s_mov_b32 s0, exec_lo
	v_cmpx_ne_u32_e64 v79, v70
	s_xor_b32 s0, exec_lo, s0
	s_cbranch_execz .LBB62_331
; %bb.326:
	s_mov_b32 s1, exec_lo
	v_cmpx_eq_u32_e32 19, v79
	s_cbranch_execz .LBB62_330
; %bb.327:
	v_cmp_ne_u32_e32 vcc_lo, 19, v70
	s_xor_b32 s2, s6, -1
	s_and_b32 s3, s2, vcc_lo
	s_and_saveexec_b32 s2, s3
	s_cbranch_execz .LBB62_329
; %bb.328:
	v_ashrrev_i32_e32 v71, 31, v70
	v_lshlrev_b64 v[71:72], 2, v[70:71]
	v_add_co_u32 v71, vcc_lo, v4, v71
	v_add_co_ci_u32_e64 v72, null, v5, v72, vcc_lo
	s_clause 0x1
	global_load_dword v73, v[71:72], off
	global_load_dword v79, v[4:5], off offset:76
	s_waitcnt vmcnt(1)
	global_store_dword v[4:5], v73, off offset:76
	s_waitcnt vmcnt(0)
	global_store_dword v[71:72], v79, off
.LBB62_329:
	s_or_b32 exec_lo, exec_lo, s2
	v_mov_b32_e32 v73, v70
	v_mov_b32_e32 v79, v70
.LBB62_330:
	s_or_b32 exec_lo, exec_lo, s1
.LBB62_331:
	s_andn2_saveexec_b32 s0, s0
	s_cbranch_execz .LBB62_333
; %bb.332:
	v_mov_b32_e32 v70, v26
	v_mov_b32_e32 v71, v27
	;; [unrolled: 1-line block ×8, first 2 shown]
	ds_write2_b64 v76, v[70:71], v[79:80] offset0:20 offset1:21
	ds_write2_b64 v76, v[81:82], v[83:84] offset0:22 offset1:23
	v_mov_b32_e32 v70, v20
	v_mov_b32_e32 v71, v21
	;; [unrolled: 1-line block ×15, first 2 shown]
	ds_write2_b64 v76, v[70:71], v[80:81] offset0:24 offset1:25
	ds_write2_b64 v76, v[82:83], v[84:85] offset0:26 offset1:27
	;; [unrolled: 1-line block ×4, first 2 shown]
.LBB62_333:
	s_or_b32 exec_lo, exec_lo, s0
	s_mov_b32 s0, exec_lo
	s_waitcnt lgkmcnt(0)
	s_waitcnt_vscnt null, 0x0
	s_barrier
	buffer_gl0_inv
	v_cmpx_lt_i32_e32 19, v79
	s_cbranch_execz .LBB62_335
; %bb.334:
	v_mul_f64 v[28:29], v[0:1], v[28:29]
	ds_read2_b64 v[80:83], v76 offset0:20 offset1:21
	ds_read2_b64 v[84:87], v76 offset0:22 offset1:23
	;; [unrolled: 1-line block ×6, first 2 shown]
	s_waitcnt lgkmcnt(5)
	v_fma_f64 v[26:27], -v[28:29], v[80:81], v[26:27]
	v_fma_f64 v[24:25], -v[28:29], v[82:83], v[24:25]
	s_waitcnt lgkmcnt(4)
	v_fma_f64 v[22:23], -v[28:29], v[84:85], v[22:23]
	v_fma_f64 v[18:19], -v[28:29], v[86:87], v[18:19]
	;; [unrolled: 3-line block ×6, first 2 shown]
.LBB62_335:
	s_or_b32 exec_lo, exec_lo, s0
	v_lshl_add_u32 v0, v79, 3, v76
	s_barrier
	buffer_gl0_inv
	v_mov_b32_e32 v70, 20
	ds_write_b64 v0, v[26:27]
	s_waitcnt lgkmcnt(0)
	s_barrier
	buffer_gl0_inv
	ds_read_b64 v[0:1], v76 offset:160
	s_cmp_lt_i32 s7, 22
	s_cbranch_scc1 .LBB62_338
; %bb.336:
	v_add3_u32 v71, v77, 0, 0xa8
	v_mov_b32_e32 v70, 20
	s_mov_b32 s0, 21
.LBB62_337:                             ; =>This Inner Loop Header: Depth=1
	ds_read_b64 v[80:81], v71
	v_add_nc_u32_e32 v71, 8, v71
	s_waitcnt lgkmcnt(0)
	v_cmp_lt_f64_e64 vcc_lo, |v[0:1]|, |v[80:81]|
	v_cndmask_b32_e32 v1, v1, v81, vcc_lo
	v_cndmask_b32_e32 v0, v0, v80, vcc_lo
	v_cndmask_b32_e64 v70, v70, s0, vcc_lo
	s_add_i32 s0, s0, 1
	s_cmp_lg_u32 s7, s0
	s_cbranch_scc1 .LBB62_337
.LBB62_338:
	s_mov_b32 s0, exec_lo
	s_waitcnt lgkmcnt(0)
	v_cmpx_eq_f64_e32 0, v[0:1]
	s_xor_b32 s0, exec_lo, s0
; %bb.339:
	v_cmp_ne_u32_e32 vcc_lo, 0, v78
	v_cndmask_b32_e32 v78, 21, v78, vcc_lo
; %bb.340:
	s_andn2_saveexec_b32 s0, s0
	s_cbranch_execz .LBB62_342
; %bb.341:
	v_div_scale_f64 v[71:72], null, v[0:1], v[0:1], 1.0
	v_rcp_f64_e32 v[80:81], v[71:72]
	v_fma_f64 v[82:83], -v[71:72], v[80:81], 1.0
	v_fma_f64 v[80:81], v[80:81], v[82:83], v[80:81]
	v_fma_f64 v[82:83], -v[71:72], v[80:81], 1.0
	v_fma_f64 v[80:81], v[80:81], v[82:83], v[80:81]
	v_div_scale_f64 v[82:83], vcc_lo, 1.0, v[0:1], 1.0
	v_mul_f64 v[84:85], v[82:83], v[80:81]
	v_fma_f64 v[71:72], -v[71:72], v[84:85], v[82:83]
	v_div_fmas_f64 v[71:72], v[71:72], v[80:81], v[84:85]
	v_div_fixup_f64 v[0:1], v[71:72], v[0:1], 1.0
.LBB62_342:
	s_or_b32 exec_lo, exec_lo, s0
	s_mov_b32 s0, exec_lo
	v_cmpx_ne_u32_e64 v79, v70
	s_xor_b32 s0, exec_lo, s0
	s_cbranch_execz .LBB62_348
; %bb.343:
	s_mov_b32 s1, exec_lo
	v_cmpx_eq_u32_e32 20, v79
	s_cbranch_execz .LBB62_347
; %bb.344:
	v_cmp_ne_u32_e32 vcc_lo, 20, v70
	s_xor_b32 s2, s6, -1
	s_and_b32 s3, s2, vcc_lo
	s_and_saveexec_b32 s2, s3
	s_cbranch_execz .LBB62_346
; %bb.345:
	v_ashrrev_i32_e32 v71, 31, v70
	v_lshlrev_b64 v[71:72], 2, v[70:71]
	v_add_co_u32 v71, vcc_lo, v4, v71
	v_add_co_ci_u32_e64 v72, null, v5, v72, vcc_lo
	s_clause 0x1
	global_load_dword v73, v[71:72], off
	global_load_dword v79, v[4:5], off offset:80
	s_waitcnt vmcnt(1)
	global_store_dword v[4:5], v73, off offset:80
	s_waitcnt vmcnt(0)
	global_store_dword v[71:72], v79, off
.LBB62_346:
	s_or_b32 exec_lo, exec_lo, s2
	v_mov_b32_e32 v73, v70
	v_mov_b32_e32 v79, v70
.LBB62_347:
	s_or_b32 exec_lo, exec_lo, s1
.LBB62_348:
	s_andn2_saveexec_b32 s0, s0
	s_cbranch_execz .LBB62_350
; %bb.349:
	v_mov_b32_e32 v79, 20
	ds_write2_b64 v76, v[24:25], v[22:23] offset0:21 offset1:22
	ds_write2_b64 v76, v[18:19], v[20:21] offset0:23 offset1:24
	;; [unrolled: 1-line block ×5, first 2 shown]
	ds_write_b64 v76, v[68:69] offset:248
.LBB62_350:
	s_or_b32 exec_lo, exec_lo, s0
	s_mov_b32 s0, exec_lo
	s_waitcnt lgkmcnt(0)
	s_waitcnt_vscnt null, 0x0
	s_barrier
	buffer_gl0_inv
	v_cmpx_lt_i32_e32 20, v79
	s_cbranch_execz .LBB62_352
; %bb.351:
	v_mul_f64 v[26:27], v[0:1], v[26:27]
	ds_read2_b64 v[80:83], v76 offset0:21 offset1:22
	ds_read2_b64 v[84:87], v76 offset0:23 offset1:24
	;; [unrolled: 1-line block ×5, first 2 shown]
	ds_read_b64 v[0:1], v76 offset:248
	s_waitcnt lgkmcnt(5)
	v_fma_f64 v[24:25], -v[26:27], v[80:81], v[24:25]
	v_fma_f64 v[22:23], -v[26:27], v[82:83], v[22:23]
	s_waitcnt lgkmcnt(4)
	v_fma_f64 v[18:19], -v[26:27], v[84:85], v[18:19]
	v_fma_f64 v[20:21], -v[26:27], v[86:87], v[20:21]
	;; [unrolled: 3-line block ×5, first 2 shown]
	s_waitcnt lgkmcnt(0)
	v_fma_f64 v[68:69], -v[26:27], v[0:1], v[68:69]
.LBB62_352:
	s_or_b32 exec_lo, exec_lo, s0
	v_lshl_add_u32 v0, v79, 3, v76
	s_barrier
	buffer_gl0_inv
	v_mov_b32_e32 v70, 21
	ds_write_b64 v0, v[24:25]
	s_waitcnt lgkmcnt(0)
	s_barrier
	buffer_gl0_inv
	ds_read_b64 v[0:1], v76 offset:168
	s_cmp_lt_i32 s7, 23
	s_cbranch_scc1 .LBB62_355
; %bb.353:
	v_add3_u32 v71, v77, 0, 0xb0
	v_mov_b32_e32 v70, 21
	s_mov_b32 s0, 22
.LBB62_354:                             ; =>This Inner Loop Header: Depth=1
	ds_read_b64 v[80:81], v71
	v_add_nc_u32_e32 v71, 8, v71
	s_waitcnt lgkmcnt(0)
	v_cmp_lt_f64_e64 vcc_lo, |v[0:1]|, |v[80:81]|
	v_cndmask_b32_e32 v1, v1, v81, vcc_lo
	v_cndmask_b32_e32 v0, v0, v80, vcc_lo
	v_cndmask_b32_e64 v70, v70, s0, vcc_lo
	s_add_i32 s0, s0, 1
	s_cmp_lg_u32 s7, s0
	s_cbranch_scc1 .LBB62_354
.LBB62_355:
	s_mov_b32 s0, exec_lo
	s_waitcnt lgkmcnt(0)
	v_cmpx_eq_f64_e32 0, v[0:1]
	s_xor_b32 s0, exec_lo, s0
; %bb.356:
	v_cmp_ne_u32_e32 vcc_lo, 0, v78
	v_cndmask_b32_e32 v78, 22, v78, vcc_lo
; %bb.357:
	s_andn2_saveexec_b32 s0, s0
	s_cbranch_execz .LBB62_359
; %bb.358:
	v_div_scale_f64 v[71:72], null, v[0:1], v[0:1], 1.0
	v_rcp_f64_e32 v[80:81], v[71:72]
	v_fma_f64 v[82:83], -v[71:72], v[80:81], 1.0
	v_fma_f64 v[80:81], v[80:81], v[82:83], v[80:81]
	v_fma_f64 v[82:83], -v[71:72], v[80:81], 1.0
	v_fma_f64 v[80:81], v[80:81], v[82:83], v[80:81]
	v_div_scale_f64 v[82:83], vcc_lo, 1.0, v[0:1], 1.0
	v_mul_f64 v[84:85], v[82:83], v[80:81]
	v_fma_f64 v[71:72], -v[71:72], v[84:85], v[82:83]
	v_div_fmas_f64 v[71:72], v[71:72], v[80:81], v[84:85]
	v_div_fixup_f64 v[0:1], v[71:72], v[0:1], 1.0
.LBB62_359:
	s_or_b32 exec_lo, exec_lo, s0
	s_mov_b32 s0, exec_lo
	v_cmpx_ne_u32_e64 v79, v70
	s_xor_b32 s0, exec_lo, s0
	s_cbranch_execz .LBB62_365
; %bb.360:
	s_mov_b32 s1, exec_lo
	v_cmpx_eq_u32_e32 21, v79
	s_cbranch_execz .LBB62_364
; %bb.361:
	v_cmp_ne_u32_e32 vcc_lo, 21, v70
	s_xor_b32 s2, s6, -1
	s_and_b32 s3, s2, vcc_lo
	s_and_saveexec_b32 s2, s3
	s_cbranch_execz .LBB62_363
; %bb.362:
	v_ashrrev_i32_e32 v71, 31, v70
	v_lshlrev_b64 v[71:72], 2, v[70:71]
	v_add_co_u32 v71, vcc_lo, v4, v71
	v_add_co_ci_u32_e64 v72, null, v5, v72, vcc_lo
	s_clause 0x1
	global_load_dword v73, v[71:72], off
	global_load_dword v79, v[4:5], off offset:84
	s_waitcnt vmcnt(1)
	global_store_dword v[4:5], v73, off offset:84
	s_waitcnt vmcnt(0)
	global_store_dword v[71:72], v79, off
.LBB62_363:
	s_or_b32 exec_lo, exec_lo, s2
	v_mov_b32_e32 v73, v70
	v_mov_b32_e32 v79, v70
.LBB62_364:
	s_or_b32 exec_lo, exec_lo, s1
.LBB62_365:
	s_andn2_saveexec_b32 s0, s0
	s_cbranch_execz .LBB62_367
; %bb.366:
	v_mov_b32_e32 v70, v22
	v_mov_b32_e32 v71, v23
	;; [unrolled: 1-line block ×8, first 2 shown]
	ds_write2_b64 v76, v[70:71], v[79:80] offset0:22 offset1:23
	v_mov_b32_e32 v70, v16
	v_mov_b32_e32 v71, v17
	;; [unrolled: 1-line block ×11, first 2 shown]
	ds_write2_b64 v76, v[81:82], v[70:71] offset0:24 offset1:25
	ds_write2_b64 v76, v[83:84], v[85:86] offset0:26 offset1:27
	;; [unrolled: 1-line block ×4, first 2 shown]
.LBB62_367:
	s_or_b32 exec_lo, exec_lo, s0
	s_mov_b32 s0, exec_lo
	s_waitcnt lgkmcnt(0)
	s_waitcnt_vscnt null, 0x0
	s_barrier
	buffer_gl0_inv
	v_cmpx_lt_i32_e32 21, v79
	s_cbranch_execz .LBB62_369
; %bb.368:
	v_mul_f64 v[24:25], v[0:1], v[24:25]
	ds_read2_b64 v[80:83], v76 offset0:22 offset1:23
	ds_read2_b64 v[84:87], v76 offset0:24 offset1:25
	;; [unrolled: 1-line block ×5, first 2 shown]
	s_waitcnt lgkmcnt(4)
	v_fma_f64 v[22:23], -v[24:25], v[80:81], v[22:23]
	v_fma_f64 v[18:19], -v[24:25], v[82:83], v[18:19]
	s_waitcnt lgkmcnt(3)
	v_fma_f64 v[20:21], -v[24:25], v[84:85], v[20:21]
	v_fma_f64 v[16:17], -v[24:25], v[86:87], v[16:17]
	;; [unrolled: 3-line block ×5, first 2 shown]
.LBB62_369:
	s_or_b32 exec_lo, exec_lo, s0
	v_lshl_add_u32 v0, v79, 3, v76
	s_barrier
	buffer_gl0_inv
	v_mov_b32_e32 v70, 22
	ds_write_b64 v0, v[22:23]
	s_waitcnt lgkmcnt(0)
	s_barrier
	buffer_gl0_inv
	ds_read_b64 v[0:1], v76 offset:176
	s_cmp_lt_i32 s7, 24
	s_cbranch_scc1 .LBB62_372
; %bb.370:
	v_add3_u32 v71, v77, 0, 0xb8
	v_mov_b32_e32 v70, 22
	s_mov_b32 s0, 23
.LBB62_371:                             ; =>This Inner Loop Header: Depth=1
	ds_read_b64 v[80:81], v71
	v_add_nc_u32_e32 v71, 8, v71
	s_waitcnt lgkmcnt(0)
	v_cmp_lt_f64_e64 vcc_lo, |v[0:1]|, |v[80:81]|
	v_cndmask_b32_e32 v1, v1, v81, vcc_lo
	v_cndmask_b32_e32 v0, v0, v80, vcc_lo
	v_cndmask_b32_e64 v70, v70, s0, vcc_lo
	s_add_i32 s0, s0, 1
	s_cmp_lg_u32 s7, s0
	s_cbranch_scc1 .LBB62_371
.LBB62_372:
	s_mov_b32 s0, exec_lo
	s_waitcnt lgkmcnt(0)
	v_cmpx_eq_f64_e32 0, v[0:1]
	s_xor_b32 s0, exec_lo, s0
; %bb.373:
	v_cmp_ne_u32_e32 vcc_lo, 0, v78
	v_cndmask_b32_e32 v78, 23, v78, vcc_lo
; %bb.374:
	s_andn2_saveexec_b32 s0, s0
	s_cbranch_execz .LBB62_376
; %bb.375:
	v_div_scale_f64 v[71:72], null, v[0:1], v[0:1], 1.0
	v_rcp_f64_e32 v[80:81], v[71:72]
	v_fma_f64 v[82:83], -v[71:72], v[80:81], 1.0
	v_fma_f64 v[80:81], v[80:81], v[82:83], v[80:81]
	v_fma_f64 v[82:83], -v[71:72], v[80:81], 1.0
	v_fma_f64 v[80:81], v[80:81], v[82:83], v[80:81]
	v_div_scale_f64 v[82:83], vcc_lo, 1.0, v[0:1], 1.0
	v_mul_f64 v[84:85], v[82:83], v[80:81]
	v_fma_f64 v[71:72], -v[71:72], v[84:85], v[82:83]
	v_div_fmas_f64 v[71:72], v[71:72], v[80:81], v[84:85]
	v_div_fixup_f64 v[0:1], v[71:72], v[0:1], 1.0
.LBB62_376:
	s_or_b32 exec_lo, exec_lo, s0
	s_mov_b32 s0, exec_lo
	v_cmpx_ne_u32_e64 v79, v70
	s_xor_b32 s0, exec_lo, s0
	s_cbranch_execz .LBB62_382
; %bb.377:
	s_mov_b32 s1, exec_lo
	v_cmpx_eq_u32_e32 22, v79
	s_cbranch_execz .LBB62_381
; %bb.378:
	v_cmp_ne_u32_e32 vcc_lo, 22, v70
	s_xor_b32 s2, s6, -1
	s_and_b32 s3, s2, vcc_lo
	s_and_saveexec_b32 s2, s3
	s_cbranch_execz .LBB62_380
; %bb.379:
	v_ashrrev_i32_e32 v71, 31, v70
	v_lshlrev_b64 v[71:72], 2, v[70:71]
	v_add_co_u32 v71, vcc_lo, v4, v71
	v_add_co_ci_u32_e64 v72, null, v5, v72, vcc_lo
	s_clause 0x1
	global_load_dword v73, v[71:72], off
	global_load_dword v79, v[4:5], off offset:88
	s_waitcnt vmcnt(1)
	global_store_dword v[4:5], v73, off offset:88
	s_waitcnt vmcnt(0)
	global_store_dword v[71:72], v79, off
.LBB62_380:
	s_or_b32 exec_lo, exec_lo, s2
	v_mov_b32_e32 v73, v70
	v_mov_b32_e32 v79, v70
.LBB62_381:
	s_or_b32 exec_lo, exec_lo, s1
.LBB62_382:
	s_andn2_saveexec_b32 s0, s0
	s_cbranch_execz .LBB62_384
; %bb.383:
	v_mov_b32_e32 v79, 22
	ds_write2_b64 v76, v[18:19], v[20:21] offset0:23 offset1:24
	ds_write2_b64 v76, v[16:17], v[14:15] offset0:25 offset1:26
	;; [unrolled: 1-line block ×4, first 2 shown]
	ds_write_b64 v76, v[68:69] offset:248
.LBB62_384:
	s_or_b32 exec_lo, exec_lo, s0
	s_mov_b32 s0, exec_lo
	s_waitcnt lgkmcnt(0)
	s_waitcnt_vscnt null, 0x0
	s_barrier
	buffer_gl0_inv
	v_cmpx_lt_i32_e32 22, v79
	s_cbranch_execz .LBB62_386
; %bb.385:
	v_mul_f64 v[22:23], v[0:1], v[22:23]
	ds_read2_b64 v[80:83], v76 offset0:23 offset1:24
	ds_read2_b64 v[84:87], v76 offset0:25 offset1:26
	;; [unrolled: 1-line block ×4, first 2 shown]
	ds_read_b64 v[0:1], v76 offset:248
	s_waitcnt lgkmcnt(4)
	v_fma_f64 v[18:19], -v[22:23], v[80:81], v[18:19]
	v_fma_f64 v[20:21], -v[22:23], v[82:83], v[20:21]
	s_waitcnt lgkmcnt(3)
	v_fma_f64 v[16:17], -v[22:23], v[84:85], v[16:17]
	v_fma_f64 v[14:15], -v[22:23], v[86:87], v[14:15]
	;; [unrolled: 3-line block ×4, first 2 shown]
	s_waitcnt lgkmcnt(0)
	v_fma_f64 v[68:69], -v[22:23], v[0:1], v[68:69]
.LBB62_386:
	s_or_b32 exec_lo, exec_lo, s0
	v_lshl_add_u32 v0, v79, 3, v76
	s_barrier
	buffer_gl0_inv
	v_mov_b32_e32 v70, 23
	ds_write_b64 v0, v[18:19]
	s_waitcnt lgkmcnt(0)
	s_barrier
	buffer_gl0_inv
	ds_read_b64 v[0:1], v76 offset:184
	s_cmp_lt_i32 s7, 25
	s_cbranch_scc1 .LBB62_389
; %bb.387:
	v_add3_u32 v71, v77, 0, 0xc0
	v_mov_b32_e32 v70, 23
	s_mov_b32 s0, 24
.LBB62_388:                             ; =>This Inner Loop Header: Depth=1
	ds_read_b64 v[80:81], v71
	v_add_nc_u32_e32 v71, 8, v71
	s_waitcnt lgkmcnt(0)
	v_cmp_lt_f64_e64 vcc_lo, |v[0:1]|, |v[80:81]|
	v_cndmask_b32_e32 v1, v1, v81, vcc_lo
	v_cndmask_b32_e32 v0, v0, v80, vcc_lo
	v_cndmask_b32_e64 v70, v70, s0, vcc_lo
	s_add_i32 s0, s0, 1
	s_cmp_lg_u32 s7, s0
	s_cbranch_scc1 .LBB62_388
.LBB62_389:
	s_mov_b32 s0, exec_lo
	s_waitcnt lgkmcnt(0)
	v_cmpx_eq_f64_e32 0, v[0:1]
	s_xor_b32 s0, exec_lo, s0
; %bb.390:
	v_cmp_ne_u32_e32 vcc_lo, 0, v78
	v_cndmask_b32_e32 v78, 24, v78, vcc_lo
; %bb.391:
	s_andn2_saveexec_b32 s0, s0
	s_cbranch_execz .LBB62_393
; %bb.392:
	v_div_scale_f64 v[71:72], null, v[0:1], v[0:1], 1.0
	v_rcp_f64_e32 v[80:81], v[71:72]
	v_fma_f64 v[82:83], -v[71:72], v[80:81], 1.0
	v_fma_f64 v[80:81], v[80:81], v[82:83], v[80:81]
	v_fma_f64 v[82:83], -v[71:72], v[80:81], 1.0
	v_fma_f64 v[80:81], v[80:81], v[82:83], v[80:81]
	v_div_scale_f64 v[82:83], vcc_lo, 1.0, v[0:1], 1.0
	v_mul_f64 v[84:85], v[82:83], v[80:81]
	v_fma_f64 v[71:72], -v[71:72], v[84:85], v[82:83]
	v_div_fmas_f64 v[71:72], v[71:72], v[80:81], v[84:85]
	v_div_fixup_f64 v[0:1], v[71:72], v[0:1], 1.0
.LBB62_393:
	s_or_b32 exec_lo, exec_lo, s0
	s_mov_b32 s0, exec_lo
	v_cmpx_ne_u32_e64 v79, v70
	s_xor_b32 s0, exec_lo, s0
	s_cbranch_execz .LBB62_399
; %bb.394:
	s_mov_b32 s1, exec_lo
	v_cmpx_eq_u32_e32 23, v79
	s_cbranch_execz .LBB62_398
; %bb.395:
	v_cmp_ne_u32_e32 vcc_lo, 23, v70
	s_xor_b32 s2, s6, -1
	s_and_b32 s3, s2, vcc_lo
	s_and_saveexec_b32 s2, s3
	s_cbranch_execz .LBB62_397
; %bb.396:
	v_ashrrev_i32_e32 v71, 31, v70
	v_lshlrev_b64 v[71:72], 2, v[70:71]
	v_add_co_u32 v71, vcc_lo, v4, v71
	v_add_co_ci_u32_e64 v72, null, v5, v72, vcc_lo
	s_clause 0x1
	global_load_dword v73, v[71:72], off
	global_load_dword v79, v[4:5], off offset:92
	s_waitcnt vmcnt(1)
	global_store_dword v[4:5], v73, off offset:92
	s_waitcnt vmcnt(0)
	global_store_dword v[71:72], v79, off
.LBB62_397:
	s_or_b32 exec_lo, exec_lo, s2
	v_mov_b32_e32 v73, v70
	v_mov_b32_e32 v79, v70
.LBB62_398:
	s_or_b32 exec_lo, exec_lo, s1
.LBB62_399:
	s_andn2_saveexec_b32 s0, s0
	s_cbranch_execz .LBB62_401
; %bb.400:
	v_mov_b32_e32 v70, v20
	v_mov_b32_e32 v71, v21
	;; [unrolled: 1-line block ×15, first 2 shown]
	ds_write2_b64 v76, v[70:71], v[80:81] offset0:24 offset1:25
	ds_write2_b64 v76, v[82:83], v[84:85] offset0:26 offset1:27
	;; [unrolled: 1-line block ×4, first 2 shown]
.LBB62_401:
	s_or_b32 exec_lo, exec_lo, s0
	s_mov_b32 s0, exec_lo
	s_waitcnt lgkmcnt(0)
	s_waitcnt_vscnt null, 0x0
	s_barrier
	buffer_gl0_inv
	v_cmpx_lt_i32_e32 23, v79
	s_cbranch_execz .LBB62_403
; %bb.402:
	v_mul_f64 v[18:19], v[0:1], v[18:19]
	ds_read2_b64 v[80:83], v76 offset0:24 offset1:25
	ds_read2_b64 v[84:87], v76 offset0:26 offset1:27
	;; [unrolled: 1-line block ×4, first 2 shown]
	s_waitcnt lgkmcnt(3)
	v_fma_f64 v[20:21], -v[18:19], v[80:81], v[20:21]
	v_fma_f64 v[16:17], -v[18:19], v[82:83], v[16:17]
	s_waitcnt lgkmcnt(2)
	v_fma_f64 v[14:15], -v[18:19], v[84:85], v[14:15]
	v_fma_f64 v[8:9], -v[18:19], v[86:87], v[8:9]
	;; [unrolled: 3-line block ×4, first 2 shown]
.LBB62_403:
	s_or_b32 exec_lo, exec_lo, s0
	v_lshl_add_u32 v0, v79, 3, v76
	s_barrier
	buffer_gl0_inv
	v_mov_b32_e32 v70, 24
	ds_write_b64 v0, v[20:21]
	s_waitcnt lgkmcnt(0)
	s_barrier
	buffer_gl0_inv
	ds_read_b64 v[0:1], v76 offset:192
	s_cmp_lt_i32 s7, 26
	s_cbranch_scc1 .LBB62_406
; %bb.404:
	v_add3_u32 v71, v77, 0, 0xc8
	v_mov_b32_e32 v70, 24
	s_mov_b32 s0, 25
.LBB62_405:                             ; =>This Inner Loop Header: Depth=1
	ds_read_b64 v[80:81], v71
	v_add_nc_u32_e32 v71, 8, v71
	s_waitcnt lgkmcnt(0)
	v_cmp_lt_f64_e64 vcc_lo, |v[0:1]|, |v[80:81]|
	v_cndmask_b32_e32 v1, v1, v81, vcc_lo
	v_cndmask_b32_e32 v0, v0, v80, vcc_lo
	v_cndmask_b32_e64 v70, v70, s0, vcc_lo
	s_add_i32 s0, s0, 1
	s_cmp_lg_u32 s7, s0
	s_cbranch_scc1 .LBB62_405
.LBB62_406:
	s_mov_b32 s0, exec_lo
	s_waitcnt lgkmcnt(0)
	v_cmpx_eq_f64_e32 0, v[0:1]
	s_xor_b32 s0, exec_lo, s0
; %bb.407:
	v_cmp_ne_u32_e32 vcc_lo, 0, v78
	v_cndmask_b32_e32 v78, 25, v78, vcc_lo
; %bb.408:
	s_andn2_saveexec_b32 s0, s0
	s_cbranch_execz .LBB62_410
; %bb.409:
	v_div_scale_f64 v[71:72], null, v[0:1], v[0:1], 1.0
	v_rcp_f64_e32 v[80:81], v[71:72]
	v_fma_f64 v[82:83], -v[71:72], v[80:81], 1.0
	v_fma_f64 v[80:81], v[80:81], v[82:83], v[80:81]
	v_fma_f64 v[82:83], -v[71:72], v[80:81], 1.0
	v_fma_f64 v[80:81], v[80:81], v[82:83], v[80:81]
	v_div_scale_f64 v[82:83], vcc_lo, 1.0, v[0:1], 1.0
	v_mul_f64 v[84:85], v[82:83], v[80:81]
	v_fma_f64 v[71:72], -v[71:72], v[84:85], v[82:83]
	v_div_fmas_f64 v[71:72], v[71:72], v[80:81], v[84:85]
	v_div_fixup_f64 v[0:1], v[71:72], v[0:1], 1.0
.LBB62_410:
	s_or_b32 exec_lo, exec_lo, s0
	s_mov_b32 s0, exec_lo
	v_cmpx_ne_u32_e64 v79, v70
	s_xor_b32 s0, exec_lo, s0
	s_cbranch_execz .LBB62_416
; %bb.411:
	s_mov_b32 s1, exec_lo
	v_cmpx_eq_u32_e32 24, v79
	s_cbranch_execz .LBB62_415
; %bb.412:
	v_cmp_ne_u32_e32 vcc_lo, 24, v70
	s_xor_b32 s2, s6, -1
	s_and_b32 s3, s2, vcc_lo
	s_and_saveexec_b32 s2, s3
	s_cbranch_execz .LBB62_414
; %bb.413:
	v_ashrrev_i32_e32 v71, 31, v70
	v_lshlrev_b64 v[71:72], 2, v[70:71]
	v_add_co_u32 v71, vcc_lo, v4, v71
	v_add_co_ci_u32_e64 v72, null, v5, v72, vcc_lo
	s_clause 0x1
	global_load_dword v73, v[71:72], off
	global_load_dword v79, v[4:5], off offset:96
	s_waitcnt vmcnt(1)
	global_store_dword v[4:5], v73, off offset:96
	s_waitcnt vmcnt(0)
	global_store_dword v[71:72], v79, off
.LBB62_414:
	s_or_b32 exec_lo, exec_lo, s2
	v_mov_b32_e32 v73, v70
	v_mov_b32_e32 v79, v70
.LBB62_415:
	s_or_b32 exec_lo, exec_lo, s1
.LBB62_416:
	s_andn2_saveexec_b32 s0, s0
	s_cbranch_execz .LBB62_418
; %bb.417:
	v_mov_b32_e32 v79, 24
	ds_write2_b64 v76, v[16:17], v[14:15] offset0:25 offset1:26
	ds_write2_b64 v76, v[8:9], v[12:13] offset0:27 offset1:28
	;; [unrolled: 1-line block ×3, first 2 shown]
	ds_write_b64 v76, v[68:69] offset:248
.LBB62_418:
	s_or_b32 exec_lo, exec_lo, s0
	s_mov_b32 s0, exec_lo
	s_waitcnt lgkmcnt(0)
	s_waitcnt_vscnt null, 0x0
	s_barrier
	buffer_gl0_inv
	v_cmpx_lt_i32_e32 24, v79
	s_cbranch_execz .LBB62_420
; %bb.419:
	v_mul_f64 v[20:21], v[0:1], v[20:21]
	ds_read2_b64 v[80:83], v76 offset0:25 offset1:26
	ds_read2_b64 v[84:87], v76 offset0:27 offset1:28
	;; [unrolled: 1-line block ×3, first 2 shown]
	ds_read_b64 v[0:1], v76 offset:248
	s_waitcnt lgkmcnt(3)
	v_fma_f64 v[16:17], -v[20:21], v[80:81], v[16:17]
	v_fma_f64 v[14:15], -v[20:21], v[82:83], v[14:15]
	s_waitcnt lgkmcnt(2)
	v_fma_f64 v[8:9], -v[20:21], v[84:85], v[8:9]
	v_fma_f64 v[12:13], -v[20:21], v[86:87], v[12:13]
	;; [unrolled: 3-line block ×3, first 2 shown]
	s_waitcnt lgkmcnt(0)
	v_fma_f64 v[68:69], -v[20:21], v[0:1], v[68:69]
.LBB62_420:
	s_or_b32 exec_lo, exec_lo, s0
	v_lshl_add_u32 v0, v79, 3, v76
	s_barrier
	buffer_gl0_inv
	v_mov_b32_e32 v70, 25
	ds_write_b64 v0, v[16:17]
	s_waitcnt lgkmcnt(0)
	s_barrier
	buffer_gl0_inv
	ds_read_b64 v[0:1], v76 offset:200
	s_cmp_lt_i32 s7, 27
	s_cbranch_scc1 .LBB62_423
; %bb.421:
	v_add3_u32 v71, v77, 0, 0xd0
	v_mov_b32_e32 v70, 25
	s_mov_b32 s0, 26
.LBB62_422:                             ; =>This Inner Loop Header: Depth=1
	ds_read_b64 v[80:81], v71
	v_add_nc_u32_e32 v71, 8, v71
	s_waitcnt lgkmcnt(0)
	v_cmp_lt_f64_e64 vcc_lo, |v[0:1]|, |v[80:81]|
	v_cndmask_b32_e32 v1, v1, v81, vcc_lo
	v_cndmask_b32_e32 v0, v0, v80, vcc_lo
	v_cndmask_b32_e64 v70, v70, s0, vcc_lo
	s_add_i32 s0, s0, 1
	s_cmp_lg_u32 s7, s0
	s_cbranch_scc1 .LBB62_422
.LBB62_423:
	s_mov_b32 s0, exec_lo
	s_waitcnt lgkmcnt(0)
	v_cmpx_eq_f64_e32 0, v[0:1]
	s_xor_b32 s0, exec_lo, s0
; %bb.424:
	v_cmp_ne_u32_e32 vcc_lo, 0, v78
	v_cndmask_b32_e32 v78, 26, v78, vcc_lo
; %bb.425:
	s_andn2_saveexec_b32 s0, s0
	s_cbranch_execz .LBB62_427
; %bb.426:
	v_div_scale_f64 v[71:72], null, v[0:1], v[0:1], 1.0
	v_rcp_f64_e32 v[80:81], v[71:72]
	v_fma_f64 v[82:83], -v[71:72], v[80:81], 1.0
	v_fma_f64 v[80:81], v[80:81], v[82:83], v[80:81]
	v_fma_f64 v[82:83], -v[71:72], v[80:81], 1.0
	v_fma_f64 v[80:81], v[80:81], v[82:83], v[80:81]
	v_div_scale_f64 v[82:83], vcc_lo, 1.0, v[0:1], 1.0
	v_mul_f64 v[84:85], v[82:83], v[80:81]
	v_fma_f64 v[71:72], -v[71:72], v[84:85], v[82:83]
	v_div_fmas_f64 v[71:72], v[71:72], v[80:81], v[84:85]
	v_div_fixup_f64 v[0:1], v[71:72], v[0:1], 1.0
.LBB62_427:
	s_or_b32 exec_lo, exec_lo, s0
	s_mov_b32 s0, exec_lo
	v_cmpx_ne_u32_e64 v79, v70
	s_xor_b32 s0, exec_lo, s0
	s_cbranch_execz .LBB62_433
; %bb.428:
	s_mov_b32 s1, exec_lo
	v_cmpx_eq_u32_e32 25, v79
	s_cbranch_execz .LBB62_432
; %bb.429:
	v_cmp_ne_u32_e32 vcc_lo, 25, v70
	s_xor_b32 s2, s6, -1
	s_and_b32 s3, s2, vcc_lo
	s_and_saveexec_b32 s2, s3
	s_cbranch_execz .LBB62_431
; %bb.430:
	v_ashrrev_i32_e32 v71, 31, v70
	v_lshlrev_b64 v[71:72], 2, v[70:71]
	v_add_co_u32 v71, vcc_lo, v4, v71
	v_add_co_ci_u32_e64 v72, null, v5, v72, vcc_lo
	s_clause 0x1
	global_load_dword v73, v[71:72], off
	global_load_dword v79, v[4:5], off offset:100
	s_waitcnt vmcnt(1)
	global_store_dword v[4:5], v73, off offset:100
	s_waitcnt vmcnt(0)
	global_store_dword v[71:72], v79, off
.LBB62_431:
	s_or_b32 exec_lo, exec_lo, s2
	v_mov_b32_e32 v73, v70
	v_mov_b32_e32 v79, v70
.LBB62_432:
	s_or_b32 exec_lo, exec_lo, s1
.LBB62_433:
	s_andn2_saveexec_b32 s0, s0
	s_cbranch_execz .LBB62_435
; %bb.434:
	v_mov_b32_e32 v70, v14
	v_mov_b32_e32 v71, v15
	;; [unrolled: 1-line block ×11, first 2 shown]
	ds_write2_b64 v76, v[70:71], v[80:81] offset0:26 offset1:27
	ds_write2_b64 v76, v[82:83], v[84:85] offset0:28 offset1:29
	;; [unrolled: 1-line block ×3, first 2 shown]
.LBB62_435:
	s_or_b32 exec_lo, exec_lo, s0
	s_mov_b32 s0, exec_lo
	s_waitcnt lgkmcnt(0)
	s_waitcnt_vscnt null, 0x0
	s_barrier
	buffer_gl0_inv
	v_cmpx_lt_i32_e32 25, v79
	s_cbranch_execz .LBB62_437
; %bb.436:
	v_mul_f64 v[16:17], v[0:1], v[16:17]
	ds_read2_b64 v[80:83], v76 offset0:26 offset1:27
	ds_read2_b64 v[84:87], v76 offset0:28 offset1:29
	;; [unrolled: 1-line block ×3, first 2 shown]
	s_waitcnt lgkmcnt(2)
	v_fma_f64 v[14:15], -v[16:17], v[80:81], v[14:15]
	v_fma_f64 v[8:9], -v[16:17], v[82:83], v[8:9]
	s_waitcnt lgkmcnt(1)
	v_fma_f64 v[12:13], -v[16:17], v[84:85], v[12:13]
	v_fma_f64 v[6:7], -v[16:17], v[86:87], v[6:7]
	;; [unrolled: 3-line block ×3, first 2 shown]
.LBB62_437:
	s_or_b32 exec_lo, exec_lo, s0
	v_lshl_add_u32 v0, v79, 3, v76
	s_barrier
	buffer_gl0_inv
	v_mov_b32_e32 v70, 26
	ds_write_b64 v0, v[14:15]
	s_waitcnt lgkmcnt(0)
	s_barrier
	buffer_gl0_inv
	ds_read_b64 v[0:1], v76 offset:208
	s_cmp_lt_i32 s7, 28
	s_cbranch_scc1 .LBB62_440
; %bb.438:
	v_add3_u32 v71, v77, 0, 0xd8
	v_mov_b32_e32 v70, 26
	s_mov_b32 s0, 27
.LBB62_439:                             ; =>This Inner Loop Header: Depth=1
	ds_read_b64 v[80:81], v71
	v_add_nc_u32_e32 v71, 8, v71
	s_waitcnt lgkmcnt(0)
	v_cmp_lt_f64_e64 vcc_lo, |v[0:1]|, |v[80:81]|
	v_cndmask_b32_e32 v1, v1, v81, vcc_lo
	v_cndmask_b32_e32 v0, v0, v80, vcc_lo
	v_cndmask_b32_e64 v70, v70, s0, vcc_lo
	s_add_i32 s0, s0, 1
	s_cmp_lg_u32 s7, s0
	s_cbranch_scc1 .LBB62_439
.LBB62_440:
	s_mov_b32 s0, exec_lo
	s_waitcnt lgkmcnt(0)
	v_cmpx_eq_f64_e32 0, v[0:1]
	s_xor_b32 s0, exec_lo, s0
; %bb.441:
	v_cmp_ne_u32_e32 vcc_lo, 0, v78
	v_cndmask_b32_e32 v78, 27, v78, vcc_lo
; %bb.442:
	s_andn2_saveexec_b32 s0, s0
	s_cbranch_execz .LBB62_444
; %bb.443:
	v_div_scale_f64 v[71:72], null, v[0:1], v[0:1], 1.0
	v_rcp_f64_e32 v[80:81], v[71:72]
	v_fma_f64 v[82:83], -v[71:72], v[80:81], 1.0
	v_fma_f64 v[80:81], v[80:81], v[82:83], v[80:81]
	v_fma_f64 v[82:83], -v[71:72], v[80:81], 1.0
	v_fma_f64 v[80:81], v[80:81], v[82:83], v[80:81]
	v_div_scale_f64 v[82:83], vcc_lo, 1.0, v[0:1], 1.0
	v_mul_f64 v[84:85], v[82:83], v[80:81]
	v_fma_f64 v[71:72], -v[71:72], v[84:85], v[82:83]
	v_div_fmas_f64 v[71:72], v[71:72], v[80:81], v[84:85]
	v_div_fixup_f64 v[0:1], v[71:72], v[0:1], 1.0
.LBB62_444:
	s_or_b32 exec_lo, exec_lo, s0
	s_mov_b32 s0, exec_lo
	v_cmpx_ne_u32_e64 v79, v70
	s_xor_b32 s0, exec_lo, s0
	s_cbranch_execz .LBB62_450
; %bb.445:
	s_mov_b32 s1, exec_lo
	v_cmpx_eq_u32_e32 26, v79
	s_cbranch_execz .LBB62_449
; %bb.446:
	v_cmp_ne_u32_e32 vcc_lo, 26, v70
	s_xor_b32 s2, s6, -1
	s_and_b32 s3, s2, vcc_lo
	s_and_saveexec_b32 s2, s3
	s_cbranch_execz .LBB62_448
; %bb.447:
	v_ashrrev_i32_e32 v71, 31, v70
	v_lshlrev_b64 v[71:72], 2, v[70:71]
	v_add_co_u32 v71, vcc_lo, v4, v71
	v_add_co_ci_u32_e64 v72, null, v5, v72, vcc_lo
	s_clause 0x1
	global_load_dword v73, v[71:72], off
	global_load_dword v79, v[4:5], off offset:104
	s_waitcnt vmcnt(1)
	global_store_dword v[4:5], v73, off offset:104
	s_waitcnt vmcnt(0)
	global_store_dword v[71:72], v79, off
.LBB62_448:
	s_or_b32 exec_lo, exec_lo, s2
	v_mov_b32_e32 v73, v70
	v_mov_b32_e32 v79, v70
.LBB62_449:
	s_or_b32 exec_lo, exec_lo, s1
.LBB62_450:
	s_andn2_saveexec_b32 s0, s0
	s_cbranch_execz .LBB62_452
; %bb.451:
	v_mov_b32_e32 v79, 26
	ds_write2_b64 v76, v[8:9], v[12:13] offset0:27 offset1:28
	ds_write2_b64 v76, v[6:7], v[10:11] offset0:29 offset1:30
	ds_write_b64 v76, v[68:69] offset:248
.LBB62_452:
	s_or_b32 exec_lo, exec_lo, s0
	s_mov_b32 s0, exec_lo
	s_waitcnt lgkmcnt(0)
	s_waitcnt_vscnt null, 0x0
	s_barrier
	buffer_gl0_inv
	v_cmpx_lt_i32_e32 26, v79
	s_cbranch_execz .LBB62_454
; %bb.453:
	v_mul_f64 v[14:15], v[0:1], v[14:15]
	ds_read2_b64 v[80:83], v76 offset0:27 offset1:28
	ds_read2_b64 v[84:87], v76 offset0:29 offset1:30
	ds_read_b64 v[0:1], v76 offset:248
	s_waitcnt lgkmcnt(2)
	v_fma_f64 v[8:9], -v[14:15], v[80:81], v[8:9]
	v_fma_f64 v[12:13], -v[14:15], v[82:83], v[12:13]
	s_waitcnt lgkmcnt(1)
	v_fma_f64 v[6:7], -v[14:15], v[84:85], v[6:7]
	v_fma_f64 v[10:11], -v[14:15], v[86:87], v[10:11]
	s_waitcnt lgkmcnt(0)
	v_fma_f64 v[68:69], -v[14:15], v[0:1], v[68:69]
.LBB62_454:
	s_or_b32 exec_lo, exec_lo, s0
	v_lshl_add_u32 v0, v79, 3, v76
	s_barrier
	buffer_gl0_inv
	v_mov_b32_e32 v70, 27
	ds_write_b64 v0, v[8:9]
	s_waitcnt lgkmcnt(0)
	s_barrier
	buffer_gl0_inv
	ds_read_b64 v[0:1], v76 offset:216
	s_cmp_lt_i32 s7, 29
	s_cbranch_scc1 .LBB62_457
; %bb.455:
	v_add3_u32 v71, v77, 0, 0xe0
	v_mov_b32_e32 v70, 27
	s_mov_b32 s0, 28
.LBB62_456:                             ; =>This Inner Loop Header: Depth=1
	ds_read_b64 v[80:81], v71
	v_add_nc_u32_e32 v71, 8, v71
	s_waitcnt lgkmcnt(0)
	v_cmp_lt_f64_e64 vcc_lo, |v[0:1]|, |v[80:81]|
	v_cndmask_b32_e32 v1, v1, v81, vcc_lo
	v_cndmask_b32_e32 v0, v0, v80, vcc_lo
	v_cndmask_b32_e64 v70, v70, s0, vcc_lo
	s_add_i32 s0, s0, 1
	s_cmp_lg_u32 s7, s0
	s_cbranch_scc1 .LBB62_456
.LBB62_457:
	s_mov_b32 s0, exec_lo
	s_waitcnt lgkmcnt(0)
	v_cmpx_eq_f64_e32 0, v[0:1]
	s_xor_b32 s0, exec_lo, s0
; %bb.458:
	v_cmp_ne_u32_e32 vcc_lo, 0, v78
	v_cndmask_b32_e32 v78, 28, v78, vcc_lo
; %bb.459:
	s_andn2_saveexec_b32 s0, s0
	s_cbranch_execz .LBB62_461
; %bb.460:
	v_div_scale_f64 v[71:72], null, v[0:1], v[0:1], 1.0
	v_rcp_f64_e32 v[80:81], v[71:72]
	v_fma_f64 v[82:83], -v[71:72], v[80:81], 1.0
	v_fma_f64 v[80:81], v[80:81], v[82:83], v[80:81]
	v_fma_f64 v[82:83], -v[71:72], v[80:81], 1.0
	v_fma_f64 v[80:81], v[80:81], v[82:83], v[80:81]
	v_div_scale_f64 v[82:83], vcc_lo, 1.0, v[0:1], 1.0
	v_mul_f64 v[84:85], v[82:83], v[80:81]
	v_fma_f64 v[71:72], -v[71:72], v[84:85], v[82:83]
	v_div_fmas_f64 v[71:72], v[71:72], v[80:81], v[84:85]
	v_div_fixup_f64 v[0:1], v[71:72], v[0:1], 1.0
.LBB62_461:
	s_or_b32 exec_lo, exec_lo, s0
	s_mov_b32 s0, exec_lo
	v_cmpx_ne_u32_e64 v79, v70
	s_xor_b32 s0, exec_lo, s0
	s_cbranch_execz .LBB62_467
; %bb.462:
	s_mov_b32 s1, exec_lo
	v_cmpx_eq_u32_e32 27, v79
	s_cbranch_execz .LBB62_466
; %bb.463:
	v_cmp_ne_u32_e32 vcc_lo, 27, v70
	s_xor_b32 s2, s6, -1
	s_and_b32 s3, s2, vcc_lo
	s_and_saveexec_b32 s2, s3
	s_cbranch_execz .LBB62_465
; %bb.464:
	v_ashrrev_i32_e32 v71, 31, v70
	v_lshlrev_b64 v[71:72], 2, v[70:71]
	v_add_co_u32 v71, vcc_lo, v4, v71
	v_add_co_ci_u32_e64 v72, null, v5, v72, vcc_lo
	s_clause 0x1
	global_load_dword v73, v[71:72], off
	global_load_dword v79, v[4:5], off offset:108
	s_waitcnt vmcnt(1)
	global_store_dword v[4:5], v73, off offset:108
	s_waitcnt vmcnt(0)
	global_store_dword v[71:72], v79, off
.LBB62_465:
	s_or_b32 exec_lo, exec_lo, s2
	v_mov_b32_e32 v73, v70
	v_mov_b32_e32 v79, v70
.LBB62_466:
	s_or_b32 exec_lo, exec_lo, s1
.LBB62_467:
	s_andn2_saveexec_b32 s0, s0
	s_cbranch_execz .LBB62_469
; %bb.468:
	v_mov_b32_e32 v70, v12
	v_mov_b32_e32 v71, v13
	;; [unrolled: 1-line block ×7, first 2 shown]
	ds_write2_b64 v76, v[70:71], v[80:81] offset0:28 offset1:29
	ds_write2_b64 v76, v[82:83], v[68:69] offset0:30 offset1:31
.LBB62_469:
	s_or_b32 exec_lo, exec_lo, s0
	s_mov_b32 s0, exec_lo
	s_waitcnt lgkmcnt(0)
	s_waitcnt_vscnt null, 0x0
	s_barrier
	buffer_gl0_inv
	v_cmpx_lt_i32_e32 27, v79
	s_cbranch_execz .LBB62_471
; %bb.470:
	v_mul_f64 v[8:9], v[0:1], v[8:9]
	ds_read2_b64 v[80:83], v76 offset0:28 offset1:29
	ds_read2_b64 v[84:87], v76 offset0:30 offset1:31
	s_waitcnt lgkmcnt(1)
	v_fma_f64 v[12:13], -v[8:9], v[80:81], v[12:13]
	v_fma_f64 v[6:7], -v[8:9], v[82:83], v[6:7]
	s_waitcnt lgkmcnt(0)
	v_fma_f64 v[10:11], -v[8:9], v[84:85], v[10:11]
	v_fma_f64 v[68:69], -v[8:9], v[86:87], v[68:69]
.LBB62_471:
	s_or_b32 exec_lo, exec_lo, s0
	v_lshl_add_u32 v0, v79, 3, v76
	s_barrier
	buffer_gl0_inv
	v_mov_b32_e32 v70, 28
	ds_write_b64 v0, v[12:13]
	s_waitcnt lgkmcnt(0)
	s_barrier
	buffer_gl0_inv
	ds_read_b64 v[0:1], v76 offset:224
	s_cmp_lt_i32 s7, 30
	s_cbranch_scc1 .LBB62_474
; %bb.472:
	v_add3_u32 v71, v77, 0, 0xe8
	v_mov_b32_e32 v70, 28
	s_mov_b32 s0, 29
.LBB62_473:                             ; =>This Inner Loop Header: Depth=1
	ds_read_b64 v[80:81], v71
	v_add_nc_u32_e32 v71, 8, v71
	s_waitcnt lgkmcnt(0)
	v_cmp_lt_f64_e64 vcc_lo, |v[0:1]|, |v[80:81]|
	v_cndmask_b32_e32 v1, v1, v81, vcc_lo
	v_cndmask_b32_e32 v0, v0, v80, vcc_lo
	v_cndmask_b32_e64 v70, v70, s0, vcc_lo
	s_add_i32 s0, s0, 1
	s_cmp_lg_u32 s7, s0
	s_cbranch_scc1 .LBB62_473
.LBB62_474:
	s_mov_b32 s0, exec_lo
	s_waitcnt lgkmcnt(0)
	v_cmpx_eq_f64_e32 0, v[0:1]
	s_xor_b32 s0, exec_lo, s0
; %bb.475:
	v_cmp_ne_u32_e32 vcc_lo, 0, v78
	v_cndmask_b32_e32 v78, 29, v78, vcc_lo
; %bb.476:
	s_andn2_saveexec_b32 s0, s0
	s_cbranch_execz .LBB62_478
; %bb.477:
	v_div_scale_f64 v[71:72], null, v[0:1], v[0:1], 1.0
	v_rcp_f64_e32 v[80:81], v[71:72]
	v_fma_f64 v[82:83], -v[71:72], v[80:81], 1.0
	v_fma_f64 v[80:81], v[80:81], v[82:83], v[80:81]
	v_fma_f64 v[82:83], -v[71:72], v[80:81], 1.0
	v_fma_f64 v[80:81], v[80:81], v[82:83], v[80:81]
	v_div_scale_f64 v[82:83], vcc_lo, 1.0, v[0:1], 1.0
	v_mul_f64 v[84:85], v[82:83], v[80:81]
	v_fma_f64 v[71:72], -v[71:72], v[84:85], v[82:83]
	v_div_fmas_f64 v[71:72], v[71:72], v[80:81], v[84:85]
	v_div_fixup_f64 v[0:1], v[71:72], v[0:1], 1.0
.LBB62_478:
	s_or_b32 exec_lo, exec_lo, s0
	s_mov_b32 s0, exec_lo
	v_cmpx_ne_u32_e64 v79, v70
	s_xor_b32 s0, exec_lo, s0
	s_cbranch_execz .LBB62_484
; %bb.479:
	s_mov_b32 s1, exec_lo
	v_cmpx_eq_u32_e32 28, v79
	s_cbranch_execz .LBB62_483
; %bb.480:
	v_cmp_ne_u32_e32 vcc_lo, 28, v70
	s_xor_b32 s2, s6, -1
	s_and_b32 s3, s2, vcc_lo
	s_and_saveexec_b32 s2, s3
	s_cbranch_execz .LBB62_482
; %bb.481:
	v_ashrrev_i32_e32 v71, 31, v70
	v_lshlrev_b64 v[71:72], 2, v[70:71]
	v_add_co_u32 v71, vcc_lo, v4, v71
	v_add_co_ci_u32_e64 v72, null, v5, v72, vcc_lo
	s_clause 0x1
	global_load_dword v73, v[71:72], off
	global_load_dword v79, v[4:5], off offset:112
	s_waitcnt vmcnt(1)
	global_store_dword v[4:5], v73, off offset:112
	s_waitcnt vmcnt(0)
	global_store_dword v[71:72], v79, off
.LBB62_482:
	s_or_b32 exec_lo, exec_lo, s2
	v_mov_b32_e32 v73, v70
	v_mov_b32_e32 v79, v70
.LBB62_483:
	s_or_b32 exec_lo, exec_lo, s1
.LBB62_484:
	s_andn2_saveexec_b32 s0, s0
	s_cbranch_execz .LBB62_486
; %bb.485:
	v_mov_b32_e32 v79, 28
	ds_write2_b64 v76, v[6:7], v[10:11] offset0:29 offset1:30
	ds_write_b64 v76, v[68:69] offset:248
.LBB62_486:
	s_or_b32 exec_lo, exec_lo, s0
	s_mov_b32 s0, exec_lo
	s_waitcnt lgkmcnt(0)
	s_waitcnt_vscnt null, 0x0
	s_barrier
	buffer_gl0_inv
	v_cmpx_lt_i32_e32 28, v79
	s_cbranch_execz .LBB62_488
; %bb.487:
	v_mul_f64 v[12:13], v[0:1], v[12:13]
	ds_read2_b64 v[80:83], v76 offset0:29 offset1:30
	ds_read_b64 v[0:1], v76 offset:248
	s_waitcnt lgkmcnt(1)
	v_fma_f64 v[6:7], -v[12:13], v[80:81], v[6:7]
	v_fma_f64 v[10:11], -v[12:13], v[82:83], v[10:11]
	s_waitcnt lgkmcnt(0)
	v_fma_f64 v[68:69], -v[12:13], v[0:1], v[68:69]
.LBB62_488:
	s_or_b32 exec_lo, exec_lo, s0
	v_lshl_add_u32 v0, v79, 3, v76
	s_barrier
	buffer_gl0_inv
	v_mov_b32_e32 v70, 29
	ds_write_b64 v0, v[6:7]
	s_waitcnt lgkmcnt(0)
	s_barrier
	buffer_gl0_inv
	ds_read_b64 v[0:1], v76 offset:232
	s_cmp_lt_i32 s7, 31
	s_cbranch_scc1 .LBB62_491
; %bb.489:
	v_add3_u32 v71, v77, 0, 0xf0
	v_mov_b32_e32 v70, 29
	s_mov_b32 s0, 30
.LBB62_490:                             ; =>This Inner Loop Header: Depth=1
	ds_read_b64 v[80:81], v71
	v_add_nc_u32_e32 v71, 8, v71
	s_waitcnt lgkmcnt(0)
	v_cmp_lt_f64_e64 vcc_lo, |v[0:1]|, |v[80:81]|
	v_cndmask_b32_e32 v1, v1, v81, vcc_lo
	v_cndmask_b32_e32 v0, v0, v80, vcc_lo
	v_cndmask_b32_e64 v70, v70, s0, vcc_lo
	s_add_i32 s0, s0, 1
	s_cmp_lg_u32 s7, s0
	s_cbranch_scc1 .LBB62_490
.LBB62_491:
	s_mov_b32 s0, exec_lo
	s_waitcnt lgkmcnt(0)
	v_cmpx_eq_f64_e32 0, v[0:1]
	s_xor_b32 s0, exec_lo, s0
; %bb.492:
	v_cmp_ne_u32_e32 vcc_lo, 0, v78
	v_cndmask_b32_e32 v78, 30, v78, vcc_lo
; %bb.493:
	s_andn2_saveexec_b32 s0, s0
	s_cbranch_execz .LBB62_495
; %bb.494:
	v_div_scale_f64 v[71:72], null, v[0:1], v[0:1], 1.0
	v_rcp_f64_e32 v[80:81], v[71:72]
	v_fma_f64 v[82:83], -v[71:72], v[80:81], 1.0
	v_fma_f64 v[80:81], v[80:81], v[82:83], v[80:81]
	v_fma_f64 v[82:83], -v[71:72], v[80:81], 1.0
	v_fma_f64 v[80:81], v[80:81], v[82:83], v[80:81]
	v_div_scale_f64 v[82:83], vcc_lo, 1.0, v[0:1], 1.0
	v_mul_f64 v[84:85], v[82:83], v[80:81]
	v_fma_f64 v[71:72], -v[71:72], v[84:85], v[82:83]
	v_div_fmas_f64 v[71:72], v[71:72], v[80:81], v[84:85]
	v_div_fixup_f64 v[0:1], v[71:72], v[0:1], 1.0
.LBB62_495:
	s_or_b32 exec_lo, exec_lo, s0
	s_mov_b32 s0, exec_lo
	v_cmpx_ne_u32_e64 v79, v70
	s_xor_b32 s0, exec_lo, s0
	s_cbranch_execz .LBB62_501
; %bb.496:
	s_mov_b32 s1, exec_lo
	v_cmpx_eq_u32_e32 29, v79
	s_cbranch_execz .LBB62_500
; %bb.497:
	v_cmp_ne_u32_e32 vcc_lo, 29, v70
	s_xor_b32 s2, s6, -1
	s_and_b32 s3, s2, vcc_lo
	s_and_saveexec_b32 s2, s3
	s_cbranch_execz .LBB62_499
; %bb.498:
	v_ashrrev_i32_e32 v71, 31, v70
	v_lshlrev_b64 v[71:72], 2, v[70:71]
	v_add_co_u32 v71, vcc_lo, v4, v71
	v_add_co_ci_u32_e64 v72, null, v5, v72, vcc_lo
	s_clause 0x1
	global_load_dword v73, v[71:72], off
	global_load_dword v79, v[4:5], off offset:116
	s_waitcnt vmcnt(1)
	global_store_dword v[4:5], v73, off offset:116
	s_waitcnt vmcnt(0)
	global_store_dword v[71:72], v79, off
.LBB62_499:
	s_or_b32 exec_lo, exec_lo, s2
	v_mov_b32_e32 v73, v70
	v_mov_b32_e32 v79, v70
.LBB62_500:
	s_or_b32 exec_lo, exec_lo, s1
.LBB62_501:
	s_andn2_saveexec_b32 s0, s0
	s_cbranch_execz .LBB62_503
; %bb.502:
	v_mov_b32_e32 v70, v10
	v_mov_b32_e32 v71, v11
	;; [unrolled: 1-line block ×3, first 2 shown]
	ds_write2_b64 v76, v[70:71], v[68:69] offset0:30 offset1:31
.LBB62_503:
	s_or_b32 exec_lo, exec_lo, s0
	s_mov_b32 s0, exec_lo
	s_waitcnt lgkmcnt(0)
	s_waitcnt_vscnt null, 0x0
	s_barrier
	buffer_gl0_inv
	v_cmpx_lt_i32_e32 29, v79
	s_cbranch_execz .LBB62_505
; %bb.504:
	v_mul_f64 v[6:7], v[0:1], v[6:7]
	ds_read2_b64 v[80:83], v76 offset0:30 offset1:31
	s_waitcnt lgkmcnt(0)
	v_fma_f64 v[10:11], -v[6:7], v[80:81], v[10:11]
	v_fma_f64 v[68:69], -v[6:7], v[82:83], v[68:69]
.LBB62_505:
	s_or_b32 exec_lo, exec_lo, s0
	v_lshl_add_u32 v0, v79, 3, v76
	s_barrier
	buffer_gl0_inv
	v_mov_b32_e32 v70, 30
	ds_write_b64 v0, v[10:11]
	s_waitcnt lgkmcnt(0)
	s_barrier
	buffer_gl0_inv
	ds_read_b64 v[0:1], v76 offset:240
	s_cmp_lt_i32 s7, 32
	s_cbranch_scc1 .LBB62_508
; %bb.506:
	v_add3_u32 v71, v77, 0, 0xf8
	v_mov_b32_e32 v70, 30
	s_mov_b32 s0, 31
.LBB62_507:                             ; =>This Inner Loop Header: Depth=1
	ds_read_b64 v[80:81], v71
	v_add_nc_u32_e32 v71, 8, v71
	s_waitcnt lgkmcnt(0)
	v_cmp_lt_f64_e64 vcc_lo, |v[0:1]|, |v[80:81]|
	v_cndmask_b32_e32 v1, v1, v81, vcc_lo
	v_cndmask_b32_e32 v0, v0, v80, vcc_lo
	v_cndmask_b32_e64 v70, v70, s0, vcc_lo
	s_add_i32 s0, s0, 1
	s_cmp_lg_u32 s7, s0
	s_cbranch_scc1 .LBB62_507
.LBB62_508:
	s_mov_b32 s0, exec_lo
	s_waitcnt lgkmcnt(0)
	v_cmpx_eq_f64_e32 0, v[0:1]
	s_xor_b32 s0, exec_lo, s0
; %bb.509:
	v_cmp_ne_u32_e32 vcc_lo, 0, v78
	v_cndmask_b32_e32 v78, 31, v78, vcc_lo
; %bb.510:
	s_andn2_saveexec_b32 s0, s0
	s_cbranch_execz .LBB62_512
; %bb.511:
	v_div_scale_f64 v[71:72], null, v[0:1], v[0:1], 1.0
	v_rcp_f64_e32 v[80:81], v[71:72]
	v_fma_f64 v[82:83], -v[71:72], v[80:81], 1.0
	v_fma_f64 v[80:81], v[80:81], v[82:83], v[80:81]
	v_fma_f64 v[82:83], -v[71:72], v[80:81], 1.0
	v_fma_f64 v[80:81], v[80:81], v[82:83], v[80:81]
	v_div_scale_f64 v[82:83], vcc_lo, 1.0, v[0:1], 1.0
	v_mul_f64 v[84:85], v[82:83], v[80:81]
	v_fma_f64 v[71:72], -v[71:72], v[84:85], v[82:83]
	v_div_fmas_f64 v[71:72], v[71:72], v[80:81], v[84:85]
	v_div_fixup_f64 v[0:1], v[71:72], v[0:1], 1.0
.LBB62_512:
	s_or_b32 exec_lo, exec_lo, s0
	s_mov_b32 s0, exec_lo
	v_cmpx_ne_u32_e64 v79, v70
	s_xor_b32 s0, exec_lo, s0
	s_cbranch_execz .LBB62_518
; %bb.513:
	s_mov_b32 s1, exec_lo
	v_cmpx_eq_u32_e32 30, v79
	s_cbranch_execz .LBB62_517
; %bb.514:
	v_cmp_ne_u32_e32 vcc_lo, 30, v70
	s_xor_b32 s2, s6, -1
	s_and_b32 s3, s2, vcc_lo
	s_and_saveexec_b32 s2, s3
	s_cbranch_execz .LBB62_516
; %bb.515:
	v_ashrrev_i32_e32 v71, 31, v70
	v_lshlrev_b64 v[71:72], 2, v[70:71]
	v_add_co_u32 v71, vcc_lo, v4, v71
	v_add_co_ci_u32_e64 v72, null, v5, v72, vcc_lo
	s_clause 0x1
	global_load_dword v73, v[71:72], off
	global_load_dword v79, v[4:5], off offset:120
	s_waitcnt vmcnt(1)
	global_store_dword v[4:5], v73, off offset:120
	s_waitcnt vmcnt(0)
	global_store_dword v[71:72], v79, off
.LBB62_516:
	s_or_b32 exec_lo, exec_lo, s2
	v_mov_b32_e32 v73, v70
	v_mov_b32_e32 v79, v70
.LBB62_517:
	s_or_b32 exec_lo, exec_lo, s1
.LBB62_518:
	s_andn2_saveexec_b32 s0, s0
; %bb.519:
	v_mov_b32_e32 v79, 30
	ds_write_b64 v76, v[68:69] offset:248
; %bb.520:
	s_or_b32 exec_lo, exec_lo, s0
	s_mov_b32 s0, exec_lo
	s_waitcnt lgkmcnt(0)
	s_waitcnt_vscnt null, 0x0
	s_barrier
	buffer_gl0_inv
	v_cmpx_lt_i32_e32 30, v79
	s_cbranch_execz .LBB62_522
; %bb.521:
	v_mul_f64 v[10:11], v[0:1], v[10:11]
	ds_read_b64 v[0:1], v76 offset:248
	s_waitcnt lgkmcnt(0)
	v_fma_f64 v[68:69], -v[10:11], v[0:1], v[68:69]
.LBB62_522:
	s_or_b32 exec_lo, exec_lo, s0
	v_lshl_add_u32 v0, v79, 3, v76
	s_barrier
	buffer_gl0_inv
	v_mov_b32_e32 v70, 31
	ds_write_b64 v0, v[68:69]
	s_waitcnt lgkmcnt(0)
	s_barrier
	buffer_gl0_inv
	ds_read_b64 v[0:1], v76 offset:248
	s_cmp_lt_i32 s7, 33
	s_cbranch_scc1 .LBB62_525
; %bb.523:
	v_add3_u32 v71, v77, 0, 0x100
	v_mov_b32_e32 v70, 31
	s_mov_b32 s0, 32
.LBB62_524:                             ; =>This Inner Loop Header: Depth=1
	ds_read_b64 v[76:77], v71
	v_add_nc_u32_e32 v71, 8, v71
	s_waitcnt lgkmcnt(0)
	v_cmp_lt_f64_e64 vcc_lo, |v[0:1]|, |v[76:77]|
	v_cndmask_b32_e32 v1, v1, v77, vcc_lo
	v_cndmask_b32_e32 v0, v0, v76, vcc_lo
	v_cndmask_b32_e64 v70, v70, s0, vcc_lo
	s_add_i32 s0, s0, 1
	s_cmp_lg_u32 s7, s0
	s_cbranch_scc1 .LBB62_524
.LBB62_525:
	s_mov_b32 s0, exec_lo
	s_waitcnt lgkmcnt(0)
	v_cmpx_eq_f64_e32 0, v[0:1]
	s_xor_b32 s0, exec_lo, s0
; %bb.526:
	v_cmp_ne_u32_e32 vcc_lo, 0, v78
	v_cndmask_b32_e32 v78, 32, v78, vcc_lo
; %bb.527:
	s_andn2_saveexec_b32 s0, s0
	s_cbranch_execz .LBB62_529
; %bb.528:
	v_div_scale_f64 v[71:72], null, v[0:1], v[0:1], 1.0
	v_rcp_f64_e32 v[76:77], v[71:72]
	v_fma_f64 v[80:81], -v[71:72], v[76:77], 1.0
	v_fma_f64 v[76:77], v[76:77], v[80:81], v[76:77]
	v_fma_f64 v[80:81], -v[71:72], v[76:77], 1.0
	v_fma_f64 v[76:77], v[76:77], v[80:81], v[76:77]
	v_div_scale_f64 v[80:81], vcc_lo, 1.0, v[0:1], 1.0
	v_mul_f64 v[82:83], v[80:81], v[76:77]
	v_fma_f64 v[71:72], -v[71:72], v[82:83], v[80:81]
	v_div_fmas_f64 v[71:72], v[71:72], v[76:77], v[82:83]
	v_div_fixup_f64 v[0:1], v[71:72], v[0:1], 1.0
.LBB62_529:
	s_or_b32 exec_lo, exec_lo, s0
	v_mov_b32_e32 v71, 31
	s_mov_b32 s0, exec_lo
	v_cmpx_ne_u32_e64 v79, v70
	s_cbranch_execz .LBB62_535
; %bb.530:
	s_mov_b32 s1, exec_lo
	v_cmpx_eq_u32_e32 31, v79
	s_cbranch_execz .LBB62_534
; %bb.531:
	v_cmp_ne_u32_e32 vcc_lo, 31, v70
	s_xor_b32 s2, s6, -1
	s_and_b32 s3, s2, vcc_lo
	s_and_saveexec_b32 s2, s3
	s_cbranch_execz .LBB62_533
; %bb.532:
	v_ashrrev_i32_e32 v71, 31, v70
	v_lshlrev_b64 v[71:72], 2, v[70:71]
	v_add_co_u32 v71, vcc_lo, v4, v71
	v_add_co_ci_u32_e64 v72, null, v5, v72, vcc_lo
	s_clause 0x1
	global_load_dword v73, v[71:72], off
	global_load_dword v76, v[4:5], off offset:124
	s_waitcnt vmcnt(1)
	global_store_dword v[4:5], v73, off offset:124
	s_waitcnt vmcnt(0)
	global_store_dword v[71:72], v76, off
.LBB62_533:
	s_or_b32 exec_lo, exec_lo, s2
	v_mov_b32_e32 v73, v70
	v_mov_b32_e32 v79, v70
.LBB62_534:
	s_or_b32 exec_lo, exec_lo, s1
	v_mov_b32_e32 v71, v79
.LBB62_535:
	s_or_b32 exec_lo, exec_lo, s0
	s_load_dwordx8 s[0:7], s[4:5], 0x28
	v_ashrrev_i32_e32 v72, 31, v71
	s_mov_b32 s9, exec_lo
	s_waitcnt lgkmcnt(0)
	s_waitcnt_vscnt null, 0x0
	s_barrier
	buffer_gl0_inv
	s_barrier
	buffer_gl0_inv
	v_cmpx_gt_i32_e32 32, v71
	s_cbranch_execz .LBB62_537
; %bb.536:
	v_mul_lo_u32 v70, s5, v2
	v_mul_lo_u32 v76, s4, v3
	v_mad_u64_u32 v[4:5], null, s4, v2, 0
	s_lshl_b64 s[2:3], s[2:3], 2
	v_add3_u32 v5, v5, v76, v70
	v_lshlrev_b64 v[4:5], 2, v[4:5]
	v_add_co_u32 v70, vcc_lo, s0, v4
	v_add_co_ci_u32_e64 v76, null, s1, v5, vcc_lo
	v_lshlrev_b64 v[4:5], 2, v[71:72]
	v_add_co_u32 v70, vcc_lo, v70, s2
	v_add_co_ci_u32_e64 v76, null, s3, v76, vcc_lo
	v_add_co_u32 v4, vcc_lo, v70, v4
	v_add_co_ci_u32_e64 v5, null, v76, v5, vcc_lo
	v_add3_u32 v70, v73, s13, 1
	global_store_dword v[4:5], v70, off
.LBB62_537:
	s_or_b32 exec_lo, exec_lo, s9
	s_mov_b32 s1, exec_lo
	v_cmpx_eq_u32_e32 0, v71
	s_cbranch_execz .LBB62_540
; %bb.538:
	v_lshlrev_b64 v[2:3], 2, v[2:3]
	v_cmp_ne_u32_e64 s0, 0, v78
	v_add_co_u32 v2, vcc_lo, s6, v2
	v_add_co_ci_u32_e64 v3, null, s7, v3, vcc_lo
	global_load_dword v4, v[2:3], off
	s_waitcnt vmcnt(0)
	v_cmp_eq_u32_e32 vcc_lo, 0, v4
	s_and_b32 s0, vcc_lo, s0
	s_and_b32 exec_lo, exec_lo, s0
	s_cbranch_execz .LBB62_540
; %bb.539:
	v_add_nc_u32_e32 v4, s13, v78
	global_store_dword v[2:3], v4, off
.LBB62_540:
	s_or_b32 exec_lo, exec_lo, s1
	v_mul_f64 v[0:1], v[0:1], v[68:69]
	v_add3_u32 v2, s8, s8, v71
	v_lshlrev_b64 v[4:5], 3, v[71:72]
	v_cmp_lt_i32_e32 vcc_lo, 31, v71
	v_add_nc_u32_e32 v70, s8, v2
	v_ashrrev_i32_e32 v3, 31, v2
	v_add_co_u32 v4, s0, v74, v4
	v_add_co_ci_u32_e64 v5, null, v75, v5, s0
	v_add_nc_u32_e32 v72, s8, v70
	v_ashrrev_i32_e32 v71, 31, v70
	v_add_co_u32 v76, s0, v4, s10
	v_add_co_ci_u32_e64 v77, null, s11, v5, s0
	v_ashrrev_i32_e32 v73, 31, v72
	v_lshlrev_b64 v[2:3], 3, v[2:3]
	flat_store_dwordx2 v[4:5], v[66:67]
	v_lshlrev_b64 v[4:5], 3, v[70:71]
	flat_store_dwordx2 v[76:77], v[64:65]
	v_lshlrev_b64 v[64:65], 3, v[72:73]
	v_cndmask_b32_e32 v1, v69, v1, vcc_lo
	v_cndmask_b32_e32 v0, v68, v0, vcc_lo
	v_add_co_u32 v2, vcc_lo, v74, v2
	v_add_nc_u32_e32 v66, s8, v72
	v_add_co_ci_u32_e64 v3, null, v75, v3, vcc_lo
	v_add_co_u32 v4, vcc_lo, v74, v4
	v_add_co_ci_u32_e64 v5, null, v75, v5, vcc_lo
	v_add_co_u32 v64, vcc_lo, v74, v64
	v_add_nc_u32_e32 v68, s8, v66
	v_add_co_ci_u32_e64 v65, null, v75, v65, vcc_lo
	v_ashrrev_i32_e32 v67, 31, v66
	flat_store_dwordx2 v[2:3], v[62:63]
	flat_store_dwordx2 v[4:5], v[58:59]
	flat_store_dwordx2 v[64:65], v[60:61]
	v_add_nc_u32_e32 v58, s8, v68
	v_ashrrev_i32_e32 v69, 31, v68
	v_lshlrev_b64 v[2:3], 3, v[66:67]
	v_add_nc_u32_e32 v60, s8, v58
	v_lshlrev_b64 v[4:5], 3, v[68:69]
	v_ashrrev_i32_e32 v59, 31, v58
	v_add_co_u32 v2, vcc_lo, v74, v2
	v_add_nc_u32_e32 v62, s8, v60
	v_add_co_ci_u32_e64 v3, null, v75, v3, vcc_lo
	v_add_co_u32 v4, vcc_lo, v74, v4
	v_ashrrev_i32_e32 v61, 31, v60
	v_add_co_ci_u32_e64 v5, null, v75, v5, vcc_lo
	v_ashrrev_i32_e32 v63, 31, v62
	v_lshlrev_b64 v[58:59], 3, v[58:59]
	flat_store_dwordx2 v[2:3], v[54:55]
	flat_store_dwordx2 v[4:5], v[56:57]
	v_lshlrev_b64 v[2:3], 3, v[60:61]
	v_add_nc_u32_e32 v56, s8, v62
	v_lshlrev_b64 v[54:55], 3, v[62:63]
	v_add_co_u32 v4, vcc_lo, v74, v58
	v_add_co_ci_u32_e64 v5, null, v75, v59, vcc_lo
	v_add_co_u32 v2, vcc_lo, v74, v2
	v_add_co_ci_u32_e64 v3, null, v75, v3, vcc_lo
	v_add_co_u32 v54, vcc_lo, v74, v54
	v_add_nc_u32_e32 v58, s8, v56
	v_add_co_ci_u32_e64 v55, null, v75, v55, vcc_lo
	v_ashrrev_i32_e32 v57, 31, v56
	flat_store_dwordx2 v[4:5], v[52:53]
	flat_store_dwordx2 v[2:3], v[50:51]
	flat_store_dwordx2 v[54:55], v[48:49]
	v_add_nc_u32_e32 v48, s8, v58
	v_ashrrev_i32_e32 v59, 31, v58
	v_lshlrev_b64 v[4:5], 3, v[56:57]
	v_add_nc_u32_e32 v50, s8, v48
	v_lshlrev_b64 v[2:3], 3, v[58:59]
	v_ashrrev_i32_e32 v49, 31, v48
	v_add_co_u32 v4, vcc_lo, v74, v4
	v_add_nc_u32_e32 v52, s8, v50
	v_add_co_ci_u32_e64 v5, null, v75, v5, vcc_lo
	v_add_co_u32 v2, vcc_lo, v74, v2
	v_ashrrev_i32_e32 v51, 31, v50
	v_add_co_ci_u32_e64 v3, null, v75, v3, vcc_lo
	v_ashrrev_i32_e32 v53, 31, v52
	v_lshlrev_b64 v[48:49], 3, v[48:49]
	flat_store_dwordx2 v[4:5], v[46:47]
	flat_store_dwordx2 v[2:3], v[44:45]
	v_lshlrev_b64 v[2:3], 3, v[50:51]
	v_add_nc_u32_e32 v46, s8, v52
	v_lshlrev_b64 v[44:45], 3, v[52:53]
	v_add_co_u32 v4, vcc_lo, v74, v48
	;; [unrolled: 30-line block ×4, first 2 shown]
	v_add_co_ci_u32_e64 v5, null, v75, v29, vcc_lo
	v_add_co_u32 v2, vcc_lo, v74, v2
	v_add_nc_u32_e32 v28, s8, v26
	v_add_co_ci_u32_e64 v3, null, v75, v3, vcc_lo
	v_add_co_u32 v24, vcc_lo, v74, v24
	v_ashrrev_i32_e32 v27, 31, v26
	v_add_co_ci_u32_e64 v25, null, v75, v25, vcc_lo
	v_ashrrev_i32_e32 v29, 31, v28
	flat_store_dwordx2 v[4:5], v[22:23]
	v_lshlrev_b64 v[4:5], 3, v[26:27]
	flat_store_dwordx2 v[2:3], v[18:19]
	flat_store_dwordx2 v[24:25], v[20:21]
	v_add_nc_u32_e32 v18, s8, v28
	v_lshlrev_b64 v[2:3], 3, v[28:29]
	v_add_co_u32 v4, vcc_lo, v74, v4
	v_add_nc_u32_e32 v20, s8, v18
	v_add_co_ci_u32_e64 v5, null, v75, v5, vcc_lo
	v_add_co_u32 v2, vcc_lo, v74, v2
	v_add_co_ci_u32_e64 v3, null, v75, v3, vcc_lo
	v_add_nc_u32_e32 v22, s8, v20
	v_ashrrev_i32_e32 v19, 31, v18
	flat_store_dwordx2 v[4:5], v[16:17]
	flat_store_dwordx2 v[2:3], v[14:15]
	v_ashrrev_i32_e32 v21, 31, v20
	v_add_nc_u32_e32 v14, s8, v22
	v_lshlrev_b64 v[4:5], 3, v[18:19]
	v_ashrrev_i32_e32 v23, 31, v22
	v_lshlrev_b64 v[2:3], 3, v[20:21]
	v_add_nc_u32_e32 v18, s8, v14
	v_ashrrev_i32_e32 v15, 31, v14
	v_lshlrev_b64 v[16:17], 3, v[22:23]
	v_add_co_u32 v4, vcc_lo, v74, v4
	v_ashrrev_i32_e32 v19, 31, v18
	v_lshlrev_b64 v[14:15], 3, v[14:15]
	v_add_co_ci_u32_e64 v5, null, v75, v5, vcc_lo
	v_add_co_u32 v2, vcc_lo, v74, v2
	v_lshlrev_b64 v[18:19], 3, v[18:19]
	v_add_co_ci_u32_e64 v3, null, v75, v3, vcc_lo
	v_add_co_u32 v16, vcc_lo, v74, v16
	v_add_co_ci_u32_e64 v17, null, v75, v17, vcc_lo
	v_add_co_u32 v14, vcc_lo, v74, v14
	;; [unrolled: 2-line block ×3, first 2 shown]
	v_add_co_ci_u32_e64 v19, null, v75, v19, vcc_lo
	flat_store_dwordx2 v[4:5], v[8:9]
	flat_store_dwordx2 v[2:3], v[12:13]
	;; [unrolled: 1-line block ×5, first 2 shown]
.LBB62_541:
	s_endpgm
	.section	.rodata,"a",@progbits
	.p2align	6, 0x0
	.amdhsa_kernel _ZN9rocsolver6v33100L18getf2_small_kernelILi32EdiiPKPdEEvT1_T3_lS5_lPS5_llPT2_S5_S5_S7_l
		.amdhsa_group_segment_fixed_size 0
		.amdhsa_private_segment_fixed_size 0
		.amdhsa_kernarg_size 352
		.amdhsa_user_sgpr_count 6
		.amdhsa_user_sgpr_private_segment_buffer 1
		.amdhsa_user_sgpr_dispatch_ptr 0
		.amdhsa_user_sgpr_queue_ptr 0
		.amdhsa_user_sgpr_kernarg_segment_ptr 1
		.amdhsa_user_sgpr_dispatch_id 0
		.amdhsa_user_sgpr_flat_scratch_init 0
		.amdhsa_user_sgpr_private_segment_size 0
		.amdhsa_wavefront_size32 1
		.amdhsa_uses_dynamic_stack 0
		.amdhsa_system_sgpr_private_segment_wavefront_offset 0
		.amdhsa_system_sgpr_workgroup_id_x 1
		.amdhsa_system_sgpr_workgroup_id_y 1
		.amdhsa_system_sgpr_workgroup_id_z 0
		.amdhsa_system_sgpr_workgroup_info 0
		.amdhsa_system_vgpr_workitem_id 1
		.amdhsa_next_free_vgpr 140
		.amdhsa_next_free_sgpr 14
		.amdhsa_reserve_vcc 1
		.amdhsa_reserve_flat_scratch 1
		.amdhsa_float_round_mode_32 0
		.amdhsa_float_round_mode_16_64 0
		.amdhsa_float_denorm_mode_32 3
		.amdhsa_float_denorm_mode_16_64 3
		.amdhsa_dx10_clamp 1
		.amdhsa_ieee_mode 1
		.amdhsa_fp16_overflow 0
		.amdhsa_workgroup_processor_mode 1
		.amdhsa_memory_ordered 1
		.amdhsa_forward_progress 1
		.amdhsa_shared_vgpr_count 0
		.amdhsa_exception_fp_ieee_invalid_op 0
		.amdhsa_exception_fp_denorm_src 0
		.amdhsa_exception_fp_ieee_div_zero 0
		.amdhsa_exception_fp_ieee_overflow 0
		.amdhsa_exception_fp_ieee_underflow 0
		.amdhsa_exception_fp_ieee_inexact 0
		.amdhsa_exception_int_div_zero 0
	.end_amdhsa_kernel
	.section	.text._ZN9rocsolver6v33100L18getf2_small_kernelILi32EdiiPKPdEEvT1_T3_lS5_lPS5_llPT2_S5_S5_S7_l,"axG",@progbits,_ZN9rocsolver6v33100L18getf2_small_kernelILi32EdiiPKPdEEvT1_T3_lS5_lPS5_llPT2_S5_S5_S7_l,comdat
.Lfunc_end62:
	.size	_ZN9rocsolver6v33100L18getf2_small_kernelILi32EdiiPKPdEEvT1_T3_lS5_lPS5_llPT2_S5_S5_S7_l, .Lfunc_end62-_ZN9rocsolver6v33100L18getf2_small_kernelILi32EdiiPKPdEEvT1_T3_lS5_lPS5_llPT2_S5_S5_S7_l
                                        ; -- End function
	.set _ZN9rocsolver6v33100L18getf2_small_kernelILi32EdiiPKPdEEvT1_T3_lS5_lPS5_llPT2_S5_S5_S7_l.num_vgpr, 140
	.set _ZN9rocsolver6v33100L18getf2_small_kernelILi32EdiiPKPdEEvT1_T3_lS5_lPS5_llPT2_S5_S5_S7_l.num_agpr, 0
	.set _ZN9rocsolver6v33100L18getf2_small_kernelILi32EdiiPKPdEEvT1_T3_lS5_lPS5_llPT2_S5_S5_S7_l.numbered_sgpr, 14
	.set _ZN9rocsolver6v33100L18getf2_small_kernelILi32EdiiPKPdEEvT1_T3_lS5_lPS5_llPT2_S5_S5_S7_l.num_named_barrier, 0
	.set _ZN9rocsolver6v33100L18getf2_small_kernelILi32EdiiPKPdEEvT1_T3_lS5_lPS5_llPT2_S5_S5_S7_l.private_seg_size, 0
	.set _ZN9rocsolver6v33100L18getf2_small_kernelILi32EdiiPKPdEEvT1_T3_lS5_lPS5_llPT2_S5_S5_S7_l.uses_vcc, 1
	.set _ZN9rocsolver6v33100L18getf2_small_kernelILi32EdiiPKPdEEvT1_T3_lS5_lPS5_llPT2_S5_S5_S7_l.uses_flat_scratch, 1
	.set _ZN9rocsolver6v33100L18getf2_small_kernelILi32EdiiPKPdEEvT1_T3_lS5_lPS5_llPT2_S5_S5_S7_l.has_dyn_sized_stack, 0
	.set _ZN9rocsolver6v33100L18getf2_small_kernelILi32EdiiPKPdEEvT1_T3_lS5_lPS5_llPT2_S5_S5_S7_l.has_recursion, 0
	.set _ZN9rocsolver6v33100L18getf2_small_kernelILi32EdiiPKPdEEvT1_T3_lS5_lPS5_llPT2_S5_S5_S7_l.has_indirect_call, 0
	.section	.AMDGPU.csdata,"",@progbits
; Kernel info:
; codeLenInByte = 28472
; TotalNumSgprs: 16
; NumVgprs: 140
; ScratchSize: 0
; MemoryBound: 0
; FloatMode: 240
; IeeeMode: 1
; LDSByteSize: 0 bytes/workgroup (compile time only)
; SGPRBlocks: 0
; VGPRBlocks: 17
; NumSGPRsForWavesPerEU: 16
; NumVGPRsForWavesPerEU: 140
; Occupancy: 7
; WaveLimiterHint : 1
; COMPUTE_PGM_RSRC2:SCRATCH_EN: 0
; COMPUTE_PGM_RSRC2:USER_SGPR: 6
; COMPUTE_PGM_RSRC2:TRAP_HANDLER: 0
; COMPUTE_PGM_RSRC2:TGID_X_EN: 1
; COMPUTE_PGM_RSRC2:TGID_Y_EN: 1
; COMPUTE_PGM_RSRC2:TGID_Z_EN: 0
; COMPUTE_PGM_RSRC2:TIDIG_COMP_CNT: 1
	.section	.text._ZN9rocsolver6v33100L23getf2_npvt_small_kernelILi32EdiiPKPdEEvT1_T3_lS5_lPT2_S5_S5_,"axG",@progbits,_ZN9rocsolver6v33100L23getf2_npvt_small_kernelILi32EdiiPKPdEEvT1_T3_lS5_lPT2_S5_S5_,comdat
	.globl	_ZN9rocsolver6v33100L23getf2_npvt_small_kernelILi32EdiiPKPdEEvT1_T3_lS5_lPT2_S5_S5_ ; -- Begin function _ZN9rocsolver6v33100L23getf2_npvt_small_kernelILi32EdiiPKPdEEvT1_T3_lS5_lPT2_S5_S5_
	.p2align	8
	.type	_ZN9rocsolver6v33100L23getf2_npvt_small_kernelILi32EdiiPKPdEEvT1_T3_lS5_lPT2_S5_S5_,@function
_ZN9rocsolver6v33100L23getf2_npvt_small_kernelILi32EdiiPKPdEEvT1_T3_lS5_lPT2_S5_S5_: ; @_ZN9rocsolver6v33100L23getf2_npvt_small_kernelILi32EdiiPKPdEEvT1_T3_lS5_lPT2_S5_S5_
; %bb.0:
	s_clause 0x1
	s_load_dword s0, s[4:5], 0x44
	s_load_dwordx2 s[8:9], s[4:5], 0x30
	s_waitcnt lgkmcnt(0)
	s_lshr_b32 s10, s0, 16
	s_mov_b32 s0, exec_lo
	v_mad_u64_u32 v[2:3], null, s7, s10, v[1:2]
	v_cmpx_gt_i32_e64 s8, v2
	s_cbranch_execz .LBB63_163
; %bb.1:
	s_clause 0x1
	s_load_dwordx4 s[0:3], s[4:5], 0x8
	s_load_dword s6, s[4:5], 0x18
	v_ashrrev_i32_e32 v3, 31, v2
	v_lshlrev_b32_e32 v68, 3, v0
	v_lshlrev_b32_e32 v132, 3, v1
	v_lshl_add_u32 v194, v1, 8, 0
	v_lshlrev_b64 v[4:5], 3, v[2:3]
	s_waitcnt lgkmcnt(0)
	v_add_co_u32 v4, vcc_lo, s0, v4
	v_add_co_ci_u32_e64 v5, null, s1, v5, vcc_lo
	v_add3_u32 v6, s6, s6, v0
	s_lshl_b64 s[2:3], s[2:3], 3
	s_ashr_i32 s7, s6, 31
	global_load_dwordx2 v[4:5], v[4:5], off
	s_lshl_b64 s[0:1], s[6:7], 3
	v_add_nc_u32_e32 v8, s6, v6
	v_ashrrev_i32_e32 v7, 31, v6
	v_add_nc_u32_e32 v10, s6, v8
	v_ashrrev_i32_e32 v9, 31, v8
	v_lshlrev_b64 v[6:7], 3, v[6:7]
	v_add_nc_u32_e32 v12, s6, v10
	v_ashrrev_i32_e32 v11, 31, v10
	v_lshlrev_b64 v[8:9], 3, v[8:9]
	v_add_nc_u32_e32 v14, s6, v12
	v_ashrrev_i32_e32 v13, 31, v12
	v_lshlrev_b64 v[10:11], 3, v[10:11]
	v_add_nc_u32_e32 v16, s6, v14
	v_ashrrev_i32_e32 v15, 31, v14
	v_lshlrev_b64 v[12:13], 3, v[12:13]
	v_add_nc_u32_e32 v18, s6, v16
	v_ashrrev_i32_e32 v17, 31, v16
	v_lshlrev_b64 v[14:15], 3, v[14:15]
	v_add_nc_u32_e32 v20, s6, v18
	v_ashrrev_i32_e32 v19, 31, v18
	v_lshlrev_b64 v[16:17], 3, v[16:17]
	v_add_nc_u32_e32 v22, s6, v20
	v_ashrrev_i32_e32 v21, 31, v20
	v_lshlrev_b64 v[18:19], 3, v[18:19]
	v_add_nc_u32_e32 v24, s6, v22
	v_ashrrev_i32_e32 v23, 31, v22
	v_lshlrev_b64 v[20:21], 3, v[20:21]
	v_add_nc_u32_e32 v26, s6, v24
	v_ashrrev_i32_e32 v25, 31, v24
	v_lshlrev_b64 v[22:23], 3, v[22:23]
	v_add_nc_u32_e32 v28, s6, v26
	v_ashrrev_i32_e32 v27, 31, v26
	v_lshlrev_b64 v[24:25], 3, v[24:25]
	v_add_nc_u32_e32 v30, s6, v28
	v_ashrrev_i32_e32 v29, 31, v28
	v_lshlrev_b64 v[26:27], 3, v[26:27]
	v_add_nc_u32_e32 v32, s6, v30
	v_ashrrev_i32_e32 v31, 31, v30
	v_lshlrev_b64 v[28:29], 3, v[28:29]
	v_add_nc_u32_e32 v34, s6, v32
	v_ashrrev_i32_e32 v33, 31, v32
	v_lshlrev_b64 v[30:31], 3, v[30:31]
	v_add_nc_u32_e32 v36, s6, v34
	v_ashrrev_i32_e32 v35, 31, v34
	v_lshlrev_b64 v[32:33], 3, v[32:33]
	v_add_nc_u32_e32 v38, s6, v36
	v_ashrrev_i32_e32 v37, 31, v36
	v_lshlrev_b64 v[34:35], 3, v[34:35]
	v_add_nc_u32_e32 v40, s6, v38
	v_ashrrev_i32_e32 v39, 31, v38
	v_lshlrev_b64 v[36:37], 3, v[36:37]
	v_add_nc_u32_e32 v42, s6, v40
	v_ashrrev_i32_e32 v41, 31, v40
	v_lshlrev_b64 v[38:39], 3, v[38:39]
	v_add_nc_u32_e32 v44, s6, v42
	v_ashrrev_i32_e32 v43, 31, v42
	v_lshlrev_b64 v[40:41], 3, v[40:41]
	v_add_nc_u32_e32 v46, s6, v44
	v_ashrrev_i32_e32 v45, 31, v44
	v_lshlrev_b64 v[42:43], 3, v[42:43]
	v_add_nc_u32_e32 v48, s6, v46
	v_ashrrev_i32_e32 v47, 31, v46
	v_lshlrev_b64 v[44:45], 3, v[44:45]
	v_add_nc_u32_e32 v50, s6, v48
	v_ashrrev_i32_e32 v49, 31, v48
	v_lshlrev_b64 v[46:47], 3, v[46:47]
	v_add_nc_u32_e32 v52, s6, v50
	v_ashrrev_i32_e32 v51, 31, v50
	v_lshlrev_b64 v[48:49], 3, v[48:49]
	v_add_nc_u32_e32 v54, s6, v52
	v_ashrrev_i32_e32 v53, 31, v52
	v_lshlrev_b64 v[50:51], 3, v[50:51]
	v_add_nc_u32_e32 v56, s6, v54
	v_ashrrev_i32_e32 v55, 31, v54
	v_lshlrev_b64 v[52:53], 3, v[52:53]
	v_add_nc_u32_e32 v58, s6, v56
	v_ashrrev_i32_e32 v57, 31, v56
	v_lshlrev_b64 v[54:55], 3, v[54:55]
	v_add_nc_u32_e32 v60, s6, v58
	v_ashrrev_i32_e32 v59, 31, v58
	v_lshlrev_b64 v[56:57], 3, v[56:57]
	v_add_nc_u32_e32 v62, s6, v60
	v_ashrrev_i32_e32 v61, 31, v60
	v_lshlrev_b64 v[58:59], 3, v[58:59]
	v_ashrrev_i32_e32 v63, 31, v62
	v_add_nc_u32_e32 v64, s6, v62
	v_lshlrev_b64 v[60:61], 3, v[60:61]
	v_lshlrev_b64 v[62:63], 3, v[62:63]
	v_ashrrev_i32_e32 v65, 31, v64
	v_lshlrev_b64 v[66:67], 3, v[64:65]
	s_waitcnt vmcnt(0)
	v_add_co_u32 v69, vcc_lo, v4, s2
	v_add_co_ci_u32_e64 v70, null, s3, v5, vcc_lo
	s_lshl_b32 s2, s10, 8
	v_add_co_u32 v4, vcc_lo, v69, v6
	v_add_co_ci_u32_e64 v5, null, v70, v7, vcc_lo
	v_add_co_u32 v6, vcc_lo, v69, v8
	v_add_co_ci_u32_e64 v7, null, v70, v9, vcc_lo
	;; [unrolled: 2-line block ×32, first 2 shown]
	s_clause 0x1f
	flat_load_dwordx2 v[112:113], v[8:9]
	flat_load_dwordx2 v[96:97], v[10:11]
	;; [unrolled: 1-line block ×32, first 2 shown]
	v_cmp_ne_u32_e64 s1, 0, v0
	v_cmp_eq_u32_e64 s0, 0, v0
	v_add3_u32 v1, 0, s2, v132
	s_and_saveexec_b32 s2, s0
	s_cbranch_execz .LBB63_4
; %bb.2:
	s_waitcnt vmcnt(7) lgkmcnt(7)
	ds_write_b64 v1, v[124:125]
	s_waitcnt vmcnt(5) lgkmcnt(6)
	ds_write2_b64 v194, v[128:129], v[130:131] offset0:1 offset1:2
	s_waitcnt vmcnt(4) lgkmcnt(6)
	ds_write2_b64 v194, v[126:127], v[112:113] offset0:3 offset1:4
	ds_write2_b64 v194, v[96:97], v[110:111] offset0:5 offset1:6
	;; [unrolled: 1-line block ×12, first 2 shown]
	s_waitcnt vmcnt(3) lgkmcnt(17)
	ds_write2_b64 v194, v[66:67], v[120:121] offset0:27 offset1:28
	s_waitcnt vmcnt(1) lgkmcnt(16)
	ds_write2_b64 v194, v[116:117], v[118:119] offset0:29 offset1:30
	s_waitcnt vmcnt(0) lgkmcnt(16)
	ds_write_b64 v194, v[122:123] offset:248
	ds_read_b64 v[132:133], v1
	s_waitcnt lgkmcnt(0)
	v_cmp_neq_f64_e32 vcc_lo, 0, v[132:133]
	s_and_b32 exec_lo, exec_lo, vcc_lo
	s_cbranch_execz .LBB63_4
; %bb.3:
	v_div_scale_f64 v[134:135], null, v[132:133], v[132:133], 1.0
	v_rcp_f64_e32 v[136:137], v[134:135]
	v_fma_f64 v[138:139], -v[134:135], v[136:137], 1.0
	v_fma_f64 v[136:137], v[136:137], v[138:139], v[136:137]
	v_fma_f64 v[138:139], -v[134:135], v[136:137], 1.0
	v_fma_f64 v[136:137], v[136:137], v[138:139], v[136:137]
	v_div_scale_f64 v[138:139], vcc_lo, 1.0, v[132:133], 1.0
	v_mul_f64 v[140:141], v[138:139], v[136:137]
	v_fma_f64 v[134:135], -v[134:135], v[140:141], v[138:139]
	v_div_fmas_f64 v[134:135], v[134:135], v[136:137], v[140:141]
	v_div_fixup_f64 v[132:133], v[134:135], v[132:133], 1.0
	ds_write_b64 v1, v[132:133]
.LBB63_4:
	s_or_b32 exec_lo, exec_lo, s2
	s_waitcnt vmcnt(0) lgkmcnt(0)
	s_barrier
	buffer_gl0_inv
	ds_read_b64 v[132:133], v1
	s_and_saveexec_b32 s2, s1
	s_cbranch_execz .LBB63_6
; %bb.5:
	s_waitcnt lgkmcnt(0)
	v_mul_f64 v[124:125], v[132:133], v[124:125]
	ds_read2_b64 v[134:137], v194 offset0:1 offset1:2
	ds_read2_b64 v[138:141], v194 offset0:3 offset1:4
	;; [unrolled: 1-line block ×13, first 2 shown]
	s_waitcnt lgkmcnt(12)
	v_fma_f64 v[128:129], -v[124:125], v[134:135], v[128:129]
	v_fma_f64 v[130:131], -v[124:125], v[136:137], v[130:131]
	s_waitcnt lgkmcnt(11)
	v_fma_f64 v[126:127], -v[124:125], v[138:139], v[126:127]
	v_fma_f64 v[112:113], -v[124:125], v[140:141], v[112:113]
	s_waitcnt lgkmcnt(10)
	v_fma_f64 v[96:97], -v[124:125], v[142:143], v[96:97]
	ds_read2_b64 v[134:137], v194 offset0:27 offset1:28
	ds_read2_b64 v[138:141], v194 offset0:29 offset1:30
	ds_read_b64 v[142:143], v194 offset:248
	v_fma_f64 v[110:111], -v[124:125], v[144:145], v[110:111]
	s_waitcnt lgkmcnt(12)
	v_fma_f64 v[94:95], -v[124:125], v[146:147], v[94:95]
	v_fma_f64 v[108:109], -v[124:125], v[148:149], v[108:109]
	s_waitcnt lgkmcnt(11)
	v_fma_f64 v[92:93], -v[124:125], v[150:151], v[92:93]
	;; [unrolled: 3-line block ×13, first 2 shown]
.LBB63_6:
	s_or_b32 exec_lo, exec_lo, s2
	s_mov_b32 s1, exec_lo
	s_waitcnt lgkmcnt(0)
	s_barrier
	buffer_gl0_inv
	v_cmpx_eq_u32_e32 1, v0
	s_cbranch_execz .LBB63_9
; %bb.7:
	v_mov_b32_e32 v134, v130
	v_mov_b32_e32 v135, v131
	;; [unrolled: 1-line block ×20, first 2 shown]
	ds_write_b64 v1, v[128:129]
	ds_write2_b64 v194, v[134:135], v[136:137] offset0:2 offset1:3
	ds_write2_b64 v194, v[138:139], v[140:141] offset0:4 offset1:5
	;; [unrolled: 1-line block ×5, first 2 shown]
	v_mov_b32_e32 v134, v104
	v_mov_b32_e32 v135, v105
	;; [unrolled: 1-line block ×20, first 2 shown]
	ds_write2_b64 v194, v[134:135], v[136:137] offset0:12 offset1:13
	ds_write2_b64 v194, v[138:139], v[140:141] offset0:14 offset1:15
	;; [unrolled: 1-line block ×5, first 2 shown]
	v_mov_b32_e32 v134, v80
	v_mov_b32_e32 v135, v81
	;; [unrolled: 1-line block ×18, first 2 shown]
	ds_write2_b64 v194, v[134:135], v[136:137] offset0:22 offset1:23
	ds_write2_b64 v194, v[138:139], v[140:141] offset0:24 offset1:25
	;; [unrolled: 1-line block ×5, first 2 shown]
	ds_read_b64 v[134:135], v1
	s_waitcnt lgkmcnt(0)
	v_cmp_neq_f64_e32 vcc_lo, 0, v[134:135]
	s_and_b32 exec_lo, exec_lo, vcc_lo
	s_cbranch_execz .LBB63_9
; %bb.8:
	v_div_scale_f64 v[136:137], null, v[134:135], v[134:135], 1.0
	v_rcp_f64_e32 v[138:139], v[136:137]
	v_fma_f64 v[140:141], -v[136:137], v[138:139], 1.0
	v_fma_f64 v[138:139], v[138:139], v[140:141], v[138:139]
	v_fma_f64 v[140:141], -v[136:137], v[138:139], 1.0
	v_fma_f64 v[138:139], v[138:139], v[140:141], v[138:139]
	v_div_scale_f64 v[140:141], vcc_lo, 1.0, v[134:135], 1.0
	v_mul_f64 v[142:143], v[140:141], v[138:139]
	v_fma_f64 v[136:137], -v[136:137], v[142:143], v[140:141]
	v_div_fmas_f64 v[136:137], v[136:137], v[138:139], v[142:143]
	v_div_fixup_f64 v[134:135], v[136:137], v[134:135], 1.0
	ds_write_b64 v1, v[134:135]
.LBB63_9:
	s_or_b32 exec_lo, exec_lo, s1
	s_waitcnt lgkmcnt(0)
	s_barrier
	buffer_gl0_inv
	ds_read_b64 v[134:135], v1
	s_mov_b32 s1, exec_lo
	v_cmpx_lt_u32_e32 1, v0
	s_cbranch_execz .LBB63_11
; %bb.10:
	s_waitcnt lgkmcnt(0)
	v_mul_f64 v[128:129], v[134:135], v[128:129]
	ds_read2_b64 v[136:139], v194 offset0:2 offset1:3
	ds_read2_b64 v[140:143], v194 offset0:4 offset1:5
	;; [unrolled: 1-line block ×14, first 2 shown]
	s_waitcnt lgkmcnt(13)
	v_fma_f64 v[130:131], -v[128:129], v[136:137], v[130:131]
	v_fma_f64 v[126:127], -v[128:129], v[138:139], v[126:127]
	ds_read2_b64 v[136:139], v194 offset0:30 offset1:31
	s_waitcnt lgkmcnt(13)
	v_fma_f64 v[112:113], -v[128:129], v[140:141], v[112:113]
	v_fma_f64 v[96:97], -v[128:129], v[142:143], v[96:97]
	s_waitcnt lgkmcnt(12)
	v_fma_f64 v[110:111], -v[128:129], v[144:145], v[110:111]
	v_fma_f64 v[94:95], -v[128:129], v[146:147], v[94:95]
	;; [unrolled: 3-line block ×14, first 2 shown]
.LBB63_11:
	s_or_b32 exec_lo, exec_lo, s1
	s_mov_b32 s1, exec_lo
	s_waitcnt lgkmcnt(0)
	s_barrier
	buffer_gl0_inv
	v_cmpx_eq_u32_e32 2, v0
	s_cbranch_execz .LBB63_14
; %bb.12:
	ds_write_b64 v1, v[130:131]
	ds_write2_b64 v194, v[126:127], v[112:113] offset0:3 offset1:4
	ds_write2_b64 v194, v[96:97], v[110:111] offset0:5 offset1:6
	;; [unrolled: 1-line block ×14, first 2 shown]
	ds_write_b64 v194, v[122:123] offset:248
	ds_read_b64 v[136:137], v1
	s_waitcnt lgkmcnt(0)
	v_cmp_neq_f64_e32 vcc_lo, 0, v[136:137]
	s_and_b32 exec_lo, exec_lo, vcc_lo
	s_cbranch_execz .LBB63_14
; %bb.13:
	v_div_scale_f64 v[138:139], null, v[136:137], v[136:137], 1.0
	v_rcp_f64_e32 v[140:141], v[138:139]
	v_fma_f64 v[142:143], -v[138:139], v[140:141], 1.0
	v_fma_f64 v[140:141], v[140:141], v[142:143], v[140:141]
	v_fma_f64 v[142:143], -v[138:139], v[140:141], 1.0
	v_fma_f64 v[140:141], v[140:141], v[142:143], v[140:141]
	v_div_scale_f64 v[142:143], vcc_lo, 1.0, v[136:137], 1.0
	v_mul_f64 v[144:145], v[142:143], v[140:141]
	v_fma_f64 v[138:139], -v[138:139], v[144:145], v[142:143]
	v_div_fmas_f64 v[138:139], v[138:139], v[140:141], v[144:145]
	v_div_fixup_f64 v[136:137], v[138:139], v[136:137], 1.0
	ds_write_b64 v1, v[136:137]
.LBB63_14:
	s_or_b32 exec_lo, exec_lo, s1
	s_waitcnt lgkmcnt(0)
	s_barrier
	buffer_gl0_inv
	ds_read_b64 v[136:137], v1
	s_mov_b32 s1, exec_lo
	v_cmpx_lt_u32_e32 2, v0
	s_cbranch_execz .LBB63_16
; %bb.15:
	s_waitcnt lgkmcnt(0)
	v_mul_f64 v[130:131], v[136:137], v[130:131]
	ds_read2_b64 v[138:141], v194 offset0:3 offset1:4
	ds_read2_b64 v[142:145], v194 offset0:5 offset1:6
	;; [unrolled: 1-line block ×14, first 2 shown]
	s_waitcnt lgkmcnt(13)
	v_fma_f64 v[126:127], -v[130:131], v[138:139], v[126:127]
	ds_read_b64 v[138:139], v194 offset:248
	v_fma_f64 v[112:113], -v[130:131], v[140:141], v[112:113]
	s_waitcnt lgkmcnt(13)
	v_fma_f64 v[96:97], -v[130:131], v[142:143], v[96:97]
	v_fma_f64 v[110:111], -v[130:131], v[144:145], v[110:111]
	s_waitcnt lgkmcnt(12)
	v_fma_f64 v[94:95], -v[130:131], v[146:147], v[94:95]
	;; [unrolled: 3-line block ×14, first 2 shown]
.LBB63_16:
	s_or_b32 exec_lo, exec_lo, s1
	s_mov_b32 s1, exec_lo
	s_waitcnt lgkmcnt(0)
	s_barrier
	buffer_gl0_inv
	v_cmpx_eq_u32_e32 3, v0
	s_cbranch_execz .LBB63_19
; %bb.17:
	v_mov_b32_e32 v138, v112
	v_mov_b32_e32 v139, v113
	;; [unrolled: 1-line block ×16, first 2 shown]
	ds_write_b64 v1, v[126:127]
	ds_write2_b64 v194, v[138:139], v[140:141] offset0:4 offset1:5
	ds_write2_b64 v194, v[142:143], v[144:145] offset0:6 offset1:7
	;; [unrolled: 1-line block ×4, first 2 shown]
	v_mov_b32_e32 v138, v104
	v_mov_b32_e32 v139, v105
	;; [unrolled: 1-line block ×20, first 2 shown]
	ds_write2_b64 v194, v[138:139], v[140:141] offset0:12 offset1:13
	ds_write2_b64 v194, v[142:143], v[144:145] offset0:14 offset1:15
	;; [unrolled: 1-line block ×5, first 2 shown]
	v_mov_b32_e32 v138, v80
	v_mov_b32_e32 v139, v81
	;; [unrolled: 1-line block ×18, first 2 shown]
	ds_write2_b64 v194, v[138:139], v[140:141] offset0:22 offset1:23
	ds_write2_b64 v194, v[142:143], v[144:145] offset0:24 offset1:25
	;; [unrolled: 1-line block ×5, first 2 shown]
	ds_read_b64 v[138:139], v1
	s_waitcnt lgkmcnt(0)
	v_cmp_neq_f64_e32 vcc_lo, 0, v[138:139]
	s_and_b32 exec_lo, exec_lo, vcc_lo
	s_cbranch_execz .LBB63_19
; %bb.18:
	v_div_scale_f64 v[140:141], null, v[138:139], v[138:139], 1.0
	v_rcp_f64_e32 v[142:143], v[140:141]
	v_fma_f64 v[144:145], -v[140:141], v[142:143], 1.0
	v_fma_f64 v[142:143], v[142:143], v[144:145], v[142:143]
	v_fma_f64 v[144:145], -v[140:141], v[142:143], 1.0
	v_fma_f64 v[142:143], v[142:143], v[144:145], v[142:143]
	v_div_scale_f64 v[144:145], vcc_lo, 1.0, v[138:139], 1.0
	v_mul_f64 v[146:147], v[144:145], v[142:143]
	v_fma_f64 v[140:141], -v[140:141], v[146:147], v[144:145]
	v_div_fmas_f64 v[140:141], v[140:141], v[142:143], v[146:147]
	v_div_fixup_f64 v[138:139], v[140:141], v[138:139], 1.0
	ds_write_b64 v1, v[138:139]
.LBB63_19:
	s_or_b32 exec_lo, exec_lo, s1
	s_waitcnt lgkmcnt(0)
	s_barrier
	buffer_gl0_inv
	ds_read_b64 v[138:139], v1
	s_mov_b32 s1, exec_lo
	v_cmpx_lt_u32_e32 3, v0
	s_cbranch_execz .LBB63_21
; %bb.20:
	s_waitcnt lgkmcnt(0)
	v_mul_f64 v[126:127], v[138:139], v[126:127]
	ds_read2_b64 v[140:143], v194 offset0:4 offset1:5
	ds_read2_b64 v[144:147], v194 offset0:6 offset1:7
	;; [unrolled: 1-line block ×14, first 2 shown]
	s_waitcnt lgkmcnt(13)
	v_fma_f64 v[112:113], -v[126:127], v[140:141], v[112:113]
	v_fma_f64 v[96:97], -v[126:127], v[142:143], v[96:97]
	s_waitcnt lgkmcnt(12)
	v_fma_f64 v[110:111], -v[126:127], v[144:145], v[110:111]
	v_fma_f64 v[94:95], -v[126:127], v[146:147], v[94:95]
	;; [unrolled: 3-line block ×14, first 2 shown]
.LBB63_21:
	s_or_b32 exec_lo, exec_lo, s1
	s_mov_b32 s1, exec_lo
	s_waitcnt lgkmcnt(0)
	s_barrier
	buffer_gl0_inv
	v_cmpx_eq_u32_e32 4, v0
	s_cbranch_execz .LBB63_24
; %bb.22:
	ds_write_b64 v1, v[112:113]
	ds_write2_b64 v194, v[96:97], v[110:111] offset0:5 offset1:6
	ds_write2_b64 v194, v[94:95], v[108:109] offset0:7 offset1:8
	;; [unrolled: 1-line block ×13, first 2 shown]
	ds_write_b64 v194, v[122:123] offset:248
	ds_read_b64 v[140:141], v1
	s_waitcnt lgkmcnt(0)
	v_cmp_neq_f64_e32 vcc_lo, 0, v[140:141]
	s_and_b32 exec_lo, exec_lo, vcc_lo
	s_cbranch_execz .LBB63_24
; %bb.23:
	v_div_scale_f64 v[142:143], null, v[140:141], v[140:141], 1.0
	v_rcp_f64_e32 v[144:145], v[142:143]
	v_fma_f64 v[146:147], -v[142:143], v[144:145], 1.0
	v_fma_f64 v[144:145], v[144:145], v[146:147], v[144:145]
	v_fma_f64 v[146:147], -v[142:143], v[144:145], 1.0
	v_fma_f64 v[144:145], v[144:145], v[146:147], v[144:145]
	v_div_scale_f64 v[146:147], vcc_lo, 1.0, v[140:141], 1.0
	v_mul_f64 v[148:149], v[146:147], v[144:145]
	v_fma_f64 v[142:143], -v[142:143], v[148:149], v[146:147]
	v_div_fmas_f64 v[142:143], v[142:143], v[144:145], v[148:149]
	v_div_fixup_f64 v[140:141], v[142:143], v[140:141], 1.0
	ds_write_b64 v1, v[140:141]
.LBB63_24:
	s_or_b32 exec_lo, exec_lo, s1
	s_waitcnt lgkmcnt(0)
	s_barrier
	buffer_gl0_inv
	ds_read_b64 v[140:141], v1
	s_mov_b32 s1, exec_lo
	v_cmpx_lt_u32_e32 4, v0
	s_cbranch_execz .LBB63_26
; %bb.25:
	s_waitcnt lgkmcnt(0)
	v_mul_f64 v[112:113], v[140:141], v[112:113]
	ds_read2_b64 v[142:145], v194 offset0:5 offset1:6
	ds_read2_b64 v[146:149], v194 offset0:7 offset1:8
	;; [unrolled: 1-line block ×13, first 2 shown]
	ds_read_b64 v[195:196], v194 offset:248
	s_waitcnt lgkmcnt(13)
	v_fma_f64 v[96:97], -v[112:113], v[142:143], v[96:97]
	v_fma_f64 v[110:111], -v[112:113], v[144:145], v[110:111]
	s_waitcnt lgkmcnt(12)
	v_fma_f64 v[94:95], -v[112:113], v[146:147], v[94:95]
	v_fma_f64 v[108:109], -v[112:113], v[148:149], v[108:109]
	;; [unrolled: 3-line block ×13, first 2 shown]
	s_waitcnt lgkmcnt(0)
	v_fma_f64 v[122:123], -v[112:113], v[195:196], v[122:123]
.LBB63_26:
	s_or_b32 exec_lo, exec_lo, s1
	s_mov_b32 s1, exec_lo
	s_waitcnt lgkmcnt(0)
	s_barrier
	buffer_gl0_inv
	v_cmpx_eq_u32_e32 5, v0
	s_cbranch_execz .LBB63_29
; %bb.27:
	v_mov_b32_e32 v142, v110
	v_mov_b32_e32 v143, v111
	;; [unrolled: 1-line block ×12, first 2 shown]
	ds_write_b64 v1, v[96:97]
	ds_write2_b64 v194, v[142:143], v[144:145] offset0:6 offset1:7
	ds_write2_b64 v194, v[146:147], v[148:149] offset0:8 offset1:9
	;; [unrolled: 1-line block ×3, first 2 shown]
	v_mov_b32_e32 v142, v104
	v_mov_b32_e32 v143, v105
	;; [unrolled: 1-line block ×20, first 2 shown]
	ds_write2_b64 v194, v[142:143], v[144:145] offset0:12 offset1:13
	ds_write2_b64 v194, v[146:147], v[148:149] offset0:14 offset1:15
	;; [unrolled: 1-line block ×5, first 2 shown]
	v_mov_b32_e32 v142, v80
	v_mov_b32_e32 v143, v81
	;; [unrolled: 1-line block ×18, first 2 shown]
	ds_write2_b64 v194, v[142:143], v[144:145] offset0:22 offset1:23
	ds_write2_b64 v194, v[146:147], v[148:149] offset0:24 offset1:25
	;; [unrolled: 1-line block ×5, first 2 shown]
	ds_read_b64 v[142:143], v1
	s_waitcnt lgkmcnt(0)
	v_cmp_neq_f64_e32 vcc_lo, 0, v[142:143]
	s_and_b32 exec_lo, exec_lo, vcc_lo
	s_cbranch_execz .LBB63_29
; %bb.28:
	v_div_scale_f64 v[144:145], null, v[142:143], v[142:143], 1.0
	v_rcp_f64_e32 v[146:147], v[144:145]
	v_fma_f64 v[148:149], -v[144:145], v[146:147], 1.0
	v_fma_f64 v[146:147], v[146:147], v[148:149], v[146:147]
	v_fma_f64 v[148:149], -v[144:145], v[146:147], 1.0
	v_fma_f64 v[146:147], v[146:147], v[148:149], v[146:147]
	v_div_scale_f64 v[148:149], vcc_lo, 1.0, v[142:143], 1.0
	v_mul_f64 v[150:151], v[148:149], v[146:147]
	v_fma_f64 v[144:145], -v[144:145], v[150:151], v[148:149]
	v_div_fmas_f64 v[144:145], v[144:145], v[146:147], v[150:151]
	v_div_fixup_f64 v[142:143], v[144:145], v[142:143], 1.0
	ds_write_b64 v1, v[142:143]
.LBB63_29:
	s_or_b32 exec_lo, exec_lo, s1
	s_waitcnt lgkmcnt(0)
	s_barrier
	buffer_gl0_inv
	ds_read_b64 v[142:143], v1
	s_mov_b32 s1, exec_lo
	v_cmpx_lt_u32_e32 5, v0
	s_cbranch_execz .LBB63_31
; %bb.30:
	s_waitcnt lgkmcnt(0)
	v_mul_f64 v[96:97], v[142:143], v[96:97]
	ds_read2_b64 v[144:147], v194 offset0:6 offset1:7
	ds_read2_b64 v[148:151], v194 offset0:8 offset1:9
	;; [unrolled: 1-line block ×13, first 2 shown]
	s_waitcnt lgkmcnt(12)
	v_fma_f64 v[110:111], -v[96:97], v[144:145], v[110:111]
	v_fma_f64 v[94:95], -v[96:97], v[146:147], v[94:95]
	s_waitcnt lgkmcnt(11)
	v_fma_f64 v[108:109], -v[96:97], v[148:149], v[108:109]
	v_fma_f64 v[92:93], -v[96:97], v[150:151], v[92:93]
	;; [unrolled: 3-line block ×13, first 2 shown]
.LBB63_31:
	s_or_b32 exec_lo, exec_lo, s1
	s_mov_b32 s1, exec_lo
	s_waitcnt lgkmcnt(0)
	s_barrier
	buffer_gl0_inv
	v_cmpx_eq_u32_e32 6, v0
	s_cbranch_execz .LBB63_34
; %bb.32:
	ds_write_b64 v1, v[110:111]
	ds_write2_b64 v194, v[94:95], v[108:109] offset0:7 offset1:8
	ds_write2_b64 v194, v[92:93], v[106:107] offset0:9 offset1:10
	;; [unrolled: 1-line block ×12, first 2 shown]
	ds_write_b64 v194, v[122:123] offset:248
	ds_read_b64 v[144:145], v1
	s_waitcnt lgkmcnt(0)
	v_cmp_neq_f64_e32 vcc_lo, 0, v[144:145]
	s_and_b32 exec_lo, exec_lo, vcc_lo
	s_cbranch_execz .LBB63_34
; %bb.33:
	v_div_scale_f64 v[146:147], null, v[144:145], v[144:145], 1.0
	v_rcp_f64_e32 v[148:149], v[146:147]
	v_fma_f64 v[150:151], -v[146:147], v[148:149], 1.0
	v_fma_f64 v[148:149], v[148:149], v[150:151], v[148:149]
	v_fma_f64 v[150:151], -v[146:147], v[148:149], 1.0
	v_fma_f64 v[148:149], v[148:149], v[150:151], v[148:149]
	v_div_scale_f64 v[150:151], vcc_lo, 1.0, v[144:145], 1.0
	v_mul_f64 v[152:153], v[150:151], v[148:149]
	v_fma_f64 v[146:147], -v[146:147], v[152:153], v[150:151]
	v_div_fmas_f64 v[146:147], v[146:147], v[148:149], v[152:153]
	v_div_fixup_f64 v[144:145], v[146:147], v[144:145], 1.0
	ds_write_b64 v1, v[144:145]
.LBB63_34:
	s_or_b32 exec_lo, exec_lo, s1
	s_waitcnt lgkmcnt(0)
	s_barrier
	buffer_gl0_inv
	ds_read_b64 v[144:145], v1
	s_mov_b32 s1, exec_lo
	v_cmpx_lt_u32_e32 6, v0
	s_cbranch_execz .LBB63_36
; %bb.35:
	s_waitcnt lgkmcnt(0)
	v_mul_f64 v[110:111], v[144:145], v[110:111]
	ds_read2_b64 v[146:149], v194 offset0:7 offset1:8
	ds_read2_b64 v[150:153], v194 offset0:9 offset1:10
	;; [unrolled: 1-line block ×12, first 2 shown]
	ds_read_b64 v[195:196], v194 offset:248
	s_waitcnt lgkmcnt(12)
	v_fma_f64 v[94:95], -v[110:111], v[146:147], v[94:95]
	v_fma_f64 v[108:109], -v[110:111], v[148:149], v[108:109]
	s_waitcnt lgkmcnt(11)
	v_fma_f64 v[92:93], -v[110:111], v[150:151], v[92:93]
	v_fma_f64 v[106:107], -v[110:111], v[152:153], v[106:107]
	;; [unrolled: 3-line block ×12, first 2 shown]
	s_waitcnt lgkmcnt(0)
	v_fma_f64 v[122:123], -v[110:111], v[195:196], v[122:123]
.LBB63_36:
	s_or_b32 exec_lo, exec_lo, s1
	s_mov_b32 s1, exec_lo
	s_waitcnt lgkmcnt(0)
	s_barrier
	buffer_gl0_inv
	v_cmpx_eq_u32_e32 7, v0
	s_cbranch_execz .LBB63_39
; %bb.37:
	v_mov_b32_e32 v146, v108
	v_mov_b32_e32 v147, v109
	;; [unrolled: 1-line block ×8, first 2 shown]
	ds_write_b64 v1, v[94:95]
	ds_write2_b64 v194, v[146:147], v[148:149] offset0:8 offset1:9
	ds_write2_b64 v194, v[150:151], v[152:153] offset0:10 offset1:11
	v_mov_b32_e32 v146, v104
	v_mov_b32_e32 v147, v105
	;; [unrolled: 1-line block ×20, first 2 shown]
	ds_write2_b64 v194, v[146:147], v[148:149] offset0:12 offset1:13
	ds_write2_b64 v194, v[150:151], v[152:153] offset0:14 offset1:15
	;; [unrolled: 1-line block ×5, first 2 shown]
	v_mov_b32_e32 v146, v80
	v_mov_b32_e32 v147, v81
	;; [unrolled: 1-line block ×18, first 2 shown]
	ds_write2_b64 v194, v[146:147], v[148:149] offset0:22 offset1:23
	ds_write2_b64 v194, v[150:151], v[152:153] offset0:24 offset1:25
	;; [unrolled: 1-line block ×5, first 2 shown]
	ds_read_b64 v[146:147], v1
	s_waitcnt lgkmcnt(0)
	v_cmp_neq_f64_e32 vcc_lo, 0, v[146:147]
	s_and_b32 exec_lo, exec_lo, vcc_lo
	s_cbranch_execz .LBB63_39
; %bb.38:
	v_div_scale_f64 v[148:149], null, v[146:147], v[146:147], 1.0
	v_rcp_f64_e32 v[150:151], v[148:149]
	v_fma_f64 v[152:153], -v[148:149], v[150:151], 1.0
	v_fma_f64 v[150:151], v[150:151], v[152:153], v[150:151]
	v_fma_f64 v[152:153], -v[148:149], v[150:151], 1.0
	v_fma_f64 v[150:151], v[150:151], v[152:153], v[150:151]
	v_div_scale_f64 v[152:153], vcc_lo, 1.0, v[146:147], 1.0
	v_mul_f64 v[154:155], v[152:153], v[150:151]
	v_fma_f64 v[148:149], -v[148:149], v[154:155], v[152:153]
	v_div_fmas_f64 v[148:149], v[148:149], v[150:151], v[154:155]
	v_div_fixup_f64 v[146:147], v[148:149], v[146:147], 1.0
	ds_write_b64 v1, v[146:147]
.LBB63_39:
	s_or_b32 exec_lo, exec_lo, s1
	s_waitcnt lgkmcnt(0)
	s_barrier
	buffer_gl0_inv
	ds_read_b64 v[146:147], v1
	s_mov_b32 s1, exec_lo
	v_cmpx_lt_u32_e32 7, v0
	s_cbranch_execz .LBB63_41
; %bb.40:
	s_waitcnt lgkmcnt(0)
	v_mul_f64 v[94:95], v[146:147], v[94:95]
	ds_read2_b64 v[148:151], v194 offset0:8 offset1:9
	ds_read2_b64 v[152:155], v194 offset0:10 offset1:11
	;; [unrolled: 1-line block ×12, first 2 shown]
	s_waitcnt lgkmcnt(11)
	v_fma_f64 v[108:109], -v[94:95], v[148:149], v[108:109]
	v_fma_f64 v[92:93], -v[94:95], v[150:151], v[92:93]
	s_waitcnt lgkmcnt(10)
	v_fma_f64 v[106:107], -v[94:95], v[152:153], v[106:107]
	v_fma_f64 v[90:91], -v[94:95], v[154:155], v[90:91]
	;; [unrolled: 3-line block ×12, first 2 shown]
.LBB63_41:
	s_or_b32 exec_lo, exec_lo, s1
	s_mov_b32 s1, exec_lo
	s_waitcnt lgkmcnt(0)
	s_barrier
	buffer_gl0_inv
	v_cmpx_eq_u32_e32 8, v0
	s_cbranch_execz .LBB63_44
; %bb.42:
	ds_write_b64 v1, v[108:109]
	ds_write2_b64 v194, v[92:93], v[106:107] offset0:9 offset1:10
	ds_write2_b64 v194, v[90:91], v[104:105] offset0:11 offset1:12
	;; [unrolled: 1-line block ×11, first 2 shown]
	ds_write_b64 v194, v[122:123] offset:248
	ds_read_b64 v[148:149], v1
	s_waitcnt lgkmcnt(0)
	v_cmp_neq_f64_e32 vcc_lo, 0, v[148:149]
	s_and_b32 exec_lo, exec_lo, vcc_lo
	s_cbranch_execz .LBB63_44
; %bb.43:
	v_div_scale_f64 v[150:151], null, v[148:149], v[148:149], 1.0
	v_rcp_f64_e32 v[152:153], v[150:151]
	v_fma_f64 v[154:155], -v[150:151], v[152:153], 1.0
	v_fma_f64 v[152:153], v[152:153], v[154:155], v[152:153]
	v_fma_f64 v[154:155], -v[150:151], v[152:153], 1.0
	v_fma_f64 v[152:153], v[152:153], v[154:155], v[152:153]
	v_div_scale_f64 v[154:155], vcc_lo, 1.0, v[148:149], 1.0
	v_mul_f64 v[156:157], v[154:155], v[152:153]
	v_fma_f64 v[150:151], -v[150:151], v[156:157], v[154:155]
	v_div_fmas_f64 v[150:151], v[150:151], v[152:153], v[156:157]
	v_div_fixup_f64 v[148:149], v[150:151], v[148:149], 1.0
	ds_write_b64 v1, v[148:149]
.LBB63_44:
	s_or_b32 exec_lo, exec_lo, s1
	s_waitcnt lgkmcnt(0)
	s_barrier
	buffer_gl0_inv
	ds_read_b64 v[148:149], v1
	s_mov_b32 s1, exec_lo
	v_cmpx_lt_u32_e32 8, v0
	s_cbranch_execz .LBB63_46
; %bb.45:
	s_waitcnt lgkmcnt(0)
	v_mul_f64 v[108:109], v[148:149], v[108:109]
	ds_read2_b64 v[150:153], v194 offset0:9 offset1:10
	ds_read2_b64 v[154:157], v194 offset0:11 offset1:12
	;; [unrolled: 1-line block ×11, first 2 shown]
	ds_read_b64 v[195:196], v194 offset:248
	s_waitcnt lgkmcnt(11)
	v_fma_f64 v[92:93], -v[108:109], v[150:151], v[92:93]
	v_fma_f64 v[106:107], -v[108:109], v[152:153], v[106:107]
	s_waitcnt lgkmcnt(10)
	v_fma_f64 v[90:91], -v[108:109], v[154:155], v[90:91]
	v_fma_f64 v[104:105], -v[108:109], v[156:157], v[104:105]
	s_waitcnt lgkmcnt(9)
	v_fma_f64 v[88:89], -v[108:109], v[158:159], v[88:89]
	v_fma_f64 v[102:103], -v[108:109], v[160:161], v[102:103]
	s_waitcnt lgkmcnt(8)
	v_fma_f64 v[86:87], -v[108:109], v[162:163], v[86:87]
	v_fma_f64 v[100:101], -v[108:109], v[164:165], v[100:101]
	s_waitcnt lgkmcnt(7)
	v_fma_f64 v[84:85], -v[108:109], v[166:167], v[84:85]
	v_fma_f64 v[98:99], -v[108:109], v[168:169], v[98:99]
	s_waitcnt lgkmcnt(6)
	v_fma_f64 v[74:75], -v[108:109], v[170:171], v[74:75]
	v_fma_f64 v[82:83], -v[108:109], v[172:173], v[82:83]
	s_waitcnt lgkmcnt(5)
	v_fma_f64 v[72:73], -v[108:109], v[174:175], v[72:73]
	v_fma_f64 v[80:81], -v[108:109], v[176:177], v[80:81]
	s_waitcnt lgkmcnt(4)
	v_fma_f64 v[70:71], -v[108:109], v[178:179], v[70:71]
	v_fma_f64 v[78:79], -v[108:109], v[180:181], v[78:79]
	s_waitcnt lgkmcnt(3)
	v_fma_f64 v[68:69], -v[108:109], v[182:183], v[68:69]
	v_fma_f64 v[76:77], -v[108:109], v[184:185], v[76:77]
	s_waitcnt lgkmcnt(2)
	v_fma_f64 v[66:67], -v[108:109], v[186:187], v[66:67]
	v_fma_f64 v[120:121], -v[108:109], v[188:189], v[120:121]
	s_waitcnt lgkmcnt(1)
	v_fma_f64 v[116:117], -v[108:109], v[190:191], v[116:117]
	v_fma_f64 v[118:119], -v[108:109], v[192:193], v[118:119]
	s_waitcnt lgkmcnt(0)
	v_fma_f64 v[122:123], -v[108:109], v[195:196], v[122:123]
.LBB63_46:
	s_or_b32 exec_lo, exec_lo, s1
	s_mov_b32 s1, exec_lo
	s_waitcnt lgkmcnt(0)
	s_barrier
	buffer_gl0_inv
	v_cmpx_eq_u32_e32 9, v0
	s_cbranch_execz .LBB63_49
; %bb.47:
	v_mov_b32_e32 v150, v106
	v_mov_b32_e32 v151, v107
	;; [unrolled: 1-line block ×4, first 2 shown]
	ds_write_b64 v1, v[92:93]
	ds_write2_b64 v194, v[150:151], v[152:153] offset0:10 offset1:11
	v_mov_b32_e32 v150, v104
	v_mov_b32_e32 v151, v105
	;; [unrolled: 1-line block ×20, first 2 shown]
	ds_write2_b64 v194, v[150:151], v[152:153] offset0:12 offset1:13
	ds_write2_b64 v194, v[154:155], v[156:157] offset0:14 offset1:15
	;; [unrolled: 1-line block ×5, first 2 shown]
	v_mov_b32_e32 v150, v80
	v_mov_b32_e32 v151, v81
	v_mov_b32_e32 v152, v70
	v_mov_b32_e32 v153, v71
	v_mov_b32_e32 v154, v78
	v_mov_b32_e32 v155, v79
	v_mov_b32_e32 v156, v68
	v_mov_b32_e32 v157, v69
	v_mov_b32_e32 v158, v76
	v_mov_b32_e32 v159, v77
	v_mov_b32_e32 v160, v66
	v_mov_b32_e32 v161, v67
	v_mov_b32_e32 v162, v120
	v_mov_b32_e32 v163, v121
	v_mov_b32_e32 v164, v116
	v_mov_b32_e32 v165, v117
	v_mov_b32_e32 v166, v118
	v_mov_b32_e32 v167, v119
	ds_write2_b64 v194, v[150:151], v[152:153] offset0:22 offset1:23
	ds_write2_b64 v194, v[154:155], v[156:157] offset0:24 offset1:25
	;; [unrolled: 1-line block ×5, first 2 shown]
	ds_read_b64 v[150:151], v1
	s_waitcnt lgkmcnt(0)
	v_cmp_neq_f64_e32 vcc_lo, 0, v[150:151]
	s_and_b32 exec_lo, exec_lo, vcc_lo
	s_cbranch_execz .LBB63_49
; %bb.48:
	v_div_scale_f64 v[152:153], null, v[150:151], v[150:151], 1.0
	v_rcp_f64_e32 v[154:155], v[152:153]
	v_fma_f64 v[156:157], -v[152:153], v[154:155], 1.0
	v_fma_f64 v[154:155], v[154:155], v[156:157], v[154:155]
	v_fma_f64 v[156:157], -v[152:153], v[154:155], 1.0
	v_fma_f64 v[154:155], v[154:155], v[156:157], v[154:155]
	v_div_scale_f64 v[156:157], vcc_lo, 1.0, v[150:151], 1.0
	v_mul_f64 v[158:159], v[156:157], v[154:155]
	v_fma_f64 v[152:153], -v[152:153], v[158:159], v[156:157]
	v_div_fmas_f64 v[152:153], v[152:153], v[154:155], v[158:159]
	v_div_fixup_f64 v[150:151], v[152:153], v[150:151], 1.0
	ds_write_b64 v1, v[150:151]
.LBB63_49:
	s_or_b32 exec_lo, exec_lo, s1
	s_waitcnt lgkmcnt(0)
	s_barrier
	buffer_gl0_inv
	ds_read_b64 v[150:151], v1
	s_mov_b32 s1, exec_lo
	v_cmpx_lt_u32_e32 9, v0
	s_cbranch_execz .LBB63_51
; %bb.50:
	s_waitcnt lgkmcnt(0)
	v_mul_f64 v[92:93], v[150:151], v[92:93]
	ds_read2_b64 v[152:155], v194 offset0:10 offset1:11
	ds_read2_b64 v[156:159], v194 offset0:12 offset1:13
	;; [unrolled: 1-line block ×11, first 2 shown]
	s_waitcnt lgkmcnt(10)
	v_fma_f64 v[106:107], -v[92:93], v[152:153], v[106:107]
	v_fma_f64 v[90:91], -v[92:93], v[154:155], v[90:91]
	s_waitcnt lgkmcnt(9)
	v_fma_f64 v[104:105], -v[92:93], v[156:157], v[104:105]
	v_fma_f64 v[88:89], -v[92:93], v[158:159], v[88:89]
	;; [unrolled: 3-line block ×11, first 2 shown]
.LBB63_51:
	s_or_b32 exec_lo, exec_lo, s1
	s_mov_b32 s1, exec_lo
	s_waitcnt lgkmcnt(0)
	s_barrier
	buffer_gl0_inv
	v_cmpx_eq_u32_e32 10, v0
	s_cbranch_execz .LBB63_54
; %bb.52:
	ds_write_b64 v1, v[106:107]
	ds_write2_b64 v194, v[90:91], v[104:105] offset0:11 offset1:12
	ds_write2_b64 v194, v[88:89], v[102:103] offset0:13 offset1:14
	ds_write2_b64 v194, v[86:87], v[100:101] offset0:15 offset1:16
	ds_write2_b64 v194, v[84:85], v[98:99] offset0:17 offset1:18
	ds_write2_b64 v194, v[74:75], v[82:83] offset0:19 offset1:20
	ds_write2_b64 v194, v[72:73], v[80:81] offset0:21 offset1:22
	ds_write2_b64 v194, v[70:71], v[78:79] offset0:23 offset1:24
	ds_write2_b64 v194, v[68:69], v[76:77] offset0:25 offset1:26
	ds_write2_b64 v194, v[66:67], v[120:121] offset0:27 offset1:28
	ds_write2_b64 v194, v[116:117], v[118:119] offset0:29 offset1:30
	ds_write_b64 v194, v[122:123] offset:248
	ds_read_b64 v[152:153], v1
	s_waitcnt lgkmcnt(0)
	v_cmp_neq_f64_e32 vcc_lo, 0, v[152:153]
	s_and_b32 exec_lo, exec_lo, vcc_lo
	s_cbranch_execz .LBB63_54
; %bb.53:
	v_div_scale_f64 v[154:155], null, v[152:153], v[152:153], 1.0
	v_rcp_f64_e32 v[156:157], v[154:155]
	v_fma_f64 v[158:159], -v[154:155], v[156:157], 1.0
	v_fma_f64 v[156:157], v[156:157], v[158:159], v[156:157]
	v_fma_f64 v[158:159], -v[154:155], v[156:157], 1.0
	v_fma_f64 v[156:157], v[156:157], v[158:159], v[156:157]
	v_div_scale_f64 v[158:159], vcc_lo, 1.0, v[152:153], 1.0
	v_mul_f64 v[160:161], v[158:159], v[156:157]
	v_fma_f64 v[154:155], -v[154:155], v[160:161], v[158:159]
	v_div_fmas_f64 v[154:155], v[154:155], v[156:157], v[160:161]
	v_div_fixup_f64 v[152:153], v[154:155], v[152:153], 1.0
	ds_write_b64 v1, v[152:153]
.LBB63_54:
	s_or_b32 exec_lo, exec_lo, s1
	s_waitcnt lgkmcnt(0)
	s_barrier
	buffer_gl0_inv
	ds_read_b64 v[152:153], v1
	s_mov_b32 s1, exec_lo
	v_cmpx_lt_u32_e32 10, v0
	s_cbranch_execz .LBB63_56
; %bb.55:
	s_waitcnt lgkmcnt(0)
	v_mul_f64 v[106:107], v[152:153], v[106:107]
	ds_read2_b64 v[154:157], v194 offset0:11 offset1:12
	ds_read2_b64 v[158:161], v194 offset0:13 offset1:14
	;; [unrolled: 1-line block ×10, first 2 shown]
	ds_read_b64 v[195:196], v194 offset:248
	s_waitcnt lgkmcnt(10)
	v_fma_f64 v[90:91], -v[106:107], v[154:155], v[90:91]
	v_fma_f64 v[104:105], -v[106:107], v[156:157], v[104:105]
	s_waitcnt lgkmcnt(9)
	v_fma_f64 v[88:89], -v[106:107], v[158:159], v[88:89]
	v_fma_f64 v[102:103], -v[106:107], v[160:161], v[102:103]
	;; [unrolled: 3-line block ×10, first 2 shown]
	s_waitcnt lgkmcnt(0)
	v_fma_f64 v[122:123], -v[106:107], v[195:196], v[122:123]
.LBB63_56:
	s_or_b32 exec_lo, exec_lo, s1
	s_mov_b32 s1, exec_lo
	s_waitcnt lgkmcnt(0)
	s_barrier
	buffer_gl0_inv
	v_cmpx_eq_u32_e32 11, v0
	s_cbranch_execz .LBB63_59
; %bb.57:
	v_mov_b32_e32 v154, v104
	v_mov_b32_e32 v155, v105
	;; [unrolled: 1-line block ×20, first 2 shown]
	ds_write_b64 v1, v[90:91]
	ds_write2_b64 v194, v[154:155], v[156:157] offset0:12 offset1:13
	ds_write2_b64 v194, v[158:159], v[160:161] offset0:14 offset1:15
	;; [unrolled: 1-line block ×5, first 2 shown]
	v_mov_b32_e32 v154, v80
	v_mov_b32_e32 v155, v81
	;; [unrolled: 1-line block ×18, first 2 shown]
	ds_write2_b64 v194, v[154:155], v[156:157] offset0:22 offset1:23
	ds_write2_b64 v194, v[158:159], v[160:161] offset0:24 offset1:25
	ds_write2_b64 v194, v[162:163], v[164:165] offset0:26 offset1:27
	ds_write2_b64 v194, v[166:167], v[168:169] offset0:28 offset1:29
	ds_write2_b64 v194, v[170:171], v[122:123] offset0:30 offset1:31
	ds_read_b64 v[154:155], v1
	s_waitcnt lgkmcnt(0)
	v_cmp_neq_f64_e32 vcc_lo, 0, v[154:155]
	s_and_b32 exec_lo, exec_lo, vcc_lo
	s_cbranch_execz .LBB63_59
; %bb.58:
	v_div_scale_f64 v[156:157], null, v[154:155], v[154:155], 1.0
	v_rcp_f64_e32 v[158:159], v[156:157]
	v_fma_f64 v[160:161], -v[156:157], v[158:159], 1.0
	v_fma_f64 v[158:159], v[158:159], v[160:161], v[158:159]
	v_fma_f64 v[160:161], -v[156:157], v[158:159], 1.0
	v_fma_f64 v[158:159], v[158:159], v[160:161], v[158:159]
	v_div_scale_f64 v[160:161], vcc_lo, 1.0, v[154:155], 1.0
	v_mul_f64 v[162:163], v[160:161], v[158:159]
	v_fma_f64 v[156:157], -v[156:157], v[162:163], v[160:161]
	v_div_fmas_f64 v[156:157], v[156:157], v[158:159], v[162:163]
	v_div_fixup_f64 v[154:155], v[156:157], v[154:155], 1.0
	ds_write_b64 v1, v[154:155]
.LBB63_59:
	s_or_b32 exec_lo, exec_lo, s1
	s_waitcnt lgkmcnt(0)
	s_barrier
	buffer_gl0_inv
	ds_read_b64 v[154:155], v1
	s_mov_b32 s1, exec_lo
	v_cmpx_lt_u32_e32 11, v0
	s_cbranch_execz .LBB63_61
; %bb.60:
	s_waitcnt lgkmcnt(0)
	v_mul_f64 v[90:91], v[154:155], v[90:91]
	ds_read2_b64 v[156:159], v194 offset0:12 offset1:13
	ds_read2_b64 v[160:163], v194 offset0:14 offset1:15
	;; [unrolled: 1-line block ×10, first 2 shown]
	s_waitcnt lgkmcnt(9)
	v_fma_f64 v[104:105], -v[90:91], v[156:157], v[104:105]
	v_fma_f64 v[88:89], -v[90:91], v[158:159], v[88:89]
	s_waitcnt lgkmcnt(8)
	v_fma_f64 v[102:103], -v[90:91], v[160:161], v[102:103]
	v_fma_f64 v[86:87], -v[90:91], v[162:163], v[86:87]
	;; [unrolled: 3-line block ×10, first 2 shown]
.LBB63_61:
	s_or_b32 exec_lo, exec_lo, s1
	s_mov_b32 s1, exec_lo
	s_waitcnt lgkmcnt(0)
	s_barrier
	buffer_gl0_inv
	v_cmpx_eq_u32_e32 12, v0
	s_cbranch_execz .LBB63_64
; %bb.62:
	ds_write_b64 v1, v[104:105]
	ds_write2_b64 v194, v[88:89], v[102:103] offset0:13 offset1:14
	ds_write2_b64 v194, v[86:87], v[100:101] offset0:15 offset1:16
	;; [unrolled: 1-line block ×9, first 2 shown]
	ds_write_b64 v194, v[122:123] offset:248
	ds_read_b64 v[156:157], v1
	s_waitcnt lgkmcnt(0)
	v_cmp_neq_f64_e32 vcc_lo, 0, v[156:157]
	s_and_b32 exec_lo, exec_lo, vcc_lo
	s_cbranch_execz .LBB63_64
; %bb.63:
	v_div_scale_f64 v[158:159], null, v[156:157], v[156:157], 1.0
	v_rcp_f64_e32 v[160:161], v[158:159]
	v_fma_f64 v[162:163], -v[158:159], v[160:161], 1.0
	v_fma_f64 v[160:161], v[160:161], v[162:163], v[160:161]
	v_fma_f64 v[162:163], -v[158:159], v[160:161], 1.0
	v_fma_f64 v[160:161], v[160:161], v[162:163], v[160:161]
	v_div_scale_f64 v[162:163], vcc_lo, 1.0, v[156:157], 1.0
	v_mul_f64 v[164:165], v[162:163], v[160:161]
	v_fma_f64 v[158:159], -v[158:159], v[164:165], v[162:163]
	v_div_fmas_f64 v[158:159], v[158:159], v[160:161], v[164:165]
	v_div_fixup_f64 v[156:157], v[158:159], v[156:157], 1.0
	ds_write_b64 v1, v[156:157]
.LBB63_64:
	s_or_b32 exec_lo, exec_lo, s1
	s_waitcnt lgkmcnt(0)
	s_barrier
	buffer_gl0_inv
	ds_read_b64 v[156:157], v1
	s_mov_b32 s1, exec_lo
	v_cmpx_lt_u32_e32 12, v0
	s_cbranch_execz .LBB63_66
; %bb.65:
	s_waitcnt lgkmcnt(0)
	v_mul_f64 v[104:105], v[156:157], v[104:105]
	ds_read2_b64 v[158:161], v194 offset0:13 offset1:14
	ds_read2_b64 v[162:165], v194 offset0:15 offset1:16
	;; [unrolled: 1-line block ×9, first 2 shown]
	ds_read_b64 v[195:196], v194 offset:248
	s_waitcnt lgkmcnt(9)
	v_fma_f64 v[88:89], -v[104:105], v[158:159], v[88:89]
	v_fma_f64 v[102:103], -v[104:105], v[160:161], v[102:103]
	s_waitcnt lgkmcnt(8)
	v_fma_f64 v[86:87], -v[104:105], v[162:163], v[86:87]
	v_fma_f64 v[100:101], -v[104:105], v[164:165], v[100:101]
	;; [unrolled: 3-line block ×9, first 2 shown]
	s_waitcnt lgkmcnt(0)
	v_fma_f64 v[122:123], -v[104:105], v[195:196], v[122:123]
.LBB63_66:
	s_or_b32 exec_lo, exec_lo, s1
	s_mov_b32 s1, exec_lo
	s_waitcnt lgkmcnt(0)
	s_barrier
	buffer_gl0_inv
	v_cmpx_eq_u32_e32 13, v0
	s_cbranch_execz .LBB63_69
; %bb.67:
	v_mov_b32_e32 v158, v102
	v_mov_b32_e32 v159, v103
	;; [unrolled: 1-line block ×16, first 2 shown]
	ds_write_b64 v1, v[88:89]
	ds_write2_b64 v194, v[158:159], v[160:161] offset0:14 offset1:15
	ds_write2_b64 v194, v[162:163], v[164:165] offset0:16 offset1:17
	;; [unrolled: 1-line block ×4, first 2 shown]
	v_mov_b32_e32 v158, v80
	v_mov_b32_e32 v159, v81
	;; [unrolled: 1-line block ×18, first 2 shown]
	ds_write2_b64 v194, v[158:159], v[160:161] offset0:22 offset1:23
	ds_write2_b64 v194, v[162:163], v[164:165] offset0:24 offset1:25
	;; [unrolled: 1-line block ×5, first 2 shown]
	ds_read_b64 v[158:159], v1
	s_waitcnt lgkmcnt(0)
	v_cmp_neq_f64_e32 vcc_lo, 0, v[158:159]
	s_and_b32 exec_lo, exec_lo, vcc_lo
	s_cbranch_execz .LBB63_69
; %bb.68:
	v_div_scale_f64 v[160:161], null, v[158:159], v[158:159], 1.0
	v_rcp_f64_e32 v[162:163], v[160:161]
	v_fma_f64 v[164:165], -v[160:161], v[162:163], 1.0
	v_fma_f64 v[162:163], v[162:163], v[164:165], v[162:163]
	v_fma_f64 v[164:165], -v[160:161], v[162:163], 1.0
	v_fma_f64 v[162:163], v[162:163], v[164:165], v[162:163]
	v_div_scale_f64 v[164:165], vcc_lo, 1.0, v[158:159], 1.0
	v_mul_f64 v[166:167], v[164:165], v[162:163]
	v_fma_f64 v[160:161], -v[160:161], v[166:167], v[164:165]
	v_div_fmas_f64 v[160:161], v[160:161], v[162:163], v[166:167]
	v_div_fixup_f64 v[158:159], v[160:161], v[158:159], 1.0
	ds_write_b64 v1, v[158:159]
.LBB63_69:
	s_or_b32 exec_lo, exec_lo, s1
	s_waitcnt lgkmcnt(0)
	s_barrier
	buffer_gl0_inv
	ds_read_b64 v[158:159], v1
	s_mov_b32 s1, exec_lo
	v_cmpx_lt_u32_e32 13, v0
	s_cbranch_execz .LBB63_71
; %bb.70:
	s_waitcnt lgkmcnt(0)
	v_mul_f64 v[88:89], v[158:159], v[88:89]
	ds_read2_b64 v[160:163], v194 offset0:14 offset1:15
	ds_read2_b64 v[164:167], v194 offset0:16 offset1:17
	;; [unrolled: 1-line block ×9, first 2 shown]
	s_waitcnt lgkmcnt(8)
	v_fma_f64 v[102:103], -v[88:89], v[160:161], v[102:103]
	v_fma_f64 v[86:87], -v[88:89], v[162:163], v[86:87]
	s_waitcnt lgkmcnt(7)
	v_fma_f64 v[100:101], -v[88:89], v[164:165], v[100:101]
	v_fma_f64 v[84:85], -v[88:89], v[166:167], v[84:85]
	;; [unrolled: 3-line block ×9, first 2 shown]
.LBB63_71:
	s_or_b32 exec_lo, exec_lo, s1
	s_mov_b32 s1, exec_lo
	s_waitcnt lgkmcnt(0)
	s_barrier
	buffer_gl0_inv
	v_cmpx_eq_u32_e32 14, v0
	s_cbranch_execz .LBB63_74
; %bb.72:
	ds_write_b64 v1, v[102:103]
	ds_write2_b64 v194, v[86:87], v[100:101] offset0:15 offset1:16
	ds_write2_b64 v194, v[84:85], v[98:99] offset0:17 offset1:18
	;; [unrolled: 1-line block ×8, first 2 shown]
	ds_write_b64 v194, v[122:123] offset:248
	ds_read_b64 v[160:161], v1
	s_waitcnt lgkmcnt(0)
	v_cmp_neq_f64_e32 vcc_lo, 0, v[160:161]
	s_and_b32 exec_lo, exec_lo, vcc_lo
	s_cbranch_execz .LBB63_74
; %bb.73:
	v_div_scale_f64 v[162:163], null, v[160:161], v[160:161], 1.0
	v_rcp_f64_e32 v[164:165], v[162:163]
	v_fma_f64 v[166:167], -v[162:163], v[164:165], 1.0
	v_fma_f64 v[164:165], v[164:165], v[166:167], v[164:165]
	v_fma_f64 v[166:167], -v[162:163], v[164:165], 1.0
	v_fma_f64 v[164:165], v[164:165], v[166:167], v[164:165]
	v_div_scale_f64 v[166:167], vcc_lo, 1.0, v[160:161], 1.0
	v_mul_f64 v[168:169], v[166:167], v[164:165]
	v_fma_f64 v[162:163], -v[162:163], v[168:169], v[166:167]
	v_div_fmas_f64 v[162:163], v[162:163], v[164:165], v[168:169]
	v_div_fixup_f64 v[160:161], v[162:163], v[160:161], 1.0
	ds_write_b64 v1, v[160:161]
.LBB63_74:
	s_or_b32 exec_lo, exec_lo, s1
	s_waitcnt lgkmcnt(0)
	s_barrier
	buffer_gl0_inv
	ds_read_b64 v[160:161], v1
	s_mov_b32 s1, exec_lo
	v_cmpx_lt_u32_e32 14, v0
	s_cbranch_execz .LBB63_76
; %bb.75:
	s_waitcnt lgkmcnt(0)
	v_mul_f64 v[102:103], v[160:161], v[102:103]
	ds_read2_b64 v[162:165], v194 offset0:15 offset1:16
	ds_read2_b64 v[166:169], v194 offset0:17 offset1:18
	;; [unrolled: 1-line block ×8, first 2 shown]
	ds_read_b64 v[195:196], v194 offset:248
	s_waitcnt lgkmcnt(8)
	v_fma_f64 v[86:87], -v[102:103], v[162:163], v[86:87]
	v_fma_f64 v[100:101], -v[102:103], v[164:165], v[100:101]
	s_waitcnt lgkmcnt(7)
	v_fma_f64 v[84:85], -v[102:103], v[166:167], v[84:85]
	v_fma_f64 v[98:99], -v[102:103], v[168:169], v[98:99]
	;; [unrolled: 3-line block ×8, first 2 shown]
	s_waitcnt lgkmcnt(0)
	v_fma_f64 v[122:123], -v[102:103], v[195:196], v[122:123]
.LBB63_76:
	s_or_b32 exec_lo, exec_lo, s1
	s_mov_b32 s1, exec_lo
	s_waitcnt lgkmcnt(0)
	s_barrier
	buffer_gl0_inv
	v_cmpx_eq_u32_e32 15, v0
	s_cbranch_execz .LBB63_79
; %bb.77:
	v_mov_b32_e32 v162, v100
	v_mov_b32_e32 v163, v101
	;; [unrolled: 1-line block ×12, first 2 shown]
	ds_write_b64 v1, v[86:87]
	ds_write2_b64 v194, v[162:163], v[164:165] offset0:16 offset1:17
	ds_write2_b64 v194, v[166:167], v[168:169] offset0:18 offset1:19
	ds_write2_b64 v194, v[170:171], v[172:173] offset0:20 offset1:21
	v_mov_b32_e32 v162, v80
	v_mov_b32_e32 v163, v81
	;; [unrolled: 1-line block ×18, first 2 shown]
	ds_write2_b64 v194, v[162:163], v[164:165] offset0:22 offset1:23
	ds_write2_b64 v194, v[166:167], v[168:169] offset0:24 offset1:25
	;; [unrolled: 1-line block ×5, first 2 shown]
	ds_read_b64 v[162:163], v1
	s_waitcnt lgkmcnt(0)
	v_cmp_neq_f64_e32 vcc_lo, 0, v[162:163]
	s_and_b32 exec_lo, exec_lo, vcc_lo
	s_cbranch_execz .LBB63_79
; %bb.78:
	v_div_scale_f64 v[164:165], null, v[162:163], v[162:163], 1.0
	v_rcp_f64_e32 v[166:167], v[164:165]
	v_fma_f64 v[168:169], -v[164:165], v[166:167], 1.0
	v_fma_f64 v[166:167], v[166:167], v[168:169], v[166:167]
	v_fma_f64 v[168:169], -v[164:165], v[166:167], 1.0
	v_fma_f64 v[166:167], v[166:167], v[168:169], v[166:167]
	v_div_scale_f64 v[168:169], vcc_lo, 1.0, v[162:163], 1.0
	v_mul_f64 v[170:171], v[168:169], v[166:167]
	v_fma_f64 v[164:165], -v[164:165], v[170:171], v[168:169]
	v_div_fmas_f64 v[164:165], v[164:165], v[166:167], v[170:171]
	v_div_fixup_f64 v[162:163], v[164:165], v[162:163], 1.0
	ds_write_b64 v1, v[162:163]
.LBB63_79:
	s_or_b32 exec_lo, exec_lo, s1
	s_waitcnt lgkmcnt(0)
	s_barrier
	buffer_gl0_inv
	ds_read_b64 v[162:163], v1
	s_mov_b32 s1, exec_lo
	v_cmpx_lt_u32_e32 15, v0
	s_cbranch_execz .LBB63_81
; %bb.80:
	s_waitcnt lgkmcnt(0)
	v_mul_f64 v[86:87], v[162:163], v[86:87]
	ds_read2_b64 v[164:167], v194 offset0:16 offset1:17
	ds_read2_b64 v[168:171], v194 offset0:18 offset1:19
	;; [unrolled: 1-line block ×8, first 2 shown]
	s_waitcnt lgkmcnt(7)
	v_fma_f64 v[100:101], -v[86:87], v[164:165], v[100:101]
	v_fma_f64 v[84:85], -v[86:87], v[166:167], v[84:85]
	s_waitcnt lgkmcnt(6)
	v_fma_f64 v[98:99], -v[86:87], v[168:169], v[98:99]
	v_fma_f64 v[74:75], -v[86:87], v[170:171], v[74:75]
	;; [unrolled: 3-line block ×8, first 2 shown]
.LBB63_81:
	s_or_b32 exec_lo, exec_lo, s1
	s_mov_b32 s1, exec_lo
	s_waitcnt lgkmcnt(0)
	s_barrier
	buffer_gl0_inv
	v_cmpx_eq_u32_e32 16, v0
	s_cbranch_execz .LBB63_84
; %bb.82:
	ds_write_b64 v1, v[100:101]
	ds_write2_b64 v194, v[84:85], v[98:99] offset0:17 offset1:18
	ds_write2_b64 v194, v[74:75], v[82:83] offset0:19 offset1:20
	;; [unrolled: 1-line block ×7, first 2 shown]
	ds_write_b64 v194, v[122:123] offset:248
	ds_read_b64 v[164:165], v1
	s_waitcnt lgkmcnt(0)
	v_cmp_neq_f64_e32 vcc_lo, 0, v[164:165]
	s_and_b32 exec_lo, exec_lo, vcc_lo
	s_cbranch_execz .LBB63_84
; %bb.83:
	v_div_scale_f64 v[166:167], null, v[164:165], v[164:165], 1.0
	v_rcp_f64_e32 v[168:169], v[166:167]
	v_fma_f64 v[170:171], -v[166:167], v[168:169], 1.0
	v_fma_f64 v[168:169], v[168:169], v[170:171], v[168:169]
	v_fma_f64 v[170:171], -v[166:167], v[168:169], 1.0
	v_fma_f64 v[168:169], v[168:169], v[170:171], v[168:169]
	v_div_scale_f64 v[170:171], vcc_lo, 1.0, v[164:165], 1.0
	v_mul_f64 v[172:173], v[170:171], v[168:169]
	v_fma_f64 v[166:167], -v[166:167], v[172:173], v[170:171]
	v_div_fmas_f64 v[166:167], v[166:167], v[168:169], v[172:173]
	v_div_fixup_f64 v[164:165], v[166:167], v[164:165], 1.0
	ds_write_b64 v1, v[164:165]
.LBB63_84:
	s_or_b32 exec_lo, exec_lo, s1
	s_waitcnt lgkmcnt(0)
	s_barrier
	buffer_gl0_inv
	ds_read_b64 v[164:165], v1
	s_mov_b32 s1, exec_lo
	v_cmpx_lt_u32_e32 16, v0
	s_cbranch_execz .LBB63_86
; %bb.85:
	s_waitcnt lgkmcnt(0)
	v_mul_f64 v[100:101], v[164:165], v[100:101]
	ds_read2_b64 v[166:169], v194 offset0:17 offset1:18
	ds_read2_b64 v[170:173], v194 offset0:19 offset1:20
	;; [unrolled: 1-line block ×7, first 2 shown]
	ds_read_b64 v[195:196], v194 offset:248
	s_waitcnt lgkmcnt(7)
	v_fma_f64 v[84:85], -v[100:101], v[166:167], v[84:85]
	v_fma_f64 v[98:99], -v[100:101], v[168:169], v[98:99]
	s_waitcnt lgkmcnt(6)
	v_fma_f64 v[74:75], -v[100:101], v[170:171], v[74:75]
	v_fma_f64 v[82:83], -v[100:101], v[172:173], v[82:83]
	;; [unrolled: 3-line block ×7, first 2 shown]
	s_waitcnt lgkmcnt(0)
	v_fma_f64 v[122:123], -v[100:101], v[195:196], v[122:123]
.LBB63_86:
	s_or_b32 exec_lo, exec_lo, s1
	s_mov_b32 s1, exec_lo
	s_waitcnt lgkmcnt(0)
	s_barrier
	buffer_gl0_inv
	v_cmpx_eq_u32_e32 17, v0
	s_cbranch_execz .LBB63_89
; %bb.87:
	v_mov_b32_e32 v166, v98
	v_mov_b32_e32 v167, v99
	;; [unrolled: 1-line block ×8, first 2 shown]
	ds_write_b64 v1, v[84:85]
	ds_write2_b64 v194, v[166:167], v[168:169] offset0:18 offset1:19
	ds_write2_b64 v194, v[170:171], v[172:173] offset0:20 offset1:21
	v_mov_b32_e32 v166, v80
	v_mov_b32_e32 v167, v81
	;; [unrolled: 1-line block ×18, first 2 shown]
	ds_write2_b64 v194, v[166:167], v[168:169] offset0:22 offset1:23
	ds_write2_b64 v194, v[170:171], v[172:173] offset0:24 offset1:25
	;; [unrolled: 1-line block ×5, first 2 shown]
	ds_read_b64 v[166:167], v1
	s_waitcnt lgkmcnt(0)
	v_cmp_neq_f64_e32 vcc_lo, 0, v[166:167]
	s_and_b32 exec_lo, exec_lo, vcc_lo
	s_cbranch_execz .LBB63_89
; %bb.88:
	v_div_scale_f64 v[168:169], null, v[166:167], v[166:167], 1.0
	v_rcp_f64_e32 v[170:171], v[168:169]
	v_fma_f64 v[172:173], -v[168:169], v[170:171], 1.0
	v_fma_f64 v[170:171], v[170:171], v[172:173], v[170:171]
	v_fma_f64 v[172:173], -v[168:169], v[170:171], 1.0
	v_fma_f64 v[170:171], v[170:171], v[172:173], v[170:171]
	v_div_scale_f64 v[172:173], vcc_lo, 1.0, v[166:167], 1.0
	v_mul_f64 v[174:175], v[172:173], v[170:171]
	v_fma_f64 v[168:169], -v[168:169], v[174:175], v[172:173]
	v_div_fmas_f64 v[168:169], v[168:169], v[170:171], v[174:175]
	v_div_fixup_f64 v[166:167], v[168:169], v[166:167], 1.0
	ds_write_b64 v1, v[166:167]
.LBB63_89:
	s_or_b32 exec_lo, exec_lo, s1
	s_waitcnt lgkmcnt(0)
	s_barrier
	buffer_gl0_inv
	ds_read_b64 v[166:167], v1
	s_mov_b32 s1, exec_lo
	v_cmpx_lt_u32_e32 17, v0
	s_cbranch_execz .LBB63_91
; %bb.90:
	s_waitcnt lgkmcnt(0)
	v_mul_f64 v[84:85], v[166:167], v[84:85]
	ds_read2_b64 v[168:171], v194 offset0:18 offset1:19
	ds_read2_b64 v[172:175], v194 offset0:20 offset1:21
	;; [unrolled: 1-line block ×7, first 2 shown]
	s_waitcnt lgkmcnt(6)
	v_fma_f64 v[98:99], -v[84:85], v[168:169], v[98:99]
	v_fma_f64 v[74:75], -v[84:85], v[170:171], v[74:75]
	s_waitcnt lgkmcnt(5)
	v_fma_f64 v[82:83], -v[84:85], v[172:173], v[82:83]
	v_fma_f64 v[72:73], -v[84:85], v[174:175], v[72:73]
	;; [unrolled: 3-line block ×7, first 2 shown]
.LBB63_91:
	s_or_b32 exec_lo, exec_lo, s1
	s_mov_b32 s1, exec_lo
	s_waitcnt lgkmcnt(0)
	s_barrier
	buffer_gl0_inv
	v_cmpx_eq_u32_e32 18, v0
	s_cbranch_execz .LBB63_94
; %bb.92:
	ds_write_b64 v1, v[98:99]
	ds_write2_b64 v194, v[74:75], v[82:83] offset0:19 offset1:20
	ds_write2_b64 v194, v[72:73], v[80:81] offset0:21 offset1:22
	;; [unrolled: 1-line block ×6, first 2 shown]
	ds_write_b64 v194, v[122:123] offset:248
	ds_read_b64 v[168:169], v1
	s_waitcnt lgkmcnt(0)
	v_cmp_neq_f64_e32 vcc_lo, 0, v[168:169]
	s_and_b32 exec_lo, exec_lo, vcc_lo
	s_cbranch_execz .LBB63_94
; %bb.93:
	v_div_scale_f64 v[170:171], null, v[168:169], v[168:169], 1.0
	v_rcp_f64_e32 v[172:173], v[170:171]
	v_fma_f64 v[174:175], -v[170:171], v[172:173], 1.0
	v_fma_f64 v[172:173], v[172:173], v[174:175], v[172:173]
	v_fma_f64 v[174:175], -v[170:171], v[172:173], 1.0
	v_fma_f64 v[172:173], v[172:173], v[174:175], v[172:173]
	v_div_scale_f64 v[174:175], vcc_lo, 1.0, v[168:169], 1.0
	v_mul_f64 v[176:177], v[174:175], v[172:173]
	v_fma_f64 v[170:171], -v[170:171], v[176:177], v[174:175]
	v_div_fmas_f64 v[170:171], v[170:171], v[172:173], v[176:177]
	v_div_fixup_f64 v[168:169], v[170:171], v[168:169], 1.0
	ds_write_b64 v1, v[168:169]
.LBB63_94:
	s_or_b32 exec_lo, exec_lo, s1
	s_waitcnt lgkmcnt(0)
	s_barrier
	buffer_gl0_inv
	ds_read_b64 v[168:169], v1
	s_mov_b32 s1, exec_lo
	v_cmpx_lt_u32_e32 18, v0
	s_cbranch_execz .LBB63_96
; %bb.95:
	s_waitcnt lgkmcnt(0)
	v_mul_f64 v[98:99], v[168:169], v[98:99]
	ds_read2_b64 v[170:173], v194 offset0:19 offset1:20
	ds_read2_b64 v[174:177], v194 offset0:21 offset1:22
	;; [unrolled: 1-line block ×6, first 2 shown]
	ds_read_b64 v[195:196], v194 offset:248
	s_waitcnt lgkmcnt(6)
	v_fma_f64 v[74:75], -v[98:99], v[170:171], v[74:75]
	v_fma_f64 v[82:83], -v[98:99], v[172:173], v[82:83]
	s_waitcnt lgkmcnt(5)
	v_fma_f64 v[72:73], -v[98:99], v[174:175], v[72:73]
	v_fma_f64 v[80:81], -v[98:99], v[176:177], v[80:81]
	;; [unrolled: 3-line block ×6, first 2 shown]
	s_waitcnt lgkmcnt(0)
	v_fma_f64 v[122:123], -v[98:99], v[195:196], v[122:123]
.LBB63_96:
	s_or_b32 exec_lo, exec_lo, s1
	s_mov_b32 s1, exec_lo
	s_waitcnt lgkmcnt(0)
	s_barrier
	buffer_gl0_inv
	v_cmpx_eq_u32_e32 19, v0
	s_cbranch_execz .LBB63_99
; %bb.97:
	v_mov_b32_e32 v170, v82
	v_mov_b32_e32 v171, v83
	;; [unrolled: 1-line block ×4, first 2 shown]
	ds_write_b64 v1, v[74:75]
	ds_write2_b64 v194, v[170:171], v[172:173] offset0:20 offset1:21
	v_mov_b32_e32 v170, v80
	v_mov_b32_e32 v171, v81
	;; [unrolled: 1-line block ×18, first 2 shown]
	ds_write2_b64 v194, v[170:171], v[172:173] offset0:22 offset1:23
	ds_write2_b64 v194, v[174:175], v[176:177] offset0:24 offset1:25
	;; [unrolled: 1-line block ×5, first 2 shown]
	ds_read_b64 v[170:171], v1
	s_waitcnt lgkmcnt(0)
	v_cmp_neq_f64_e32 vcc_lo, 0, v[170:171]
	s_and_b32 exec_lo, exec_lo, vcc_lo
	s_cbranch_execz .LBB63_99
; %bb.98:
	v_div_scale_f64 v[172:173], null, v[170:171], v[170:171], 1.0
	v_rcp_f64_e32 v[174:175], v[172:173]
	v_fma_f64 v[176:177], -v[172:173], v[174:175], 1.0
	v_fma_f64 v[174:175], v[174:175], v[176:177], v[174:175]
	v_fma_f64 v[176:177], -v[172:173], v[174:175], 1.0
	v_fma_f64 v[174:175], v[174:175], v[176:177], v[174:175]
	v_div_scale_f64 v[176:177], vcc_lo, 1.0, v[170:171], 1.0
	v_mul_f64 v[178:179], v[176:177], v[174:175]
	v_fma_f64 v[172:173], -v[172:173], v[178:179], v[176:177]
	v_div_fmas_f64 v[172:173], v[172:173], v[174:175], v[178:179]
	v_div_fixup_f64 v[170:171], v[172:173], v[170:171], 1.0
	ds_write_b64 v1, v[170:171]
.LBB63_99:
	s_or_b32 exec_lo, exec_lo, s1
	s_waitcnt lgkmcnt(0)
	s_barrier
	buffer_gl0_inv
	ds_read_b64 v[170:171], v1
	s_mov_b32 s1, exec_lo
	v_cmpx_lt_u32_e32 19, v0
	s_cbranch_execz .LBB63_101
; %bb.100:
	s_waitcnt lgkmcnt(0)
	v_mul_f64 v[74:75], v[170:171], v[74:75]
	ds_read2_b64 v[172:175], v194 offset0:20 offset1:21
	ds_read2_b64 v[176:179], v194 offset0:22 offset1:23
	;; [unrolled: 1-line block ×6, first 2 shown]
	s_waitcnt lgkmcnt(5)
	v_fma_f64 v[82:83], -v[74:75], v[172:173], v[82:83]
	v_fma_f64 v[72:73], -v[74:75], v[174:175], v[72:73]
	s_waitcnt lgkmcnt(4)
	v_fma_f64 v[80:81], -v[74:75], v[176:177], v[80:81]
	v_fma_f64 v[70:71], -v[74:75], v[178:179], v[70:71]
	;; [unrolled: 3-line block ×6, first 2 shown]
.LBB63_101:
	s_or_b32 exec_lo, exec_lo, s1
	s_mov_b32 s1, exec_lo
	s_waitcnt lgkmcnt(0)
	s_barrier
	buffer_gl0_inv
	v_cmpx_eq_u32_e32 20, v0
	s_cbranch_execz .LBB63_104
; %bb.102:
	ds_write_b64 v1, v[82:83]
	ds_write2_b64 v194, v[72:73], v[80:81] offset0:21 offset1:22
	ds_write2_b64 v194, v[70:71], v[78:79] offset0:23 offset1:24
	;; [unrolled: 1-line block ×5, first 2 shown]
	ds_write_b64 v194, v[122:123] offset:248
	ds_read_b64 v[172:173], v1
	s_waitcnt lgkmcnt(0)
	v_cmp_neq_f64_e32 vcc_lo, 0, v[172:173]
	s_and_b32 exec_lo, exec_lo, vcc_lo
	s_cbranch_execz .LBB63_104
; %bb.103:
	v_div_scale_f64 v[174:175], null, v[172:173], v[172:173], 1.0
	v_rcp_f64_e32 v[176:177], v[174:175]
	v_fma_f64 v[178:179], -v[174:175], v[176:177], 1.0
	v_fma_f64 v[176:177], v[176:177], v[178:179], v[176:177]
	v_fma_f64 v[178:179], -v[174:175], v[176:177], 1.0
	v_fma_f64 v[176:177], v[176:177], v[178:179], v[176:177]
	v_div_scale_f64 v[178:179], vcc_lo, 1.0, v[172:173], 1.0
	v_mul_f64 v[180:181], v[178:179], v[176:177]
	v_fma_f64 v[174:175], -v[174:175], v[180:181], v[178:179]
	v_div_fmas_f64 v[174:175], v[174:175], v[176:177], v[180:181]
	v_div_fixup_f64 v[172:173], v[174:175], v[172:173], 1.0
	ds_write_b64 v1, v[172:173]
.LBB63_104:
	s_or_b32 exec_lo, exec_lo, s1
	s_waitcnt lgkmcnt(0)
	s_barrier
	buffer_gl0_inv
	ds_read_b64 v[172:173], v1
	s_mov_b32 s1, exec_lo
	v_cmpx_lt_u32_e32 20, v0
	s_cbranch_execz .LBB63_106
; %bb.105:
	s_waitcnt lgkmcnt(0)
	v_mul_f64 v[82:83], v[172:173], v[82:83]
	ds_read2_b64 v[174:177], v194 offset0:21 offset1:22
	ds_read2_b64 v[178:181], v194 offset0:23 offset1:24
	;; [unrolled: 1-line block ×5, first 2 shown]
	ds_read_b64 v[195:196], v194 offset:248
	s_waitcnt lgkmcnt(5)
	v_fma_f64 v[72:73], -v[82:83], v[174:175], v[72:73]
	v_fma_f64 v[80:81], -v[82:83], v[176:177], v[80:81]
	s_waitcnt lgkmcnt(4)
	v_fma_f64 v[70:71], -v[82:83], v[178:179], v[70:71]
	v_fma_f64 v[78:79], -v[82:83], v[180:181], v[78:79]
	;; [unrolled: 3-line block ×5, first 2 shown]
	s_waitcnt lgkmcnt(0)
	v_fma_f64 v[122:123], -v[82:83], v[195:196], v[122:123]
.LBB63_106:
	s_or_b32 exec_lo, exec_lo, s1
	s_mov_b32 s1, exec_lo
	s_waitcnt lgkmcnt(0)
	s_barrier
	buffer_gl0_inv
	v_cmpx_eq_u32_e32 21, v0
	s_cbranch_execz .LBB63_109
; %bb.107:
	v_mov_b32_e32 v174, v80
	v_mov_b32_e32 v175, v81
	;; [unrolled: 1-line block ×18, first 2 shown]
	ds_write_b64 v1, v[72:73]
	ds_write2_b64 v194, v[174:175], v[176:177] offset0:22 offset1:23
	ds_write2_b64 v194, v[178:179], v[180:181] offset0:24 offset1:25
	;; [unrolled: 1-line block ×5, first 2 shown]
	ds_read_b64 v[174:175], v1
	s_waitcnt lgkmcnt(0)
	v_cmp_neq_f64_e32 vcc_lo, 0, v[174:175]
	s_and_b32 exec_lo, exec_lo, vcc_lo
	s_cbranch_execz .LBB63_109
; %bb.108:
	v_div_scale_f64 v[176:177], null, v[174:175], v[174:175], 1.0
	v_rcp_f64_e32 v[178:179], v[176:177]
	v_fma_f64 v[180:181], -v[176:177], v[178:179], 1.0
	v_fma_f64 v[178:179], v[178:179], v[180:181], v[178:179]
	v_fma_f64 v[180:181], -v[176:177], v[178:179], 1.0
	v_fma_f64 v[178:179], v[178:179], v[180:181], v[178:179]
	v_div_scale_f64 v[180:181], vcc_lo, 1.0, v[174:175], 1.0
	v_mul_f64 v[182:183], v[180:181], v[178:179]
	v_fma_f64 v[176:177], -v[176:177], v[182:183], v[180:181]
	v_div_fmas_f64 v[176:177], v[176:177], v[178:179], v[182:183]
	v_div_fixup_f64 v[174:175], v[176:177], v[174:175], 1.0
	ds_write_b64 v1, v[174:175]
.LBB63_109:
	s_or_b32 exec_lo, exec_lo, s1
	s_waitcnt lgkmcnt(0)
	s_barrier
	buffer_gl0_inv
	ds_read_b64 v[174:175], v1
	s_mov_b32 s1, exec_lo
	v_cmpx_lt_u32_e32 21, v0
	s_cbranch_execz .LBB63_111
; %bb.110:
	s_waitcnt lgkmcnt(0)
	v_mul_f64 v[72:73], v[174:175], v[72:73]
	ds_read2_b64 v[176:179], v194 offset0:22 offset1:23
	ds_read2_b64 v[180:183], v194 offset0:24 offset1:25
	;; [unrolled: 1-line block ×5, first 2 shown]
	s_waitcnt lgkmcnt(4)
	v_fma_f64 v[80:81], -v[72:73], v[176:177], v[80:81]
	v_fma_f64 v[70:71], -v[72:73], v[178:179], v[70:71]
	s_waitcnt lgkmcnt(3)
	v_fma_f64 v[78:79], -v[72:73], v[180:181], v[78:79]
	v_fma_f64 v[68:69], -v[72:73], v[182:183], v[68:69]
	;; [unrolled: 3-line block ×5, first 2 shown]
.LBB63_111:
	s_or_b32 exec_lo, exec_lo, s1
	s_mov_b32 s1, exec_lo
	s_waitcnt lgkmcnt(0)
	s_barrier
	buffer_gl0_inv
	v_cmpx_eq_u32_e32 22, v0
	s_cbranch_execz .LBB63_114
; %bb.112:
	ds_write_b64 v1, v[80:81]
	ds_write2_b64 v194, v[70:71], v[78:79] offset0:23 offset1:24
	ds_write2_b64 v194, v[68:69], v[76:77] offset0:25 offset1:26
	;; [unrolled: 1-line block ×4, first 2 shown]
	ds_write_b64 v194, v[122:123] offset:248
	ds_read_b64 v[176:177], v1
	s_waitcnt lgkmcnt(0)
	v_cmp_neq_f64_e32 vcc_lo, 0, v[176:177]
	s_and_b32 exec_lo, exec_lo, vcc_lo
	s_cbranch_execz .LBB63_114
; %bb.113:
	v_div_scale_f64 v[178:179], null, v[176:177], v[176:177], 1.0
	v_rcp_f64_e32 v[180:181], v[178:179]
	v_fma_f64 v[182:183], -v[178:179], v[180:181], 1.0
	v_fma_f64 v[180:181], v[180:181], v[182:183], v[180:181]
	v_fma_f64 v[182:183], -v[178:179], v[180:181], 1.0
	v_fma_f64 v[180:181], v[180:181], v[182:183], v[180:181]
	v_div_scale_f64 v[182:183], vcc_lo, 1.0, v[176:177], 1.0
	v_mul_f64 v[184:185], v[182:183], v[180:181]
	v_fma_f64 v[178:179], -v[178:179], v[184:185], v[182:183]
	v_div_fmas_f64 v[178:179], v[178:179], v[180:181], v[184:185]
	v_div_fixup_f64 v[176:177], v[178:179], v[176:177], 1.0
	ds_write_b64 v1, v[176:177]
.LBB63_114:
	s_or_b32 exec_lo, exec_lo, s1
	s_waitcnt lgkmcnt(0)
	s_barrier
	buffer_gl0_inv
	ds_read_b64 v[176:177], v1
	s_mov_b32 s1, exec_lo
	v_cmpx_lt_u32_e32 22, v0
	s_cbranch_execz .LBB63_116
; %bb.115:
	s_waitcnt lgkmcnt(0)
	v_mul_f64 v[80:81], v[176:177], v[80:81]
	ds_read2_b64 v[178:181], v194 offset0:23 offset1:24
	ds_read2_b64 v[182:185], v194 offset0:25 offset1:26
	;; [unrolled: 1-line block ×4, first 2 shown]
	ds_read_b64 v[195:196], v194 offset:248
	s_waitcnt lgkmcnt(4)
	v_fma_f64 v[70:71], -v[80:81], v[178:179], v[70:71]
	v_fma_f64 v[78:79], -v[80:81], v[180:181], v[78:79]
	s_waitcnt lgkmcnt(3)
	v_fma_f64 v[68:69], -v[80:81], v[182:183], v[68:69]
	v_fma_f64 v[76:77], -v[80:81], v[184:185], v[76:77]
	;; [unrolled: 3-line block ×4, first 2 shown]
	s_waitcnt lgkmcnt(0)
	v_fma_f64 v[122:123], -v[80:81], v[195:196], v[122:123]
.LBB63_116:
	s_or_b32 exec_lo, exec_lo, s1
	s_mov_b32 s1, exec_lo
	s_waitcnt lgkmcnt(0)
	s_barrier
	buffer_gl0_inv
	v_cmpx_eq_u32_e32 23, v0
	s_cbranch_execz .LBB63_119
; %bb.117:
	v_mov_b32_e32 v178, v78
	v_mov_b32_e32 v179, v79
	v_mov_b32_e32 v180, v68
	v_mov_b32_e32 v181, v69
	v_mov_b32_e32 v182, v76
	v_mov_b32_e32 v183, v77
	v_mov_b32_e32 v184, v66
	v_mov_b32_e32 v185, v67
	v_mov_b32_e32 v186, v120
	v_mov_b32_e32 v187, v121
	v_mov_b32_e32 v188, v116
	v_mov_b32_e32 v189, v117
	v_mov_b32_e32 v190, v118
	v_mov_b32_e32 v191, v119
	ds_write_b64 v1, v[70:71]
	ds_write2_b64 v194, v[178:179], v[180:181] offset0:24 offset1:25
	ds_write2_b64 v194, v[182:183], v[184:185] offset0:26 offset1:27
	;; [unrolled: 1-line block ×4, first 2 shown]
	ds_read_b64 v[178:179], v1
	s_waitcnt lgkmcnt(0)
	v_cmp_neq_f64_e32 vcc_lo, 0, v[178:179]
	s_and_b32 exec_lo, exec_lo, vcc_lo
	s_cbranch_execz .LBB63_119
; %bb.118:
	v_div_scale_f64 v[180:181], null, v[178:179], v[178:179], 1.0
	v_rcp_f64_e32 v[182:183], v[180:181]
	v_fma_f64 v[184:185], -v[180:181], v[182:183], 1.0
	v_fma_f64 v[182:183], v[182:183], v[184:185], v[182:183]
	v_fma_f64 v[184:185], -v[180:181], v[182:183], 1.0
	v_fma_f64 v[182:183], v[182:183], v[184:185], v[182:183]
	v_div_scale_f64 v[184:185], vcc_lo, 1.0, v[178:179], 1.0
	v_mul_f64 v[186:187], v[184:185], v[182:183]
	v_fma_f64 v[180:181], -v[180:181], v[186:187], v[184:185]
	v_div_fmas_f64 v[180:181], v[180:181], v[182:183], v[186:187]
	v_div_fixup_f64 v[178:179], v[180:181], v[178:179], 1.0
	ds_write_b64 v1, v[178:179]
.LBB63_119:
	s_or_b32 exec_lo, exec_lo, s1
	s_waitcnt lgkmcnt(0)
	s_barrier
	buffer_gl0_inv
	ds_read_b64 v[178:179], v1
	s_mov_b32 s1, exec_lo
	v_cmpx_lt_u32_e32 23, v0
	s_cbranch_execz .LBB63_121
; %bb.120:
	s_waitcnt lgkmcnt(0)
	v_mul_f64 v[70:71], v[178:179], v[70:71]
	ds_read2_b64 v[180:183], v194 offset0:24 offset1:25
	ds_read2_b64 v[184:187], v194 offset0:26 offset1:27
	;; [unrolled: 1-line block ×4, first 2 shown]
	s_waitcnt lgkmcnt(3)
	v_fma_f64 v[78:79], -v[70:71], v[180:181], v[78:79]
	v_fma_f64 v[68:69], -v[70:71], v[182:183], v[68:69]
	s_waitcnt lgkmcnt(2)
	v_fma_f64 v[76:77], -v[70:71], v[184:185], v[76:77]
	v_fma_f64 v[66:67], -v[70:71], v[186:187], v[66:67]
	s_waitcnt lgkmcnt(1)
	v_fma_f64 v[120:121], -v[70:71], v[188:189], v[120:121]
	v_fma_f64 v[116:117], -v[70:71], v[190:191], v[116:117]
	s_waitcnt lgkmcnt(0)
	v_fma_f64 v[118:119], -v[70:71], v[195:196], v[118:119]
	v_fma_f64 v[122:123], -v[70:71], v[197:198], v[122:123]
.LBB63_121:
	s_or_b32 exec_lo, exec_lo, s1
	s_mov_b32 s1, exec_lo
	s_waitcnt lgkmcnt(0)
	s_barrier
	buffer_gl0_inv
	v_cmpx_eq_u32_e32 24, v0
	s_cbranch_execz .LBB63_124
; %bb.122:
	ds_write_b64 v1, v[78:79]
	ds_write2_b64 v194, v[68:69], v[76:77] offset0:25 offset1:26
	ds_write2_b64 v194, v[66:67], v[120:121] offset0:27 offset1:28
	;; [unrolled: 1-line block ×3, first 2 shown]
	ds_write_b64 v194, v[122:123] offset:248
	ds_read_b64 v[180:181], v1
	s_waitcnt lgkmcnt(0)
	v_cmp_neq_f64_e32 vcc_lo, 0, v[180:181]
	s_and_b32 exec_lo, exec_lo, vcc_lo
	s_cbranch_execz .LBB63_124
; %bb.123:
	v_div_scale_f64 v[182:183], null, v[180:181], v[180:181], 1.0
	v_rcp_f64_e32 v[184:185], v[182:183]
	v_fma_f64 v[186:187], -v[182:183], v[184:185], 1.0
	v_fma_f64 v[184:185], v[184:185], v[186:187], v[184:185]
	v_fma_f64 v[186:187], -v[182:183], v[184:185], 1.0
	v_fma_f64 v[184:185], v[184:185], v[186:187], v[184:185]
	v_div_scale_f64 v[186:187], vcc_lo, 1.0, v[180:181], 1.0
	v_mul_f64 v[188:189], v[186:187], v[184:185]
	v_fma_f64 v[182:183], -v[182:183], v[188:189], v[186:187]
	v_div_fmas_f64 v[182:183], v[182:183], v[184:185], v[188:189]
	v_div_fixup_f64 v[180:181], v[182:183], v[180:181], 1.0
	ds_write_b64 v1, v[180:181]
.LBB63_124:
	s_or_b32 exec_lo, exec_lo, s1
	s_waitcnt lgkmcnt(0)
	s_barrier
	buffer_gl0_inv
	ds_read_b64 v[180:181], v1
	s_mov_b32 s1, exec_lo
	v_cmpx_lt_u32_e32 24, v0
	s_cbranch_execz .LBB63_126
; %bb.125:
	s_waitcnt lgkmcnt(0)
	v_mul_f64 v[78:79], v[180:181], v[78:79]
	ds_read2_b64 v[182:185], v194 offset0:25 offset1:26
	ds_read2_b64 v[186:189], v194 offset0:27 offset1:28
	;; [unrolled: 1-line block ×3, first 2 shown]
	ds_read_b64 v[195:196], v194 offset:248
	s_waitcnt lgkmcnt(3)
	v_fma_f64 v[68:69], -v[78:79], v[182:183], v[68:69]
	v_fma_f64 v[76:77], -v[78:79], v[184:185], v[76:77]
	s_waitcnt lgkmcnt(2)
	v_fma_f64 v[66:67], -v[78:79], v[186:187], v[66:67]
	v_fma_f64 v[120:121], -v[78:79], v[188:189], v[120:121]
	;; [unrolled: 3-line block ×3, first 2 shown]
	s_waitcnt lgkmcnt(0)
	v_fma_f64 v[122:123], -v[78:79], v[195:196], v[122:123]
.LBB63_126:
	s_or_b32 exec_lo, exec_lo, s1
	s_mov_b32 s1, exec_lo
	s_waitcnt lgkmcnt(0)
	s_barrier
	buffer_gl0_inv
	v_cmpx_eq_u32_e32 25, v0
	s_cbranch_execz .LBB63_129
; %bb.127:
	v_mov_b32_e32 v182, v76
	v_mov_b32_e32 v183, v77
	;; [unrolled: 1-line block ×10, first 2 shown]
	ds_write_b64 v1, v[68:69]
	ds_write2_b64 v194, v[182:183], v[184:185] offset0:26 offset1:27
	ds_write2_b64 v194, v[186:187], v[188:189] offset0:28 offset1:29
	;; [unrolled: 1-line block ×3, first 2 shown]
	ds_read_b64 v[182:183], v1
	s_waitcnt lgkmcnt(0)
	v_cmp_neq_f64_e32 vcc_lo, 0, v[182:183]
	s_and_b32 exec_lo, exec_lo, vcc_lo
	s_cbranch_execz .LBB63_129
; %bb.128:
	v_div_scale_f64 v[184:185], null, v[182:183], v[182:183], 1.0
	v_rcp_f64_e32 v[186:187], v[184:185]
	v_fma_f64 v[188:189], -v[184:185], v[186:187], 1.0
	v_fma_f64 v[186:187], v[186:187], v[188:189], v[186:187]
	v_fma_f64 v[188:189], -v[184:185], v[186:187], 1.0
	v_fma_f64 v[186:187], v[186:187], v[188:189], v[186:187]
	v_div_scale_f64 v[188:189], vcc_lo, 1.0, v[182:183], 1.0
	v_mul_f64 v[190:191], v[188:189], v[186:187]
	v_fma_f64 v[184:185], -v[184:185], v[190:191], v[188:189]
	v_div_fmas_f64 v[184:185], v[184:185], v[186:187], v[190:191]
	v_div_fixup_f64 v[182:183], v[184:185], v[182:183], 1.0
	ds_write_b64 v1, v[182:183]
.LBB63_129:
	s_or_b32 exec_lo, exec_lo, s1
	s_waitcnt lgkmcnt(0)
	s_barrier
	buffer_gl0_inv
	ds_read_b64 v[182:183], v1
	s_mov_b32 s1, exec_lo
	v_cmpx_lt_u32_e32 25, v0
	s_cbranch_execz .LBB63_131
; %bb.130:
	s_waitcnt lgkmcnt(0)
	v_mul_f64 v[68:69], v[182:183], v[68:69]
	ds_read2_b64 v[184:187], v194 offset0:26 offset1:27
	ds_read2_b64 v[188:191], v194 offset0:28 offset1:29
	;; [unrolled: 1-line block ×3, first 2 shown]
	s_waitcnt lgkmcnt(2)
	v_fma_f64 v[76:77], -v[68:69], v[184:185], v[76:77]
	v_fma_f64 v[66:67], -v[68:69], v[186:187], v[66:67]
	s_waitcnt lgkmcnt(1)
	v_fma_f64 v[120:121], -v[68:69], v[188:189], v[120:121]
	v_fma_f64 v[116:117], -v[68:69], v[190:191], v[116:117]
	;; [unrolled: 3-line block ×3, first 2 shown]
.LBB63_131:
	s_or_b32 exec_lo, exec_lo, s1
	s_mov_b32 s1, exec_lo
	s_waitcnt lgkmcnt(0)
	s_barrier
	buffer_gl0_inv
	v_cmpx_eq_u32_e32 26, v0
	s_cbranch_execz .LBB63_134
; %bb.132:
	ds_write_b64 v1, v[76:77]
	ds_write2_b64 v194, v[66:67], v[120:121] offset0:27 offset1:28
	ds_write2_b64 v194, v[116:117], v[118:119] offset0:29 offset1:30
	ds_write_b64 v194, v[122:123] offset:248
	ds_read_b64 v[184:185], v1
	s_waitcnt lgkmcnt(0)
	v_cmp_neq_f64_e32 vcc_lo, 0, v[184:185]
	s_and_b32 exec_lo, exec_lo, vcc_lo
	s_cbranch_execz .LBB63_134
; %bb.133:
	v_div_scale_f64 v[186:187], null, v[184:185], v[184:185], 1.0
	v_rcp_f64_e32 v[188:189], v[186:187]
	v_fma_f64 v[190:191], -v[186:187], v[188:189], 1.0
	v_fma_f64 v[188:189], v[188:189], v[190:191], v[188:189]
	v_fma_f64 v[190:191], -v[186:187], v[188:189], 1.0
	v_fma_f64 v[188:189], v[188:189], v[190:191], v[188:189]
	v_div_scale_f64 v[190:191], vcc_lo, 1.0, v[184:185], 1.0
	v_mul_f64 v[192:193], v[190:191], v[188:189]
	v_fma_f64 v[186:187], -v[186:187], v[192:193], v[190:191]
	v_div_fmas_f64 v[186:187], v[186:187], v[188:189], v[192:193]
	v_div_fixup_f64 v[184:185], v[186:187], v[184:185], 1.0
	ds_write_b64 v1, v[184:185]
.LBB63_134:
	s_or_b32 exec_lo, exec_lo, s1
	s_waitcnt lgkmcnt(0)
	s_barrier
	buffer_gl0_inv
	ds_read_b64 v[184:185], v1
	s_mov_b32 s1, exec_lo
	v_cmpx_lt_u32_e32 26, v0
	s_cbranch_execz .LBB63_136
; %bb.135:
	s_waitcnt lgkmcnt(0)
	v_mul_f64 v[76:77], v[184:185], v[76:77]
	ds_read2_b64 v[186:189], v194 offset0:27 offset1:28
	ds_read2_b64 v[190:193], v194 offset0:29 offset1:30
	ds_read_b64 v[195:196], v194 offset:248
	s_waitcnt lgkmcnt(2)
	v_fma_f64 v[66:67], -v[76:77], v[186:187], v[66:67]
	v_fma_f64 v[120:121], -v[76:77], v[188:189], v[120:121]
	s_waitcnt lgkmcnt(1)
	v_fma_f64 v[116:117], -v[76:77], v[190:191], v[116:117]
	v_fma_f64 v[118:119], -v[76:77], v[192:193], v[118:119]
	s_waitcnt lgkmcnt(0)
	v_fma_f64 v[122:123], -v[76:77], v[195:196], v[122:123]
.LBB63_136:
	s_or_b32 exec_lo, exec_lo, s1
	s_mov_b32 s1, exec_lo
	s_waitcnt lgkmcnt(0)
	s_barrier
	buffer_gl0_inv
	v_cmpx_eq_u32_e32 27, v0
	s_cbranch_execz .LBB63_139
; %bb.137:
	v_mov_b32_e32 v186, v120
	v_mov_b32_e32 v187, v121
	;; [unrolled: 1-line block ×6, first 2 shown]
	ds_write_b64 v1, v[66:67]
	ds_write2_b64 v194, v[186:187], v[188:189] offset0:28 offset1:29
	ds_write2_b64 v194, v[190:191], v[122:123] offset0:30 offset1:31
	ds_read_b64 v[186:187], v1
	s_waitcnt lgkmcnt(0)
	v_cmp_neq_f64_e32 vcc_lo, 0, v[186:187]
	s_and_b32 exec_lo, exec_lo, vcc_lo
	s_cbranch_execz .LBB63_139
; %bb.138:
	v_div_scale_f64 v[188:189], null, v[186:187], v[186:187], 1.0
	v_rcp_f64_e32 v[190:191], v[188:189]
	v_fma_f64 v[192:193], -v[188:189], v[190:191], 1.0
	v_fma_f64 v[190:191], v[190:191], v[192:193], v[190:191]
	v_fma_f64 v[192:193], -v[188:189], v[190:191], 1.0
	v_fma_f64 v[190:191], v[190:191], v[192:193], v[190:191]
	v_div_scale_f64 v[192:193], vcc_lo, 1.0, v[186:187], 1.0
	v_mul_f64 v[195:196], v[192:193], v[190:191]
	v_fma_f64 v[188:189], -v[188:189], v[195:196], v[192:193]
	v_div_fmas_f64 v[188:189], v[188:189], v[190:191], v[195:196]
	v_div_fixup_f64 v[186:187], v[188:189], v[186:187], 1.0
	ds_write_b64 v1, v[186:187]
.LBB63_139:
	s_or_b32 exec_lo, exec_lo, s1
	s_waitcnt lgkmcnt(0)
	s_barrier
	buffer_gl0_inv
	ds_read_b64 v[186:187], v1
	s_mov_b32 s1, exec_lo
	v_cmpx_lt_u32_e32 27, v0
	s_cbranch_execz .LBB63_141
; %bb.140:
	s_waitcnt lgkmcnt(0)
	v_mul_f64 v[66:67], v[186:187], v[66:67]
	ds_read2_b64 v[188:191], v194 offset0:28 offset1:29
	ds_read2_b64 v[195:198], v194 offset0:30 offset1:31
	s_waitcnt lgkmcnt(1)
	v_fma_f64 v[120:121], -v[66:67], v[188:189], v[120:121]
	v_fma_f64 v[116:117], -v[66:67], v[190:191], v[116:117]
	s_waitcnt lgkmcnt(0)
	v_fma_f64 v[118:119], -v[66:67], v[195:196], v[118:119]
	v_fma_f64 v[122:123], -v[66:67], v[197:198], v[122:123]
.LBB63_141:
	s_or_b32 exec_lo, exec_lo, s1
	s_mov_b32 s1, exec_lo
	s_waitcnt lgkmcnt(0)
	s_barrier
	buffer_gl0_inv
	v_cmpx_eq_u32_e32 28, v0
	s_cbranch_execz .LBB63_144
; %bb.142:
	ds_write_b64 v1, v[120:121]
	ds_write2_b64 v194, v[116:117], v[118:119] offset0:29 offset1:30
	ds_write_b64 v194, v[122:123] offset:248
	ds_read_b64 v[188:189], v1
	s_waitcnt lgkmcnt(0)
	v_cmp_neq_f64_e32 vcc_lo, 0, v[188:189]
	s_and_b32 exec_lo, exec_lo, vcc_lo
	s_cbranch_execz .LBB63_144
; %bb.143:
	v_div_scale_f64 v[190:191], null, v[188:189], v[188:189], 1.0
	v_rcp_f64_e32 v[192:193], v[190:191]
	v_fma_f64 v[195:196], -v[190:191], v[192:193], 1.0
	v_fma_f64 v[192:193], v[192:193], v[195:196], v[192:193]
	v_fma_f64 v[195:196], -v[190:191], v[192:193], 1.0
	v_fma_f64 v[192:193], v[192:193], v[195:196], v[192:193]
	v_div_scale_f64 v[195:196], vcc_lo, 1.0, v[188:189], 1.0
	v_mul_f64 v[197:198], v[195:196], v[192:193]
	v_fma_f64 v[190:191], -v[190:191], v[197:198], v[195:196]
	v_div_fmas_f64 v[190:191], v[190:191], v[192:193], v[197:198]
	v_div_fixup_f64 v[188:189], v[190:191], v[188:189], 1.0
	ds_write_b64 v1, v[188:189]
.LBB63_144:
	s_or_b32 exec_lo, exec_lo, s1
	s_waitcnt lgkmcnt(0)
	s_barrier
	buffer_gl0_inv
	ds_read_b64 v[188:189], v1
	s_mov_b32 s1, exec_lo
	v_cmpx_lt_u32_e32 28, v0
	s_cbranch_execz .LBB63_146
; %bb.145:
	s_waitcnt lgkmcnt(0)
	v_mul_f64 v[120:121], v[188:189], v[120:121]
	ds_read2_b64 v[190:193], v194 offset0:29 offset1:30
	ds_read_b64 v[195:196], v194 offset:248
	s_waitcnt lgkmcnt(1)
	v_fma_f64 v[116:117], -v[120:121], v[190:191], v[116:117]
	v_fma_f64 v[118:119], -v[120:121], v[192:193], v[118:119]
	s_waitcnt lgkmcnt(0)
	v_fma_f64 v[122:123], -v[120:121], v[195:196], v[122:123]
.LBB63_146:
	s_or_b32 exec_lo, exec_lo, s1
	s_mov_b32 s1, exec_lo
	s_waitcnt lgkmcnt(0)
	s_barrier
	buffer_gl0_inv
	v_cmpx_eq_u32_e32 29, v0
	s_cbranch_execz .LBB63_149
; %bb.147:
	v_mov_b32_e32 v190, v118
	v_mov_b32_e32 v191, v119
	ds_write_b64 v1, v[116:117]
	ds_write2_b64 v194, v[190:191], v[122:123] offset0:30 offset1:31
	ds_read_b64 v[190:191], v1
	s_waitcnt lgkmcnt(0)
	v_cmp_neq_f64_e32 vcc_lo, 0, v[190:191]
	s_and_b32 exec_lo, exec_lo, vcc_lo
	s_cbranch_execz .LBB63_149
; %bb.148:
	v_div_scale_f64 v[192:193], null, v[190:191], v[190:191], 1.0
	v_rcp_f64_e32 v[195:196], v[192:193]
	v_fma_f64 v[197:198], -v[192:193], v[195:196], 1.0
	v_fma_f64 v[195:196], v[195:196], v[197:198], v[195:196]
	v_fma_f64 v[197:198], -v[192:193], v[195:196], 1.0
	v_fma_f64 v[195:196], v[195:196], v[197:198], v[195:196]
	v_div_scale_f64 v[197:198], vcc_lo, 1.0, v[190:191], 1.0
	v_mul_f64 v[199:200], v[197:198], v[195:196]
	v_fma_f64 v[192:193], -v[192:193], v[199:200], v[197:198]
	v_div_fmas_f64 v[192:193], v[192:193], v[195:196], v[199:200]
	v_div_fixup_f64 v[190:191], v[192:193], v[190:191], 1.0
	ds_write_b64 v1, v[190:191]
.LBB63_149:
	s_or_b32 exec_lo, exec_lo, s1
	s_waitcnt lgkmcnt(0)
	s_barrier
	buffer_gl0_inv
	ds_read_b64 v[190:191], v1
	s_mov_b32 s1, exec_lo
	v_cmpx_lt_u32_e32 29, v0
	s_cbranch_execz .LBB63_151
; %bb.150:
	s_waitcnt lgkmcnt(0)
	v_mul_f64 v[116:117], v[190:191], v[116:117]
	ds_read2_b64 v[195:198], v194 offset0:30 offset1:31
	s_waitcnt lgkmcnt(0)
	v_fma_f64 v[118:119], -v[116:117], v[195:196], v[118:119]
	v_fma_f64 v[122:123], -v[116:117], v[197:198], v[122:123]
.LBB63_151:
	s_or_b32 exec_lo, exec_lo, s1
	s_mov_b32 s1, exec_lo
	s_waitcnt lgkmcnt(0)
	s_barrier
	buffer_gl0_inv
	v_cmpx_eq_u32_e32 30, v0
	s_cbranch_execz .LBB63_154
; %bb.152:
	ds_write_b64 v1, v[118:119]
	ds_write_b64 v194, v[122:123] offset:248
	ds_read_b64 v[192:193], v1
	s_waitcnt lgkmcnt(0)
	v_cmp_neq_f64_e32 vcc_lo, 0, v[192:193]
	s_and_b32 exec_lo, exec_lo, vcc_lo
	s_cbranch_execz .LBB63_154
; %bb.153:
	v_div_scale_f64 v[195:196], null, v[192:193], v[192:193], 1.0
	v_rcp_f64_e32 v[197:198], v[195:196]
	v_fma_f64 v[199:200], -v[195:196], v[197:198], 1.0
	v_fma_f64 v[197:198], v[197:198], v[199:200], v[197:198]
	v_fma_f64 v[199:200], -v[195:196], v[197:198], 1.0
	v_fma_f64 v[197:198], v[197:198], v[199:200], v[197:198]
	v_div_scale_f64 v[199:200], vcc_lo, 1.0, v[192:193], 1.0
	v_mul_f64 v[201:202], v[199:200], v[197:198]
	v_fma_f64 v[195:196], -v[195:196], v[201:202], v[199:200]
	v_div_fmas_f64 v[195:196], v[195:196], v[197:198], v[201:202]
	v_div_fixup_f64 v[192:193], v[195:196], v[192:193], 1.0
	ds_write_b64 v1, v[192:193]
.LBB63_154:
	s_or_b32 exec_lo, exec_lo, s1
	s_waitcnt lgkmcnt(0)
	s_barrier
	buffer_gl0_inv
	ds_read_b64 v[192:193], v1
	s_mov_b32 s1, exec_lo
	v_cmpx_lt_u32_e32 30, v0
	s_cbranch_execz .LBB63_156
; %bb.155:
	s_waitcnt lgkmcnt(0)
	v_mul_f64 v[118:119], v[192:193], v[118:119]
	ds_read_b64 v[194:195], v194 offset:248
	s_waitcnt lgkmcnt(0)
	v_fma_f64 v[122:123], -v[118:119], v[194:195], v[122:123]
.LBB63_156:
	s_or_b32 exec_lo, exec_lo, s1
	s_mov_b32 s1, exec_lo
	s_waitcnt lgkmcnt(0)
	s_barrier
	buffer_gl0_inv
	v_cmpx_eq_u32_e32 31, v0
	s_cbranch_execz .LBB63_159
; %bb.157:
	v_cmp_neq_f64_e32 vcc_lo, 0, v[122:123]
	ds_write_b64 v1, v[122:123]
	s_and_b32 exec_lo, exec_lo, vcc_lo
	s_cbranch_execz .LBB63_159
; %bb.158:
	v_div_scale_f64 v[194:195], null, v[122:123], v[122:123], 1.0
	v_rcp_f64_e32 v[196:197], v[194:195]
	v_fma_f64 v[198:199], -v[194:195], v[196:197], 1.0
	v_fma_f64 v[196:197], v[196:197], v[198:199], v[196:197]
	v_fma_f64 v[198:199], -v[194:195], v[196:197], 1.0
	v_fma_f64 v[196:197], v[196:197], v[198:199], v[196:197]
	v_div_scale_f64 v[198:199], vcc_lo, 1.0, v[122:123], 1.0
	v_mul_f64 v[200:201], v[198:199], v[196:197]
	v_fma_f64 v[194:195], -v[194:195], v[200:201], v[198:199]
	v_div_fmas_f64 v[194:195], v[194:195], v[196:197], v[200:201]
	v_div_fixup_f64 v[194:195], v[194:195], v[122:123], 1.0
	ds_write_b64 v1, v[194:195]
.LBB63_159:
	s_or_b32 exec_lo, exec_lo, s1
	s_waitcnt lgkmcnt(0)
	s_barrier
	buffer_gl0_inv
	ds_read_b64 v[194:195], v1
	s_waitcnt lgkmcnt(0)
	s_barrier
	buffer_gl0_inv
	s_and_saveexec_b32 s6, s0
	s_cbranch_execz .LBB63_162
; %bb.160:
	v_cmp_eq_f64_e32 vcc_lo, 0, v[132:133]
	v_cmp_neq_f64_e64 s0, 0, v[134:135]
	v_cmp_eq_f64_e64 s1, 0, v[136:137]
	v_cmp_eq_f64_e64 s2, 0, v[138:139]
	s_load_dwordx2 s[4:5], s[4:5], 0x28
	v_cndmask_b32_e64 v1, 0, 1, vcc_lo
	s_or_b32 vcc_lo, s0, vcc_lo
	v_cndmask_b32_e32 v132, 2, v1, vcc_lo
	v_lshlrev_b64 v[1:2], 2, v[2:3]
	v_cmp_eq_f64_e32 vcc_lo, 0, v[140:141]
	v_cmp_eq_u32_e64 s0, 0, v132
	s_waitcnt lgkmcnt(0)
	v_add_co_u32 v1, s3, s4, v1
	v_add_co_ci_u32_e64 v2, null, s5, v2, s3
	s_and_b32 s0, s1, s0
	v_cmp_eq_f64_e64 s1, 0, v[142:143]
	v_cndmask_b32_e64 v3, v132, 3, s0
	global_load_dword v132, v[1:2], off
	v_cmp_eq_u32_e64 s0, 0, v3
	s_and_b32 s0, s2, s0
	v_cmp_eq_f64_e64 s2, 0, v[144:145]
	v_cndmask_b32_e64 v3, v3, 4, s0
	v_cmp_eq_u32_e64 s0, 0, v3
	s_and_b32 s0, vcc_lo, s0
	v_cndmask_b32_e64 v3, v3, 5, s0
	v_cmp_eq_f64_e64 s0, 0, v[146:147]
	v_cmp_eq_u32_e32 vcc_lo, 0, v3
	s_and_b32 s1, s1, vcc_lo
	v_cndmask_b32_e64 v3, v3, 6, s1
	v_cmp_eq_f64_e64 s1, 0, v[148:149]
	v_cmp_eq_u32_e32 vcc_lo, 0, v3
	s_and_b32 s2, s2, vcc_lo
	;; [unrolled: 4-line block ×25, first 2 shown]
	v_cndmask_b32_e64 v3, v3, 30, s1
	v_cmp_eq_u32_e32 vcc_lo, 0, v3
	s_and_b32 s1, s2, vcc_lo
	v_cndmask_b32_e64 v3, v3, 31, s1
	v_cmp_eq_u32_e32 vcc_lo, 0, v3
	s_and_b32 s0, s0, vcc_lo
	s_waitcnt vmcnt(0)
	v_cmp_eq_u32_e32 vcc_lo, 0, v132
	v_cndmask_b32_e64 v3, v3, 32, s0
	v_cmp_ne_u32_e64 s0, 0, v3
	s_and_b32 s0, vcc_lo, s0
	s_and_b32 exec_lo, exec_lo, s0
	s_cbranch_execz .LBB63_162
; %bb.161:
	v_add_nc_u32_e32 v3, s9, v3
	global_store_dword v[1:2], v3, off
.LBB63_162:
	s_or_b32 exec_lo, exec_lo, s6
	v_mul_f64 v[1:2], v[194:195], v[122:123]
	v_cmp_lt_u32_e32 vcc_lo, 31, v0
	flat_store_dwordx2 v[64:65], v[124:125]
	flat_store_dwordx2 v[114:115], v[128:129]
	;; [unrolled: 1-line block ×19, first 2 shown]
	v_cndmask_b32_e32 v2, v123, v2, vcc_lo
	v_cndmask_b32_e32 v1, v122, v1, vcc_lo
	flat_store_dwordx2 v[36:37], v[74:75]
	flat_store_dwordx2 v[40:41], v[82:83]
	flat_store_dwordx2 v[42:43], v[72:73]
	flat_store_dwordx2 v[44:45], v[80:81]
	flat_store_dwordx2 v[46:47], v[70:71]
	flat_store_dwordx2 v[48:49], v[78:79]
	flat_store_dwordx2 v[50:51], v[68:69]
	flat_store_dwordx2 v[52:53], v[76:77]
	flat_store_dwordx2 v[54:55], v[66:67]
	flat_store_dwordx2 v[56:57], v[120:121]
	flat_store_dwordx2 v[58:59], v[116:117]
	flat_store_dwordx2 v[60:61], v[118:119]
	flat_store_dwordx2 v[62:63], v[1:2]
.LBB63_163:
	s_endpgm
	.section	.rodata,"a",@progbits
	.p2align	6, 0x0
	.amdhsa_kernel _ZN9rocsolver6v33100L23getf2_npvt_small_kernelILi32EdiiPKPdEEvT1_T3_lS5_lPT2_S5_S5_
		.amdhsa_group_segment_fixed_size 0
		.amdhsa_private_segment_fixed_size 0
		.amdhsa_kernarg_size 312
		.amdhsa_user_sgpr_count 6
		.amdhsa_user_sgpr_private_segment_buffer 1
		.amdhsa_user_sgpr_dispatch_ptr 0
		.amdhsa_user_sgpr_queue_ptr 0
		.amdhsa_user_sgpr_kernarg_segment_ptr 1
		.amdhsa_user_sgpr_dispatch_id 0
		.amdhsa_user_sgpr_flat_scratch_init 0
		.amdhsa_user_sgpr_private_segment_size 0
		.amdhsa_wavefront_size32 1
		.amdhsa_uses_dynamic_stack 0
		.amdhsa_system_sgpr_private_segment_wavefront_offset 0
		.amdhsa_system_sgpr_workgroup_id_x 1
		.amdhsa_system_sgpr_workgroup_id_y 1
		.amdhsa_system_sgpr_workgroup_id_z 0
		.amdhsa_system_sgpr_workgroup_info 0
		.amdhsa_system_vgpr_workitem_id 1
		.amdhsa_next_free_vgpr 203
		.amdhsa_next_free_sgpr 11
		.amdhsa_reserve_vcc 1
		.amdhsa_reserve_flat_scratch 1
		.amdhsa_float_round_mode_32 0
		.amdhsa_float_round_mode_16_64 0
		.amdhsa_float_denorm_mode_32 3
		.amdhsa_float_denorm_mode_16_64 3
		.amdhsa_dx10_clamp 1
		.amdhsa_ieee_mode 1
		.amdhsa_fp16_overflow 0
		.amdhsa_workgroup_processor_mode 1
		.amdhsa_memory_ordered 1
		.amdhsa_forward_progress 1
		.amdhsa_shared_vgpr_count 0
		.amdhsa_exception_fp_ieee_invalid_op 0
		.amdhsa_exception_fp_denorm_src 0
		.amdhsa_exception_fp_ieee_div_zero 0
		.amdhsa_exception_fp_ieee_overflow 0
		.amdhsa_exception_fp_ieee_underflow 0
		.amdhsa_exception_fp_ieee_inexact 0
		.amdhsa_exception_int_div_zero 0
	.end_amdhsa_kernel
	.section	.text._ZN9rocsolver6v33100L23getf2_npvt_small_kernelILi32EdiiPKPdEEvT1_T3_lS5_lPT2_S5_S5_,"axG",@progbits,_ZN9rocsolver6v33100L23getf2_npvt_small_kernelILi32EdiiPKPdEEvT1_T3_lS5_lPT2_S5_S5_,comdat
.Lfunc_end63:
	.size	_ZN9rocsolver6v33100L23getf2_npvt_small_kernelILi32EdiiPKPdEEvT1_T3_lS5_lPT2_S5_S5_, .Lfunc_end63-_ZN9rocsolver6v33100L23getf2_npvt_small_kernelILi32EdiiPKPdEEvT1_T3_lS5_lPT2_S5_S5_
                                        ; -- End function
	.set _ZN9rocsolver6v33100L23getf2_npvt_small_kernelILi32EdiiPKPdEEvT1_T3_lS5_lPT2_S5_S5_.num_vgpr, 203
	.set _ZN9rocsolver6v33100L23getf2_npvt_small_kernelILi32EdiiPKPdEEvT1_T3_lS5_lPT2_S5_S5_.num_agpr, 0
	.set _ZN9rocsolver6v33100L23getf2_npvt_small_kernelILi32EdiiPKPdEEvT1_T3_lS5_lPT2_S5_S5_.numbered_sgpr, 11
	.set _ZN9rocsolver6v33100L23getf2_npvt_small_kernelILi32EdiiPKPdEEvT1_T3_lS5_lPT2_S5_S5_.num_named_barrier, 0
	.set _ZN9rocsolver6v33100L23getf2_npvt_small_kernelILi32EdiiPKPdEEvT1_T3_lS5_lPT2_S5_S5_.private_seg_size, 0
	.set _ZN9rocsolver6v33100L23getf2_npvt_small_kernelILi32EdiiPKPdEEvT1_T3_lS5_lPT2_S5_S5_.uses_vcc, 1
	.set _ZN9rocsolver6v33100L23getf2_npvt_small_kernelILi32EdiiPKPdEEvT1_T3_lS5_lPT2_S5_S5_.uses_flat_scratch, 1
	.set _ZN9rocsolver6v33100L23getf2_npvt_small_kernelILi32EdiiPKPdEEvT1_T3_lS5_lPT2_S5_S5_.has_dyn_sized_stack, 0
	.set _ZN9rocsolver6v33100L23getf2_npvt_small_kernelILi32EdiiPKPdEEvT1_T3_lS5_lPT2_S5_S5_.has_recursion, 0
	.set _ZN9rocsolver6v33100L23getf2_npvt_small_kernelILi32EdiiPKPdEEvT1_T3_lS5_lPT2_S5_S5_.has_indirect_call, 0
	.section	.AMDGPU.csdata,"",@progbits
; Kernel info:
; codeLenInByte = 20096
; TotalNumSgprs: 13
; NumVgprs: 203
; ScratchSize: 0
; MemoryBound: 0
; FloatMode: 240
; IeeeMode: 1
; LDSByteSize: 0 bytes/workgroup (compile time only)
; SGPRBlocks: 0
; VGPRBlocks: 25
; NumSGPRsForWavesPerEU: 13
; NumVGPRsForWavesPerEU: 203
; Occupancy: 4
; WaveLimiterHint : 1
; COMPUTE_PGM_RSRC2:SCRATCH_EN: 0
; COMPUTE_PGM_RSRC2:USER_SGPR: 6
; COMPUTE_PGM_RSRC2:TRAP_HANDLER: 0
; COMPUTE_PGM_RSRC2:TGID_X_EN: 1
; COMPUTE_PGM_RSRC2:TGID_Y_EN: 1
; COMPUTE_PGM_RSRC2:TGID_Z_EN: 0
; COMPUTE_PGM_RSRC2:TIDIG_COMP_CNT: 1
	.section	.text._ZN9rocsolver6v33100L18getf2_small_kernelILi33EdiiPKPdEEvT1_T3_lS5_lPS5_llPT2_S5_S5_S7_l,"axG",@progbits,_ZN9rocsolver6v33100L18getf2_small_kernelILi33EdiiPKPdEEvT1_T3_lS5_lPS5_llPT2_S5_S5_S7_l,comdat
	.globl	_ZN9rocsolver6v33100L18getf2_small_kernelILi33EdiiPKPdEEvT1_T3_lS5_lPS5_llPT2_S5_S5_S7_l ; -- Begin function _ZN9rocsolver6v33100L18getf2_small_kernelILi33EdiiPKPdEEvT1_T3_lS5_lPS5_llPT2_S5_S5_S7_l
	.p2align	8
	.type	_ZN9rocsolver6v33100L18getf2_small_kernelILi33EdiiPKPdEEvT1_T3_lS5_lPS5_llPT2_S5_S5_S7_l,@function
_ZN9rocsolver6v33100L18getf2_small_kernelILi33EdiiPKPdEEvT1_T3_lS5_lPS5_llPT2_S5_S5_S7_l: ; @_ZN9rocsolver6v33100L18getf2_small_kernelILi33EdiiPKPdEEvT1_T3_lS5_lPS5_llPT2_S5_S5_S7_l
; %bb.0:
	s_clause 0x1
	s_load_dword s0, s[4:5], 0x6c
	s_load_dwordx2 s[12:13], s[4:5], 0x48
	s_waitcnt lgkmcnt(0)
	s_lshr_b32 s0, s0, 16
	v_mad_u64_u32 v[2:3], null, s7, s0, v[1:2]
	s_mov_b32 s0, exec_lo
	v_cmpx_gt_i32_e64 s12, v2
	s_cbranch_execz .LBB64_558
; %bb.1:
	s_clause 0x1
	s_load_dwordx4 s[0:3], s[4:5], 0x8
	s_load_dwordx4 s[8:11], s[4:5], 0x50
	v_ashrrev_i32_e32 v3, 31, v2
	v_lshlrev_b64 v[4:5], 3, v[2:3]
	s_waitcnt lgkmcnt(0)
	v_add_co_u32 v4, vcc_lo, s0, v4
	v_add_co_ci_u32_e64 v5, null, s1, v5, vcc_lo
	s_cmp_eq_u64 s[8:9], 0
	s_cselect_b32 s6, -1, 0
	global_load_dwordx2 v[6:7], v[4:5], off
	v_mov_b32_e32 v4, 0
	v_mov_b32_e32 v5, 0
	s_and_b32 vcc_lo, exec_lo, s6
	s_cbranch_vccnz .LBB64_3
; %bb.2:
	v_mul_lo_u32 v8, s11, v2
	v_mul_lo_u32 v9, s10, v3
	v_mad_u64_u32 v[4:5], null, s10, v2, 0
	v_add3_u32 v5, v5, v9, v8
	v_lshlrev_b64 v[4:5], 2, v[4:5]
	v_add_co_u32 v4, vcc_lo, s8, v4
	v_add_co_ci_u32_e64 v5, null, s9, v5, vcc_lo
.LBB64_3:
	s_clause 0x1
	s_load_dword s8, s[4:5], 0x18
	s_load_dword s7, s[4:5], 0x0
	s_lshl_b64 s[0:1], s[2:3], 3
	v_lshlrev_b32_e32 v104, 3, v0
	s_waitcnt vmcnt(0)
	v_add_co_u32 v76, vcc_lo, v6, s0
	v_add_co_ci_u32_e64 v77, null, s1, v7, vcc_lo
	s_waitcnt lgkmcnt(0)
	v_add3_u32 v8, s8, s8, v0
	s_ashr_i32 s9, s8, 31
	s_max_i32 s0, s7, 33
	s_lshl_b64 s[10:11], s[8:9], 3
	v_mul_lo_u32 v1, s0, v1
	v_add_nc_u32_e32 v10, s8, v8
	v_ashrrev_i32_e32 v9, 31, v8
	s_cmp_lt_i32 s7, 2
	v_ashrrev_i32_e32 v11, 31, v10
	v_add_nc_u32_e32 v12, s8, v10
	v_lshlrev_b64 v[8:9], 3, v[8:9]
	v_lshlrev_b64 v[6:7], 3, v[10:11]
	v_add_nc_u32_e32 v10, s8, v12
	v_ashrrev_i32_e32 v13, 31, v12
	v_add_co_u32 v8, vcc_lo, v76, v8
	v_add_co_ci_u32_e64 v9, null, v77, v9, vcc_lo
	v_add_nc_u32_e32 v14, s8, v10
	v_ashrrev_i32_e32 v11, 31, v10
	v_lshlrev_b64 v[12:13], 3, v[12:13]
	v_add_co_u32 v6, vcc_lo, v76, v6
	v_add_nc_u32_e32 v16, s8, v14
	v_ashrrev_i32_e32 v15, 31, v14
	v_lshlrev_b64 v[10:11], 3, v[10:11]
	v_add_co_ci_u32_e64 v7, null, v77, v7, vcc_lo
	v_add_nc_u32_e32 v18, s8, v16
	v_ashrrev_i32_e32 v17, 31, v16
	v_lshlrev_b64 v[14:15], 3, v[14:15]
	v_add_co_u32 v12, vcc_lo, v76, v12
	v_add_nc_u32_e32 v20, s8, v18
	v_ashrrev_i32_e32 v19, 31, v18
	v_lshlrev_b64 v[16:17], 3, v[16:17]
	v_add_co_ci_u32_e64 v13, null, v77, v13, vcc_lo
	v_add_nc_u32_e32 v22, s8, v20
	v_ashrrev_i32_e32 v21, 31, v20
	v_add_co_u32 v10, vcc_lo, v76, v10
	v_lshlrev_b64 v[18:19], 3, v[18:19]
	v_add_nc_u32_e32 v24, s8, v22
	v_ashrrev_i32_e32 v23, 31, v22
	v_add_co_ci_u32_e64 v11, null, v77, v11, vcc_lo
	v_add_co_u32 v14, vcc_lo, v76, v14
	v_add_nc_u32_e32 v26, s8, v24
	v_ashrrev_i32_e32 v25, 31, v24
	v_lshlrev_b64 v[20:21], 3, v[20:21]
	v_add_co_ci_u32_e64 v15, null, v77, v15, vcc_lo
	v_add_nc_u32_e32 v28, s8, v26
	v_ashrrev_i32_e32 v27, 31, v26
	v_add_co_u32 v16, vcc_lo, v76, v16
	v_lshlrev_b64 v[22:23], 3, v[22:23]
	v_add_nc_u32_e32 v30, s8, v28
	v_ashrrev_i32_e32 v29, 31, v28
	v_add_co_ci_u32_e64 v17, null, v77, v17, vcc_lo
	v_add_co_u32 v18, vcc_lo, v76, v18
	v_add_nc_u32_e32 v32, s8, v30
	v_lshlrev_b64 v[24:25], 3, v[24:25]
	v_ashrrev_i32_e32 v31, 31, v30
	v_add_co_ci_u32_e64 v19, null, v77, v19, vcc_lo
	v_add_nc_u32_e32 v34, s8, v32
	v_add_co_u32 v20, vcc_lo, v76, v20
	v_lshlrev_b64 v[26:27], 3, v[26:27]
	v_ashrrev_i32_e32 v33, 31, v32
	v_add_nc_u32_e32 v36, s8, v34
	v_add_co_ci_u32_e64 v21, null, v77, v21, vcc_lo
	v_add_co_u32 v22, vcc_lo, v76, v22
	v_lshlrev_b64 v[28:29], 3, v[28:29]
	v_ashrrev_i32_e32 v35, 31, v34
	v_add_nc_u32_e32 v38, s8, v36
	v_add_co_ci_u32_e64 v23, null, v77, v23, vcc_lo
	v_add_co_u32 v24, vcc_lo, v76, v24
	v_lshlrev_b64 v[30:31], 3, v[30:31]
	v_ashrrev_i32_e32 v37, 31, v36
	v_add_co_ci_u32_e64 v25, null, v77, v25, vcc_lo
	v_add_co_u32 v26, vcc_lo, v76, v26
	v_lshlrev_b64 v[32:33], 3, v[32:33]
	v_add_co_ci_u32_e64 v27, null, v77, v27, vcc_lo
	v_add_co_u32 v28, vcc_lo, v76, v28
	v_lshlrev_b64 v[34:35], 3, v[34:35]
	v_add_nc_u32_e32 v40, s8, v38
	v_add_co_ci_u32_e64 v29, null, v77, v29, vcc_lo
	v_add_co_u32 v30, vcc_lo, v76, v30
	v_lshlrev_b64 v[36:37], 3, v[36:37]
	v_ashrrev_i32_e32 v39, 31, v38
	v_add_co_ci_u32_e64 v31, null, v77, v31, vcc_lo
	v_add_co_u32 v32, vcc_lo, v76, v32
	v_ashrrev_i32_e32 v41, 31, v40
	v_add_nc_u32_e32 v42, s8, v40
	v_add_co_ci_u32_e64 v33, null, v77, v33, vcc_lo
	v_add_co_u32 v34, vcc_lo, v76, v34
	v_lshlrev_b64 v[38:39], 3, v[38:39]
	v_add_co_ci_u32_e64 v35, null, v77, v35, vcc_lo
	v_add_co_u32 v70, vcc_lo, v76, v36
	v_add_co_ci_u32_e64 v71, null, v77, v37, vcc_lo
	v_lshlrev_b64 v[36:37], 3, v[40:41]
	v_ashrrev_i32_e32 v43, 31, v42
	v_add_nc_u32_e32 v40, s8, v42
	v_add_co_u32 v72, vcc_lo, v76, v38
	v_add_co_ci_u32_e64 v73, null, v77, v39, vcc_lo
	v_lshlrev_b64 v[38:39], 3, v[42:43]
	v_ashrrev_i32_e32 v41, 31, v40
	v_add_nc_u32_e32 v42, s8, v40
	;; [unrolled: 5-line block ×10, first 2 shown]
	v_add_co_u32 v92, vcc_lo, v76, v36
	v_add_co_ci_u32_e64 v93, null, v77, v37, vcc_lo
	v_lshlrev_b64 v[36:37], 3, v[40:41]
	v_add_nc_u32_e32 v40, s8, v42
	v_ashrrev_i32_e32 v43, 31, v42
	v_add_co_u32 v94, vcc_lo, v76, v38
	v_add_co_ci_u32_e64 v95, null, v77, v39, vcc_lo
	v_ashrrev_i32_e32 v41, 31, v40
	v_lshlrev_b64 v[38:39], 3, v[42:43]
	v_add_co_u32 v96, vcc_lo, v76, v36
	v_add_co_ci_u32_e64 v97, null, v77, v37, vcc_lo
	v_lshlrev_b64 v[36:37], 3, v[40:41]
	v_add_nc_u32_e32 v40, s8, v40
	v_add_co_u32 v98, vcc_lo, v76, v38
	v_add_co_ci_u32_e64 v99, null, v77, v39, vcc_lo
	v_ashrrev_i32_e32 v41, 31, v40
	v_add_co_u32 v100, vcc_lo, v76, v36
	v_add_co_ci_u32_e64 v101, null, v77, v37, vcc_lo
	v_add_co_u32 v38, vcc_lo, v76, v104
	v_add_co_ci_u32_e64 v39, null, 0, v77, vcc_lo
	v_lshlrev_b64 v[36:37], 3, v[40:41]
	v_add_co_u32 v40, vcc_lo, v38, s10
	v_add_co_ci_u32_e64 v41, null, s11, v39, vcc_lo
	v_add_co_u32 v102, vcc_lo, v76, v36
	v_add_co_ci_u32_e64 v103, null, v77, v37, vcc_lo
	s_clause 0x20
	flat_load_dwordx2 v[68:69], v[38:39]
	flat_load_dwordx2 v[64:65], v[40:41]
	;; [unrolled: 1-line block ×33, first 2 shown]
	v_lshl_add_u32 v78, v1, 3, 0
	v_lshlrev_b32_e32 v79, 3, v1
	v_mov_b32_e32 v74, 0
	v_add_nc_u32_e32 v72, v78, v104
	s_waitcnt vmcnt(32) lgkmcnt(32)
	ds_write_b64 v72, v[68:69]
	s_waitcnt vmcnt(0) lgkmcnt(0)
	s_barrier
	buffer_gl0_inv
	ds_read_b64 v[72:73], v78
	s_cbranch_scc1 .LBB64_6
; %bb.4:
	v_add3_u32 v1, v79, 0, 8
	v_mov_b32_e32 v74, 0
	s_mov_b32 s0, 1
.LBB64_5:                               ; =>This Inner Loop Header: Depth=1
	ds_read_b64 v[80:81], v1
	v_add_nc_u32_e32 v1, 8, v1
	s_waitcnt lgkmcnt(0)
	v_cmp_lt_f64_e64 vcc_lo, |v[72:73]|, |v[80:81]|
	v_cndmask_b32_e32 v73, v73, v81, vcc_lo
	v_cndmask_b32_e32 v72, v72, v80, vcc_lo
	v_cndmask_b32_e64 v74, v74, s0, vcc_lo
	s_add_i32 s0, s0, 1
	s_cmp_eq_u32 s7, s0
	s_cbranch_scc0 .LBB64_5
.LBB64_6:
	s_mov_b32 s0, exec_lo
                                        ; implicit-def: $vgpr81
	v_cmpx_ne_u32_e64 v0, v74
	s_xor_b32 s0, exec_lo, s0
	s_cbranch_execz .LBB64_12
; %bb.7:
	s_mov_b32 s1, exec_lo
	v_cmpx_eq_u32_e32 0, v0
	s_cbranch_execz .LBB64_11
; %bb.8:
	v_cmp_ne_u32_e32 vcc_lo, 0, v74
	s_xor_b32 s2, s6, -1
	s_and_b32 s3, s2, vcc_lo
	s_and_saveexec_b32 s2, s3
	s_cbranch_execz .LBB64_10
; %bb.9:
	v_ashrrev_i32_e32 v75, 31, v74
	v_lshlrev_b64 v[0:1], 2, v[74:75]
	v_add_co_u32 v0, vcc_lo, v4, v0
	v_add_co_ci_u32_e64 v1, null, v5, v1, vcc_lo
	s_clause 0x1
	global_load_dword v75, v[0:1], off
	global_load_dword v80, v[4:5], off
	s_waitcnt vmcnt(1)
	global_store_dword v[4:5], v75, off
	s_waitcnt vmcnt(0)
	global_store_dword v[0:1], v80, off
.LBB64_10:
	s_or_b32 exec_lo, exec_lo, s2
	v_mov_b32_e32 v0, v74
.LBB64_11:
	s_or_b32 exec_lo, exec_lo, s1
	v_mov_b32_e32 v81, v0
                                        ; implicit-def: $vgpr0
.LBB64_12:
	s_or_saveexec_b32 s0, s0
	v_mov_b32_e32 v75, v81
	s_xor_b32 exec_lo, exec_lo, s0
	s_cbranch_execz .LBB64_14
; %bb.13:
	v_mov_b32_e32 v81, 0
	v_mov_b32_e32 v75, v0
	ds_write2_b64 v78, v[64:65], v[66:67] offset0:1 offset1:2
	ds_write2_b64 v78, v[62:63], v[60:61] offset0:3 offset1:4
	;; [unrolled: 1-line block ×16, first 2 shown]
.LBB64_14:
	s_or_b32 exec_lo, exec_lo, s0
	s_waitcnt lgkmcnt(0)
	v_cmp_eq_f64_e64 s0, 0, v[72:73]
	s_mov_b32 s1, exec_lo
	s_waitcnt_vscnt null, 0x0
	s_barrier
	buffer_gl0_inv
	v_cmpx_lt_i32_e32 0, v81
	s_cbranch_execz .LBB64_16
; %bb.15:
	v_div_scale_f64 v[0:1], null, v[72:73], v[72:73], 1.0
	v_div_scale_f64 v[86:87], vcc_lo, 1.0, v[72:73], 1.0
	v_rcp_f64_e32 v[82:83], v[0:1]
	v_fma_f64 v[84:85], -v[0:1], v[82:83], 1.0
	v_fma_f64 v[82:83], v[82:83], v[84:85], v[82:83]
	v_fma_f64 v[84:85], -v[0:1], v[82:83], 1.0
	v_fma_f64 v[82:83], v[82:83], v[84:85], v[82:83]
	v_mul_f64 v[84:85], v[86:87], v[82:83]
	v_fma_f64 v[0:1], -v[0:1], v[84:85], v[86:87]
	v_div_fmas_f64 v[0:1], v[0:1], v[82:83], v[84:85]
	ds_read2_b64 v[82:85], v78 offset0:1 offset1:2
	ds_read2_b64 v[86:89], v78 offset0:3 offset1:4
	;; [unrolled: 1-line block ×16, first 2 shown]
	v_div_fixup_f64 v[0:1], v[0:1], v[72:73], 1.0
	v_cndmask_b32_e64 v1, v1, v73, s0
	v_cndmask_b32_e64 v0, v0, v72, s0
	v_mul_f64 v[68:69], v[0:1], v[68:69]
	s_waitcnt lgkmcnt(15)
	v_fma_f64 v[64:65], -v[68:69], v[82:83], v[64:65]
	v_fma_f64 v[66:67], -v[68:69], v[84:85], v[66:67]
	s_waitcnt lgkmcnt(14)
	v_fma_f64 v[62:63], -v[68:69], v[86:87], v[62:63]
	v_fma_f64 v[60:61], -v[68:69], v[88:89], v[60:61]
	;; [unrolled: 3-line block ×16, first 2 shown]
.LBB64_16:
	s_or_b32 exec_lo, exec_lo, s1
	v_lshl_add_u32 v0, v81, 3, v78
	s_barrier
	buffer_gl0_inv
	v_mov_b32_e32 v72, 1
	ds_write_b64 v0, v[64:65]
	s_waitcnt lgkmcnt(0)
	s_barrier
	buffer_gl0_inv
	ds_read_b64 v[0:1], v78 offset:8
	s_cmp_lt_i32 s7, 3
	s_cbranch_scc1 .LBB64_19
; %bb.17:
	v_add3_u32 v73, v79, 0, 16
	v_mov_b32_e32 v72, 1
	s_mov_b32 s1, 2
.LBB64_18:                              ; =>This Inner Loop Header: Depth=1
	ds_read_b64 v[82:83], v73
	v_add_nc_u32_e32 v73, 8, v73
	s_waitcnt lgkmcnt(0)
	v_cmp_lt_f64_e64 vcc_lo, |v[0:1]|, |v[82:83]|
	v_cndmask_b32_e32 v1, v1, v83, vcc_lo
	v_cndmask_b32_e32 v0, v0, v82, vcc_lo
	v_cndmask_b32_e64 v72, v72, s1, vcc_lo
	s_add_i32 s1, s1, 1
	s_cmp_lg_u32 s7, s1
	s_cbranch_scc1 .LBB64_18
.LBB64_19:
	s_mov_b32 s1, exec_lo
	v_cmpx_ne_u32_e64 v81, v72
	s_xor_b32 s1, exec_lo, s1
	s_cbranch_execz .LBB64_25
; %bb.20:
	s_mov_b32 s2, exec_lo
	v_cmpx_eq_u32_e32 1, v81
	s_cbranch_execz .LBB64_24
; %bb.21:
	v_cmp_ne_u32_e32 vcc_lo, 1, v72
	s_xor_b32 s3, s6, -1
	s_and_b32 s9, s3, vcc_lo
	s_and_saveexec_b32 s3, s9
	s_cbranch_execz .LBB64_23
; %bb.22:
	v_ashrrev_i32_e32 v73, 31, v72
	v_lshlrev_b64 v[73:74], 2, v[72:73]
	v_add_co_u32 v73, vcc_lo, v4, v73
	v_add_co_ci_u32_e64 v74, null, v5, v74, vcc_lo
	s_clause 0x1
	global_load_dword v75, v[73:74], off
	global_load_dword v80, v[4:5], off offset:4
	s_waitcnt vmcnt(1)
	global_store_dword v[4:5], v75, off offset:4
	s_waitcnt vmcnt(0)
	global_store_dword v[73:74], v80, off
.LBB64_23:
	s_or_b32 exec_lo, exec_lo, s3
	v_mov_b32_e32 v75, v72
	v_mov_b32_e32 v81, v72
.LBB64_24:
	s_or_b32 exec_lo, exec_lo, s2
.LBB64_25:
	s_andn2_saveexec_b32 s1, s1
	s_cbranch_execz .LBB64_27
; %bb.26:
	v_mov_b32_e32 v72, v66
	v_mov_b32_e32 v73, v67
	;; [unrolled: 1-line block ×8, first 2 shown]
	ds_write2_b64 v78, v[72:73], v[80:81] offset0:2 offset1:3
	v_mov_b32_e32 v72, v58
	v_mov_b32_e32 v73, v59
	;; [unrolled: 1-line block ×16, first 2 shown]
	ds_write2_b64 v78, v[82:83], v[72:73] offset0:4 offset1:5
	ds_write2_b64 v78, v[80:81], v[84:85] offset0:6 offset1:7
	ds_write2_b64 v78, v[86:87], v[88:89] offset0:8 offset1:9
	ds_write2_b64 v78, v[90:91], v[92:93] offset0:10 offset1:11
	ds_write2_b64 v78, v[94:95], v[96:97] offset0:12 offset1:13
	v_mov_b32_e32 v72, v40
	v_mov_b32_e32 v73, v41
	v_mov_b32_e32 v80, v38
	v_mov_b32_e32 v81, v39
	v_mov_b32_e32 v82, v36
	v_mov_b32_e32 v83, v37
	v_mov_b32_e32 v84, v34
	v_mov_b32_e32 v85, v35
	v_mov_b32_e32 v86, v32
	v_mov_b32_e32 v87, v33
	v_mov_b32_e32 v88, v28
	v_mov_b32_e32 v89, v29
	v_mov_b32_e32 v90, v30
	v_mov_b32_e32 v91, v31
	v_mov_b32_e32 v92, v24
	v_mov_b32_e32 v93, v25
	v_mov_b32_e32 v94, v26
	v_mov_b32_e32 v95, v27
	v_mov_b32_e32 v96, v22
	v_mov_b32_e32 v97, v23
	ds_write2_b64 v78, v[72:73], v[80:81] offset0:14 offset1:15
	ds_write2_b64 v78, v[82:83], v[84:85] offset0:16 offset1:17
	;; [unrolled: 1-line block ×5, first 2 shown]
	v_mov_b32_e32 v72, v20
	v_mov_b32_e32 v73, v21
	;; [unrolled: 1-line block ×8, first 2 shown]
	ds_write2_b64 v78, v[72:73], v[80:81] offset0:24 offset1:25
	v_mov_b32_e32 v81, 1
	v_mov_b32_e32 v86, v12
	;; [unrolled: 1-line block ×9, first 2 shown]
	ds_write2_b64 v78, v[82:83], v[84:85] offset0:26 offset1:27
	ds_write2_b64 v78, v[86:87], v[88:89] offset0:28 offset1:29
	;; [unrolled: 1-line block ×3, first 2 shown]
	ds_write_b64 v78, v[70:71] offset:256
.LBB64_27:
	s_or_b32 exec_lo, exec_lo, s1
	s_waitcnt lgkmcnt(0)
	v_cmp_neq_f64_e64 s1, 0, v[0:1]
	s_mov_b32 s2, exec_lo
	s_waitcnt_vscnt null, 0x0
	s_barrier
	buffer_gl0_inv
	v_cmpx_lt_i32_e32 1, v81
	s_cbranch_execz .LBB64_29
; %bb.28:
	v_div_scale_f64 v[72:73], null, v[0:1], v[0:1], 1.0
	v_div_scale_f64 v[86:87], vcc_lo, 1.0, v[0:1], 1.0
	v_rcp_f64_e32 v[82:83], v[72:73]
	v_fma_f64 v[84:85], -v[72:73], v[82:83], 1.0
	v_fma_f64 v[82:83], v[82:83], v[84:85], v[82:83]
	v_fma_f64 v[84:85], -v[72:73], v[82:83], 1.0
	v_fma_f64 v[82:83], v[82:83], v[84:85], v[82:83]
	v_mul_f64 v[84:85], v[86:87], v[82:83]
	v_fma_f64 v[72:73], -v[72:73], v[84:85], v[86:87]
	v_div_fmas_f64 v[72:73], v[72:73], v[82:83], v[84:85]
	v_div_fixup_f64 v[72:73], v[72:73], v[0:1], 1.0
	v_cndmask_b32_e64 v1, v1, v73, s1
	v_cndmask_b32_e64 v0, v0, v72, s1
	v_mul_f64 v[64:65], v[0:1], v[64:65]
	ds_read2_b64 v[82:85], v78 offset0:2 offset1:3
	ds_read2_b64 v[86:89], v78 offset0:4 offset1:5
	;; [unrolled: 1-line block ×15, first 2 shown]
	ds_read_b64 v[0:1], v78 offset:256
	s_waitcnt lgkmcnt(15)
	v_fma_f64 v[66:67], -v[64:65], v[82:83], v[66:67]
	v_fma_f64 v[62:63], -v[64:65], v[84:85], v[62:63]
	s_waitcnt lgkmcnt(14)
	v_fma_f64 v[60:61], -v[64:65], v[86:87], v[60:61]
	v_fma_f64 v[58:59], -v[64:65], v[88:89], v[58:59]
	;; [unrolled: 3-line block ×15, first 2 shown]
	s_waitcnt lgkmcnt(0)
	v_fma_f64 v[70:71], -v[64:65], v[0:1], v[70:71]
.LBB64_29:
	s_or_b32 exec_lo, exec_lo, s2
	v_lshl_add_u32 v0, v81, 3, v78
	s_barrier
	buffer_gl0_inv
	v_mov_b32_e32 v72, 2
	ds_write_b64 v0, v[66:67]
	s_waitcnt lgkmcnt(0)
	s_barrier
	buffer_gl0_inv
	ds_read_b64 v[0:1], v78 offset:16
	s_cmp_lt_i32 s7, 4
	s_mov_b32 s2, 3
	s_cbranch_scc1 .LBB64_32
; %bb.30:
	v_add3_u32 v73, v79, 0, 24
	v_mov_b32_e32 v72, 2
.LBB64_31:                              ; =>This Inner Loop Header: Depth=1
	ds_read_b64 v[82:83], v73
	v_add_nc_u32_e32 v73, 8, v73
	s_waitcnt lgkmcnt(0)
	v_cmp_lt_f64_e64 vcc_lo, |v[0:1]|, |v[82:83]|
	v_cndmask_b32_e32 v1, v1, v83, vcc_lo
	v_cndmask_b32_e32 v0, v0, v82, vcc_lo
	v_cndmask_b32_e64 v72, v72, s2, vcc_lo
	s_add_i32 s2, s2, 1
	s_cmp_lg_u32 s7, s2
	s_cbranch_scc1 .LBB64_31
.LBB64_32:
	v_cndmask_b32_e64 v73, 2, 1, s0
	v_cndmask_b32_e64 v74, 0, 1, s0
	s_mov_b32 s0, exec_lo
	v_cndmask_b32_e64 v80, v73, v74, s1
	s_waitcnt lgkmcnt(0)
	v_cmpx_eq_f64_e32 0, v[0:1]
	s_xor_b32 s0, exec_lo, s0
; %bb.33:
	v_cmp_ne_u32_e32 vcc_lo, 0, v80
	v_cndmask_b32_e32 v80, 3, v80, vcc_lo
; %bb.34:
	s_andn2_saveexec_b32 s0, s0
	s_cbranch_execz .LBB64_36
; %bb.35:
	v_div_scale_f64 v[73:74], null, v[0:1], v[0:1], 1.0
	v_rcp_f64_e32 v[82:83], v[73:74]
	v_fma_f64 v[84:85], -v[73:74], v[82:83], 1.0
	v_fma_f64 v[82:83], v[82:83], v[84:85], v[82:83]
	v_fma_f64 v[84:85], -v[73:74], v[82:83], 1.0
	v_fma_f64 v[82:83], v[82:83], v[84:85], v[82:83]
	v_div_scale_f64 v[84:85], vcc_lo, 1.0, v[0:1], 1.0
	v_mul_f64 v[86:87], v[84:85], v[82:83]
	v_fma_f64 v[73:74], -v[73:74], v[86:87], v[84:85]
	v_div_fmas_f64 v[73:74], v[73:74], v[82:83], v[86:87]
	v_div_fixup_f64 v[0:1], v[73:74], v[0:1], 1.0
.LBB64_36:
	s_or_b32 exec_lo, exec_lo, s0
	s_mov_b32 s0, exec_lo
	v_cmpx_ne_u32_e64 v81, v72
	s_xor_b32 s0, exec_lo, s0
	s_cbranch_execz .LBB64_42
; %bb.37:
	s_mov_b32 s1, exec_lo
	v_cmpx_eq_u32_e32 2, v81
	s_cbranch_execz .LBB64_41
; %bb.38:
	v_cmp_ne_u32_e32 vcc_lo, 2, v72
	s_xor_b32 s2, s6, -1
	s_and_b32 s3, s2, vcc_lo
	s_and_saveexec_b32 s2, s3
	s_cbranch_execz .LBB64_40
; %bb.39:
	v_ashrrev_i32_e32 v73, 31, v72
	v_lshlrev_b64 v[73:74], 2, v[72:73]
	v_add_co_u32 v73, vcc_lo, v4, v73
	v_add_co_ci_u32_e64 v74, null, v5, v74, vcc_lo
	s_clause 0x1
	global_load_dword v75, v[73:74], off
	global_load_dword v81, v[4:5], off offset:8
	s_waitcnt vmcnt(1)
	global_store_dword v[4:5], v75, off offset:8
	s_waitcnt vmcnt(0)
	global_store_dword v[73:74], v81, off
.LBB64_40:
	s_or_b32 exec_lo, exec_lo, s2
	v_mov_b32_e32 v75, v72
	v_mov_b32_e32 v81, v72
.LBB64_41:
	s_or_b32 exec_lo, exec_lo, s1
.LBB64_42:
	s_andn2_saveexec_b32 s0, s0
	s_cbranch_execz .LBB64_44
; %bb.43:
	v_mov_b32_e32 v81, 2
	ds_write2_b64 v78, v[62:63], v[60:61] offset0:3 offset1:4
	ds_write2_b64 v78, v[58:59], v[56:57] offset0:5 offset1:6
	;; [unrolled: 1-line block ×15, first 2 shown]
.LBB64_44:
	s_or_b32 exec_lo, exec_lo, s0
	s_mov_b32 s0, exec_lo
	s_waitcnt lgkmcnt(0)
	s_waitcnt_vscnt null, 0x0
	s_barrier
	buffer_gl0_inv
	v_cmpx_lt_i32_e32 2, v81
	s_cbranch_execz .LBB64_46
; %bb.45:
	v_mul_f64 v[66:67], v[0:1], v[66:67]
	ds_read2_b64 v[82:85], v78 offset0:3 offset1:4
	ds_read2_b64 v[86:89], v78 offset0:5 offset1:6
	;; [unrolled: 1-line block ×14, first 2 shown]
	s_waitcnt lgkmcnt(13)
	v_fma_f64 v[62:63], -v[66:67], v[82:83], v[62:63]
	v_fma_f64 v[60:61], -v[66:67], v[84:85], v[60:61]
	ds_read2_b64 v[82:85], v78 offset0:31 offset1:32
	s_waitcnt lgkmcnt(13)
	v_fma_f64 v[58:59], -v[66:67], v[86:87], v[58:59]
	v_fma_f64 v[56:57], -v[66:67], v[88:89], v[56:57]
	s_waitcnt lgkmcnt(12)
	v_fma_f64 v[54:55], -v[66:67], v[90:91], v[54:55]
	v_fma_f64 v[52:53], -v[66:67], v[92:93], v[52:53]
	;; [unrolled: 3-line block ×14, first 2 shown]
.LBB64_46:
	s_or_b32 exec_lo, exec_lo, s0
	v_lshl_add_u32 v0, v81, 3, v78
	s_barrier
	buffer_gl0_inv
	v_mov_b32_e32 v72, 3
	ds_write_b64 v0, v[62:63]
	s_waitcnt lgkmcnt(0)
	s_barrier
	buffer_gl0_inv
	ds_read_b64 v[0:1], v78 offset:24
	s_cmp_lt_i32 s7, 5
	s_cbranch_scc1 .LBB64_49
; %bb.47:
	v_mov_b32_e32 v72, 3
	v_add3_u32 v73, v79, 0, 32
	s_mov_b32 s0, 4
.LBB64_48:                              ; =>This Inner Loop Header: Depth=1
	ds_read_b64 v[82:83], v73
	v_add_nc_u32_e32 v73, 8, v73
	s_waitcnt lgkmcnt(0)
	v_cmp_lt_f64_e64 vcc_lo, |v[0:1]|, |v[82:83]|
	v_cndmask_b32_e32 v1, v1, v83, vcc_lo
	v_cndmask_b32_e32 v0, v0, v82, vcc_lo
	v_cndmask_b32_e64 v72, v72, s0, vcc_lo
	s_add_i32 s0, s0, 1
	s_cmp_lg_u32 s7, s0
	s_cbranch_scc1 .LBB64_48
.LBB64_49:
	s_mov_b32 s0, exec_lo
	s_waitcnt lgkmcnt(0)
	v_cmpx_eq_f64_e32 0, v[0:1]
	s_xor_b32 s0, exec_lo, s0
; %bb.50:
	v_cmp_ne_u32_e32 vcc_lo, 0, v80
	v_cndmask_b32_e32 v80, 4, v80, vcc_lo
; %bb.51:
	s_andn2_saveexec_b32 s0, s0
	s_cbranch_execz .LBB64_53
; %bb.52:
	v_div_scale_f64 v[73:74], null, v[0:1], v[0:1], 1.0
	v_rcp_f64_e32 v[82:83], v[73:74]
	v_fma_f64 v[84:85], -v[73:74], v[82:83], 1.0
	v_fma_f64 v[82:83], v[82:83], v[84:85], v[82:83]
	v_fma_f64 v[84:85], -v[73:74], v[82:83], 1.0
	v_fma_f64 v[82:83], v[82:83], v[84:85], v[82:83]
	v_div_scale_f64 v[84:85], vcc_lo, 1.0, v[0:1], 1.0
	v_mul_f64 v[86:87], v[84:85], v[82:83]
	v_fma_f64 v[73:74], -v[73:74], v[86:87], v[84:85]
	v_div_fmas_f64 v[73:74], v[73:74], v[82:83], v[86:87]
	v_div_fixup_f64 v[0:1], v[73:74], v[0:1], 1.0
.LBB64_53:
	s_or_b32 exec_lo, exec_lo, s0
	s_mov_b32 s0, exec_lo
	v_cmpx_ne_u32_e64 v81, v72
	s_xor_b32 s0, exec_lo, s0
	s_cbranch_execz .LBB64_59
; %bb.54:
	s_mov_b32 s1, exec_lo
	v_cmpx_eq_u32_e32 3, v81
	s_cbranch_execz .LBB64_58
; %bb.55:
	v_cmp_ne_u32_e32 vcc_lo, 3, v72
	s_xor_b32 s2, s6, -1
	s_and_b32 s3, s2, vcc_lo
	s_and_saveexec_b32 s2, s3
	s_cbranch_execz .LBB64_57
; %bb.56:
	v_ashrrev_i32_e32 v73, 31, v72
	v_lshlrev_b64 v[73:74], 2, v[72:73]
	v_add_co_u32 v73, vcc_lo, v4, v73
	v_add_co_ci_u32_e64 v74, null, v5, v74, vcc_lo
	s_clause 0x1
	global_load_dword v75, v[73:74], off
	global_load_dword v81, v[4:5], off offset:12
	s_waitcnt vmcnt(1)
	global_store_dword v[4:5], v75, off offset:12
	s_waitcnt vmcnt(0)
	global_store_dword v[73:74], v81, off
.LBB64_57:
	s_or_b32 exec_lo, exec_lo, s2
	v_mov_b32_e32 v75, v72
	v_mov_b32_e32 v81, v72
.LBB64_58:
	s_or_b32 exec_lo, exec_lo, s1
.LBB64_59:
	s_andn2_saveexec_b32 s0, s0
	s_cbranch_execz .LBB64_61
; %bb.60:
	v_mov_b32_e32 v72, v60
	v_mov_b32_e32 v73, v61
	;; [unrolled: 1-line block ×20, first 2 shown]
	ds_write2_b64 v78, v[72:73], v[81:82] offset0:4 offset1:5
	ds_write2_b64 v78, v[83:84], v[85:86] offset0:6 offset1:7
	;; [unrolled: 1-line block ×5, first 2 shown]
	v_mov_b32_e32 v72, v40
	v_mov_b32_e32 v73, v41
	;; [unrolled: 1-line block ×20, first 2 shown]
	ds_write2_b64 v78, v[72:73], v[81:82] offset0:14 offset1:15
	ds_write2_b64 v78, v[83:84], v[85:86] offset0:16 offset1:17
	;; [unrolled: 1-line block ×5, first 2 shown]
	v_mov_b32_e32 v72, v20
	v_mov_b32_e32 v73, v21
	;; [unrolled: 1-line block ×8, first 2 shown]
	ds_write2_b64 v78, v[72:73], v[81:82] offset0:24 offset1:25
	v_mov_b32_e32 v81, 3
	v_mov_b32_e32 v87, v12
	;; [unrolled: 1-line block ×9, first 2 shown]
	ds_write2_b64 v78, v[83:84], v[85:86] offset0:26 offset1:27
	ds_write2_b64 v78, v[87:88], v[89:90] offset0:28 offset1:29
	;; [unrolled: 1-line block ×3, first 2 shown]
	ds_write_b64 v78, v[70:71] offset:256
.LBB64_61:
	s_or_b32 exec_lo, exec_lo, s0
	s_mov_b32 s0, exec_lo
	s_waitcnt lgkmcnt(0)
	s_waitcnt_vscnt null, 0x0
	s_barrier
	buffer_gl0_inv
	v_cmpx_lt_i32_e32 3, v81
	s_cbranch_execz .LBB64_63
; %bb.62:
	v_mul_f64 v[62:63], v[0:1], v[62:63]
	ds_read2_b64 v[82:85], v78 offset0:4 offset1:5
	ds_read2_b64 v[86:89], v78 offset0:6 offset1:7
	;; [unrolled: 1-line block ×14, first 2 shown]
	ds_read_b64 v[0:1], v78 offset:256
	s_waitcnt lgkmcnt(14)
	v_fma_f64 v[60:61], -v[62:63], v[82:83], v[60:61]
	v_fma_f64 v[58:59], -v[62:63], v[84:85], v[58:59]
	s_waitcnt lgkmcnt(13)
	v_fma_f64 v[56:57], -v[62:63], v[86:87], v[56:57]
	v_fma_f64 v[54:55], -v[62:63], v[88:89], v[54:55]
	;; [unrolled: 3-line block ×14, first 2 shown]
	s_waitcnt lgkmcnt(0)
	v_fma_f64 v[70:71], -v[62:63], v[0:1], v[70:71]
.LBB64_63:
	s_or_b32 exec_lo, exec_lo, s0
	v_lshl_add_u32 v0, v81, 3, v78
	s_barrier
	buffer_gl0_inv
	v_mov_b32_e32 v72, 4
	ds_write_b64 v0, v[60:61]
	s_waitcnt lgkmcnt(0)
	s_barrier
	buffer_gl0_inv
	ds_read_b64 v[0:1], v78 offset:32
	s_cmp_lt_i32 s7, 6
	s_cbranch_scc1 .LBB64_66
; %bb.64:
	v_add3_u32 v73, v79, 0, 40
	v_mov_b32_e32 v72, 4
	s_mov_b32 s0, 5
.LBB64_65:                              ; =>This Inner Loop Header: Depth=1
	ds_read_b64 v[82:83], v73
	v_add_nc_u32_e32 v73, 8, v73
	s_waitcnt lgkmcnt(0)
	v_cmp_lt_f64_e64 vcc_lo, |v[0:1]|, |v[82:83]|
	v_cndmask_b32_e32 v1, v1, v83, vcc_lo
	v_cndmask_b32_e32 v0, v0, v82, vcc_lo
	v_cndmask_b32_e64 v72, v72, s0, vcc_lo
	s_add_i32 s0, s0, 1
	s_cmp_lg_u32 s7, s0
	s_cbranch_scc1 .LBB64_65
.LBB64_66:
	s_mov_b32 s0, exec_lo
	s_waitcnt lgkmcnt(0)
	v_cmpx_eq_f64_e32 0, v[0:1]
	s_xor_b32 s0, exec_lo, s0
; %bb.67:
	v_cmp_ne_u32_e32 vcc_lo, 0, v80
	v_cndmask_b32_e32 v80, 5, v80, vcc_lo
; %bb.68:
	s_andn2_saveexec_b32 s0, s0
	s_cbranch_execz .LBB64_70
; %bb.69:
	v_div_scale_f64 v[73:74], null, v[0:1], v[0:1], 1.0
	v_rcp_f64_e32 v[82:83], v[73:74]
	v_fma_f64 v[84:85], -v[73:74], v[82:83], 1.0
	v_fma_f64 v[82:83], v[82:83], v[84:85], v[82:83]
	v_fma_f64 v[84:85], -v[73:74], v[82:83], 1.0
	v_fma_f64 v[82:83], v[82:83], v[84:85], v[82:83]
	v_div_scale_f64 v[84:85], vcc_lo, 1.0, v[0:1], 1.0
	v_mul_f64 v[86:87], v[84:85], v[82:83]
	v_fma_f64 v[73:74], -v[73:74], v[86:87], v[84:85]
	v_div_fmas_f64 v[73:74], v[73:74], v[82:83], v[86:87]
	v_div_fixup_f64 v[0:1], v[73:74], v[0:1], 1.0
.LBB64_70:
	s_or_b32 exec_lo, exec_lo, s0
	s_mov_b32 s0, exec_lo
	v_cmpx_ne_u32_e64 v81, v72
	s_xor_b32 s0, exec_lo, s0
	s_cbranch_execz .LBB64_76
; %bb.71:
	s_mov_b32 s1, exec_lo
	v_cmpx_eq_u32_e32 4, v81
	s_cbranch_execz .LBB64_75
; %bb.72:
	v_cmp_ne_u32_e32 vcc_lo, 4, v72
	s_xor_b32 s2, s6, -1
	s_and_b32 s3, s2, vcc_lo
	s_and_saveexec_b32 s2, s3
	s_cbranch_execz .LBB64_74
; %bb.73:
	v_ashrrev_i32_e32 v73, 31, v72
	v_lshlrev_b64 v[73:74], 2, v[72:73]
	v_add_co_u32 v73, vcc_lo, v4, v73
	v_add_co_ci_u32_e64 v74, null, v5, v74, vcc_lo
	s_clause 0x1
	global_load_dword v75, v[73:74], off
	global_load_dword v81, v[4:5], off offset:16
	s_waitcnt vmcnt(1)
	global_store_dword v[4:5], v75, off offset:16
	s_waitcnt vmcnt(0)
	global_store_dword v[73:74], v81, off
.LBB64_74:
	s_or_b32 exec_lo, exec_lo, s2
	v_mov_b32_e32 v75, v72
	v_mov_b32_e32 v81, v72
.LBB64_75:
	s_or_b32 exec_lo, exec_lo, s1
.LBB64_76:
	s_andn2_saveexec_b32 s0, s0
	s_cbranch_execz .LBB64_78
; %bb.77:
	v_mov_b32_e32 v81, 4
	ds_write2_b64 v78, v[58:59], v[56:57] offset0:5 offset1:6
	ds_write2_b64 v78, v[54:55], v[52:53] offset0:7 offset1:8
	ds_write2_b64 v78, v[48:49], v[50:51] offset0:9 offset1:10
	ds_write2_b64 v78, v[44:45], v[46:47] offset0:11 offset1:12
	ds_write2_b64 v78, v[42:43], v[40:41] offset0:13 offset1:14
	ds_write2_b64 v78, v[38:39], v[36:37] offset0:15 offset1:16
	ds_write2_b64 v78, v[34:35], v[32:33] offset0:17 offset1:18
	ds_write2_b64 v78, v[28:29], v[30:31] offset0:19 offset1:20
	ds_write2_b64 v78, v[24:25], v[26:27] offset0:21 offset1:22
	ds_write2_b64 v78, v[22:23], v[20:21] offset0:23 offset1:24
	ds_write2_b64 v78, v[18:19], v[16:17] offset0:25 offset1:26
	ds_write2_b64 v78, v[14:15], v[12:13] offset0:27 offset1:28
	ds_write2_b64 v78, v[8:9], v[10:11] offset0:29 offset1:30
	ds_write2_b64 v78, v[6:7], v[70:71] offset0:31 offset1:32
.LBB64_78:
	s_or_b32 exec_lo, exec_lo, s0
	s_mov_b32 s0, exec_lo
	s_waitcnt lgkmcnt(0)
	s_waitcnt_vscnt null, 0x0
	s_barrier
	buffer_gl0_inv
	v_cmpx_lt_i32_e32 4, v81
	s_cbranch_execz .LBB64_80
; %bb.79:
	v_mul_f64 v[60:61], v[0:1], v[60:61]
	ds_read2_b64 v[82:85], v78 offset0:5 offset1:6
	ds_read2_b64 v[86:89], v78 offset0:7 offset1:8
	;; [unrolled: 1-line block ×14, first 2 shown]
	s_waitcnt lgkmcnt(13)
	v_fma_f64 v[58:59], -v[60:61], v[82:83], v[58:59]
	v_fma_f64 v[56:57], -v[60:61], v[84:85], v[56:57]
	s_waitcnt lgkmcnt(12)
	v_fma_f64 v[54:55], -v[60:61], v[86:87], v[54:55]
	v_fma_f64 v[52:53], -v[60:61], v[88:89], v[52:53]
	;; [unrolled: 3-line block ×14, first 2 shown]
.LBB64_80:
	s_or_b32 exec_lo, exec_lo, s0
	v_lshl_add_u32 v0, v81, 3, v78
	s_barrier
	buffer_gl0_inv
	v_mov_b32_e32 v72, 5
	ds_write_b64 v0, v[58:59]
	s_waitcnt lgkmcnt(0)
	s_barrier
	buffer_gl0_inv
	ds_read_b64 v[0:1], v78 offset:40
	s_cmp_lt_i32 s7, 7
	s_cbranch_scc1 .LBB64_83
; %bb.81:
	v_add3_u32 v73, v79, 0, 48
	v_mov_b32_e32 v72, 5
	s_mov_b32 s0, 6
.LBB64_82:                              ; =>This Inner Loop Header: Depth=1
	ds_read_b64 v[82:83], v73
	v_add_nc_u32_e32 v73, 8, v73
	s_waitcnt lgkmcnt(0)
	v_cmp_lt_f64_e64 vcc_lo, |v[0:1]|, |v[82:83]|
	v_cndmask_b32_e32 v1, v1, v83, vcc_lo
	v_cndmask_b32_e32 v0, v0, v82, vcc_lo
	v_cndmask_b32_e64 v72, v72, s0, vcc_lo
	s_add_i32 s0, s0, 1
	s_cmp_lg_u32 s7, s0
	s_cbranch_scc1 .LBB64_82
.LBB64_83:
	s_mov_b32 s0, exec_lo
	s_waitcnt lgkmcnt(0)
	v_cmpx_eq_f64_e32 0, v[0:1]
	s_xor_b32 s0, exec_lo, s0
; %bb.84:
	v_cmp_ne_u32_e32 vcc_lo, 0, v80
	v_cndmask_b32_e32 v80, 6, v80, vcc_lo
; %bb.85:
	s_andn2_saveexec_b32 s0, s0
	s_cbranch_execz .LBB64_87
; %bb.86:
	v_div_scale_f64 v[73:74], null, v[0:1], v[0:1], 1.0
	v_rcp_f64_e32 v[82:83], v[73:74]
	v_fma_f64 v[84:85], -v[73:74], v[82:83], 1.0
	v_fma_f64 v[82:83], v[82:83], v[84:85], v[82:83]
	v_fma_f64 v[84:85], -v[73:74], v[82:83], 1.0
	v_fma_f64 v[82:83], v[82:83], v[84:85], v[82:83]
	v_div_scale_f64 v[84:85], vcc_lo, 1.0, v[0:1], 1.0
	v_mul_f64 v[86:87], v[84:85], v[82:83]
	v_fma_f64 v[73:74], -v[73:74], v[86:87], v[84:85]
	v_div_fmas_f64 v[73:74], v[73:74], v[82:83], v[86:87]
	v_div_fixup_f64 v[0:1], v[73:74], v[0:1], 1.0
.LBB64_87:
	s_or_b32 exec_lo, exec_lo, s0
	s_mov_b32 s0, exec_lo
	v_cmpx_ne_u32_e64 v81, v72
	s_xor_b32 s0, exec_lo, s0
	s_cbranch_execz .LBB64_93
; %bb.88:
	s_mov_b32 s1, exec_lo
	v_cmpx_eq_u32_e32 5, v81
	s_cbranch_execz .LBB64_92
; %bb.89:
	v_cmp_ne_u32_e32 vcc_lo, 5, v72
	s_xor_b32 s2, s6, -1
	s_and_b32 s3, s2, vcc_lo
	s_and_saveexec_b32 s2, s3
	s_cbranch_execz .LBB64_91
; %bb.90:
	v_ashrrev_i32_e32 v73, 31, v72
	v_lshlrev_b64 v[73:74], 2, v[72:73]
	v_add_co_u32 v73, vcc_lo, v4, v73
	v_add_co_ci_u32_e64 v74, null, v5, v74, vcc_lo
	s_clause 0x1
	global_load_dword v75, v[73:74], off
	global_load_dword v81, v[4:5], off offset:20
	s_waitcnt vmcnt(1)
	global_store_dword v[4:5], v75, off offset:20
	s_waitcnt vmcnt(0)
	global_store_dword v[73:74], v81, off
.LBB64_91:
	s_or_b32 exec_lo, exec_lo, s2
	v_mov_b32_e32 v75, v72
	v_mov_b32_e32 v81, v72
.LBB64_92:
	s_or_b32 exec_lo, exec_lo, s1
.LBB64_93:
	s_andn2_saveexec_b32 s0, s0
	s_cbranch_execz .LBB64_95
; %bb.94:
	v_mov_b32_e32 v72, v56
	v_mov_b32_e32 v73, v57
	;; [unrolled: 1-line block ×16, first 2 shown]
	ds_write2_b64 v78, v[72:73], v[81:82] offset0:6 offset1:7
	ds_write2_b64 v78, v[83:84], v[85:86] offset0:8 offset1:9
	;; [unrolled: 1-line block ×4, first 2 shown]
	v_mov_b32_e32 v72, v40
	v_mov_b32_e32 v73, v41
	;; [unrolled: 1-line block ×20, first 2 shown]
	ds_write2_b64 v78, v[72:73], v[81:82] offset0:14 offset1:15
	ds_write2_b64 v78, v[83:84], v[85:86] offset0:16 offset1:17
	;; [unrolled: 1-line block ×5, first 2 shown]
	v_mov_b32_e32 v72, v20
	v_mov_b32_e32 v73, v21
	;; [unrolled: 1-line block ×8, first 2 shown]
	ds_write2_b64 v78, v[72:73], v[81:82] offset0:24 offset1:25
	v_mov_b32_e32 v81, 5
	v_mov_b32_e32 v87, v12
	;; [unrolled: 1-line block ×9, first 2 shown]
	ds_write2_b64 v78, v[83:84], v[85:86] offset0:26 offset1:27
	ds_write2_b64 v78, v[87:88], v[89:90] offset0:28 offset1:29
	;; [unrolled: 1-line block ×3, first 2 shown]
	ds_write_b64 v78, v[70:71] offset:256
.LBB64_95:
	s_or_b32 exec_lo, exec_lo, s0
	s_mov_b32 s0, exec_lo
	s_waitcnt lgkmcnt(0)
	s_waitcnt_vscnt null, 0x0
	s_barrier
	buffer_gl0_inv
	v_cmpx_lt_i32_e32 5, v81
	s_cbranch_execz .LBB64_97
; %bb.96:
	v_mul_f64 v[58:59], v[0:1], v[58:59]
	ds_read2_b64 v[82:85], v78 offset0:6 offset1:7
	ds_read2_b64 v[86:89], v78 offset0:8 offset1:9
	ds_read2_b64 v[90:93], v78 offset0:10 offset1:11
	ds_read2_b64 v[94:97], v78 offset0:12 offset1:13
	ds_read2_b64 v[98:101], v78 offset0:14 offset1:15
	ds_read2_b64 v[102:105], v78 offset0:16 offset1:17
	ds_read2_b64 v[106:109], v78 offset0:18 offset1:19
	ds_read2_b64 v[110:113], v78 offset0:20 offset1:21
	ds_read2_b64 v[114:117], v78 offset0:22 offset1:23
	ds_read2_b64 v[118:121], v78 offset0:24 offset1:25
	ds_read2_b64 v[122:125], v78 offset0:26 offset1:27
	ds_read2_b64 v[126:129], v78 offset0:28 offset1:29
	ds_read2_b64 v[130:133], v78 offset0:30 offset1:31
	ds_read_b64 v[0:1], v78 offset:256
	s_waitcnt lgkmcnt(13)
	v_fma_f64 v[56:57], -v[58:59], v[82:83], v[56:57]
	v_fma_f64 v[54:55], -v[58:59], v[84:85], v[54:55]
	s_waitcnt lgkmcnt(12)
	v_fma_f64 v[52:53], -v[58:59], v[86:87], v[52:53]
	v_fma_f64 v[48:49], -v[58:59], v[88:89], v[48:49]
	;; [unrolled: 3-line block ×13, first 2 shown]
	s_waitcnt lgkmcnt(0)
	v_fma_f64 v[70:71], -v[58:59], v[0:1], v[70:71]
.LBB64_97:
	s_or_b32 exec_lo, exec_lo, s0
	v_lshl_add_u32 v0, v81, 3, v78
	s_barrier
	buffer_gl0_inv
	v_mov_b32_e32 v72, 6
	ds_write_b64 v0, v[56:57]
	s_waitcnt lgkmcnt(0)
	s_barrier
	buffer_gl0_inv
	ds_read_b64 v[0:1], v78 offset:48
	s_cmp_lt_i32 s7, 8
	s_cbranch_scc1 .LBB64_100
; %bb.98:
	v_add3_u32 v73, v79, 0, 56
	v_mov_b32_e32 v72, 6
	s_mov_b32 s0, 7
.LBB64_99:                              ; =>This Inner Loop Header: Depth=1
	ds_read_b64 v[82:83], v73
	v_add_nc_u32_e32 v73, 8, v73
	s_waitcnt lgkmcnt(0)
	v_cmp_lt_f64_e64 vcc_lo, |v[0:1]|, |v[82:83]|
	v_cndmask_b32_e32 v1, v1, v83, vcc_lo
	v_cndmask_b32_e32 v0, v0, v82, vcc_lo
	v_cndmask_b32_e64 v72, v72, s0, vcc_lo
	s_add_i32 s0, s0, 1
	s_cmp_lg_u32 s7, s0
	s_cbranch_scc1 .LBB64_99
.LBB64_100:
	s_mov_b32 s0, exec_lo
	s_waitcnt lgkmcnt(0)
	v_cmpx_eq_f64_e32 0, v[0:1]
	s_xor_b32 s0, exec_lo, s0
; %bb.101:
	v_cmp_ne_u32_e32 vcc_lo, 0, v80
	v_cndmask_b32_e32 v80, 7, v80, vcc_lo
; %bb.102:
	s_andn2_saveexec_b32 s0, s0
	s_cbranch_execz .LBB64_104
; %bb.103:
	v_div_scale_f64 v[73:74], null, v[0:1], v[0:1], 1.0
	v_rcp_f64_e32 v[82:83], v[73:74]
	v_fma_f64 v[84:85], -v[73:74], v[82:83], 1.0
	v_fma_f64 v[82:83], v[82:83], v[84:85], v[82:83]
	v_fma_f64 v[84:85], -v[73:74], v[82:83], 1.0
	v_fma_f64 v[82:83], v[82:83], v[84:85], v[82:83]
	v_div_scale_f64 v[84:85], vcc_lo, 1.0, v[0:1], 1.0
	v_mul_f64 v[86:87], v[84:85], v[82:83]
	v_fma_f64 v[73:74], -v[73:74], v[86:87], v[84:85]
	v_div_fmas_f64 v[73:74], v[73:74], v[82:83], v[86:87]
	v_div_fixup_f64 v[0:1], v[73:74], v[0:1], 1.0
.LBB64_104:
	s_or_b32 exec_lo, exec_lo, s0
	s_mov_b32 s0, exec_lo
	v_cmpx_ne_u32_e64 v81, v72
	s_xor_b32 s0, exec_lo, s0
	s_cbranch_execz .LBB64_110
; %bb.105:
	s_mov_b32 s1, exec_lo
	v_cmpx_eq_u32_e32 6, v81
	s_cbranch_execz .LBB64_109
; %bb.106:
	v_cmp_ne_u32_e32 vcc_lo, 6, v72
	s_xor_b32 s2, s6, -1
	s_and_b32 s3, s2, vcc_lo
	s_and_saveexec_b32 s2, s3
	s_cbranch_execz .LBB64_108
; %bb.107:
	v_ashrrev_i32_e32 v73, 31, v72
	v_lshlrev_b64 v[73:74], 2, v[72:73]
	v_add_co_u32 v73, vcc_lo, v4, v73
	v_add_co_ci_u32_e64 v74, null, v5, v74, vcc_lo
	s_clause 0x1
	global_load_dword v75, v[73:74], off
	global_load_dword v81, v[4:5], off offset:24
	s_waitcnt vmcnt(1)
	global_store_dword v[4:5], v75, off offset:24
	s_waitcnt vmcnt(0)
	global_store_dword v[73:74], v81, off
.LBB64_108:
	s_or_b32 exec_lo, exec_lo, s2
	v_mov_b32_e32 v75, v72
	v_mov_b32_e32 v81, v72
.LBB64_109:
	s_or_b32 exec_lo, exec_lo, s1
.LBB64_110:
	s_andn2_saveexec_b32 s0, s0
	s_cbranch_execz .LBB64_112
; %bb.111:
	v_mov_b32_e32 v81, 6
	ds_write2_b64 v78, v[54:55], v[52:53] offset0:7 offset1:8
	ds_write2_b64 v78, v[48:49], v[50:51] offset0:9 offset1:10
	;; [unrolled: 1-line block ×13, first 2 shown]
.LBB64_112:
	s_or_b32 exec_lo, exec_lo, s0
	s_mov_b32 s0, exec_lo
	s_waitcnt lgkmcnt(0)
	s_waitcnt_vscnt null, 0x0
	s_barrier
	buffer_gl0_inv
	v_cmpx_lt_i32_e32 6, v81
	s_cbranch_execz .LBB64_114
; %bb.113:
	v_mul_f64 v[56:57], v[0:1], v[56:57]
	ds_read2_b64 v[82:85], v78 offset0:7 offset1:8
	ds_read2_b64 v[86:89], v78 offset0:9 offset1:10
	ds_read2_b64 v[90:93], v78 offset0:11 offset1:12
	ds_read2_b64 v[94:97], v78 offset0:13 offset1:14
	ds_read2_b64 v[98:101], v78 offset0:15 offset1:16
	ds_read2_b64 v[102:105], v78 offset0:17 offset1:18
	ds_read2_b64 v[106:109], v78 offset0:19 offset1:20
	ds_read2_b64 v[110:113], v78 offset0:21 offset1:22
	ds_read2_b64 v[114:117], v78 offset0:23 offset1:24
	ds_read2_b64 v[118:121], v78 offset0:25 offset1:26
	ds_read2_b64 v[122:125], v78 offset0:27 offset1:28
	ds_read2_b64 v[126:129], v78 offset0:29 offset1:30
	ds_read2_b64 v[130:133], v78 offset0:31 offset1:32
	s_waitcnt lgkmcnt(12)
	v_fma_f64 v[54:55], -v[56:57], v[82:83], v[54:55]
	v_fma_f64 v[52:53], -v[56:57], v[84:85], v[52:53]
	s_waitcnt lgkmcnt(11)
	v_fma_f64 v[48:49], -v[56:57], v[86:87], v[48:49]
	v_fma_f64 v[50:51], -v[56:57], v[88:89], v[50:51]
	;; [unrolled: 3-line block ×13, first 2 shown]
.LBB64_114:
	s_or_b32 exec_lo, exec_lo, s0
	v_lshl_add_u32 v0, v81, 3, v78
	s_barrier
	buffer_gl0_inv
	v_mov_b32_e32 v72, 7
	ds_write_b64 v0, v[54:55]
	s_waitcnt lgkmcnt(0)
	s_barrier
	buffer_gl0_inv
	ds_read_b64 v[0:1], v78 offset:56
	s_cmp_lt_i32 s7, 9
	s_cbranch_scc1 .LBB64_117
; %bb.115:
	v_add3_u32 v73, v79, 0, 64
	v_mov_b32_e32 v72, 7
	s_mov_b32 s0, 8
.LBB64_116:                             ; =>This Inner Loop Header: Depth=1
	ds_read_b64 v[82:83], v73
	v_add_nc_u32_e32 v73, 8, v73
	s_waitcnt lgkmcnt(0)
	v_cmp_lt_f64_e64 vcc_lo, |v[0:1]|, |v[82:83]|
	v_cndmask_b32_e32 v1, v1, v83, vcc_lo
	v_cndmask_b32_e32 v0, v0, v82, vcc_lo
	v_cndmask_b32_e64 v72, v72, s0, vcc_lo
	s_add_i32 s0, s0, 1
	s_cmp_lg_u32 s7, s0
	s_cbranch_scc1 .LBB64_116
.LBB64_117:
	s_mov_b32 s0, exec_lo
	s_waitcnt lgkmcnt(0)
	v_cmpx_eq_f64_e32 0, v[0:1]
	s_xor_b32 s0, exec_lo, s0
; %bb.118:
	v_cmp_ne_u32_e32 vcc_lo, 0, v80
	v_cndmask_b32_e32 v80, 8, v80, vcc_lo
; %bb.119:
	s_andn2_saveexec_b32 s0, s0
	s_cbranch_execz .LBB64_121
; %bb.120:
	v_div_scale_f64 v[73:74], null, v[0:1], v[0:1], 1.0
	v_rcp_f64_e32 v[82:83], v[73:74]
	v_fma_f64 v[84:85], -v[73:74], v[82:83], 1.0
	v_fma_f64 v[82:83], v[82:83], v[84:85], v[82:83]
	v_fma_f64 v[84:85], -v[73:74], v[82:83], 1.0
	v_fma_f64 v[82:83], v[82:83], v[84:85], v[82:83]
	v_div_scale_f64 v[84:85], vcc_lo, 1.0, v[0:1], 1.0
	v_mul_f64 v[86:87], v[84:85], v[82:83]
	v_fma_f64 v[73:74], -v[73:74], v[86:87], v[84:85]
	v_div_fmas_f64 v[73:74], v[73:74], v[82:83], v[86:87]
	v_div_fixup_f64 v[0:1], v[73:74], v[0:1], 1.0
.LBB64_121:
	s_or_b32 exec_lo, exec_lo, s0
	s_mov_b32 s0, exec_lo
	v_cmpx_ne_u32_e64 v81, v72
	s_xor_b32 s0, exec_lo, s0
	s_cbranch_execz .LBB64_127
; %bb.122:
	s_mov_b32 s1, exec_lo
	v_cmpx_eq_u32_e32 7, v81
	s_cbranch_execz .LBB64_126
; %bb.123:
	v_cmp_ne_u32_e32 vcc_lo, 7, v72
	s_xor_b32 s2, s6, -1
	s_and_b32 s3, s2, vcc_lo
	s_and_saveexec_b32 s2, s3
	s_cbranch_execz .LBB64_125
; %bb.124:
	v_ashrrev_i32_e32 v73, 31, v72
	v_lshlrev_b64 v[73:74], 2, v[72:73]
	v_add_co_u32 v73, vcc_lo, v4, v73
	v_add_co_ci_u32_e64 v74, null, v5, v74, vcc_lo
	s_clause 0x1
	global_load_dword v75, v[73:74], off
	global_load_dword v81, v[4:5], off offset:28
	s_waitcnt vmcnt(1)
	global_store_dword v[4:5], v75, off offset:28
	s_waitcnt vmcnt(0)
	global_store_dword v[73:74], v81, off
.LBB64_125:
	s_or_b32 exec_lo, exec_lo, s2
	v_mov_b32_e32 v75, v72
	v_mov_b32_e32 v81, v72
.LBB64_126:
	s_or_b32 exec_lo, exec_lo, s1
.LBB64_127:
	s_andn2_saveexec_b32 s0, s0
	s_cbranch_execz .LBB64_129
; %bb.128:
	v_mov_b32_e32 v72, v52
	v_mov_b32_e32 v73, v53
	;; [unrolled: 1-line block ×12, first 2 shown]
	ds_write2_b64 v78, v[72:73], v[81:82] offset0:8 offset1:9
	ds_write2_b64 v78, v[83:84], v[85:86] offset0:10 offset1:11
	;; [unrolled: 1-line block ×3, first 2 shown]
	v_mov_b32_e32 v72, v40
	v_mov_b32_e32 v73, v41
	;; [unrolled: 1-line block ×20, first 2 shown]
	ds_write2_b64 v78, v[72:73], v[81:82] offset0:14 offset1:15
	ds_write2_b64 v78, v[83:84], v[85:86] offset0:16 offset1:17
	;; [unrolled: 1-line block ×5, first 2 shown]
	v_mov_b32_e32 v72, v20
	v_mov_b32_e32 v73, v21
	;; [unrolled: 1-line block ×8, first 2 shown]
	ds_write2_b64 v78, v[72:73], v[81:82] offset0:24 offset1:25
	v_mov_b32_e32 v81, 7
	v_mov_b32_e32 v87, v12
	;; [unrolled: 1-line block ×9, first 2 shown]
	ds_write2_b64 v78, v[83:84], v[85:86] offset0:26 offset1:27
	ds_write2_b64 v78, v[87:88], v[89:90] offset0:28 offset1:29
	;; [unrolled: 1-line block ×3, first 2 shown]
	ds_write_b64 v78, v[70:71] offset:256
.LBB64_129:
	s_or_b32 exec_lo, exec_lo, s0
	s_mov_b32 s0, exec_lo
	s_waitcnt lgkmcnt(0)
	s_waitcnt_vscnt null, 0x0
	s_barrier
	buffer_gl0_inv
	v_cmpx_lt_i32_e32 7, v81
	s_cbranch_execz .LBB64_131
; %bb.130:
	v_mul_f64 v[54:55], v[0:1], v[54:55]
	ds_read2_b64 v[82:85], v78 offset0:8 offset1:9
	ds_read2_b64 v[86:89], v78 offset0:10 offset1:11
	;; [unrolled: 1-line block ×12, first 2 shown]
	ds_read_b64 v[0:1], v78 offset:256
	s_waitcnt lgkmcnt(12)
	v_fma_f64 v[52:53], -v[54:55], v[82:83], v[52:53]
	v_fma_f64 v[48:49], -v[54:55], v[84:85], v[48:49]
	s_waitcnt lgkmcnt(11)
	v_fma_f64 v[50:51], -v[54:55], v[86:87], v[50:51]
	v_fma_f64 v[44:45], -v[54:55], v[88:89], v[44:45]
	;; [unrolled: 3-line block ×12, first 2 shown]
	s_waitcnt lgkmcnt(0)
	v_fma_f64 v[70:71], -v[54:55], v[0:1], v[70:71]
.LBB64_131:
	s_or_b32 exec_lo, exec_lo, s0
	v_lshl_add_u32 v0, v81, 3, v78
	s_barrier
	buffer_gl0_inv
	v_mov_b32_e32 v72, 8
	ds_write_b64 v0, v[52:53]
	s_waitcnt lgkmcnt(0)
	s_barrier
	buffer_gl0_inv
	ds_read_b64 v[0:1], v78 offset:64
	s_cmp_lt_i32 s7, 10
	s_cbranch_scc1 .LBB64_134
; %bb.132:
	v_add3_u32 v73, v79, 0, 0x48
	v_mov_b32_e32 v72, 8
	s_mov_b32 s0, 9
.LBB64_133:                             ; =>This Inner Loop Header: Depth=1
	ds_read_b64 v[82:83], v73
	v_add_nc_u32_e32 v73, 8, v73
	s_waitcnt lgkmcnt(0)
	v_cmp_lt_f64_e64 vcc_lo, |v[0:1]|, |v[82:83]|
	v_cndmask_b32_e32 v1, v1, v83, vcc_lo
	v_cndmask_b32_e32 v0, v0, v82, vcc_lo
	v_cndmask_b32_e64 v72, v72, s0, vcc_lo
	s_add_i32 s0, s0, 1
	s_cmp_lg_u32 s7, s0
	s_cbranch_scc1 .LBB64_133
.LBB64_134:
	s_mov_b32 s0, exec_lo
	s_waitcnt lgkmcnt(0)
	v_cmpx_eq_f64_e32 0, v[0:1]
	s_xor_b32 s0, exec_lo, s0
; %bb.135:
	v_cmp_ne_u32_e32 vcc_lo, 0, v80
	v_cndmask_b32_e32 v80, 9, v80, vcc_lo
; %bb.136:
	s_andn2_saveexec_b32 s0, s0
	s_cbranch_execz .LBB64_138
; %bb.137:
	v_div_scale_f64 v[73:74], null, v[0:1], v[0:1], 1.0
	v_rcp_f64_e32 v[82:83], v[73:74]
	v_fma_f64 v[84:85], -v[73:74], v[82:83], 1.0
	v_fma_f64 v[82:83], v[82:83], v[84:85], v[82:83]
	v_fma_f64 v[84:85], -v[73:74], v[82:83], 1.0
	v_fma_f64 v[82:83], v[82:83], v[84:85], v[82:83]
	v_div_scale_f64 v[84:85], vcc_lo, 1.0, v[0:1], 1.0
	v_mul_f64 v[86:87], v[84:85], v[82:83]
	v_fma_f64 v[73:74], -v[73:74], v[86:87], v[84:85]
	v_div_fmas_f64 v[73:74], v[73:74], v[82:83], v[86:87]
	v_div_fixup_f64 v[0:1], v[73:74], v[0:1], 1.0
.LBB64_138:
	s_or_b32 exec_lo, exec_lo, s0
	s_mov_b32 s0, exec_lo
	v_cmpx_ne_u32_e64 v81, v72
	s_xor_b32 s0, exec_lo, s0
	s_cbranch_execz .LBB64_144
; %bb.139:
	s_mov_b32 s1, exec_lo
	v_cmpx_eq_u32_e32 8, v81
	s_cbranch_execz .LBB64_143
; %bb.140:
	v_cmp_ne_u32_e32 vcc_lo, 8, v72
	s_xor_b32 s2, s6, -1
	s_and_b32 s3, s2, vcc_lo
	s_and_saveexec_b32 s2, s3
	s_cbranch_execz .LBB64_142
; %bb.141:
	v_ashrrev_i32_e32 v73, 31, v72
	v_lshlrev_b64 v[73:74], 2, v[72:73]
	v_add_co_u32 v73, vcc_lo, v4, v73
	v_add_co_ci_u32_e64 v74, null, v5, v74, vcc_lo
	s_clause 0x1
	global_load_dword v75, v[73:74], off
	global_load_dword v81, v[4:5], off offset:32
	s_waitcnt vmcnt(1)
	global_store_dword v[4:5], v75, off offset:32
	s_waitcnt vmcnt(0)
	global_store_dword v[73:74], v81, off
.LBB64_142:
	s_or_b32 exec_lo, exec_lo, s2
	v_mov_b32_e32 v75, v72
	v_mov_b32_e32 v81, v72
.LBB64_143:
	s_or_b32 exec_lo, exec_lo, s1
.LBB64_144:
	s_andn2_saveexec_b32 s0, s0
	s_cbranch_execz .LBB64_146
; %bb.145:
	v_mov_b32_e32 v81, 8
	ds_write2_b64 v78, v[48:49], v[50:51] offset0:9 offset1:10
	ds_write2_b64 v78, v[44:45], v[46:47] offset0:11 offset1:12
	;; [unrolled: 1-line block ×12, first 2 shown]
.LBB64_146:
	s_or_b32 exec_lo, exec_lo, s0
	s_mov_b32 s0, exec_lo
	s_waitcnt lgkmcnt(0)
	s_waitcnt_vscnt null, 0x0
	s_barrier
	buffer_gl0_inv
	v_cmpx_lt_i32_e32 8, v81
	s_cbranch_execz .LBB64_148
; %bb.147:
	v_mul_f64 v[52:53], v[0:1], v[52:53]
	ds_read2_b64 v[82:85], v78 offset0:9 offset1:10
	ds_read2_b64 v[86:89], v78 offset0:11 offset1:12
	;; [unrolled: 1-line block ×12, first 2 shown]
	s_waitcnt lgkmcnt(11)
	v_fma_f64 v[48:49], -v[52:53], v[82:83], v[48:49]
	v_fma_f64 v[50:51], -v[52:53], v[84:85], v[50:51]
	s_waitcnt lgkmcnt(10)
	v_fma_f64 v[44:45], -v[52:53], v[86:87], v[44:45]
	v_fma_f64 v[46:47], -v[52:53], v[88:89], v[46:47]
	;; [unrolled: 3-line block ×12, first 2 shown]
.LBB64_148:
	s_or_b32 exec_lo, exec_lo, s0
	v_lshl_add_u32 v0, v81, 3, v78
	s_barrier
	buffer_gl0_inv
	v_mov_b32_e32 v72, 9
	ds_write_b64 v0, v[48:49]
	s_waitcnt lgkmcnt(0)
	s_barrier
	buffer_gl0_inv
	ds_read_b64 v[0:1], v78 offset:72
	s_cmp_lt_i32 s7, 11
	s_cbranch_scc1 .LBB64_151
; %bb.149:
	v_add3_u32 v73, v79, 0, 0x50
	v_mov_b32_e32 v72, 9
	s_mov_b32 s0, 10
.LBB64_150:                             ; =>This Inner Loop Header: Depth=1
	ds_read_b64 v[82:83], v73
	v_add_nc_u32_e32 v73, 8, v73
	s_waitcnt lgkmcnt(0)
	v_cmp_lt_f64_e64 vcc_lo, |v[0:1]|, |v[82:83]|
	v_cndmask_b32_e32 v1, v1, v83, vcc_lo
	v_cndmask_b32_e32 v0, v0, v82, vcc_lo
	v_cndmask_b32_e64 v72, v72, s0, vcc_lo
	s_add_i32 s0, s0, 1
	s_cmp_lg_u32 s7, s0
	s_cbranch_scc1 .LBB64_150
.LBB64_151:
	s_mov_b32 s0, exec_lo
	s_waitcnt lgkmcnt(0)
	v_cmpx_eq_f64_e32 0, v[0:1]
	s_xor_b32 s0, exec_lo, s0
; %bb.152:
	v_cmp_ne_u32_e32 vcc_lo, 0, v80
	v_cndmask_b32_e32 v80, 10, v80, vcc_lo
; %bb.153:
	s_andn2_saveexec_b32 s0, s0
	s_cbranch_execz .LBB64_155
; %bb.154:
	v_div_scale_f64 v[73:74], null, v[0:1], v[0:1], 1.0
	v_rcp_f64_e32 v[82:83], v[73:74]
	v_fma_f64 v[84:85], -v[73:74], v[82:83], 1.0
	v_fma_f64 v[82:83], v[82:83], v[84:85], v[82:83]
	v_fma_f64 v[84:85], -v[73:74], v[82:83], 1.0
	v_fma_f64 v[82:83], v[82:83], v[84:85], v[82:83]
	v_div_scale_f64 v[84:85], vcc_lo, 1.0, v[0:1], 1.0
	v_mul_f64 v[86:87], v[84:85], v[82:83]
	v_fma_f64 v[73:74], -v[73:74], v[86:87], v[84:85]
	v_div_fmas_f64 v[73:74], v[73:74], v[82:83], v[86:87]
	v_div_fixup_f64 v[0:1], v[73:74], v[0:1], 1.0
.LBB64_155:
	s_or_b32 exec_lo, exec_lo, s0
	s_mov_b32 s0, exec_lo
	v_cmpx_ne_u32_e64 v81, v72
	s_xor_b32 s0, exec_lo, s0
	s_cbranch_execz .LBB64_161
; %bb.156:
	s_mov_b32 s1, exec_lo
	v_cmpx_eq_u32_e32 9, v81
	s_cbranch_execz .LBB64_160
; %bb.157:
	v_cmp_ne_u32_e32 vcc_lo, 9, v72
	s_xor_b32 s2, s6, -1
	s_and_b32 s3, s2, vcc_lo
	s_and_saveexec_b32 s2, s3
	s_cbranch_execz .LBB64_159
; %bb.158:
	v_ashrrev_i32_e32 v73, 31, v72
	v_lshlrev_b64 v[73:74], 2, v[72:73]
	v_add_co_u32 v73, vcc_lo, v4, v73
	v_add_co_ci_u32_e64 v74, null, v5, v74, vcc_lo
	s_clause 0x1
	global_load_dword v75, v[73:74], off
	global_load_dword v81, v[4:5], off offset:36
	s_waitcnt vmcnt(1)
	global_store_dword v[4:5], v75, off offset:36
	s_waitcnt vmcnt(0)
	global_store_dword v[73:74], v81, off
.LBB64_159:
	s_or_b32 exec_lo, exec_lo, s2
	v_mov_b32_e32 v75, v72
	v_mov_b32_e32 v81, v72
.LBB64_160:
	s_or_b32 exec_lo, exec_lo, s1
.LBB64_161:
	s_andn2_saveexec_b32 s0, s0
	s_cbranch_execz .LBB64_163
; %bb.162:
	v_mov_b32_e32 v72, v50
	v_mov_b32_e32 v73, v51
	;; [unrolled: 1-line block ×8, first 2 shown]
	ds_write2_b64 v78, v[72:73], v[81:82] offset0:10 offset1:11
	ds_write2_b64 v78, v[83:84], v[85:86] offset0:12 offset1:13
	v_mov_b32_e32 v72, v40
	v_mov_b32_e32 v73, v41
	;; [unrolled: 1-line block ×20, first 2 shown]
	ds_write2_b64 v78, v[72:73], v[81:82] offset0:14 offset1:15
	ds_write2_b64 v78, v[83:84], v[85:86] offset0:16 offset1:17
	;; [unrolled: 1-line block ×5, first 2 shown]
	v_mov_b32_e32 v72, v20
	v_mov_b32_e32 v73, v21
	;; [unrolled: 1-line block ×8, first 2 shown]
	ds_write2_b64 v78, v[72:73], v[81:82] offset0:24 offset1:25
	v_mov_b32_e32 v81, 9
	v_mov_b32_e32 v87, v12
	;; [unrolled: 1-line block ×9, first 2 shown]
	ds_write2_b64 v78, v[83:84], v[85:86] offset0:26 offset1:27
	ds_write2_b64 v78, v[87:88], v[89:90] offset0:28 offset1:29
	;; [unrolled: 1-line block ×3, first 2 shown]
	ds_write_b64 v78, v[70:71] offset:256
.LBB64_163:
	s_or_b32 exec_lo, exec_lo, s0
	s_mov_b32 s0, exec_lo
	s_waitcnt lgkmcnt(0)
	s_waitcnt_vscnt null, 0x0
	s_barrier
	buffer_gl0_inv
	v_cmpx_lt_i32_e32 9, v81
	s_cbranch_execz .LBB64_165
; %bb.164:
	v_mul_f64 v[48:49], v[0:1], v[48:49]
	ds_read2_b64 v[82:85], v78 offset0:10 offset1:11
	ds_read2_b64 v[86:89], v78 offset0:12 offset1:13
	;; [unrolled: 1-line block ×11, first 2 shown]
	ds_read_b64 v[0:1], v78 offset:256
	s_waitcnt lgkmcnt(11)
	v_fma_f64 v[50:51], -v[48:49], v[82:83], v[50:51]
	v_fma_f64 v[44:45], -v[48:49], v[84:85], v[44:45]
	s_waitcnt lgkmcnt(10)
	v_fma_f64 v[46:47], -v[48:49], v[86:87], v[46:47]
	v_fma_f64 v[42:43], -v[48:49], v[88:89], v[42:43]
	;; [unrolled: 3-line block ×11, first 2 shown]
	s_waitcnt lgkmcnt(0)
	v_fma_f64 v[70:71], -v[48:49], v[0:1], v[70:71]
.LBB64_165:
	s_or_b32 exec_lo, exec_lo, s0
	v_lshl_add_u32 v0, v81, 3, v78
	s_barrier
	buffer_gl0_inv
	v_mov_b32_e32 v72, 10
	ds_write_b64 v0, v[50:51]
	s_waitcnt lgkmcnt(0)
	s_barrier
	buffer_gl0_inv
	ds_read_b64 v[0:1], v78 offset:80
	s_cmp_lt_i32 s7, 12
	s_cbranch_scc1 .LBB64_168
; %bb.166:
	v_add3_u32 v73, v79, 0, 0x58
	v_mov_b32_e32 v72, 10
	s_mov_b32 s0, 11
.LBB64_167:                             ; =>This Inner Loop Header: Depth=1
	ds_read_b64 v[82:83], v73
	v_add_nc_u32_e32 v73, 8, v73
	s_waitcnt lgkmcnt(0)
	v_cmp_lt_f64_e64 vcc_lo, |v[0:1]|, |v[82:83]|
	v_cndmask_b32_e32 v1, v1, v83, vcc_lo
	v_cndmask_b32_e32 v0, v0, v82, vcc_lo
	v_cndmask_b32_e64 v72, v72, s0, vcc_lo
	s_add_i32 s0, s0, 1
	s_cmp_lg_u32 s7, s0
	s_cbranch_scc1 .LBB64_167
.LBB64_168:
	s_mov_b32 s0, exec_lo
	s_waitcnt lgkmcnt(0)
	v_cmpx_eq_f64_e32 0, v[0:1]
	s_xor_b32 s0, exec_lo, s0
; %bb.169:
	v_cmp_ne_u32_e32 vcc_lo, 0, v80
	v_cndmask_b32_e32 v80, 11, v80, vcc_lo
; %bb.170:
	s_andn2_saveexec_b32 s0, s0
	s_cbranch_execz .LBB64_172
; %bb.171:
	v_div_scale_f64 v[73:74], null, v[0:1], v[0:1], 1.0
	v_rcp_f64_e32 v[82:83], v[73:74]
	v_fma_f64 v[84:85], -v[73:74], v[82:83], 1.0
	v_fma_f64 v[82:83], v[82:83], v[84:85], v[82:83]
	v_fma_f64 v[84:85], -v[73:74], v[82:83], 1.0
	v_fma_f64 v[82:83], v[82:83], v[84:85], v[82:83]
	v_div_scale_f64 v[84:85], vcc_lo, 1.0, v[0:1], 1.0
	v_mul_f64 v[86:87], v[84:85], v[82:83]
	v_fma_f64 v[73:74], -v[73:74], v[86:87], v[84:85]
	v_div_fmas_f64 v[73:74], v[73:74], v[82:83], v[86:87]
	v_div_fixup_f64 v[0:1], v[73:74], v[0:1], 1.0
.LBB64_172:
	s_or_b32 exec_lo, exec_lo, s0
	s_mov_b32 s0, exec_lo
	v_cmpx_ne_u32_e64 v81, v72
	s_xor_b32 s0, exec_lo, s0
	s_cbranch_execz .LBB64_178
; %bb.173:
	s_mov_b32 s1, exec_lo
	v_cmpx_eq_u32_e32 10, v81
	s_cbranch_execz .LBB64_177
; %bb.174:
	v_cmp_ne_u32_e32 vcc_lo, 10, v72
	s_xor_b32 s2, s6, -1
	s_and_b32 s3, s2, vcc_lo
	s_and_saveexec_b32 s2, s3
	s_cbranch_execz .LBB64_176
; %bb.175:
	v_ashrrev_i32_e32 v73, 31, v72
	v_lshlrev_b64 v[73:74], 2, v[72:73]
	v_add_co_u32 v73, vcc_lo, v4, v73
	v_add_co_ci_u32_e64 v74, null, v5, v74, vcc_lo
	s_clause 0x1
	global_load_dword v75, v[73:74], off
	global_load_dword v81, v[4:5], off offset:40
	s_waitcnt vmcnt(1)
	global_store_dword v[4:5], v75, off offset:40
	s_waitcnt vmcnt(0)
	global_store_dword v[73:74], v81, off
.LBB64_176:
	s_or_b32 exec_lo, exec_lo, s2
	v_mov_b32_e32 v75, v72
	v_mov_b32_e32 v81, v72
.LBB64_177:
	s_or_b32 exec_lo, exec_lo, s1
.LBB64_178:
	s_andn2_saveexec_b32 s0, s0
	s_cbranch_execz .LBB64_180
; %bb.179:
	v_mov_b32_e32 v81, 10
	ds_write2_b64 v78, v[44:45], v[46:47] offset0:11 offset1:12
	ds_write2_b64 v78, v[42:43], v[40:41] offset0:13 offset1:14
	;; [unrolled: 1-line block ×11, first 2 shown]
.LBB64_180:
	s_or_b32 exec_lo, exec_lo, s0
	s_mov_b32 s0, exec_lo
	s_waitcnt lgkmcnt(0)
	s_waitcnt_vscnt null, 0x0
	s_barrier
	buffer_gl0_inv
	v_cmpx_lt_i32_e32 10, v81
	s_cbranch_execz .LBB64_182
; %bb.181:
	v_mul_f64 v[50:51], v[0:1], v[50:51]
	ds_read2_b64 v[82:85], v78 offset0:11 offset1:12
	ds_read2_b64 v[86:89], v78 offset0:13 offset1:14
	;; [unrolled: 1-line block ×11, first 2 shown]
	s_waitcnt lgkmcnt(10)
	v_fma_f64 v[44:45], -v[50:51], v[82:83], v[44:45]
	v_fma_f64 v[46:47], -v[50:51], v[84:85], v[46:47]
	s_waitcnt lgkmcnt(9)
	v_fma_f64 v[42:43], -v[50:51], v[86:87], v[42:43]
	v_fma_f64 v[40:41], -v[50:51], v[88:89], v[40:41]
	;; [unrolled: 3-line block ×11, first 2 shown]
.LBB64_182:
	s_or_b32 exec_lo, exec_lo, s0
	v_lshl_add_u32 v0, v81, 3, v78
	s_barrier
	buffer_gl0_inv
	v_mov_b32_e32 v72, 11
	ds_write_b64 v0, v[44:45]
	s_waitcnt lgkmcnt(0)
	s_barrier
	buffer_gl0_inv
	ds_read_b64 v[0:1], v78 offset:88
	s_cmp_lt_i32 s7, 13
	s_cbranch_scc1 .LBB64_185
; %bb.183:
	v_add3_u32 v73, v79, 0, 0x60
	v_mov_b32_e32 v72, 11
	s_mov_b32 s0, 12
.LBB64_184:                             ; =>This Inner Loop Header: Depth=1
	ds_read_b64 v[82:83], v73
	v_add_nc_u32_e32 v73, 8, v73
	s_waitcnt lgkmcnt(0)
	v_cmp_lt_f64_e64 vcc_lo, |v[0:1]|, |v[82:83]|
	v_cndmask_b32_e32 v1, v1, v83, vcc_lo
	v_cndmask_b32_e32 v0, v0, v82, vcc_lo
	v_cndmask_b32_e64 v72, v72, s0, vcc_lo
	s_add_i32 s0, s0, 1
	s_cmp_lg_u32 s7, s0
	s_cbranch_scc1 .LBB64_184
.LBB64_185:
	s_mov_b32 s0, exec_lo
	s_waitcnt lgkmcnt(0)
	v_cmpx_eq_f64_e32 0, v[0:1]
	s_xor_b32 s0, exec_lo, s0
; %bb.186:
	v_cmp_ne_u32_e32 vcc_lo, 0, v80
	v_cndmask_b32_e32 v80, 12, v80, vcc_lo
; %bb.187:
	s_andn2_saveexec_b32 s0, s0
	s_cbranch_execz .LBB64_189
; %bb.188:
	v_div_scale_f64 v[73:74], null, v[0:1], v[0:1], 1.0
	v_rcp_f64_e32 v[82:83], v[73:74]
	v_fma_f64 v[84:85], -v[73:74], v[82:83], 1.0
	v_fma_f64 v[82:83], v[82:83], v[84:85], v[82:83]
	v_fma_f64 v[84:85], -v[73:74], v[82:83], 1.0
	v_fma_f64 v[82:83], v[82:83], v[84:85], v[82:83]
	v_div_scale_f64 v[84:85], vcc_lo, 1.0, v[0:1], 1.0
	v_mul_f64 v[86:87], v[84:85], v[82:83]
	v_fma_f64 v[73:74], -v[73:74], v[86:87], v[84:85]
	v_div_fmas_f64 v[73:74], v[73:74], v[82:83], v[86:87]
	v_div_fixup_f64 v[0:1], v[73:74], v[0:1], 1.0
.LBB64_189:
	s_or_b32 exec_lo, exec_lo, s0
	s_mov_b32 s0, exec_lo
	v_cmpx_ne_u32_e64 v81, v72
	s_xor_b32 s0, exec_lo, s0
	s_cbranch_execz .LBB64_195
; %bb.190:
	s_mov_b32 s1, exec_lo
	v_cmpx_eq_u32_e32 11, v81
	s_cbranch_execz .LBB64_194
; %bb.191:
	v_cmp_ne_u32_e32 vcc_lo, 11, v72
	s_xor_b32 s2, s6, -1
	s_and_b32 s3, s2, vcc_lo
	s_and_saveexec_b32 s2, s3
	s_cbranch_execz .LBB64_193
; %bb.192:
	v_ashrrev_i32_e32 v73, 31, v72
	v_lshlrev_b64 v[73:74], 2, v[72:73]
	v_add_co_u32 v73, vcc_lo, v4, v73
	v_add_co_ci_u32_e64 v74, null, v5, v74, vcc_lo
	s_clause 0x1
	global_load_dword v75, v[73:74], off
	global_load_dword v81, v[4:5], off offset:44
	s_waitcnt vmcnt(1)
	global_store_dword v[4:5], v75, off offset:44
	s_waitcnt vmcnt(0)
	global_store_dword v[73:74], v81, off
.LBB64_193:
	s_or_b32 exec_lo, exec_lo, s2
	v_mov_b32_e32 v75, v72
	v_mov_b32_e32 v81, v72
.LBB64_194:
	s_or_b32 exec_lo, exec_lo, s1
.LBB64_195:
	s_andn2_saveexec_b32 s0, s0
	s_cbranch_execz .LBB64_197
; %bb.196:
	v_mov_b32_e32 v72, v46
	v_mov_b32_e32 v73, v47
	;; [unrolled: 1-line block ×8, first 2 shown]
	ds_write2_b64 v78, v[72:73], v[81:82] offset0:12 offset1:13
	v_mov_b32_e32 v72, v38
	v_mov_b32_e32 v73, v39
	;; [unrolled: 1-line block ×16, first 2 shown]
	ds_write2_b64 v78, v[83:84], v[72:73] offset0:14 offset1:15
	ds_write2_b64 v78, v[81:82], v[85:86] offset0:16 offset1:17
	;; [unrolled: 1-line block ×5, first 2 shown]
	v_mov_b32_e32 v72, v20
	v_mov_b32_e32 v73, v21
	;; [unrolled: 1-line block ×8, first 2 shown]
	ds_write2_b64 v78, v[72:73], v[81:82] offset0:24 offset1:25
	v_mov_b32_e32 v81, 11
	v_mov_b32_e32 v87, v12
	;; [unrolled: 1-line block ×9, first 2 shown]
	ds_write2_b64 v78, v[83:84], v[85:86] offset0:26 offset1:27
	ds_write2_b64 v78, v[87:88], v[89:90] offset0:28 offset1:29
	;; [unrolled: 1-line block ×3, first 2 shown]
	ds_write_b64 v78, v[70:71] offset:256
.LBB64_197:
	s_or_b32 exec_lo, exec_lo, s0
	s_mov_b32 s0, exec_lo
	s_waitcnt lgkmcnt(0)
	s_waitcnt_vscnt null, 0x0
	s_barrier
	buffer_gl0_inv
	v_cmpx_lt_i32_e32 11, v81
	s_cbranch_execz .LBB64_199
; %bb.198:
	v_mul_f64 v[44:45], v[0:1], v[44:45]
	ds_read2_b64 v[82:85], v78 offset0:12 offset1:13
	ds_read2_b64 v[86:89], v78 offset0:14 offset1:15
	;; [unrolled: 1-line block ×10, first 2 shown]
	ds_read_b64 v[0:1], v78 offset:256
	s_waitcnt lgkmcnt(10)
	v_fma_f64 v[46:47], -v[44:45], v[82:83], v[46:47]
	v_fma_f64 v[42:43], -v[44:45], v[84:85], v[42:43]
	s_waitcnt lgkmcnt(9)
	v_fma_f64 v[40:41], -v[44:45], v[86:87], v[40:41]
	v_fma_f64 v[38:39], -v[44:45], v[88:89], v[38:39]
	;; [unrolled: 3-line block ×10, first 2 shown]
	s_waitcnt lgkmcnt(0)
	v_fma_f64 v[70:71], -v[44:45], v[0:1], v[70:71]
.LBB64_199:
	s_or_b32 exec_lo, exec_lo, s0
	v_lshl_add_u32 v0, v81, 3, v78
	s_barrier
	buffer_gl0_inv
	v_mov_b32_e32 v72, 12
	ds_write_b64 v0, v[46:47]
	s_waitcnt lgkmcnt(0)
	s_barrier
	buffer_gl0_inv
	ds_read_b64 v[0:1], v78 offset:96
	s_cmp_lt_i32 s7, 14
	s_cbranch_scc1 .LBB64_202
; %bb.200:
	v_add3_u32 v73, v79, 0, 0x68
	v_mov_b32_e32 v72, 12
	s_mov_b32 s0, 13
.LBB64_201:                             ; =>This Inner Loop Header: Depth=1
	ds_read_b64 v[82:83], v73
	v_add_nc_u32_e32 v73, 8, v73
	s_waitcnt lgkmcnt(0)
	v_cmp_lt_f64_e64 vcc_lo, |v[0:1]|, |v[82:83]|
	v_cndmask_b32_e32 v1, v1, v83, vcc_lo
	v_cndmask_b32_e32 v0, v0, v82, vcc_lo
	v_cndmask_b32_e64 v72, v72, s0, vcc_lo
	s_add_i32 s0, s0, 1
	s_cmp_lg_u32 s7, s0
	s_cbranch_scc1 .LBB64_201
.LBB64_202:
	s_mov_b32 s0, exec_lo
	s_waitcnt lgkmcnt(0)
	v_cmpx_eq_f64_e32 0, v[0:1]
	s_xor_b32 s0, exec_lo, s0
; %bb.203:
	v_cmp_ne_u32_e32 vcc_lo, 0, v80
	v_cndmask_b32_e32 v80, 13, v80, vcc_lo
; %bb.204:
	s_andn2_saveexec_b32 s0, s0
	s_cbranch_execz .LBB64_206
; %bb.205:
	v_div_scale_f64 v[73:74], null, v[0:1], v[0:1], 1.0
	v_rcp_f64_e32 v[82:83], v[73:74]
	v_fma_f64 v[84:85], -v[73:74], v[82:83], 1.0
	v_fma_f64 v[82:83], v[82:83], v[84:85], v[82:83]
	v_fma_f64 v[84:85], -v[73:74], v[82:83], 1.0
	v_fma_f64 v[82:83], v[82:83], v[84:85], v[82:83]
	v_div_scale_f64 v[84:85], vcc_lo, 1.0, v[0:1], 1.0
	v_mul_f64 v[86:87], v[84:85], v[82:83]
	v_fma_f64 v[73:74], -v[73:74], v[86:87], v[84:85]
	v_div_fmas_f64 v[73:74], v[73:74], v[82:83], v[86:87]
	v_div_fixup_f64 v[0:1], v[73:74], v[0:1], 1.0
.LBB64_206:
	s_or_b32 exec_lo, exec_lo, s0
	s_mov_b32 s0, exec_lo
	v_cmpx_ne_u32_e64 v81, v72
	s_xor_b32 s0, exec_lo, s0
	s_cbranch_execz .LBB64_212
; %bb.207:
	s_mov_b32 s1, exec_lo
	v_cmpx_eq_u32_e32 12, v81
	s_cbranch_execz .LBB64_211
; %bb.208:
	v_cmp_ne_u32_e32 vcc_lo, 12, v72
	s_xor_b32 s2, s6, -1
	s_and_b32 s3, s2, vcc_lo
	s_and_saveexec_b32 s2, s3
	s_cbranch_execz .LBB64_210
; %bb.209:
	v_ashrrev_i32_e32 v73, 31, v72
	v_lshlrev_b64 v[73:74], 2, v[72:73]
	v_add_co_u32 v73, vcc_lo, v4, v73
	v_add_co_ci_u32_e64 v74, null, v5, v74, vcc_lo
	s_clause 0x1
	global_load_dword v75, v[73:74], off
	global_load_dword v81, v[4:5], off offset:48
	s_waitcnt vmcnt(1)
	global_store_dword v[4:5], v75, off offset:48
	s_waitcnt vmcnt(0)
	global_store_dword v[73:74], v81, off
.LBB64_210:
	s_or_b32 exec_lo, exec_lo, s2
	v_mov_b32_e32 v75, v72
	v_mov_b32_e32 v81, v72
.LBB64_211:
	s_or_b32 exec_lo, exec_lo, s1
.LBB64_212:
	s_andn2_saveexec_b32 s0, s0
	s_cbranch_execz .LBB64_214
; %bb.213:
	v_mov_b32_e32 v81, 12
	ds_write2_b64 v78, v[42:43], v[40:41] offset0:13 offset1:14
	ds_write2_b64 v78, v[38:39], v[36:37] offset0:15 offset1:16
	;; [unrolled: 1-line block ×10, first 2 shown]
.LBB64_214:
	s_or_b32 exec_lo, exec_lo, s0
	s_mov_b32 s0, exec_lo
	s_waitcnt lgkmcnt(0)
	s_waitcnt_vscnt null, 0x0
	s_barrier
	buffer_gl0_inv
	v_cmpx_lt_i32_e32 12, v81
	s_cbranch_execz .LBB64_216
; %bb.215:
	v_mul_f64 v[46:47], v[0:1], v[46:47]
	ds_read2_b64 v[82:85], v78 offset0:13 offset1:14
	ds_read2_b64 v[86:89], v78 offset0:15 offset1:16
	;; [unrolled: 1-line block ×10, first 2 shown]
	s_waitcnt lgkmcnt(9)
	v_fma_f64 v[42:43], -v[46:47], v[82:83], v[42:43]
	v_fma_f64 v[40:41], -v[46:47], v[84:85], v[40:41]
	s_waitcnt lgkmcnt(8)
	v_fma_f64 v[38:39], -v[46:47], v[86:87], v[38:39]
	v_fma_f64 v[36:37], -v[46:47], v[88:89], v[36:37]
	;; [unrolled: 3-line block ×10, first 2 shown]
.LBB64_216:
	s_or_b32 exec_lo, exec_lo, s0
	v_lshl_add_u32 v0, v81, 3, v78
	s_barrier
	buffer_gl0_inv
	v_mov_b32_e32 v72, 13
	ds_write_b64 v0, v[42:43]
	s_waitcnt lgkmcnt(0)
	s_barrier
	buffer_gl0_inv
	ds_read_b64 v[0:1], v78 offset:104
	s_cmp_lt_i32 s7, 15
	s_cbranch_scc1 .LBB64_219
; %bb.217:
	v_add3_u32 v73, v79, 0, 0x70
	v_mov_b32_e32 v72, 13
	s_mov_b32 s0, 14
.LBB64_218:                             ; =>This Inner Loop Header: Depth=1
	ds_read_b64 v[82:83], v73
	v_add_nc_u32_e32 v73, 8, v73
	s_waitcnt lgkmcnt(0)
	v_cmp_lt_f64_e64 vcc_lo, |v[0:1]|, |v[82:83]|
	v_cndmask_b32_e32 v1, v1, v83, vcc_lo
	v_cndmask_b32_e32 v0, v0, v82, vcc_lo
	v_cndmask_b32_e64 v72, v72, s0, vcc_lo
	s_add_i32 s0, s0, 1
	s_cmp_lg_u32 s7, s0
	s_cbranch_scc1 .LBB64_218
.LBB64_219:
	s_mov_b32 s0, exec_lo
	s_waitcnt lgkmcnt(0)
	v_cmpx_eq_f64_e32 0, v[0:1]
	s_xor_b32 s0, exec_lo, s0
; %bb.220:
	v_cmp_ne_u32_e32 vcc_lo, 0, v80
	v_cndmask_b32_e32 v80, 14, v80, vcc_lo
; %bb.221:
	s_andn2_saveexec_b32 s0, s0
	s_cbranch_execz .LBB64_223
; %bb.222:
	v_div_scale_f64 v[73:74], null, v[0:1], v[0:1], 1.0
	v_rcp_f64_e32 v[82:83], v[73:74]
	v_fma_f64 v[84:85], -v[73:74], v[82:83], 1.0
	v_fma_f64 v[82:83], v[82:83], v[84:85], v[82:83]
	v_fma_f64 v[84:85], -v[73:74], v[82:83], 1.0
	v_fma_f64 v[82:83], v[82:83], v[84:85], v[82:83]
	v_div_scale_f64 v[84:85], vcc_lo, 1.0, v[0:1], 1.0
	v_mul_f64 v[86:87], v[84:85], v[82:83]
	v_fma_f64 v[73:74], -v[73:74], v[86:87], v[84:85]
	v_div_fmas_f64 v[73:74], v[73:74], v[82:83], v[86:87]
	v_div_fixup_f64 v[0:1], v[73:74], v[0:1], 1.0
.LBB64_223:
	s_or_b32 exec_lo, exec_lo, s0
	s_mov_b32 s0, exec_lo
	v_cmpx_ne_u32_e64 v81, v72
	s_xor_b32 s0, exec_lo, s0
	s_cbranch_execz .LBB64_229
; %bb.224:
	s_mov_b32 s1, exec_lo
	v_cmpx_eq_u32_e32 13, v81
	s_cbranch_execz .LBB64_228
; %bb.225:
	v_cmp_ne_u32_e32 vcc_lo, 13, v72
	s_xor_b32 s2, s6, -1
	s_and_b32 s3, s2, vcc_lo
	s_and_saveexec_b32 s2, s3
	s_cbranch_execz .LBB64_227
; %bb.226:
	v_ashrrev_i32_e32 v73, 31, v72
	v_lshlrev_b64 v[73:74], 2, v[72:73]
	v_add_co_u32 v73, vcc_lo, v4, v73
	v_add_co_ci_u32_e64 v74, null, v5, v74, vcc_lo
	s_clause 0x1
	global_load_dword v75, v[73:74], off
	global_load_dword v81, v[4:5], off offset:52
	s_waitcnt vmcnt(1)
	global_store_dword v[4:5], v75, off offset:52
	s_waitcnt vmcnt(0)
	global_store_dword v[73:74], v81, off
.LBB64_227:
	s_or_b32 exec_lo, exec_lo, s2
	v_mov_b32_e32 v75, v72
	v_mov_b32_e32 v81, v72
.LBB64_228:
	s_or_b32 exec_lo, exec_lo, s1
.LBB64_229:
	s_andn2_saveexec_b32 s0, s0
	s_cbranch_execz .LBB64_231
; %bb.230:
	v_mov_b32_e32 v72, v40
	v_mov_b32_e32 v73, v41
	;; [unrolled: 1-line block ×20, first 2 shown]
	ds_write2_b64 v78, v[72:73], v[81:82] offset0:14 offset1:15
	ds_write2_b64 v78, v[83:84], v[85:86] offset0:16 offset1:17
	;; [unrolled: 1-line block ×5, first 2 shown]
	v_mov_b32_e32 v72, v20
	v_mov_b32_e32 v73, v21
	;; [unrolled: 1-line block ×8, first 2 shown]
	ds_write2_b64 v78, v[72:73], v[81:82] offset0:24 offset1:25
	v_mov_b32_e32 v81, 13
	v_mov_b32_e32 v87, v12
	;; [unrolled: 1-line block ×9, first 2 shown]
	ds_write2_b64 v78, v[83:84], v[85:86] offset0:26 offset1:27
	ds_write2_b64 v78, v[87:88], v[89:90] offset0:28 offset1:29
	;; [unrolled: 1-line block ×3, first 2 shown]
	ds_write_b64 v78, v[70:71] offset:256
.LBB64_231:
	s_or_b32 exec_lo, exec_lo, s0
	s_mov_b32 s0, exec_lo
	s_waitcnt lgkmcnt(0)
	s_waitcnt_vscnt null, 0x0
	s_barrier
	buffer_gl0_inv
	v_cmpx_lt_i32_e32 13, v81
	s_cbranch_execz .LBB64_233
; %bb.232:
	v_mul_f64 v[42:43], v[0:1], v[42:43]
	ds_read2_b64 v[82:85], v78 offset0:14 offset1:15
	ds_read2_b64 v[86:89], v78 offset0:16 offset1:17
	;; [unrolled: 1-line block ×9, first 2 shown]
	ds_read_b64 v[0:1], v78 offset:256
	s_waitcnt lgkmcnt(9)
	v_fma_f64 v[40:41], -v[42:43], v[82:83], v[40:41]
	v_fma_f64 v[38:39], -v[42:43], v[84:85], v[38:39]
	s_waitcnt lgkmcnt(8)
	v_fma_f64 v[36:37], -v[42:43], v[86:87], v[36:37]
	v_fma_f64 v[34:35], -v[42:43], v[88:89], v[34:35]
	;; [unrolled: 3-line block ×9, first 2 shown]
	s_waitcnt lgkmcnt(0)
	v_fma_f64 v[70:71], -v[42:43], v[0:1], v[70:71]
.LBB64_233:
	s_or_b32 exec_lo, exec_lo, s0
	v_lshl_add_u32 v0, v81, 3, v78
	s_barrier
	buffer_gl0_inv
	v_mov_b32_e32 v72, 14
	ds_write_b64 v0, v[40:41]
	s_waitcnt lgkmcnt(0)
	s_barrier
	buffer_gl0_inv
	ds_read_b64 v[0:1], v78 offset:112
	s_cmp_lt_i32 s7, 16
	s_cbranch_scc1 .LBB64_236
; %bb.234:
	v_add3_u32 v73, v79, 0, 0x78
	v_mov_b32_e32 v72, 14
	s_mov_b32 s0, 15
.LBB64_235:                             ; =>This Inner Loop Header: Depth=1
	ds_read_b64 v[82:83], v73
	v_add_nc_u32_e32 v73, 8, v73
	s_waitcnt lgkmcnt(0)
	v_cmp_lt_f64_e64 vcc_lo, |v[0:1]|, |v[82:83]|
	v_cndmask_b32_e32 v1, v1, v83, vcc_lo
	v_cndmask_b32_e32 v0, v0, v82, vcc_lo
	v_cndmask_b32_e64 v72, v72, s0, vcc_lo
	s_add_i32 s0, s0, 1
	s_cmp_lg_u32 s7, s0
	s_cbranch_scc1 .LBB64_235
.LBB64_236:
	s_mov_b32 s0, exec_lo
	s_waitcnt lgkmcnt(0)
	v_cmpx_eq_f64_e32 0, v[0:1]
	s_xor_b32 s0, exec_lo, s0
; %bb.237:
	v_cmp_ne_u32_e32 vcc_lo, 0, v80
	v_cndmask_b32_e32 v80, 15, v80, vcc_lo
; %bb.238:
	s_andn2_saveexec_b32 s0, s0
	s_cbranch_execz .LBB64_240
; %bb.239:
	v_div_scale_f64 v[73:74], null, v[0:1], v[0:1], 1.0
	v_rcp_f64_e32 v[82:83], v[73:74]
	v_fma_f64 v[84:85], -v[73:74], v[82:83], 1.0
	v_fma_f64 v[82:83], v[82:83], v[84:85], v[82:83]
	v_fma_f64 v[84:85], -v[73:74], v[82:83], 1.0
	v_fma_f64 v[82:83], v[82:83], v[84:85], v[82:83]
	v_div_scale_f64 v[84:85], vcc_lo, 1.0, v[0:1], 1.0
	v_mul_f64 v[86:87], v[84:85], v[82:83]
	v_fma_f64 v[73:74], -v[73:74], v[86:87], v[84:85]
	v_div_fmas_f64 v[73:74], v[73:74], v[82:83], v[86:87]
	v_div_fixup_f64 v[0:1], v[73:74], v[0:1], 1.0
.LBB64_240:
	s_or_b32 exec_lo, exec_lo, s0
	s_mov_b32 s0, exec_lo
	v_cmpx_ne_u32_e64 v81, v72
	s_xor_b32 s0, exec_lo, s0
	s_cbranch_execz .LBB64_246
; %bb.241:
	s_mov_b32 s1, exec_lo
	v_cmpx_eq_u32_e32 14, v81
	s_cbranch_execz .LBB64_245
; %bb.242:
	v_cmp_ne_u32_e32 vcc_lo, 14, v72
	s_xor_b32 s2, s6, -1
	s_and_b32 s3, s2, vcc_lo
	s_and_saveexec_b32 s2, s3
	s_cbranch_execz .LBB64_244
; %bb.243:
	v_ashrrev_i32_e32 v73, 31, v72
	v_lshlrev_b64 v[73:74], 2, v[72:73]
	v_add_co_u32 v73, vcc_lo, v4, v73
	v_add_co_ci_u32_e64 v74, null, v5, v74, vcc_lo
	s_clause 0x1
	global_load_dword v75, v[73:74], off
	global_load_dword v81, v[4:5], off offset:56
	s_waitcnt vmcnt(1)
	global_store_dword v[4:5], v75, off offset:56
	s_waitcnt vmcnt(0)
	global_store_dword v[73:74], v81, off
.LBB64_244:
	s_or_b32 exec_lo, exec_lo, s2
	v_mov_b32_e32 v75, v72
	v_mov_b32_e32 v81, v72
.LBB64_245:
	s_or_b32 exec_lo, exec_lo, s1
.LBB64_246:
	s_andn2_saveexec_b32 s0, s0
	s_cbranch_execz .LBB64_248
; %bb.247:
	v_mov_b32_e32 v81, 14
	ds_write2_b64 v78, v[38:39], v[36:37] offset0:15 offset1:16
	ds_write2_b64 v78, v[34:35], v[32:33] offset0:17 offset1:18
	;; [unrolled: 1-line block ×9, first 2 shown]
.LBB64_248:
	s_or_b32 exec_lo, exec_lo, s0
	s_mov_b32 s0, exec_lo
	s_waitcnt lgkmcnt(0)
	s_waitcnt_vscnt null, 0x0
	s_barrier
	buffer_gl0_inv
	v_cmpx_lt_i32_e32 14, v81
	s_cbranch_execz .LBB64_250
; %bb.249:
	v_mul_f64 v[40:41], v[0:1], v[40:41]
	ds_read2_b64 v[82:85], v78 offset0:15 offset1:16
	ds_read2_b64 v[86:89], v78 offset0:17 offset1:18
	;; [unrolled: 1-line block ×9, first 2 shown]
	s_waitcnt lgkmcnt(8)
	v_fma_f64 v[38:39], -v[40:41], v[82:83], v[38:39]
	v_fma_f64 v[36:37], -v[40:41], v[84:85], v[36:37]
	s_waitcnt lgkmcnt(7)
	v_fma_f64 v[34:35], -v[40:41], v[86:87], v[34:35]
	v_fma_f64 v[32:33], -v[40:41], v[88:89], v[32:33]
	;; [unrolled: 3-line block ×9, first 2 shown]
.LBB64_250:
	s_or_b32 exec_lo, exec_lo, s0
	v_lshl_add_u32 v0, v81, 3, v78
	s_barrier
	buffer_gl0_inv
	v_mov_b32_e32 v72, 15
	ds_write_b64 v0, v[38:39]
	s_waitcnt lgkmcnt(0)
	s_barrier
	buffer_gl0_inv
	ds_read_b64 v[0:1], v78 offset:120
	s_cmp_lt_i32 s7, 17
	s_cbranch_scc1 .LBB64_253
; %bb.251:
	v_add3_u32 v73, v79, 0, 0x80
	v_mov_b32_e32 v72, 15
	s_mov_b32 s0, 16
.LBB64_252:                             ; =>This Inner Loop Header: Depth=1
	ds_read_b64 v[82:83], v73
	v_add_nc_u32_e32 v73, 8, v73
	s_waitcnt lgkmcnt(0)
	v_cmp_lt_f64_e64 vcc_lo, |v[0:1]|, |v[82:83]|
	v_cndmask_b32_e32 v1, v1, v83, vcc_lo
	v_cndmask_b32_e32 v0, v0, v82, vcc_lo
	v_cndmask_b32_e64 v72, v72, s0, vcc_lo
	s_add_i32 s0, s0, 1
	s_cmp_lg_u32 s7, s0
	s_cbranch_scc1 .LBB64_252
.LBB64_253:
	s_mov_b32 s0, exec_lo
	s_waitcnt lgkmcnt(0)
	v_cmpx_eq_f64_e32 0, v[0:1]
	s_xor_b32 s0, exec_lo, s0
; %bb.254:
	v_cmp_ne_u32_e32 vcc_lo, 0, v80
	v_cndmask_b32_e32 v80, 16, v80, vcc_lo
; %bb.255:
	s_andn2_saveexec_b32 s0, s0
	s_cbranch_execz .LBB64_257
; %bb.256:
	v_div_scale_f64 v[73:74], null, v[0:1], v[0:1], 1.0
	v_rcp_f64_e32 v[82:83], v[73:74]
	v_fma_f64 v[84:85], -v[73:74], v[82:83], 1.0
	v_fma_f64 v[82:83], v[82:83], v[84:85], v[82:83]
	v_fma_f64 v[84:85], -v[73:74], v[82:83], 1.0
	v_fma_f64 v[82:83], v[82:83], v[84:85], v[82:83]
	v_div_scale_f64 v[84:85], vcc_lo, 1.0, v[0:1], 1.0
	v_mul_f64 v[86:87], v[84:85], v[82:83]
	v_fma_f64 v[73:74], -v[73:74], v[86:87], v[84:85]
	v_div_fmas_f64 v[73:74], v[73:74], v[82:83], v[86:87]
	v_div_fixup_f64 v[0:1], v[73:74], v[0:1], 1.0
.LBB64_257:
	s_or_b32 exec_lo, exec_lo, s0
	s_mov_b32 s0, exec_lo
	v_cmpx_ne_u32_e64 v81, v72
	s_xor_b32 s0, exec_lo, s0
	s_cbranch_execz .LBB64_263
; %bb.258:
	s_mov_b32 s1, exec_lo
	v_cmpx_eq_u32_e32 15, v81
	s_cbranch_execz .LBB64_262
; %bb.259:
	v_cmp_ne_u32_e32 vcc_lo, 15, v72
	s_xor_b32 s2, s6, -1
	s_and_b32 s3, s2, vcc_lo
	s_and_saveexec_b32 s2, s3
	s_cbranch_execz .LBB64_261
; %bb.260:
	v_ashrrev_i32_e32 v73, 31, v72
	v_lshlrev_b64 v[73:74], 2, v[72:73]
	v_add_co_u32 v73, vcc_lo, v4, v73
	v_add_co_ci_u32_e64 v74, null, v5, v74, vcc_lo
	s_clause 0x1
	global_load_dword v75, v[73:74], off
	global_load_dword v81, v[4:5], off offset:60
	s_waitcnt vmcnt(1)
	global_store_dword v[4:5], v75, off offset:60
	s_waitcnt vmcnt(0)
	global_store_dword v[73:74], v81, off
.LBB64_261:
	s_or_b32 exec_lo, exec_lo, s2
	v_mov_b32_e32 v75, v72
	v_mov_b32_e32 v81, v72
.LBB64_262:
	s_or_b32 exec_lo, exec_lo, s1
.LBB64_263:
	s_andn2_saveexec_b32 s0, s0
	s_cbranch_execz .LBB64_265
; %bb.264:
	v_mov_b32_e32 v72, v36
	v_mov_b32_e32 v73, v37
	v_mov_b32_e32 v81, v34
	v_mov_b32_e32 v82, v35
	v_mov_b32_e32 v83, v32
	v_mov_b32_e32 v84, v33
	v_mov_b32_e32 v85, v28
	v_mov_b32_e32 v86, v29
	v_mov_b32_e32 v87, v30
	v_mov_b32_e32 v88, v31
	v_mov_b32_e32 v89, v24
	v_mov_b32_e32 v90, v25
	v_mov_b32_e32 v91, v26
	v_mov_b32_e32 v92, v27
	v_mov_b32_e32 v93, v22
	v_mov_b32_e32 v94, v23
	ds_write2_b64 v78, v[72:73], v[81:82] offset0:16 offset1:17
	ds_write2_b64 v78, v[83:84], v[85:86] offset0:18 offset1:19
	;; [unrolled: 1-line block ×4, first 2 shown]
	v_mov_b32_e32 v72, v20
	v_mov_b32_e32 v73, v21
	;; [unrolled: 1-line block ×8, first 2 shown]
	ds_write2_b64 v78, v[72:73], v[81:82] offset0:24 offset1:25
	v_mov_b32_e32 v81, 15
	v_mov_b32_e32 v87, v12
	;; [unrolled: 1-line block ×9, first 2 shown]
	ds_write2_b64 v78, v[83:84], v[85:86] offset0:26 offset1:27
	ds_write2_b64 v78, v[87:88], v[89:90] offset0:28 offset1:29
	;; [unrolled: 1-line block ×3, first 2 shown]
	ds_write_b64 v78, v[70:71] offset:256
.LBB64_265:
	s_or_b32 exec_lo, exec_lo, s0
	s_mov_b32 s0, exec_lo
	s_waitcnt lgkmcnt(0)
	s_waitcnt_vscnt null, 0x0
	s_barrier
	buffer_gl0_inv
	v_cmpx_lt_i32_e32 15, v81
	s_cbranch_execz .LBB64_267
; %bb.266:
	v_mul_f64 v[38:39], v[0:1], v[38:39]
	ds_read2_b64 v[82:85], v78 offset0:16 offset1:17
	ds_read2_b64 v[86:89], v78 offset0:18 offset1:19
	;; [unrolled: 1-line block ×8, first 2 shown]
	ds_read_b64 v[0:1], v78 offset:256
	s_waitcnt lgkmcnt(8)
	v_fma_f64 v[36:37], -v[38:39], v[82:83], v[36:37]
	v_fma_f64 v[34:35], -v[38:39], v[84:85], v[34:35]
	s_waitcnt lgkmcnt(7)
	v_fma_f64 v[32:33], -v[38:39], v[86:87], v[32:33]
	v_fma_f64 v[28:29], -v[38:39], v[88:89], v[28:29]
	;; [unrolled: 3-line block ×8, first 2 shown]
	s_waitcnt lgkmcnt(0)
	v_fma_f64 v[70:71], -v[38:39], v[0:1], v[70:71]
.LBB64_267:
	s_or_b32 exec_lo, exec_lo, s0
	v_lshl_add_u32 v0, v81, 3, v78
	s_barrier
	buffer_gl0_inv
	v_mov_b32_e32 v72, 16
	ds_write_b64 v0, v[36:37]
	s_waitcnt lgkmcnt(0)
	s_barrier
	buffer_gl0_inv
	ds_read_b64 v[0:1], v78 offset:128
	s_cmp_lt_i32 s7, 18
	s_cbranch_scc1 .LBB64_270
; %bb.268:
	v_add3_u32 v73, v79, 0, 0x88
	v_mov_b32_e32 v72, 16
	s_mov_b32 s0, 17
.LBB64_269:                             ; =>This Inner Loop Header: Depth=1
	ds_read_b64 v[82:83], v73
	v_add_nc_u32_e32 v73, 8, v73
	s_waitcnt lgkmcnt(0)
	v_cmp_lt_f64_e64 vcc_lo, |v[0:1]|, |v[82:83]|
	v_cndmask_b32_e32 v1, v1, v83, vcc_lo
	v_cndmask_b32_e32 v0, v0, v82, vcc_lo
	v_cndmask_b32_e64 v72, v72, s0, vcc_lo
	s_add_i32 s0, s0, 1
	s_cmp_lg_u32 s7, s0
	s_cbranch_scc1 .LBB64_269
.LBB64_270:
	s_mov_b32 s0, exec_lo
	s_waitcnt lgkmcnt(0)
	v_cmpx_eq_f64_e32 0, v[0:1]
	s_xor_b32 s0, exec_lo, s0
; %bb.271:
	v_cmp_ne_u32_e32 vcc_lo, 0, v80
	v_cndmask_b32_e32 v80, 17, v80, vcc_lo
; %bb.272:
	s_andn2_saveexec_b32 s0, s0
	s_cbranch_execz .LBB64_274
; %bb.273:
	v_div_scale_f64 v[73:74], null, v[0:1], v[0:1], 1.0
	v_rcp_f64_e32 v[82:83], v[73:74]
	v_fma_f64 v[84:85], -v[73:74], v[82:83], 1.0
	v_fma_f64 v[82:83], v[82:83], v[84:85], v[82:83]
	v_fma_f64 v[84:85], -v[73:74], v[82:83], 1.0
	v_fma_f64 v[82:83], v[82:83], v[84:85], v[82:83]
	v_div_scale_f64 v[84:85], vcc_lo, 1.0, v[0:1], 1.0
	v_mul_f64 v[86:87], v[84:85], v[82:83]
	v_fma_f64 v[73:74], -v[73:74], v[86:87], v[84:85]
	v_div_fmas_f64 v[73:74], v[73:74], v[82:83], v[86:87]
	v_div_fixup_f64 v[0:1], v[73:74], v[0:1], 1.0
.LBB64_274:
	s_or_b32 exec_lo, exec_lo, s0
	s_mov_b32 s0, exec_lo
	v_cmpx_ne_u32_e64 v81, v72
	s_xor_b32 s0, exec_lo, s0
	s_cbranch_execz .LBB64_280
; %bb.275:
	s_mov_b32 s1, exec_lo
	v_cmpx_eq_u32_e32 16, v81
	s_cbranch_execz .LBB64_279
; %bb.276:
	v_cmp_ne_u32_e32 vcc_lo, 16, v72
	s_xor_b32 s2, s6, -1
	s_and_b32 s3, s2, vcc_lo
	s_and_saveexec_b32 s2, s3
	s_cbranch_execz .LBB64_278
; %bb.277:
	v_ashrrev_i32_e32 v73, 31, v72
	v_lshlrev_b64 v[73:74], 2, v[72:73]
	v_add_co_u32 v73, vcc_lo, v4, v73
	v_add_co_ci_u32_e64 v74, null, v5, v74, vcc_lo
	s_clause 0x1
	global_load_dword v75, v[73:74], off
	global_load_dword v81, v[4:5], off offset:64
	s_waitcnt vmcnt(1)
	global_store_dword v[4:5], v75, off offset:64
	s_waitcnt vmcnt(0)
	global_store_dword v[73:74], v81, off
.LBB64_278:
	s_or_b32 exec_lo, exec_lo, s2
	v_mov_b32_e32 v75, v72
	v_mov_b32_e32 v81, v72
.LBB64_279:
	s_or_b32 exec_lo, exec_lo, s1
.LBB64_280:
	s_andn2_saveexec_b32 s0, s0
	s_cbranch_execz .LBB64_282
; %bb.281:
	v_mov_b32_e32 v81, 16
	ds_write2_b64 v78, v[34:35], v[32:33] offset0:17 offset1:18
	ds_write2_b64 v78, v[28:29], v[30:31] offset0:19 offset1:20
	;; [unrolled: 1-line block ×8, first 2 shown]
.LBB64_282:
	s_or_b32 exec_lo, exec_lo, s0
	s_mov_b32 s0, exec_lo
	s_waitcnt lgkmcnt(0)
	s_waitcnt_vscnt null, 0x0
	s_barrier
	buffer_gl0_inv
	v_cmpx_lt_i32_e32 16, v81
	s_cbranch_execz .LBB64_284
; %bb.283:
	v_mul_f64 v[36:37], v[0:1], v[36:37]
	ds_read2_b64 v[82:85], v78 offset0:17 offset1:18
	ds_read2_b64 v[86:89], v78 offset0:19 offset1:20
	;; [unrolled: 1-line block ×8, first 2 shown]
	s_waitcnt lgkmcnt(7)
	v_fma_f64 v[34:35], -v[36:37], v[82:83], v[34:35]
	v_fma_f64 v[32:33], -v[36:37], v[84:85], v[32:33]
	s_waitcnt lgkmcnt(6)
	v_fma_f64 v[28:29], -v[36:37], v[86:87], v[28:29]
	v_fma_f64 v[30:31], -v[36:37], v[88:89], v[30:31]
	;; [unrolled: 3-line block ×8, first 2 shown]
.LBB64_284:
	s_or_b32 exec_lo, exec_lo, s0
	v_lshl_add_u32 v0, v81, 3, v78
	s_barrier
	buffer_gl0_inv
	v_mov_b32_e32 v72, 17
	ds_write_b64 v0, v[34:35]
	s_waitcnt lgkmcnt(0)
	s_barrier
	buffer_gl0_inv
	ds_read_b64 v[0:1], v78 offset:136
	s_cmp_lt_i32 s7, 19
	s_cbranch_scc1 .LBB64_287
; %bb.285:
	v_add3_u32 v73, v79, 0, 0x90
	v_mov_b32_e32 v72, 17
	s_mov_b32 s0, 18
.LBB64_286:                             ; =>This Inner Loop Header: Depth=1
	ds_read_b64 v[82:83], v73
	v_add_nc_u32_e32 v73, 8, v73
	s_waitcnt lgkmcnt(0)
	v_cmp_lt_f64_e64 vcc_lo, |v[0:1]|, |v[82:83]|
	v_cndmask_b32_e32 v1, v1, v83, vcc_lo
	v_cndmask_b32_e32 v0, v0, v82, vcc_lo
	v_cndmask_b32_e64 v72, v72, s0, vcc_lo
	s_add_i32 s0, s0, 1
	s_cmp_lg_u32 s7, s0
	s_cbranch_scc1 .LBB64_286
.LBB64_287:
	s_mov_b32 s0, exec_lo
	s_waitcnt lgkmcnt(0)
	v_cmpx_eq_f64_e32 0, v[0:1]
	s_xor_b32 s0, exec_lo, s0
; %bb.288:
	v_cmp_ne_u32_e32 vcc_lo, 0, v80
	v_cndmask_b32_e32 v80, 18, v80, vcc_lo
; %bb.289:
	s_andn2_saveexec_b32 s0, s0
	s_cbranch_execz .LBB64_291
; %bb.290:
	v_div_scale_f64 v[73:74], null, v[0:1], v[0:1], 1.0
	v_rcp_f64_e32 v[82:83], v[73:74]
	v_fma_f64 v[84:85], -v[73:74], v[82:83], 1.0
	v_fma_f64 v[82:83], v[82:83], v[84:85], v[82:83]
	v_fma_f64 v[84:85], -v[73:74], v[82:83], 1.0
	v_fma_f64 v[82:83], v[82:83], v[84:85], v[82:83]
	v_div_scale_f64 v[84:85], vcc_lo, 1.0, v[0:1], 1.0
	v_mul_f64 v[86:87], v[84:85], v[82:83]
	v_fma_f64 v[73:74], -v[73:74], v[86:87], v[84:85]
	v_div_fmas_f64 v[73:74], v[73:74], v[82:83], v[86:87]
	v_div_fixup_f64 v[0:1], v[73:74], v[0:1], 1.0
.LBB64_291:
	s_or_b32 exec_lo, exec_lo, s0
	s_mov_b32 s0, exec_lo
	v_cmpx_ne_u32_e64 v81, v72
	s_xor_b32 s0, exec_lo, s0
	s_cbranch_execz .LBB64_297
; %bb.292:
	s_mov_b32 s1, exec_lo
	v_cmpx_eq_u32_e32 17, v81
	s_cbranch_execz .LBB64_296
; %bb.293:
	v_cmp_ne_u32_e32 vcc_lo, 17, v72
	s_xor_b32 s2, s6, -1
	s_and_b32 s3, s2, vcc_lo
	s_and_saveexec_b32 s2, s3
	s_cbranch_execz .LBB64_295
; %bb.294:
	v_ashrrev_i32_e32 v73, 31, v72
	v_lshlrev_b64 v[73:74], 2, v[72:73]
	v_add_co_u32 v73, vcc_lo, v4, v73
	v_add_co_ci_u32_e64 v74, null, v5, v74, vcc_lo
	s_clause 0x1
	global_load_dword v75, v[73:74], off
	global_load_dword v81, v[4:5], off offset:68
	s_waitcnt vmcnt(1)
	global_store_dword v[4:5], v75, off offset:68
	s_waitcnt vmcnt(0)
	global_store_dword v[73:74], v81, off
.LBB64_295:
	s_or_b32 exec_lo, exec_lo, s2
	v_mov_b32_e32 v75, v72
	v_mov_b32_e32 v81, v72
.LBB64_296:
	s_or_b32 exec_lo, exec_lo, s1
.LBB64_297:
	s_andn2_saveexec_b32 s0, s0
	s_cbranch_execz .LBB64_299
; %bb.298:
	v_mov_b32_e32 v72, v32
	v_mov_b32_e32 v73, v33
	;; [unrolled: 1-line block ×12, first 2 shown]
	ds_write2_b64 v78, v[72:73], v[81:82] offset0:18 offset1:19
	ds_write2_b64 v78, v[83:84], v[85:86] offset0:20 offset1:21
	ds_write2_b64 v78, v[87:88], v[89:90] offset0:22 offset1:23
	v_mov_b32_e32 v72, v20
	v_mov_b32_e32 v73, v21
	;; [unrolled: 1-line block ×8, first 2 shown]
	ds_write2_b64 v78, v[72:73], v[81:82] offset0:24 offset1:25
	v_mov_b32_e32 v81, 17
	v_mov_b32_e32 v87, v12
	;; [unrolled: 1-line block ×9, first 2 shown]
	ds_write2_b64 v78, v[83:84], v[85:86] offset0:26 offset1:27
	ds_write2_b64 v78, v[87:88], v[89:90] offset0:28 offset1:29
	;; [unrolled: 1-line block ×3, first 2 shown]
	ds_write_b64 v78, v[70:71] offset:256
.LBB64_299:
	s_or_b32 exec_lo, exec_lo, s0
	s_mov_b32 s0, exec_lo
	s_waitcnt lgkmcnt(0)
	s_waitcnt_vscnt null, 0x0
	s_barrier
	buffer_gl0_inv
	v_cmpx_lt_i32_e32 17, v81
	s_cbranch_execz .LBB64_301
; %bb.300:
	v_mul_f64 v[34:35], v[0:1], v[34:35]
	ds_read2_b64 v[82:85], v78 offset0:18 offset1:19
	ds_read2_b64 v[86:89], v78 offset0:20 offset1:21
	;; [unrolled: 1-line block ×7, first 2 shown]
	ds_read_b64 v[0:1], v78 offset:256
	s_waitcnt lgkmcnt(7)
	v_fma_f64 v[32:33], -v[34:35], v[82:83], v[32:33]
	v_fma_f64 v[28:29], -v[34:35], v[84:85], v[28:29]
	s_waitcnt lgkmcnt(6)
	v_fma_f64 v[30:31], -v[34:35], v[86:87], v[30:31]
	v_fma_f64 v[24:25], -v[34:35], v[88:89], v[24:25]
	s_waitcnt lgkmcnt(5)
	v_fma_f64 v[26:27], -v[34:35], v[90:91], v[26:27]
	v_fma_f64 v[22:23], -v[34:35], v[92:93], v[22:23]
	s_waitcnt lgkmcnt(4)
	v_fma_f64 v[20:21], -v[34:35], v[94:95], v[20:21]
	v_fma_f64 v[18:19], -v[34:35], v[96:97], v[18:19]
	s_waitcnt lgkmcnt(3)
	v_fma_f64 v[16:17], -v[34:35], v[98:99], v[16:17]
	v_fma_f64 v[14:15], -v[34:35], v[100:101], v[14:15]
	s_waitcnt lgkmcnt(2)
	v_fma_f64 v[12:13], -v[34:35], v[102:103], v[12:13]
	v_fma_f64 v[8:9], -v[34:35], v[104:105], v[8:9]
	s_waitcnt lgkmcnt(1)
	v_fma_f64 v[10:11], -v[34:35], v[106:107], v[10:11]
	v_fma_f64 v[6:7], -v[34:35], v[108:109], v[6:7]
	s_waitcnt lgkmcnt(0)
	v_fma_f64 v[70:71], -v[34:35], v[0:1], v[70:71]
.LBB64_301:
	s_or_b32 exec_lo, exec_lo, s0
	v_lshl_add_u32 v0, v81, 3, v78
	s_barrier
	buffer_gl0_inv
	v_mov_b32_e32 v72, 18
	ds_write_b64 v0, v[32:33]
	s_waitcnt lgkmcnt(0)
	s_barrier
	buffer_gl0_inv
	ds_read_b64 v[0:1], v78 offset:144
	s_cmp_lt_i32 s7, 20
	s_cbranch_scc1 .LBB64_304
; %bb.302:
	v_add3_u32 v73, v79, 0, 0x98
	v_mov_b32_e32 v72, 18
	s_mov_b32 s0, 19
.LBB64_303:                             ; =>This Inner Loop Header: Depth=1
	ds_read_b64 v[82:83], v73
	v_add_nc_u32_e32 v73, 8, v73
	s_waitcnt lgkmcnt(0)
	v_cmp_lt_f64_e64 vcc_lo, |v[0:1]|, |v[82:83]|
	v_cndmask_b32_e32 v1, v1, v83, vcc_lo
	v_cndmask_b32_e32 v0, v0, v82, vcc_lo
	v_cndmask_b32_e64 v72, v72, s0, vcc_lo
	s_add_i32 s0, s0, 1
	s_cmp_lg_u32 s7, s0
	s_cbranch_scc1 .LBB64_303
.LBB64_304:
	s_mov_b32 s0, exec_lo
	s_waitcnt lgkmcnt(0)
	v_cmpx_eq_f64_e32 0, v[0:1]
	s_xor_b32 s0, exec_lo, s0
; %bb.305:
	v_cmp_ne_u32_e32 vcc_lo, 0, v80
	v_cndmask_b32_e32 v80, 19, v80, vcc_lo
; %bb.306:
	s_andn2_saveexec_b32 s0, s0
	s_cbranch_execz .LBB64_308
; %bb.307:
	v_div_scale_f64 v[73:74], null, v[0:1], v[0:1], 1.0
	v_rcp_f64_e32 v[82:83], v[73:74]
	v_fma_f64 v[84:85], -v[73:74], v[82:83], 1.0
	v_fma_f64 v[82:83], v[82:83], v[84:85], v[82:83]
	v_fma_f64 v[84:85], -v[73:74], v[82:83], 1.0
	v_fma_f64 v[82:83], v[82:83], v[84:85], v[82:83]
	v_div_scale_f64 v[84:85], vcc_lo, 1.0, v[0:1], 1.0
	v_mul_f64 v[86:87], v[84:85], v[82:83]
	v_fma_f64 v[73:74], -v[73:74], v[86:87], v[84:85]
	v_div_fmas_f64 v[73:74], v[73:74], v[82:83], v[86:87]
	v_div_fixup_f64 v[0:1], v[73:74], v[0:1], 1.0
.LBB64_308:
	s_or_b32 exec_lo, exec_lo, s0
	s_mov_b32 s0, exec_lo
	v_cmpx_ne_u32_e64 v81, v72
	s_xor_b32 s0, exec_lo, s0
	s_cbranch_execz .LBB64_314
; %bb.309:
	s_mov_b32 s1, exec_lo
	v_cmpx_eq_u32_e32 18, v81
	s_cbranch_execz .LBB64_313
; %bb.310:
	v_cmp_ne_u32_e32 vcc_lo, 18, v72
	s_xor_b32 s2, s6, -1
	s_and_b32 s3, s2, vcc_lo
	s_and_saveexec_b32 s2, s3
	s_cbranch_execz .LBB64_312
; %bb.311:
	v_ashrrev_i32_e32 v73, 31, v72
	v_lshlrev_b64 v[73:74], 2, v[72:73]
	v_add_co_u32 v73, vcc_lo, v4, v73
	v_add_co_ci_u32_e64 v74, null, v5, v74, vcc_lo
	s_clause 0x1
	global_load_dword v75, v[73:74], off
	global_load_dword v81, v[4:5], off offset:72
	s_waitcnt vmcnt(1)
	global_store_dword v[4:5], v75, off offset:72
	s_waitcnt vmcnt(0)
	global_store_dword v[73:74], v81, off
.LBB64_312:
	s_or_b32 exec_lo, exec_lo, s2
	v_mov_b32_e32 v75, v72
	v_mov_b32_e32 v81, v72
.LBB64_313:
	s_or_b32 exec_lo, exec_lo, s1
.LBB64_314:
	s_andn2_saveexec_b32 s0, s0
	s_cbranch_execz .LBB64_316
; %bb.315:
	v_mov_b32_e32 v81, 18
	ds_write2_b64 v78, v[28:29], v[30:31] offset0:19 offset1:20
	ds_write2_b64 v78, v[24:25], v[26:27] offset0:21 offset1:22
	;; [unrolled: 1-line block ×7, first 2 shown]
.LBB64_316:
	s_or_b32 exec_lo, exec_lo, s0
	s_mov_b32 s0, exec_lo
	s_waitcnt lgkmcnt(0)
	s_waitcnt_vscnt null, 0x0
	s_barrier
	buffer_gl0_inv
	v_cmpx_lt_i32_e32 18, v81
	s_cbranch_execz .LBB64_318
; %bb.317:
	v_mul_f64 v[32:33], v[0:1], v[32:33]
	ds_read2_b64 v[82:85], v78 offset0:19 offset1:20
	ds_read2_b64 v[86:89], v78 offset0:21 offset1:22
	ds_read2_b64 v[90:93], v78 offset0:23 offset1:24
	ds_read2_b64 v[94:97], v78 offset0:25 offset1:26
	ds_read2_b64 v[98:101], v78 offset0:27 offset1:28
	ds_read2_b64 v[102:105], v78 offset0:29 offset1:30
	ds_read2_b64 v[106:109], v78 offset0:31 offset1:32
	s_waitcnt lgkmcnt(6)
	v_fma_f64 v[28:29], -v[32:33], v[82:83], v[28:29]
	v_fma_f64 v[30:31], -v[32:33], v[84:85], v[30:31]
	s_waitcnt lgkmcnt(5)
	v_fma_f64 v[24:25], -v[32:33], v[86:87], v[24:25]
	v_fma_f64 v[26:27], -v[32:33], v[88:89], v[26:27]
	;; [unrolled: 3-line block ×7, first 2 shown]
.LBB64_318:
	s_or_b32 exec_lo, exec_lo, s0
	v_lshl_add_u32 v0, v81, 3, v78
	s_barrier
	buffer_gl0_inv
	v_mov_b32_e32 v72, 19
	ds_write_b64 v0, v[28:29]
	s_waitcnt lgkmcnt(0)
	s_barrier
	buffer_gl0_inv
	ds_read_b64 v[0:1], v78 offset:152
	s_cmp_lt_i32 s7, 21
	s_cbranch_scc1 .LBB64_321
; %bb.319:
	v_add3_u32 v73, v79, 0, 0xa0
	v_mov_b32_e32 v72, 19
	s_mov_b32 s0, 20
.LBB64_320:                             ; =>This Inner Loop Header: Depth=1
	ds_read_b64 v[82:83], v73
	v_add_nc_u32_e32 v73, 8, v73
	s_waitcnt lgkmcnt(0)
	v_cmp_lt_f64_e64 vcc_lo, |v[0:1]|, |v[82:83]|
	v_cndmask_b32_e32 v1, v1, v83, vcc_lo
	v_cndmask_b32_e32 v0, v0, v82, vcc_lo
	v_cndmask_b32_e64 v72, v72, s0, vcc_lo
	s_add_i32 s0, s0, 1
	s_cmp_lg_u32 s7, s0
	s_cbranch_scc1 .LBB64_320
.LBB64_321:
	s_mov_b32 s0, exec_lo
	s_waitcnt lgkmcnt(0)
	v_cmpx_eq_f64_e32 0, v[0:1]
	s_xor_b32 s0, exec_lo, s0
; %bb.322:
	v_cmp_ne_u32_e32 vcc_lo, 0, v80
	v_cndmask_b32_e32 v80, 20, v80, vcc_lo
; %bb.323:
	s_andn2_saveexec_b32 s0, s0
	s_cbranch_execz .LBB64_325
; %bb.324:
	v_div_scale_f64 v[73:74], null, v[0:1], v[0:1], 1.0
	v_rcp_f64_e32 v[82:83], v[73:74]
	v_fma_f64 v[84:85], -v[73:74], v[82:83], 1.0
	v_fma_f64 v[82:83], v[82:83], v[84:85], v[82:83]
	v_fma_f64 v[84:85], -v[73:74], v[82:83], 1.0
	v_fma_f64 v[82:83], v[82:83], v[84:85], v[82:83]
	v_div_scale_f64 v[84:85], vcc_lo, 1.0, v[0:1], 1.0
	v_mul_f64 v[86:87], v[84:85], v[82:83]
	v_fma_f64 v[73:74], -v[73:74], v[86:87], v[84:85]
	v_div_fmas_f64 v[73:74], v[73:74], v[82:83], v[86:87]
	v_div_fixup_f64 v[0:1], v[73:74], v[0:1], 1.0
.LBB64_325:
	s_or_b32 exec_lo, exec_lo, s0
	s_mov_b32 s0, exec_lo
	v_cmpx_ne_u32_e64 v81, v72
	s_xor_b32 s0, exec_lo, s0
	s_cbranch_execz .LBB64_331
; %bb.326:
	s_mov_b32 s1, exec_lo
	v_cmpx_eq_u32_e32 19, v81
	s_cbranch_execz .LBB64_330
; %bb.327:
	v_cmp_ne_u32_e32 vcc_lo, 19, v72
	s_xor_b32 s2, s6, -1
	s_and_b32 s3, s2, vcc_lo
	s_and_saveexec_b32 s2, s3
	s_cbranch_execz .LBB64_329
; %bb.328:
	v_ashrrev_i32_e32 v73, 31, v72
	v_lshlrev_b64 v[73:74], 2, v[72:73]
	v_add_co_u32 v73, vcc_lo, v4, v73
	v_add_co_ci_u32_e64 v74, null, v5, v74, vcc_lo
	s_clause 0x1
	global_load_dword v75, v[73:74], off
	global_load_dword v81, v[4:5], off offset:76
	s_waitcnt vmcnt(1)
	global_store_dword v[4:5], v75, off offset:76
	s_waitcnt vmcnt(0)
	global_store_dword v[73:74], v81, off
.LBB64_329:
	s_or_b32 exec_lo, exec_lo, s2
	v_mov_b32_e32 v75, v72
	v_mov_b32_e32 v81, v72
.LBB64_330:
	s_or_b32 exec_lo, exec_lo, s1
.LBB64_331:
	s_andn2_saveexec_b32 s0, s0
	s_cbranch_execz .LBB64_333
; %bb.332:
	v_mov_b32_e32 v72, v30
	v_mov_b32_e32 v73, v31
	;; [unrolled: 1-line block ×8, first 2 shown]
	ds_write2_b64 v78, v[72:73], v[81:82] offset0:20 offset1:21
	ds_write2_b64 v78, v[83:84], v[85:86] offset0:22 offset1:23
	v_mov_b32_e32 v72, v20
	v_mov_b32_e32 v73, v21
	;; [unrolled: 1-line block ×8, first 2 shown]
	ds_write2_b64 v78, v[72:73], v[81:82] offset0:24 offset1:25
	v_mov_b32_e32 v81, 19
	v_mov_b32_e32 v87, v12
	;; [unrolled: 1-line block ×9, first 2 shown]
	ds_write2_b64 v78, v[83:84], v[85:86] offset0:26 offset1:27
	ds_write2_b64 v78, v[87:88], v[89:90] offset0:28 offset1:29
	;; [unrolled: 1-line block ×3, first 2 shown]
	ds_write_b64 v78, v[70:71] offset:256
.LBB64_333:
	s_or_b32 exec_lo, exec_lo, s0
	s_mov_b32 s0, exec_lo
	s_waitcnt lgkmcnt(0)
	s_waitcnt_vscnt null, 0x0
	s_barrier
	buffer_gl0_inv
	v_cmpx_lt_i32_e32 19, v81
	s_cbranch_execz .LBB64_335
; %bb.334:
	v_mul_f64 v[28:29], v[0:1], v[28:29]
	ds_read2_b64 v[82:85], v78 offset0:20 offset1:21
	ds_read2_b64 v[86:89], v78 offset0:22 offset1:23
	;; [unrolled: 1-line block ×6, first 2 shown]
	ds_read_b64 v[0:1], v78 offset:256
	s_waitcnt lgkmcnt(6)
	v_fma_f64 v[30:31], -v[28:29], v[82:83], v[30:31]
	v_fma_f64 v[24:25], -v[28:29], v[84:85], v[24:25]
	s_waitcnt lgkmcnt(5)
	v_fma_f64 v[26:27], -v[28:29], v[86:87], v[26:27]
	v_fma_f64 v[22:23], -v[28:29], v[88:89], v[22:23]
	;; [unrolled: 3-line block ×6, first 2 shown]
	s_waitcnt lgkmcnt(0)
	v_fma_f64 v[70:71], -v[28:29], v[0:1], v[70:71]
.LBB64_335:
	s_or_b32 exec_lo, exec_lo, s0
	v_lshl_add_u32 v0, v81, 3, v78
	s_barrier
	buffer_gl0_inv
	v_mov_b32_e32 v72, 20
	ds_write_b64 v0, v[30:31]
	s_waitcnt lgkmcnt(0)
	s_barrier
	buffer_gl0_inv
	ds_read_b64 v[0:1], v78 offset:160
	s_cmp_lt_i32 s7, 22
	s_cbranch_scc1 .LBB64_338
; %bb.336:
	v_add3_u32 v73, v79, 0, 0xa8
	v_mov_b32_e32 v72, 20
	s_mov_b32 s0, 21
.LBB64_337:                             ; =>This Inner Loop Header: Depth=1
	ds_read_b64 v[82:83], v73
	v_add_nc_u32_e32 v73, 8, v73
	s_waitcnt lgkmcnt(0)
	v_cmp_lt_f64_e64 vcc_lo, |v[0:1]|, |v[82:83]|
	v_cndmask_b32_e32 v1, v1, v83, vcc_lo
	v_cndmask_b32_e32 v0, v0, v82, vcc_lo
	v_cndmask_b32_e64 v72, v72, s0, vcc_lo
	s_add_i32 s0, s0, 1
	s_cmp_lg_u32 s7, s0
	s_cbranch_scc1 .LBB64_337
.LBB64_338:
	s_mov_b32 s0, exec_lo
	s_waitcnt lgkmcnt(0)
	v_cmpx_eq_f64_e32 0, v[0:1]
	s_xor_b32 s0, exec_lo, s0
; %bb.339:
	v_cmp_ne_u32_e32 vcc_lo, 0, v80
	v_cndmask_b32_e32 v80, 21, v80, vcc_lo
; %bb.340:
	s_andn2_saveexec_b32 s0, s0
	s_cbranch_execz .LBB64_342
; %bb.341:
	v_div_scale_f64 v[73:74], null, v[0:1], v[0:1], 1.0
	v_rcp_f64_e32 v[82:83], v[73:74]
	v_fma_f64 v[84:85], -v[73:74], v[82:83], 1.0
	v_fma_f64 v[82:83], v[82:83], v[84:85], v[82:83]
	v_fma_f64 v[84:85], -v[73:74], v[82:83], 1.0
	v_fma_f64 v[82:83], v[82:83], v[84:85], v[82:83]
	v_div_scale_f64 v[84:85], vcc_lo, 1.0, v[0:1], 1.0
	v_mul_f64 v[86:87], v[84:85], v[82:83]
	v_fma_f64 v[73:74], -v[73:74], v[86:87], v[84:85]
	v_div_fmas_f64 v[73:74], v[73:74], v[82:83], v[86:87]
	v_div_fixup_f64 v[0:1], v[73:74], v[0:1], 1.0
.LBB64_342:
	s_or_b32 exec_lo, exec_lo, s0
	s_mov_b32 s0, exec_lo
	v_cmpx_ne_u32_e64 v81, v72
	s_xor_b32 s0, exec_lo, s0
	s_cbranch_execz .LBB64_348
; %bb.343:
	s_mov_b32 s1, exec_lo
	v_cmpx_eq_u32_e32 20, v81
	s_cbranch_execz .LBB64_347
; %bb.344:
	v_cmp_ne_u32_e32 vcc_lo, 20, v72
	s_xor_b32 s2, s6, -1
	s_and_b32 s3, s2, vcc_lo
	s_and_saveexec_b32 s2, s3
	s_cbranch_execz .LBB64_346
; %bb.345:
	v_ashrrev_i32_e32 v73, 31, v72
	v_lshlrev_b64 v[73:74], 2, v[72:73]
	v_add_co_u32 v73, vcc_lo, v4, v73
	v_add_co_ci_u32_e64 v74, null, v5, v74, vcc_lo
	s_clause 0x1
	global_load_dword v75, v[73:74], off
	global_load_dword v81, v[4:5], off offset:80
	s_waitcnt vmcnt(1)
	global_store_dword v[4:5], v75, off offset:80
	s_waitcnt vmcnt(0)
	global_store_dword v[73:74], v81, off
.LBB64_346:
	s_or_b32 exec_lo, exec_lo, s2
	v_mov_b32_e32 v75, v72
	v_mov_b32_e32 v81, v72
.LBB64_347:
	s_or_b32 exec_lo, exec_lo, s1
.LBB64_348:
	s_andn2_saveexec_b32 s0, s0
	s_cbranch_execz .LBB64_350
; %bb.349:
	v_mov_b32_e32 v81, 20
	ds_write2_b64 v78, v[24:25], v[26:27] offset0:21 offset1:22
	ds_write2_b64 v78, v[22:23], v[20:21] offset0:23 offset1:24
	ds_write2_b64 v78, v[18:19], v[16:17] offset0:25 offset1:26
	ds_write2_b64 v78, v[14:15], v[12:13] offset0:27 offset1:28
	ds_write2_b64 v78, v[8:9], v[10:11] offset0:29 offset1:30
	ds_write2_b64 v78, v[6:7], v[70:71] offset0:31 offset1:32
.LBB64_350:
	s_or_b32 exec_lo, exec_lo, s0
	s_mov_b32 s0, exec_lo
	s_waitcnt lgkmcnt(0)
	s_waitcnt_vscnt null, 0x0
	s_barrier
	buffer_gl0_inv
	v_cmpx_lt_i32_e32 20, v81
	s_cbranch_execz .LBB64_352
; %bb.351:
	v_mul_f64 v[30:31], v[0:1], v[30:31]
	ds_read2_b64 v[82:85], v78 offset0:21 offset1:22
	ds_read2_b64 v[86:89], v78 offset0:23 offset1:24
	;; [unrolled: 1-line block ×6, first 2 shown]
	s_waitcnt lgkmcnt(5)
	v_fma_f64 v[24:25], -v[30:31], v[82:83], v[24:25]
	v_fma_f64 v[26:27], -v[30:31], v[84:85], v[26:27]
	s_waitcnt lgkmcnt(4)
	v_fma_f64 v[22:23], -v[30:31], v[86:87], v[22:23]
	v_fma_f64 v[20:21], -v[30:31], v[88:89], v[20:21]
	;; [unrolled: 3-line block ×6, first 2 shown]
.LBB64_352:
	s_or_b32 exec_lo, exec_lo, s0
	v_lshl_add_u32 v0, v81, 3, v78
	s_barrier
	buffer_gl0_inv
	v_mov_b32_e32 v72, 21
	ds_write_b64 v0, v[24:25]
	s_waitcnt lgkmcnt(0)
	s_barrier
	buffer_gl0_inv
	ds_read_b64 v[0:1], v78 offset:168
	s_cmp_lt_i32 s7, 23
	s_cbranch_scc1 .LBB64_355
; %bb.353:
	v_add3_u32 v73, v79, 0, 0xb0
	v_mov_b32_e32 v72, 21
	s_mov_b32 s0, 22
.LBB64_354:                             ; =>This Inner Loop Header: Depth=1
	ds_read_b64 v[82:83], v73
	v_add_nc_u32_e32 v73, 8, v73
	s_waitcnt lgkmcnt(0)
	v_cmp_lt_f64_e64 vcc_lo, |v[0:1]|, |v[82:83]|
	v_cndmask_b32_e32 v1, v1, v83, vcc_lo
	v_cndmask_b32_e32 v0, v0, v82, vcc_lo
	v_cndmask_b32_e64 v72, v72, s0, vcc_lo
	s_add_i32 s0, s0, 1
	s_cmp_lg_u32 s7, s0
	s_cbranch_scc1 .LBB64_354
.LBB64_355:
	s_mov_b32 s0, exec_lo
	s_waitcnt lgkmcnt(0)
	v_cmpx_eq_f64_e32 0, v[0:1]
	s_xor_b32 s0, exec_lo, s0
; %bb.356:
	v_cmp_ne_u32_e32 vcc_lo, 0, v80
	v_cndmask_b32_e32 v80, 22, v80, vcc_lo
; %bb.357:
	s_andn2_saveexec_b32 s0, s0
	s_cbranch_execz .LBB64_359
; %bb.358:
	v_div_scale_f64 v[73:74], null, v[0:1], v[0:1], 1.0
	v_rcp_f64_e32 v[82:83], v[73:74]
	v_fma_f64 v[84:85], -v[73:74], v[82:83], 1.0
	v_fma_f64 v[82:83], v[82:83], v[84:85], v[82:83]
	v_fma_f64 v[84:85], -v[73:74], v[82:83], 1.0
	v_fma_f64 v[82:83], v[82:83], v[84:85], v[82:83]
	v_div_scale_f64 v[84:85], vcc_lo, 1.0, v[0:1], 1.0
	v_mul_f64 v[86:87], v[84:85], v[82:83]
	v_fma_f64 v[73:74], -v[73:74], v[86:87], v[84:85]
	v_div_fmas_f64 v[73:74], v[73:74], v[82:83], v[86:87]
	v_div_fixup_f64 v[0:1], v[73:74], v[0:1], 1.0
.LBB64_359:
	s_or_b32 exec_lo, exec_lo, s0
	s_mov_b32 s0, exec_lo
	v_cmpx_ne_u32_e64 v81, v72
	s_xor_b32 s0, exec_lo, s0
	s_cbranch_execz .LBB64_365
; %bb.360:
	s_mov_b32 s1, exec_lo
	v_cmpx_eq_u32_e32 21, v81
	s_cbranch_execz .LBB64_364
; %bb.361:
	v_cmp_ne_u32_e32 vcc_lo, 21, v72
	s_xor_b32 s2, s6, -1
	s_and_b32 s3, s2, vcc_lo
	s_and_saveexec_b32 s2, s3
	s_cbranch_execz .LBB64_363
; %bb.362:
	v_ashrrev_i32_e32 v73, 31, v72
	v_lshlrev_b64 v[73:74], 2, v[72:73]
	v_add_co_u32 v73, vcc_lo, v4, v73
	v_add_co_ci_u32_e64 v74, null, v5, v74, vcc_lo
	s_clause 0x1
	global_load_dword v75, v[73:74], off
	global_load_dword v81, v[4:5], off offset:84
	s_waitcnt vmcnt(1)
	global_store_dword v[4:5], v75, off offset:84
	s_waitcnt vmcnt(0)
	global_store_dword v[73:74], v81, off
.LBB64_363:
	s_or_b32 exec_lo, exec_lo, s2
	v_mov_b32_e32 v75, v72
	v_mov_b32_e32 v81, v72
.LBB64_364:
	s_or_b32 exec_lo, exec_lo, s1
.LBB64_365:
	s_andn2_saveexec_b32 s0, s0
	s_cbranch_execz .LBB64_367
; %bb.366:
	v_mov_b32_e32 v72, v26
	v_mov_b32_e32 v73, v27
	;; [unrolled: 1-line block ×8, first 2 shown]
	ds_write2_b64 v78, v[72:73], v[81:82] offset0:22 offset1:23
	v_mov_b32_e32 v72, v18
	v_mov_b32_e32 v73, v19
	;; [unrolled: 1-line block ×13, first 2 shown]
	ds_write2_b64 v78, v[83:84], v[72:73] offset0:24 offset1:25
	ds_write2_b64 v78, v[85:86], v[87:88] offset0:26 offset1:27
	ds_write2_b64 v78, v[89:90], v[91:92] offset0:28 offset1:29
	ds_write2_b64 v78, v[93:94], v[95:96] offset0:30 offset1:31
	ds_write_b64 v78, v[70:71] offset:256
.LBB64_367:
	s_or_b32 exec_lo, exec_lo, s0
	s_mov_b32 s0, exec_lo
	s_waitcnt lgkmcnt(0)
	s_waitcnt_vscnt null, 0x0
	s_barrier
	buffer_gl0_inv
	v_cmpx_lt_i32_e32 21, v81
	s_cbranch_execz .LBB64_369
; %bb.368:
	v_mul_f64 v[24:25], v[0:1], v[24:25]
	ds_read2_b64 v[82:85], v78 offset0:22 offset1:23
	ds_read2_b64 v[86:89], v78 offset0:24 offset1:25
	;; [unrolled: 1-line block ×5, first 2 shown]
	ds_read_b64 v[0:1], v78 offset:256
	s_waitcnt lgkmcnt(5)
	v_fma_f64 v[26:27], -v[24:25], v[82:83], v[26:27]
	v_fma_f64 v[22:23], -v[24:25], v[84:85], v[22:23]
	s_waitcnt lgkmcnt(4)
	v_fma_f64 v[20:21], -v[24:25], v[86:87], v[20:21]
	v_fma_f64 v[18:19], -v[24:25], v[88:89], v[18:19]
	;; [unrolled: 3-line block ×5, first 2 shown]
	s_waitcnt lgkmcnt(0)
	v_fma_f64 v[70:71], -v[24:25], v[0:1], v[70:71]
.LBB64_369:
	s_or_b32 exec_lo, exec_lo, s0
	v_lshl_add_u32 v0, v81, 3, v78
	s_barrier
	buffer_gl0_inv
	v_mov_b32_e32 v72, 22
	ds_write_b64 v0, v[26:27]
	s_waitcnt lgkmcnt(0)
	s_barrier
	buffer_gl0_inv
	ds_read_b64 v[0:1], v78 offset:176
	s_cmp_lt_i32 s7, 24
	s_cbranch_scc1 .LBB64_372
; %bb.370:
	v_add3_u32 v73, v79, 0, 0xb8
	v_mov_b32_e32 v72, 22
	s_mov_b32 s0, 23
.LBB64_371:                             ; =>This Inner Loop Header: Depth=1
	ds_read_b64 v[82:83], v73
	v_add_nc_u32_e32 v73, 8, v73
	s_waitcnt lgkmcnt(0)
	v_cmp_lt_f64_e64 vcc_lo, |v[0:1]|, |v[82:83]|
	v_cndmask_b32_e32 v1, v1, v83, vcc_lo
	v_cndmask_b32_e32 v0, v0, v82, vcc_lo
	v_cndmask_b32_e64 v72, v72, s0, vcc_lo
	s_add_i32 s0, s0, 1
	s_cmp_lg_u32 s7, s0
	s_cbranch_scc1 .LBB64_371
.LBB64_372:
	s_mov_b32 s0, exec_lo
	s_waitcnt lgkmcnt(0)
	v_cmpx_eq_f64_e32 0, v[0:1]
	s_xor_b32 s0, exec_lo, s0
; %bb.373:
	v_cmp_ne_u32_e32 vcc_lo, 0, v80
	v_cndmask_b32_e32 v80, 23, v80, vcc_lo
; %bb.374:
	s_andn2_saveexec_b32 s0, s0
	s_cbranch_execz .LBB64_376
; %bb.375:
	v_div_scale_f64 v[73:74], null, v[0:1], v[0:1], 1.0
	v_rcp_f64_e32 v[82:83], v[73:74]
	v_fma_f64 v[84:85], -v[73:74], v[82:83], 1.0
	v_fma_f64 v[82:83], v[82:83], v[84:85], v[82:83]
	v_fma_f64 v[84:85], -v[73:74], v[82:83], 1.0
	v_fma_f64 v[82:83], v[82:83], v[84:85], v[82:83]
	v_div_scale_f64 v[84:85], vcc_lo, 1.0, v[0:1], 1.0
	v_mul_f64 v[86:87], v[84:85], v[82:83]
	v_fma_f64 v[73:74], -v[73:74], v[86:87], v[84:85]
	v_div_fmas_f64 v[73:74], v[73:74], v[82:83], v[86:87]
	v_div_fixup_f64 v[0:1], v[73:74], v[0:1], 1.0
.LBB64_376:
	s_or_b32 exec_lo, exec_lo, s0
	s_mov_b32 s0, exec_lo
	v_cmpx_ne_u32_e64 v81, v72
	s_xor_b32 s0, exec_lo, s0
	s_cbranch_execz .LBB64_382
; %bb.377:
	s_mov_b32 s1, exec_lo
	v_cmpx_eq_u32_e32 22, v81
	s_cbranch_execz .LBB64_381
; %bb.378:
	v_cmp_ne_u32_e32 vcc_lo, 22, v72
	s_xor_b32 s2, s6, -1
	s_and_b32 s3, s2, vcc_lo
	s_and_saveexec_b32 s2, s3
	s_cbranch_execz .LBB64_380
; %bb.379:
	v_ashrrev_i32_e32 v73, 31, v72
	v_lshlrev_b64 v[73:74], 2, v[72:73]
	v_add_co_u32 v73, vcc_lo, v4, v73
	v_add_co_ci_u32_e64 v74, null, v5, v74, vcc_lo
	s_clause 0x1
	global_load_dword v75, v[73:74], off
	global_load_dword v81, v[4:5], off offset:88
	s_waitcnt vmcnt(1)
	global_store_dword v[4:5], v75, off offset:88
	s_waitcnt vmcnt(0)
	global_store_dword v[73:74], v81, off
.LBB64_380:
	s_or_b32 exec_lo, exec_lo, s2
	v_mov_b32_e32 v75, v72
	v_mov_b32_e32 v81, v72
.LBB64_381:
	s_or_b32 exec_lo, exec_lo, s1
.LBB64_382:
	s_andn2_saveexec_b32 s0, s0
	s_cbranch_execz .LBB64_384
; %bb.383:
	v_mov_b32_e32 v81, 22
	ds_write2_b64 v78, v[22:23], v[20:21] offset0:23 offset1:24
	ds_write2_b64 v78, v[18:19], v[16:17] offset0:25 offset1:26
	;; [unrolled: 1-line block ×5, first 2 shown]
.LBB64_384:
	s_or_b32 exec_lo, exec_lo, s0
	s_mov_b32 s0, exec_lo
	s_waitcnt lgkmcnt(0)
	s_waitcnt_vscnt null, 0x0
	s_barrier
	buffer_gl0_inv
	v_cmpx_lt_i32_e32 22, v81
	s_cbranch_execz .LBB64_386
; %bb.385:
	v_mul_f64 v[26:27], v[0:1], v[26:27]
	ds_read2_b64 v[82:85], v78 offset0:23 offset1:24
	ds_read2_b64 v[86:89], v78 offset0:25 offset1:26
	;; [unrolled: 1-line block ×5, first 2 shown]
	s_waitcnt lgkmcnt(4)
	v_fma_f64 v[22:23], -v[26:27], v[82:83], v[22:23]
	v_fma_f64 v[20:21], -v[26:27], v[84:85], v[20:21]
	s_waitcnt lgkmcnt(3)
	v_fma_f64 v[18:19], -v[26:27], v[86:87], v[18:19]
	v_fma_f64 v[16:17], -v[26:27], v[88:89], v[16:17]
	;; [unrolled: 3-line block ×5, first 2 shown]
.LBB64_386:
	s_or_b32 exec_lo, exec_lo, s0
	v_lshl_add_u32 v0, v81, 3, v78
	s_barrier
	buffer_gl0_inv
	v_mov_b32_e32 v72, 23
	ds_write_b64 v0, v[22:23]
	s_waitcnt lgkmcnt(0)
	s_barrier
	buffer_gl0_inv
	ds_read_b64 v[0:1], v78 offset:184
	s_cmp_lt_i32 s7, 25
	s_cbranch_scc1 .LBB64_389
; %bb.387:
	v_add3_u32 v73, v79, 0, 0xc0
	v_mov_b32_e32 v72, 23
	s_mov_b32 s0, 24
.LBB64_388:                             ; =>This Inner Loop Header: Depth=1
	ds_read_b64 v[82:83], v73
	v_add_nc_u32_e32 v73, 8, v73
	s_waitcnt lgkmcnt(0)
	v_cmp_lt_f64_e64 vcc_lo, |v[0:1]|, |v[82:83]|
	v_cndmask_b32_e32 v1, v1, v83, vcc_lo
	v_cndmask_b32_e32 v0, v0, v82, vcc_lo
	v_cndmask_b32_e64 v72, v72, s0, vcc_lo
	s_add_i32 s0, s0, 1
	s_cmp_lg_u32 s7, s0
	s_cbranch_scc1 .LBB64_388
.LBB64_389:
	s_mov_b32 s0, exec_lo
	s_waitcnt lgkmcnt(0)
	v_cmpx_eq_f64_e32 0, v[0:1]
	s_xor_b32 s0, exec_lo, s0
; %bb.390:
	v_cmp_ne_u32_e32 vcc_lo, 0, v80
	v_cndmask_b32_e32 v80, 24, v80, vcc_lo
; %bb.391:
	s_andn2_saveexec_b32 s0, s0
	s_cbranch_execz .LBB64_393
; %bb.392:
	v_div_scale_f64 v[73:74], null, v[0:1], v[0:1], 1.0
	v_rcp_f64_e32 v[82:83], v[73:74]
	v_fma_f64 v[84:85], -v[73:74], v[82:83], 1.0
	v_fma_f64 v[82:83], v[82:83], v[84:85], v[82:83]
	v_fma_f64 v[84:85], -v[73:74], v[82:83], 1.0
	v_fma_f64 v[82:83], v[82:83], v[84:85], v[82:83]
	v_div_scale_f64 v[84:85], vcc_lo, 1.0, v[0:1], 1.0
	v_mul_f64 v[86:87], v[84:85], v[82:83]
	v_fma_f64 v[73:74], -v[73:74], v[86:87], v[84:85]
	v_div_fmas_f64 v[73:74], v[73:74], v[82:83], v[86:87]
	v_div_fixup_f64 v[0:1], v[73:74], v[0:1], 1.0
.LBB64_393:
	s_or_b32 exec_lo, exec_lo, s0
	s_mov_b32 s0, exec_lo
	v_cmpx_ne_u32_e64 v81, v72
	s_xor_b32 s0, exec_lo, s0
	s_cbranch_execz .LBB64_399
; %bb.394:
	s_mov_b32 s1, exec_lo
	v_cmpx_eq_u32_e32 23, v81
	s_cbranch_execz .LBB64_398
; %bb.395:
	v_cmp_ne_u32_e32 vcc_lo, 23, v72
	s_xor_b32 s2, s6, -1
	s_and_b32 s3, s2, vcc_lo
	s_and_saveexec_b32 s2, s3
	s_cbranch_execz .LBB64_397
; %bb.396:
	v_ashrrev_i32_e32 v73, 31, v72
	v_lshlrev_b64 v[73:74], 2, v[72:73]
	v_add_co_u32 v73, vcc_lo, v4, v73
	v_add_co_ci_u32_e64 v74, null, v5, v74, vcc_lo
	s_clause 0x1
	global_load_dword v75, v[73:74], off
	global_load_dword v81, v[4:5], off offset:92
	s_waitcnt vmcnt(1)
	global_store_dword v[4:5], v75, off offset:92
	s_waitcnt vmcnt(0)
	global_store_dword v[73:74], v81, off
.LBB64_397:
	s_or_b32 exec_lo, exec_lo, s2
	v_mov_b32_e32 v75, v72
	v_mov_b32_e32 v81, v72
.LBB64_398:
	s_or_b32 exec_lo, exec_lo, s1
.LBB64_399:
	s_andn2_saveexec_b32 s0, s0
	s_cbranch_execz .LBB64_401
; %bb.400:
	v_mov_b32_e32 v72, v20
	v_mov_b32_e32 v73, v21
	;; [unrolled: 1-line block ×8, first 2 shown]
	ds_write2_b64 v78, v[72:73], v[81:82] offset0:24 offset1:25
	v_mov_b32_e32 v81, 23
	v_mov_b32_e32 v87, v12
	;; [unrolled: 1-line block ×9, first 2 shown]
	ds_write2_b64 v78, v[83:84], v[85:86] offset0:26 offset1:27
	ds_write2_b64 v78, v[87:88], v[89:90] offset0:28 offset1:29
	;; [unrolled: 1-line block ×3, first 2 shown]
	ds_write_b64 v78, v[70:71] offset:256
.LBB64_401:
	s_or_b32 exec_lo, exec_lo, s0
	s_mov_b32 s0, exec_lo
	s_waitcnt lgkmcnt(0)
	s_waitcnt_vscnt null, 0x0
	s_barrier
	buffer_gl0_inv
	v_cmpx_lt_i32_e32 23, v81
	s_cbranch_execz .LBB64_403
; %bb.402:
	v_mul_f64 v[22:23], v[0:1], v[22:23]
	ds_read2_b64 v[82:85], v78 offset0:24 offset1:25
	ds_read2_b64 v[86:89], v78 offset0:26 offset1:27
	;; [unrolled: 1-line block ×4, first 2 shown]
	ds_read_b64 v[0:1], v78 offset:256
	s_waitcnt lgkmcnt(4)
	v_fma_f64 v[20:21], -v[22:23], v[82:83], v[20:21]
	v_fma_f64 v[18:19], -v[22:23], v[84:85], v[18:19]
	s_waitcnt lgkmcnt(3)
	v_fma_f64 v[16:17], -v[22:23], v[86:87], v[16:17]
	v_fma_f64 v[14:15], -v[22:23], v[88:89], v[14:15]
	;; [unrolled: 3-line block ×4, first 2 shown]
	s_waitcnt lgkmcnt(0)
	v_fma_f64 v[70:71], -v[22:23], v[0:1], v[70:71]
.LBB64_403:
	s_or_b32 exec_lo, exec_lo, s0
	v_lshl_add_u32 v0, v81, 3, v78
	s_barrier
	buffer_gl0_inv
	v_mov_b32_e32 v72, 24
	ds_write_b64 v0, v[20:21]
	s_waitcnt lgkmcnt(0)
	s_barrier
	buffer_gl0_inv
	ds_read_b64 v[0:1], v78 offset:192
	s_cmp_lt_i32 s7, 26
	s_cbranch_scc1 .LBB64_406
; %bb.404:
	v_add3_u32 v73, v79, 0, 0xc8
	v_mov_b32_e32 v72, 24
	s_mov_b32 s0, 25
.LBB64_405:                             ; =>This Inner Loop Header: Depth=1
	ds_read_b64 v[82:83], v73
	v_add_nc_u32_e32 v73, 8, v73
	s_waitcnt lgkmcnt(0)
	v_cmp_lt_f64_e64 vcc_lo, |v[0:1]|, |v[82:83]|
	v_cndmask_b32_e32 v1, v1, v83, vcc_lo
	v_cndmask_b32_e32 v0, v0, v82, vcc_lo
	v_cndmask_b32_e64 v72, v72, s0, vcc_lo
	s_add_i32 s0, s0, 1
	s_cmp_lg_u32 s7, s0
	s_cbranch_scc1 .LBB64_405
.LBB64_406:
	s_mov_b32 s0, exec_lo
	s_waitcnt lgkmcnt(0)
	v_cmpx_eq_f64_e32 0, v[0:1]
	s_xor_b32 s0, exec_lo, s0
; %bb.407:
	v_cmp_ne_u32_e32 vcc_lo, 0, v80
	v_cndmask_b32_e32 v80, 25, v80, vcc_lo
; %bb.408:
	s_andn2_saveexec_b32 s0, s0
	s_cbranch_execz .LBB64_410
; %bb.409:
	v_div_scale_f64 v[73:74], null, v[0:1], v[0:1], 1.0
	v_rcp_f64_e32 v[82:83], v[73:74]
	v_fma_f64 v[84:85], -v[73:74], v[82:83], 1.0
	v_fma_f64 v[82:83], v[82:83], v[84:85], v[82:83]
	v_fma_f64 v[84:85], -v[73:74], v[82:83], 1.0
	v_fma_f64 v[82:83], v[82:83], v[84:85], v[82:83]
	v_div_scale_f64 v[84:85], vcc_lo, 1.0, v[0:1], 1.0
	v_mul_f64 v[86:87], v[84:85], v[82:83]
	v_fma_f64 v[73:74], -v[73:74], v[86:87], v[84:85]
	v_div_fmas_f64 v[73:74], v[73:74], v[82:83], v[86:87]
	v_div_fixup_f64 v[0:1], v[73:74], v[0:1], 1.0
.LBB64_410:
	s_or_b32 exec_lo, exec_lo, s0
	s_mov_b32 s0, exec_lo
	v_cmpx_ne_u32_e64 v81, v72
	s_xor_b32 s0, exec_lo, s0
	s_cbranch_execz .LBB64_416
; %bb.411:
	s_mov_b32 s1, exec_lo
	v_cmpx_eq_u32_e32 24, v81
	s_cbranch_execz .LBB64_415
; %bb.412:
	v_cmp_ne_u32_e32 vcc_lo, 24, v72
	s_xor_b32 s2, s6, -1
	s_and_b32 s3, s2, vcc_lo
	s_and_saveexec_b32 s2, s3
	s_cbranch_execz .LBB64_414
; %bb.413:
	v_ashrrev_i32_e32 v73, 31, v72
	v_lshlrev_b64 v[73:74], 2, v[72:73]
	v_add_co_u32 v73, vcc_lo, v4, v73
	v_add_co_ci_u32_e64 v74, null, v5, v74, vcc_lo
	s_clause 0x1
	global_load_dword v75, v[73:74], off
	global_load_dword v81, v[4:5], off offset:96
	s_waitcnt vmcnt(1)
	global_store_dword v[4:5], v75, off offset:96
	s_waitcnt vmcnt(0)
	global_store_dword v[73:74], v81, off
.LBB64_414:
	s_or_b32 exec_lo, exec_lo, s2
	v_mov_b32_e32 v75, v72
	v_mov_b32_e32 v81, v72
.LBB64_415:
	s_or_b32 exec_lo, exec_lo, s1
.LBB64_416:
	s_andn2_saveexec_b32 s0, s0
	s_cbranch_execz .LBB64_418
; %bb.417:
	v_mov_b32_e32 v81, 24
	ds_write2_b64 v78, v[18:19], v[16:17] offset0:25 offset1:26
	ds_write2_b64 v78, v[14:15], v[12:13] offset0:27 offset1:28
	;; [unrolled: 1-line block ×4, first 2 shown]
.LBB64_418:
	s_or_b32 exec_lo, exec_lo, s0
	s_mov_b32 s0, exec_lo
	s_waitcnt lgkmcnt(0)
	s_waitcnt_vscnt null, 0x0
	s_barrier
	buffer_gl0_inv
	v_cmpx_lt_i32_e32 24, v81
	s_cbranch_execz .LBB64_420
; %bb.419:
	v_mul_f64 v[20:21], v[0:1], v[20:21]
	ds_read2_b64 v[82:85], v78 offset0:25 offset1:26
	ds_read2_b64 v[86:89], v78 offset0:27 offset1:28
	;; [unrolled: 1-line block ×4, first 2 shown]
	s_waitcnt lgkmcnt(3)
	v_fma_f64 v[18:19], -v[20:21], v[82:83], v[18:19]
	v_fma_f64 v[16:17], -v[20:21], v[84:85], v[16:17]
	s_waitcnt lgkmcnt(2)
	v_fma_f64 v[14:15], -v[20:21], v[86:87], v[14:15]
	v_fma_f64 v[12:13], -v[20:21], v[88:89], v[12:13]
	;; [unrolled: 3-line block ×4, first 2 shown]
.LBB64_420:
	s_or_b32 exec_lo, exec_lo, s0
	v_lshl_add_u32 v0, v81, 3, v78
	s_barrier
	buffer_gl0_inv
	v_mov_b32_e32 v72, 25
	ds_write_b64 v0, v[18:19]
	s_waitcnt lgkmcnt(0)
	s_barrier
	buffer_gl0_inv
	ds_read_b64 v[0:1], v78 offset:200
	s_cmp_lt_i32 s7, 27
	s_cbranch_scc1 .LBB64_423
; %bb.421:
	v_add3_u32 v73, v79, 0, 0xd0
	v_mov_b32_e32 v72, 25
	s_mov_b32 s0, 26
.LBB64_422:                             ; =>This Inner Loop Header: Depth=1
	ds_read_b64 v[82:83], v73
	v_add_nc_u32_e32 v73, 8, v73
	s_waitcnt lgkmcnt(0)
	v_cmp_lt_f64_e64 vcc_lo, |v[0:1]|, |v[82:83]|
	v_cndmask_b32_e32 v1, v1, v83, vcc_lo
	v_cndmask_b32_e32 v0, v0, v82, vcc_lo
	v_cndmask_b32_e64 v72, v72, s0, vcc_lo
	s_add_i32 s0, s0, 1
	s_cmp_lg_u32 s7, s0
	s_cbranch_scc1 .LBB64_422
.LBB64_423:
	s_mov_b32 s0, exec_lo
	s_waitcnt lgkmcnt(0)
	v_cmpx_eq_f64_e32 0, v[0:1]
	s_xor_b32 s0, exec_lo, s0
; %bb.424:
	v_cmp_ne_u32_e32 vcc_lo, 0, v80
	v_cndmask_b32_e32 v80, 26, v80, vcc_lo
; %bb.425:
	s_andn2_saveexec_b32 s0, s0
	s_cbranch_execz .LBB64_427
; %bb.426:
	v_div_scale_f64 v[73:74], null, v[0:1], v[0:1], 1.0
	v_rcp_f64_e32 v[82:83], v[73:74]
	v_fma_f64 v[84:85], -v[73:74], v[82:83], 1.0
	v_fma_f64 v[82:83], v[82:83], v[84:85], v[82:83]
	v_fma_f64 v[84:85], -v[73:74], v[82:83], 1.0
	v_fma_f64 v[82:83], v[82:83], v[84:85], v[82:83]
	v_div_scale_f64 v[84:85], vcc_lo, 1.0, v[0:1], 1.0
	v_mul_f64 v[86:87], v[84:85], v[82:83]
	v_fma_f64 v[73:74], -v[73:74], v[86:87], v[84:85]
	v_div_fmas_f64 v[73:74], v[73:74], v[82:83], v[86:87]
	v_div_fixup_f64 v[0:1], v[73:74], v[0:1], 1.0
.LBB64_427:
	s_or_b32 exec_lo, exec_lo, s0
	s_mov_b32 s0, exec_lo
	v_cmpx_ne_u32_e64 v81, v72
	s_xor_b32 s0, exec_lo, s0
	s_cbranch_execz .LBB64_433
; %bb.428:
	s_mov_b32 s1, exec_lo
	v_cmpx_eq_u32_e32 25, v81
	s_cbranch_execz .LBB64_432
; %bb.429:
	v_cmp_ne_u32_e32 vcc_lo, 25, v72
	s_xor_b32 s2, s6, -1
	s_and_b32 s3, s2, vcc_lo
	s_and_saveexec_b32 s2, s3
	s_cbranch_execz .LBB64_431
; %bb.430:
	v_ashrrev_i32_e32 v73, 31, v72
	v_lshlrev_b64 v[73:74], 2, v[72:73]
	v_add_co_u32 v73, vcc_lo, v4, v73
	v_add_co_ci_u32_e64 v74, null, v5, v74, vcc_lo
	s_clause 0x1
	global_load_dword v75, v[73:74], off
	global_load_dword v81, v[4:5], off offset:100
	s_waitcnt vmcnt(1)
	global_store_dword v[4:5], v75, off offset:100
	s_waitcnt vmcnt(0)
	global_store_dword v[73:74], v81, off
.LBB64_431:
	s_or_b32 exec_lo, exec_lo, s2
	v_mov_b32_e32 v75, v72
	v_mov_b32_e32 v81, v72
.LBB64_432:
	s_or_b32 exec_lo, exec_lo, s1
.LBB64_433:
	s_andn2_saveexec_b32 s0, s0
	s_cbranch_execz .LBB64_435
; %bb.434:
	v_mov_b32_e32 v72, v16
	v_mov_b32_e32 v73, v17
	;; [unrolled: 1-line block ×13, first 2 shown]
	ds_write2_b64 v78, v[72:73], v[82:83] offset0:26 offset1:27
	ds_write2_b64 v78, v[84:85], v[86:87] offset0:28 offset1:29
	;; [unrolled: 1-line block ×3, first 2 shown]
	ds_write_b64 v78, v[70:71] offset:256
.LBB64_435:
	s_or_b32 exec_lo, exec_lo, s0
	s_mov_b32 s0, exec_lo
	s_waitcnt lgkmcnt(0)
	s_waitcnt_vscnt null, 0x0
	s_barrier
	buffer_gl0_inv
	v_cmpx_lt_i32_e32 25, v81
	s_cbranch_execz .LBB64_437
; %bb.436:
	v_mul_f64 v[18:19], v[0:1], v[18:19]
	ds_read2_b64 v[82:85], v78 offset0:26 offset1:27
	ds_read2_b64 v[86:89], v78 offset0:28 offset1:29
	ds_read2_b64 v[90:93], v78 offset0:30 offset1:31
	ds_read_b64 v[0:1], v78 offset:256
	s_waitcnt lgkmcnt(3)
	v_fma_f64 v[16:17], -v[18:19], v[82:83], v[16:17]
	v_fma_f64 v[14:15], -v[18:19], v[84:85], v[14:15]
	s_waitcnt lgkmcnt(2)
	v_fma_f64 v[12:13], -v[18:19], v[86:87], v[12:13]
	v_fma_f64 v[8:9], -v[18:19], v[88:89], v[8:9]
	;; [unrolled: 3-line block ×3, first 2 shown]
	s_waitcnt lgkmcnt(0)
	v_fma_f64 v[70:71], -v[18:19], v[0:1], v[70:71]
.LBB64_437:
	s_or_b32 exec_lo, exec_lo, s0
	v_lshl_add_u32 v0, v81, 3, v78
	s_barrier
	buffer_gl0_inv
	v_mov_b32_e32 v72, 26
	ds_write_b64 v0, v[16:17]
	s_waitcnt lgkmcnt(0)
	s_barrier
	buffer_gl0_inv
	ds_read_b64 v[0:1], v78 offset:208
	s_cmp_lt_i32 s7, 28
	s_cbranch_scc1 .LBB64_440
; %bb.438:
	v_add3_u32 v73, v79, 0, 0xd8
	v_mov_b32_e32 v72, 26
	s_mov_b32 s0, 27
.LBB64_439:                             ; =>This Inner Loop Header: Depth=1
	ds_read_b64 v[82:83], v73
	v_add_nc_u32_e32 v73, 8, v73
	s_waitcnt lgkmcnt(0)
	v_cmp_lt_f64_e64 vcc_lo, |v[0:1]|, |v[82:83]|
	v_cndmask_b32_e32 v1, v1, v83, vcc_lo
	v_cndmask_b32_e32 v0, v0, v82, vcc_lo
	v_cndmask_b32_e64 v72, v72, s0, vcc_lo
	s_add_i32 s0, s0, 1
	s_cmp_lg_u32 s7, s0
	s_cbranch_scc1 .LBB64_439
.LBB64_440:
	s_mov_b32 s0, exec_lo
	s_waitcnt lgkmcnt(0)
	v_cmpx_eq_f64_e32 0, v[0:1]
	s_xor_b32 s0, exec_lo, s0
; %bb.441:
	v_cmp_ne_u32_e32 vcc_lo, 0, v80
	v_cndmask_b32_e32 v80, 27, v80, vcc_lo
; %bb.442:
	s_andn2_saveexec_b32 s0, s0
	s_cbranch_execz .LBB64_444
; %bb.443:
	v_div_scale_f64 v[73:74], null, v[0:1], v[0:1], 1.0
	v_rcp_f64_e32 v[82:83], v[73:74]
	v_fma_f64 v[84:85], -v[73:74], v[82:83], 1.0
	v_fma_f64 v[82:83], v[82:83], v[84:85], v[82:83]
	v_fma_f64 v[84:85], -v[73:74], v[82:83], 1.0
	v_fma_f64 v[82:83], v[82:83], v[84:85], v[82:83]
	v_div_scale_f64 v[84:85], vcc_lo, 1.0, v[0:1], 1.0
	v_mul_f64 v[86:87], v[84:85], v[82:83]
	v_fma_f64 v[73:74], -v[73:74], v[86:87], v[84:85]
	v_div_fmas_f64 v[73:74], v[73:74], v[82:83], v[86:87]
	v_div_fixup_f64 v[0:1], v[73:74], v[0:1], 1.0
.LBB64_444:
	s_or_b32 exec_lo, exec_lo, s0
	s_mov_b32 s0, exec_lo
	v_cmpx_ne_u32_e64 v81, v72
	s_xor_b32 s0, exec_lo, s0
	s_cbranch_execz .LBB64_450
; %bb.445:
	s_mov_b32 s1, exec_lo
	v_cmpx_eq_u32_e32 26, v81
	s_cbranch_execz .LBB64_449
; %bb.446:
	v_cmp_ne_u32_e32 vcc_lo, 26, v72
	s_xor_b32 s2, s6, -1
	s_and_b32 s3, s2, vcc_lo
	s_and_saveexec_b32 s2, s3
	s_cbranch_execz .LBB64_448
; %bb.447:
	v_ashrrev_i32_e32 v73, 31, v72
	v_lshlrev_b64 v[73:74], 2, v[72:73]
	v_add_co_u32 v73, vcc_lo, v4, v73
	v_add_co_ci_u32_e64 v74, null, v5, v74, vcc_lo
	s_clause 0x1
	global_load_dword v75, v[73:74], off
	global_load_dword v81, v[4:5], off offset:104
	s_waitcnt vmcnt(1)
	global_store_dword v[4:5], v75, off offset:104
	s_waitcnt vmcnt(0)
	global_store_dword v[73:74], v81, off
.LBB64_448:
	s_or_b32 exec_lo, exec_lo, s2
	v_mov_b32_e32 v75, v72
	v_mov_b32_e32 v81, v72
.LBB64_449:
	s_or_b32 exec_lo, exec_lo, s1
.LBB64_450:
	s_andn2_saveexec_b32 s0, s0
	s_cbranch_execz .LBB64_452
; %bb.451:
	v_mov_b32_e32 v81, 26
	ds_write2_b64 v78, v[14:15], v[12:13] offset0:27 offset1:28
	ds_write2_b64 v78, v[8:9], v[10:11] offset0:29 offset1:30
	;; [unrolled: 1-line block ×3, first 2 shown]
.LBB64_452:
	s_or_b32 exec_lo, exec_lo, s0
	s_mov_b32 s0, exec_lo
	s_waitcnt lgkmcnt(0)
	s_waitcnt_vscnt null, 0x0
	s_barrier
	buffer_gl0_inv
	v_cmpx_lt_i32_e32 26, v81
	s_cbranch_execz .LBB64_454
; %bb.453:
	v_mul_f64 v[16:17], v[0:1], v[16:17]
	ds_read2_b64 v[82:85], v78 offset0:27 offset1:28
	ds_read2_b64 v[86:89], v78 offset0:29 offset1:30
	;; [unrolled: 1-line block ×3, first 2 shown]
	s_waitcnt lgkmcnt(2)
	v_fma_f64 v[14:15], -v[16:17], v[82:83], v[14:15]
	v_fma_f64 v[12:13], -v[16:17], v[84:85], v[12:13]
	s_waitcnt lgkmcnt(1)
	v_fma_f64 v[8:9], -v[16:17], v[86:87], v[8:9]
	v_fma_f64 v[10:11], -v[16:17], v[88:89], v[10:11]
	s_waitcnt lgkmcnt(0)
	v_fma_f64 v[6:7], -v[16:17], v[90:91], v[6:7]
	v_fma_f64 v[70:71], -v[16:17], v[92:93], v[70:71]
.LBB64_454:
	s_or_b32 exec_lo, exec_lo, s0
	v_lshl_add_u32 v0, v81, 3, v78
	s_barrier
	buffer_gl0_inv
	v_mov_b32_e32 v72, 27
	ds_write_b64 v0, v[14:15]
	s_waitcnt lgkmcnt(0)
	s_barrier
	buffer_gl0_inv
	ds_read_b64 v[0:1], v78 offset:216
	s_cmp_lt_i32 s7, 29
	s_cbranch_scc1 .LBB64_457
; %bb.455:
	v_add3_u32 v73, v79, 0, 0xe0
	v_mov_b32_e32 v72, 27
	s_mov_b32 s0, 28
.LBB64_456:                             ; =>This Inner Loop Header: Depth=1
	ds_read_b64 v[82:83], v73
	v_add_nc_u32_e32 v73, 8, v73
	s_waitcnt lgkmcnt(0)
	v_cmp_lt_f64_e64 vcc_lo, |v[0:1]|, |v[82:83]|
	v_cndmask_b32_e32 v1, v1, v83, vcc_lo
	v_cndmask_b32_e32 v0, v0, v82, vcc_lo
	v_cndmask_b32_e64 v72, v72, s0, vcc_lo
	s_add_i32 s0, s0, 1
	s_cmp_lg_u32 s7, s0
	s_cbranch_scc1 .LBB64_456
.LBB64_457:
	s_mov_b32 s0, exec_lo
	s_waitcnt lgkmcnt(0)
	v_cmpx_eq_f64_e32 0, v[0:1]
	s_xor_b32 s0, exec_lo, s0
; %bb.458:
	v_cmp_ne_u32_e32 vcc_lo, 0, v80
	v_cndmask_b32_e32 v80, 28, v80, vcc_lo
; %bb.459:
	s_andn2_saveexec_b32 s0, s0
	s_cbranch_execz .LBB64_461
; %bb.460:
	v_div_scale_f64 v[73:74], null, v[0:1], v[0:1], 1.0
	v_rcp_f64_e32 v[82:83], v[73:74]
	v_fma_f64 v[84:85], -v[73:74], v[82:83], 1.0
	v_fma_f64 v[82:83], v[82:83], v[84:85], v[82:83]
	v_fma_f64 v[84:85], -v[73:74], v[82:83], 1.0
	v_fma_f64 v[82:83], v[82:83], v[84:85], v[82:83]
	v_div_scale_f64 v[84:85], vcc_lo, 1.0, v[0:1], 1.0
	v_mul_f64 v[86:87], v[84:85], v[82:83]
	v_fma_f64 v[73:74], -v[73:74], v[86:87], v[84:85]
	v_div_fmas_f64 v[73:74], v[73:74], v[82:83], v[86:87]
	v_div_fixup_f64 v[0:1], v[73:74], v[0:1], 1.0
.LBB64_461:
	s_or_b32 exec_lo, exec_lo, s0
	s_mov_b32 s0, exec_lo
	v_cmpx_ne_u32_e64 v81, v72
	s_xor_b32 s0, exec_lo, s0
	s_cbranch_execz .LBB64_467
; %bb.462:
	s_mov_b32 s1, exec_lo
	v_cmpx_eq_u32_e32 27, v81
	s_cbranch_execz .LBB64_466
; %bb.463:
	v_cmp_ne_u32_e32 vcc_lo, 27, v72
	s_xor_b32 s2, s6, -1
	s_and_b32 s3, s2, vcc_lo
	s_and_saveexec_b32 s2, s3
	s_cbranch_execz .LBB64_465
; %bb.464:
	v_ashrrev_i32_e32 v73, 31, v72
	v_lshlrev_b64 v[73:74], 2, v[72:73]
	v_add_co_u32 v73, vcc_lo, v4, v73
	v_add_co_ci_u32_e64 v74, null, v5, v74, vcc_lo
	s_clause 0x1
	global_load_dword v75, v[73:74], off
	global_load_dword v81, v[4:5], off offset:108
	s_waitcnt vmcnt(1)
	global_store_dword v[4:5], v75, off offset:108
	s_waitcnt vmcnt(0)
	global_store_dword v[73:74], v81, off
.LBB64_465:
	s_or_b32 exec_lo, exec_lo, s2
	v_mov_b32_e32 v75, v72
	v_mov_b32_e32 v81, v72
.LBB64_466:
	s_or_b32 exec_lo, exec_lo, s1
.LBB64_467:
	s_andn2_saveexec_b32 s0, s0
	s_cbranch_execz .LBB64_469
; %bb.468:
	v_mov_b32_e32 v72, v12
	v_mov_b32_e32 v73, v13
	;; [unrolled: 1-line block ×9, first 2 shown]
	ds_write2_b64 v78, v[72:73], v[82:83] offset0:28 offset1:29
	ds_write2_b64 v78, v[84:85], v[86:87] offset0:30 offset1:31
	ds_write_b64 v78, v[70:71] offset:256
.LBB64_469:
	s_or_b32 exec_lo, exec_lo, s0
	s_mov_b32 s0, exec_lo
	s_waitcnt lgkmcnt(0)
	s_waitcnt_vscnt null, 0x0
	s_barrier
	buffer_gl0_inv
	v_cmpx_lt_i32_e32 27, v81
	s_cbranch_execz .LBB64_471
; %bb.470:
	v_mul_f64 v[14:15], v[0:1], v[14:15]
	ds_read2_b64 v[82:85], v78 offset0:28 offset1:29
	ds_read2_b64 v[86:89], v78 offset0:30 offset1:31
	ds_read_b64 v[0:1], v78 offset:256
	s_waitcnt lgkmcnt(2)
	v_fma_f64 v[12:13], -v[14:15], v[82:83], v[12:13]
	v_fma_f64 v[8:9], -v[14:15], v[84:85], v[8:9]
	s_waitcnt lgkmcnt(1)
	v_fma_f64 v[10:11], -v[14:15], v[86:87], v[10:11]
	v_fma_f64 v[6:7], -v[14:15], v[88:89], v[6:7]
	s_waitcnt lgkmcnt(0)
	v_fma_f64 v[70:71], -v[14:15], v[0:1], v[70:71]
.LBB64_471:
	s_or_b32 exec_lo, exec_lo, s0
	v_lshl_add_u32 v0, v81, 3, v78
	s_barrier
	buffer_gl0_inv
	v_mov_b32_e32 v72, 28
	ds_write_b64 v0, v[12:13]
	s_waitcnt lgkmcnt(0)
	s_barrier
	buffer_gl0_inv
	ds_read_b64 v[0:1], v78 offset:224
	s_cmp_lt_i32 s7, 30
	s_cbranch_scc1 .LBB64_474
; %bb.472:
	v_add3_u32 v73, v79, 0, 0xe8
	v_mov_b32_e32 v72, 28
	s_mov_b32 s0, 29
.LBB64_473:                             ; =>This Inner Loop Header: Depth=1
	ds_read_b64 v[82:83], v73
	v_add_nc_u32_e32 v73, 8, v73
	s_waitcnt lgkmcnt(0)
	v_cmp_lt_f64_e64 vcc_lo, |v[0:1]|, |v[82:83]|
	v_cndmask_b32_e32 v1, v1, v83, vcc_lo
	v_cndmask_b32_e32 v0, v0, v82, vcc_lo
	v_cndmask_b32_e64 v72, v72, s0, vcc_lo
	s_add_i32 s0, s0, 1
	s_cmp_lg_u32 s7, s0
	s_cbranch_scc1 .LBB64_473
.LBB64_474:
	s_mov_b32 s0, exec_lo
	s_waitcnt lgkmcnt(0)
	v_cmpx_eq_f64_e32 0, v[0:1]
	s_xor_b32 s0, exec_lo, s0
; %bb.475:
	v_cmp_ne_u32_e32 vcc_lo, 0, v80
	v_cndmask_b32_e32 v80, 29, v80, vcc_lo
; %bb.476:
	s_andn2_saveexec_b32 s0, s0
	s_cbranch_execz .LBB64_478
; %bb.477:
	v_div_scale_f64 v[73:74], null, v[0:1], v[0:1], 1.0
	v_rcp_f64_e32 v[82:83], v[73:74]
	v_fma_f64 v[84:85], -v[73:74], v[82:83], 1.0
	v_fma_f64 v[82:83], v[82:83], v[84:85], v[82:83]
	v_fma_f64 v[84:85], -v[73:74], v[82:83], 1.0
	v_fma_f64 v[82:83], v[82:83], v[84:85], v[82:83]
	v_div_scale_f64 v[84:85], vcc_lo, 1.0, v[0:1], 1.0
	v_mul_f64 v[86:87], v[84:85], v[82:83]
	v_fma_f64 v[73:74], -v[73:74], v[86:87], v[84:85]
	v_div_fmas_f64 v[73:74], v[73:74], v[82:83], v[86:87]
	v_div_fixup_f64 v[0:1], v[73:74], v[0:1], 1.0
.LBB64_478:
	s_or_b32 exec_lo, exec_lo, s0
	s_mov_b32 s0, exec_lo
	v_cmpx_ne_u32_e64 v81, v72
	s_xor_b32 s0, exec_lo, s0
	s_cbranch_execz .LBB64_484
; %bb.479:
	s_mov_b32 s1, exec_lo
	v_cmpx_eq_u32_e32 28, v81
	s_cbranch_execz .LBB64_483
; %bb.480:
	v_cmp_ne_u32_e32 vcc_lo, 28, v72
	s_xor_b32 s2, s6, -1
	s_and_b32 s3, s2, vcc_lo
	s_and_saveexec_b32 s2, s3
	s_cbranch_execz .LBB64_482
; %bb.481:
	v_ashrrev_i32_e32 v73, 31, v72
	v_lshlrev_b64 v[73:74], 2, v[72:73]
	v_add_co_u32 v73, vcc_lo, v4, v73
	v_add_co_ci_u32_e64 v74, null, v5, v74, vcc_lo
	s_clause 0x1
	global_load_dword v75, v[73:74], off
	global_load_dword v81, v[4:5], off offset:112
	s_waitcnt vmcnt(1)
	global_store_dword v[4:5], v75, off offset:112
	s_waitcnt vmcnt(0)
	global_store_dword v[73:74], v81, off
.LBB64_482:
	s_or_b32 exec_lo, exec_lo, s2
	v_mov_b32_e32 v75, v72
	v_mov_b32_e32 v81, v72
.LBB64_483:
	s_or_b32 exec_lo, exec_lo, s1
.LBB64_484:
	s_andn2_saveexec_b32 s0, s0
	s_cbranch_execz .LBB64_486
; %bb.485:
	v_mov_b32_e32 v81, 28
	ds_write2_b64 v78, v[8:9], v[10:11] offset0:29 offset1:30
	ds_write2_b64 v78, v[6:7], v[70:71] offset0:31 offset1:32
.LBB64_486:
	s_or_b32 exec_lo, exec_lo, s0
	s_mov_b32 s0, exec_lo
	s_waitcnt lgkmcnt(0)
	s_waitcnt_vscnt null, 0x0
	s_barrier
	buffer_gl0_inv
	v_cmpx_lt_i32_e32 28, v81
	s_cbranch_execz .LBB64_488
; %bb.487:
	v_mul_f64 v[12:13], v[0:1], v[12:13]
	ds_read2_b64 v[82:85], v78 offset0:29 offset1:30
	ds_read2_b64 v[86:89], v78 offset0:31 offset1:32
	s_waitcnt lgkmcnt(1)
	v_fma_f64 v[8:9], -v[12:13], v[82:83], v[8:9]
	v_fma_f64 v[10:11], -v[12:13], v[84:85], v[10:11]
	s_waitcnt lgkmcnt(0)
	v_fma_f64 v[6:7], -v[12:13], v[86:87], v[6:7]
	v_fma_f64 v[70:71], -v[12:13], v[88:89], v[70:71]
.LBB64_488:
	s_or_b32 exec_lo, exec_lo, s0
	v_lshl_add_u32 v0, v81, 3, v78
	s_barrier
	buffer_gl0_inv
	v_mov_b32_e32 v72, 29
	ds_write_b64 v0, v[8:9]
	s_waitcnt lgkmcnt(0)
	s_barrier
	buffer_gl0_inv
	ds_read_b64 v[0:1], v78 offset:232
	s_cmp_lt_i32 s7, 31
	s_cbranch_scc1 .LBB64_491
; %bb.489:
	v_add3_u32 v73, v79, 0, 0xf0
	v_mov_b32_e32 v72, 29
	s_mov_b32 s0, 30
.LBB64_490:                             ; =>This Inner Loop Header: Depth=1
	ds_read_b64 v[82:83], v73
	v_add_nc_u32_e32 v73, 8, v73
	s_waitcnt lgkmcnt(0)
	v_cmp_lt_f64_e64 vcc_lo, |v[0:1]|, |v[82:83]|
	v_cndmask_b32_e32 v1, v1, v83, vcc_lo
	v_cndmask_b32_e32 v0, v0, v82, vcc_lo
	v_cndmask_b32_e64 v72, v72, s0, vcc_lo
	s_add_i32 s0, s0, 1
	s_cmp_lg_u32 s7, s0
	s_cbranch_scc1 .LBB64_490
.LBB64_491:
	s_mov_b32 s0, exec_lo
	s_waitcnt lgkmcnt(0)
	v_cmpx_eq_f64_e32 0, v[0:1]
	s_xor_b32 s0, exec_lo, s0
; %bb.492:
	v_cmp_ne_u32_e32 vcc_lo, 0, v80
	v_cndmask_b32_e32 v80, 30, v80, vcc_lo
; %bb.493:
	s_andn2_saveexec_b32 s0, s0
	s_cbranch_execz .LBB64_495
; %bb.494:
	v_div_scale_f64 v[73:74], null, v[0:1], v[0:1], 1.0
	v_rcp_f64_e32 v[82:83], v[73:74]
	v_fma_f64 v[84:85], -v[73:74], v[82:83], 1.0
	v_fma_f64 v[82:83], v[82:83], v[84:85], v[82:83]
	v_fma_f64 v[84:85], -v[73:74], v[82:83], 1.0
	v_fma_f64 v[82:83], v[82:83], v[84:85], v[82:83]
	v_div_scale_f64 v[84:85], vcc_lo, 1.0, v[0:1], 1.0
	v_mul_f64 v[86:87], v[84:85], v[82:83]
	v_fma_f64 v[73:74], -v[73:74], v[86:87], v[84:85]
	v_div_fmas_f64 v[73:74], v[73:74], v[82:83], v[86:87]
	v_div_fixup_f64 v[0:1], v[73:74], v[0:1], 1.0
.LBB64_495:
	s_or_b32 exec_lo, exec_lo, s0
	s_mov_b32 s0, exec_lo
	v_cmpx_ne_u32_e64 v81, v72
	s_xor_b32 s0, exec_lo, s0
	s_cbranch_execz .LBB64_501
; %bb.496:
	s_mov_b32 s1, exec_lo
	v_cmpx_eq_u32_e32 29, v81
	s_cbranch_execz .LBB64_500
; %bb.497:
	v_cmp_ne_u32_e32 vcc_lo, 29, v72
	s_xor_b32 s2, s6, -1
	s_and_b32 s3, s2, vcc_lo
	s_and_saveexec_b32 s2, s3
	s_cbranch_execz .LBB64_499
; %bb.498:
	v_ashrrev_i32_e32 v73, 31, v72
	v_lshlrev_b64 v[73:74], 2, v[72:73]
	v_add_co_u32 v73, vcc_lo, v4, v73
	v_add_co_ci_u32_e64 v74, null, v5, v74, vcc_lo
	s_clause 0x1
	global_load_dword v75, v[73:74], off
	global_load_dword v81, v[4:5], off offset:116
	s_waitcnt vmcnt(1)
	global_store_dword v[4:5], v75, off offset:116
	s_waitcnt vmcnt(0)
	global_store_dword v[73:74], v81, off
.LBB64_499:
	s_or_b32 exec_lo, exec_lo, s2
	v_mov_b32_e32 v75, v72
	v_mov_b32_e32 v81, v72
.LBB64_500:
	s_or_b32 exec_lo, exec_lo, s1
.LBB64_501:
	s_andn2_saveexec_b32 s0, s0
	s_cbranch_execz .LBB64_503
; %bb.502:
	v_mov_b32_e32 v72, v10
	v_mov_b32_e32 v73, v11
	v_mov_b32_e32 v82, v6
	v_mov_b32_e32 v83, v7
	v_mov_b32_e32 v81, 29
	ds_write2_b64 v78, v[72:73], v[82:83] offset0:30 offset1:31
	ds_write_b64 v78, v[70:71] offset:256
.LBB64_503:
	s_or_b32 exec_lo, exec_lo, s0
	s_mov_b32 s0, exec_lo
	s_waitcnt lgkmcnt(0)
	s_waitcnt_vscnt null, 0x0
	s_barrier
	buffer_gl0_inv
	v_cmpx_lt_i32_e32 29, v81
	s_cbranch_execz .LBB64_505
; %bb.504:
	v_mul_f64 v[8:9], v[0:1], v[8:9]
	ds_read2_b64 v[82:85], v78 offset0:30 offset1:31
	ds_read_b64 v[0:1], v78 offset:256
	s_waitcnt lgkmcnt(1)
	v_fma_f64 v[10:11], -v[8:9], v[82:83], v[10:11]
	v_fma_f64 v[6:7], -v[8:9], v[84:85], v[6:7]
	s_waitcnt lgkmcnt(0)
	v_fma_f64 v[70:71], -v[8:9], v[0:1], v[70:71]
.LBB64_505:
	s_or_b32 exec_lo, exec_lo, s0
	v_lshl_add_u32 v0, v81, 3, v78
	s_barrier
	buffer_gl0_inv
	v_mov_b32_e32 v72, 30
	ds_write_b64 v0, v[10:11]
	s_waitcnt lgkmcnt(0)
	s_barrier
	buffer_gl0_inv
	ds_read_b64 v[0:1], v78 offset:240
	s_cmp_lt_i32 s7, 32
	s_cbranch_scc1 .LBB64_508
; %bb.506:
	v_add3_u32 v73, v79, 0, 0xf8
	v_mov_b32_e32 v72, 30
	s_mov_b32 s0, 31
.LBB64_507:                             ; =>This Inner Loop Header: Depth=1
	ds_read_b64 v[82:83], v73
	v_add_nc_u32_e32 v73, 8, v73
	s_waitcnt lgkmcnt(0)
	v_cmp_lt_f64_e64 vcc_lo, |v[0:1]|, |v[82:83]|
	v_cndmask_b32_e32 v1, v1, v83, vcc_lo
	v_cndmask_b32_e32 v0, v0, v82, vcc_lo
	v_cndmask_b32_e64 v72, v72, s0, vcc_lo
	s_add_i32 s0, s0, 1
	s_cmp_lg_u32 s7, s0
	s_cbranch_scc1 .LBB64_507
.LBB64_508:
	s_mov_b32 s0, exec_lo
	s_waitcnt lgkmcnt(0)
	v_cmpx_eq_f64_e32 0, v[0:1]
	s_xor_b32 s0, exec_lo, s0
; %bb.509:
	v_cmp_ne_u32_e32 vcc_lo, 0, v80
	v_cndmask_b32_e32 v80, 31, v80, vcc_lo
; %bb.510:
	s_andn2_saveexec_b32 s0, s0
	s_cbranch_execz .LBB64_512
; %bb.511:
	v_div_scale_f64 v[73:74], null, v[0:1], v[0:1], 1.0
	v_rcp_f64_e32 v[82:83], v[73:74]
	v_fma_f64 v[84:85], -v[73:74], v[82:83], 1.0
	v_fma_f64 v[82:83], v[82:83], v[84:85], v[82:83]
	v_fma_f64 v[84:85], -v[73:74], v[82:83], 1.0
	v_fma_f64 v[82:83], v[82:83], v[84:85], v[82:83]
	v_div_scale_f64 v[84:85], vcc_lo, 1.0, v[0:1], 1.0
	v_mul_f64 v[86:87], v[84:85], v[82:83]
	v_fma_f64 v[73:74], -v[73:74], v[86:87], v[84:85]
	v_div_fmas_f64 v[73:74], v[73:74], v[82:83], v[86:87]
	v_div_fixup_f64 v[0:1], v[73:74], v[0:1], 1.0
.LBB64_512:
	s_or_b32 exec_lo, exec_lo, s0
	s_mov_b32 s0, exec_lo
	v_cmpx_ne_u32_e64 v81, v72
	s_xor_b32 s0, exec_lo, s0
	s_cbranch_execz .LBB64_518
; %bb.513:
	s_mov_b32 s1, exec_lo
	v_cmpx_eq_u32_e32 30, v81
	s_cbranch_execz .LBB64_517
; %bb.514:
	v_cmp_ne_u32_e32 vcc_lo, 30, v72
	s_xor_b32 s2, s6, -1
	s_and_b32 s3, s2, vcc_lo
	s_and_saveexec_b32 s2, s3
	s_cbranch_execz .LBB64_516
; %bb.515:
	v_ashrrev_i32_e32 v73, 31, v72
	v_lshlrev_b64 v[73:74], 2, v[72:73]
	v_add_co_u32 v73, vcc_lo, v4, v73
	v_add_co_ci_u32_e64 v74, null, v5, v74, vcc_lo
	s_clause 0x1
	global_load_dword v75, v[73:74], off
	global_load_dword v81, v[4:5], off offset:120
	s_waitcnt vmcnt(1)
	global_store_dword v[4:5], v75, off offset:120
	s_waitcnt vmcnt(0)
	global_store_dword v[73:74], v81, off
.LBB64_516:
	s_or_b32 exec_lo, exec_lo, s2
	v_mov_b32_e32 v75, v72
	v_mov_b32_e32 v81, v72
.LBB64_517:
	s_or_b32 exec_lo, exec_lo, s1
.LBB64_518:
	s_andn2_saveexec_b32 s0, s0
; %bb.519:
	v_mov_b32_e32 v81, 30
	ds_write2_b64 v78, v[6:7], v[70:71] offset0:31 offset1:32
; %bb.520:
	s_or_b32 exec_lo, exec_lo, s0
	s_mov_b32 s0, exec_lo
	s_waitcnt lgkmcnt(0)
	s_waitcnt_vscnt null, 0x0
	s_barrier
	buffer_gl0_inv
	v_cmpx_lt_i32_e32 30, v81
	s_cbranch_execz .LBB64_522
; %bb.521:
	v_mul_f64 v[10:11], v[0:1], v[10:11]
	ds_read2_b64 v[82:85], v78 offset0:31 offset1:32
	s_waitcnt lgkmcnt(0)
	v_fma_f64 v[6:7], -v[10:11], v[82:83], v[6:7]
	v_fma_f64 v[70:71], -v[10:11], v[84:85], v[70:71]
.LBB64_522:
	s_or_b32 exec_lo, exec_lo, s0
	v_lshl_add_u32 v0, v81, 3, v78
	s_barrier
	buffer_gl0_inv
	v_mov_b32_e32 v72, 31
	ds_write_b64 v0, v[6:7]
	s_waitcnt lgkmcnt(0)
	s_barrier
	buffer_gl0_inv
	ds_read_b64 v[0:1], v78 offset:248
	s_cmp_lt_i32 s7, 33
	s_cbranch_scc1 .LBB64_525
; %bb.523:
	v_add3_u32 v73, v79, 0, 0x100
	v_mov_b32_e32 v72, 31
	s_mov_b32 s0, 32
.LBB64_524:                             ; =>This Inner Loop Header: Depth=1
	ds_read_b64 v[82:83], v73
	v_add_nc_u32_e32 v73, 8, v73
	s_waitcnt lgkmcnt(0)
	v_cmp_lt_f64_e64 vcc_lo, |v[0:1]|, |v[82:83]|
	v_cndmask_b32_e32 v1, v1, v83, vcc_lo
	v_cndmask_b32_e32 v0, v0, v82, vcc_lo
	v_cndmask_b32_e64 v72, v72, s0, vcc_lo
	s_add_i32 s0, s0, 1
	s_cmp_lg_u32 s7, s0
	s_cbranch_scc1 .LBB64_524
.LBB64_525:
	s_mov_b32 s0, exec_lo
	s_waitcnt lgkmcnt(0)
	v_cmpx_eq_f64_e32 0, v[0:1]
	s_xor_b32 s0, exec_lo, s0
; %bb.526:
	v_cmp_ne_u32_e32 vcc_lo, 0, v80
	v_cndmask_b32_e32 v80, 32, v80, vcc_lo
; %bb.527:
	s_andn2_saveexec_b32 s0, s0
	s_cbranch_execz .LBB64_529
; %bb.528:
	v_div_scale_f64 v[73:74], null, v[0:1], v[0:1], 1.0
	v_rcp_f64_e32 v[82:83], v[73:74]
	v_fma_f64 v[84:85], -v[73:74], v[82:83], 1.0
	v_fma_f64 v[82:83], v[82:83], v[84:85], v[82:83]
	v_fma_f64 v[84:85], -v[73:74], v[82:83], 1.0
	v_fma_f64 v[82:83], v[82:83], v[84:85], v[82:83]
	v_div_scale_f64 v[84:85], vcc_lo, 1.0, v[0:1], 1.0
	v_mul_f64 v[86:87], v[84:85], v[82:83]
	v_fma_f64 v[73:74], -v[73:74], v[86:87], v[84:85]
	v_div_fmas_f64 v[73:74], v[73:74], v[82:83], v[86:87]
	v_div_fixup_f64 v[0:1], v[73:74], v[0:1], 1.0
.LBB64_529:
	s_or_b32 exec_lo, exec_lo, s0
	s_mov_b32 s0, exec_lo
	v_cmpx_ne_u32_e64 v81, v72
	s_xor_b32 s0, exec_lo, s0
	s_cbranch_execz .LBB64_535
; %bb.530:
	s_mov_b32 s1, exec_lo
	v_cmpx_eq_u32_e32 31, v81
	s_cbranch_execz .LBB64_534
; %bb.531:
	v_cmp_ne_u32_e32 vcc_lo, 31, v72
	s_xor_b32 s2, s6, -1
	s_and_b32 s3, s2, vcc_lo
	s_and_saveexec_b32 s2, s3
	s_cbranch_execz .LBB64_533
; %bb.532:
	v_ashrrev_i32_e32 v73, 31, v72
	v_lshlrev_b64 v[73:74], 2, v[72:73]
	v_add_co_u32 v73, vcc_lo, v4, v73
	v_add_co_ci_u32_e64 v74, null, v5, v74, vcc_lo
	s_clause 0x1
	global_load_dword v75, v[73:74], off
	global_load_dword v81, v[4:5], off offset:124
	s_waitcnt vmcnt(1)
	global_store_dword v[4:5], v75, off offset:124
	s_waitcnt vmcnt(0)
	global_store_dword v[73:74], v81, off
.LBB64_533:
	s_or_b32 exec_lo, exec_lo, s2
	v_mov_b32_e32 v75, v72
	v_mov_b32_e32 v81, v72
.LBB64_534:
	s_or_b32 exec_lo, exec_lo, s1
.LBB64_535:
	s_andn2_saveexec_b32 s0, s0
; %bb.536:
	v_mov_b32_e32 v81, 31
	ds_write_b64 v78, v[70:71] offset:256
; %bb.537:
	s_or_b32 exec_lo, exec_lo, s0
	s_mov_b32 s0, exec_lo
	s_waitcnt lgkmcnt(0)
	s_waitcnt_vscnt null, 0x0
	s_barrier
	buffer_gl0_inv
	v_cmpx_lt_i32_e32 31, v81
	s_cbranch_execz .LBB64_539
; %bb.538:
	v_mul_f64 v[6:7], v[0:1], v[6:7]
	ds_read_b64 v[0:1], v78 offset:256
	s_waitcnt lgkmcnt(0)
	v_fma_f64 v[70:71], -v[6:7], v[0:1], v[70:71]
.LBB64_539:
	s_or_b32 exec_lo, exec_lo, s0
	v_lshl_add_u32 v0, v81, 3, v78
	s_barrier
	buffer_gl0_inv
	v_mov_b32_e32 v72, 32
	ds_write_b64 v0, v[70:71]
	s_waitcnt lgkmcnt(0)
	s_barrier
	buffer_gl0_inv
	ds_read_b64 v[0:1], v78 offset:256
	s_cmp_lt_i32 s7, 34
	s_cbranch_scc1 .LBB64_542
; %bb.540:
	v_add3_u32 v73, v79, 0, 0x108
	v_mov_b32_e32 v72, 32
	s_mov_b32 s0, 33
.LBB64_541:                             ; =>This Inner Loop Header: Depth=1
	ds_read_b64 v[78:79], v73
	v_add_nc_u32_e32 v73, 8, v73
	s_waitcnt lgkmcnt(0)
	v_cmp_lt_f64_e64 vcc_lo, |v[0:1]|, |v[78:79]|
	v_cndmask_b32_e32 v1, v1, v79, vcc_lo
	v_cndmask_b32_e32 v0, v0, v78, vcc_lo
	v_cndmask_b32_e64 v72, v72, s0, vcc_lo
	s_add_i32 s0, s0, 1
	s_cmp_lg_u32 s7, s0
	s_cbranch_scc1 .LBB64_541
.LBB64_542:
	s_mov_b32 s0, exec_lo
	s_waitcnt lgkmcnt(0)
	v_cmpx_eq_f64_e32 0, v[0:1]
	s_xor_b32 s0, exec_lo, s0
; %bb.543:
	v_cmp_ne_u32_e32 vcc_lo, 0, v80
	v_cndmask_b32_e32 v80, 33, v80, vcc_lo
; %bb.544:
	s_andn2_saveexec_b32 s0, s0
	s_cbranch_execz .LBB64_546
; %bb.545:
	v_div_scale_f64 v[73:74], null, v[0:1], v[0:1], 1.0
	v_rcp_f64_e32 v[78:79], v[73:74]
	v_fma_f64 v[82:83], -v[73:74], v[78:79], 1.0
	v_fma_f64 v[78:79], v[78:79], v[82:83], v[78:79]
	v_fma_f64 v[82:83], -v[73:74], v[78:79], 1.0
	v_fma_f64 v[78:79], v[78:79], v[82:83], v[78:79]
	v_div_scale_f64 v[82:83], vcc_lo, 1.0, v[0:1], 1.0
	v_mul_f64 v[84:85], v[82:83], v[78:79]
	v_fma_f64 v[73:74], -v[73:74], v[84:85], v[82:83]
	v_div_fmas_f64 v[73:74], v[73:74], v[78:79], v[84:85]
	v_div_fixup_f64 v[0:1], v[73:74], v[0:1], 1.0
.LBB64_546:
	s_or_b32 exec_lo, exec_lo, s0
	v_mov_b32_e32 v73, 32
	s_mov_b32 s0, exec_lo
	v_cmpx_ne_u32_e64 v81, v72
	s_cbranch_execz .LBB64_552
; %bb.547:
	s_mov_b32 s1, exec_lo
	v_cmpx_eq_u32_e32 32, v81
	s_cbranch_execz .LBB64_551
; %bb.548:
	v_cmp_ne_u32_e32 vcc_lo, 32, v72
	s_xor_b32 s2, s6, -1
	s_and_b32 s3, s2, vcc_lo
	s_and_saveexec_b32 s2, s3
	s_cbranch_execz .LBB64_550
; %bb.549:
	v_ashrrev_i32_e32 v73, 31, v72
	v_lshlrev_b64 v[73:74], 2, v[72:73]
	v_add_co_u32 v73, vcc_lo, v4, v73
	v_add_co_ci_u32_e64 v74, null, v5, v74, vcc_lo
	s_clause 0x1
	global_load_dword v75, v[73:74], off
	global_load_dword v78, v[4:5], off offset:128
	s_waitcnt vmcnt(1)
	global_store_dword v[4:5], v75, off offset:128
	s_waitcnt vmcnt(0)
	global_store_dword v[73:74], v78, off
.LBB64_550:
	s_or_b32 exec_lo, exec_lo, s2
	v_mov_b32_e32 v75, v72
	v_mov_b32_e32 v81, v72
.LBB64_551:
	s_or_b32 exec_lo, exec_lo, s1
	v_mov_b32_e32 v73, v81
.LBB64_552:
	s_or_b32 exec_lo, exec_lo, s0
	s_load_dwordx8 s[0:7], s[4:5], 0x28
	v_ashrrev_i32_e32 v74, 31, v73
	s_mov_b32 s9, exec_lo
	s_waitcnt lgkmcnt(0)
	s_waitcnt_vscnt null, 0x0
	s_barrier
	buffer_gl0_inv
	s_barrier
	buffer_gl0_inv
	v_cmpx_gt_i32_e32 33, v73
	s_cbranch_execz .LBB64_554
; %bb.553:
	v_mul_lo_u32 v72, s5, v2
	v_mul_lo_u32 v78, s4, v3
	v_mad_u64_u32 v[4:5], null, s4, v2, 0
	s_lshl_b64 s[2:3], s[2:3], 2
	v_add3_u32 v5, v5, v78, v72
	v_lshlrev_b64 v[4:5], 2, v[4:5]
	v_add_co_u32 v72, vcc_lo, s0, v4
	v_add_co_ci_u32_e64 v78, null, s1, v5, vcc_lo
	v_lshlrev_b64 v[4:5], 2, v[73:74]
	v_add_co_u32 v72, vcc_lo, v72, s2
	v_add_co_ci_u32_e64 v78, null, s3, v78, vcc_lo
	v_add_co_u32 v4, vcc_lo, v72, v4
	v_add_co_ci_u32_e64 v5, null, v78, v5, vcc_lo
	v_add3_u32 v72, v75, s13, 1
	global_store_dword v[4:5], v72, off
.LBB64_554:
	s_or_b32 exec_lo, exec_lo, s9
	s_mov_b32 s1, exec_lo
	v_cmpx_eq_u32_e32 0, v73
	s_cbranch_execz .LBB64_557
; %bb.555:
	v_lshlrev_b64 v[2:3], 2, v[2:3]
	v_cmp_ne_u32_e64 s0, 0, v80
	v_add_co_u32 v2, vcc_lo, s6, v2
	v_add_co_ci_u32_e64 v3, null, s7, v3, vcc_lo
	global_load_dword v4, v[2:3], off
	s_waitcnt vmcnt(0)
	v_cmp_eq_u32_e32 vcc_lo, 0, v4
	s_and_b32 s0, vcc_lo, s0
	s_and_b32 exec_lo, exec_lo, s0
	s_cbranch_execz .LBB64_557
; %bb.556:
	v_add_nc_u32_e32 v4, s13, v80
	global_store_dword v[2:3], v4, off
.LBB64_557:
	s_or_b32 exec_lo, exec_lo, s1
	v_mul_f64 v[0:1], v[0:1], v[70:71]
	v_add3_u32 v2, s8, s8, v73
	v_lshlrev_b64 v[4:5], 3, v[73:74]
	v_add_nc_u32_e32 v72, s8, v2
	v_ashrrev_i32_e32 v3, 31, v2
	v_add_co_u32 v4, vcc_lo, v76, v4
	v_add_co_ci_u32_e64 v5, null, v77, v5, vcc_lo
	v_add_nc_u32_e32 v74, s8, v72
	v_lshlrev_b64 v[2:3], 3, v[2:3]
	v_cmp_lt_i32_e32 vcc_lo, 32, v73
	flat_store_dwordx2 v[4:5], v[68:69]
	v_ashrrev_i32_e32 v73, 31, v72
	v_add_nc_u32_e32 v68, s8, v74
	v_add_co_u32 v4, s0, v4, s10
	v_add_co_ci_u32_e64 v5, null, s11, v5, s0
	v_cndmask_b32_e32 v1, v71, v1, vcc_lo
	v_cndmask_b32_e32 v0, v70, v0, vcc_lo
	v_add_co_u32 v2, vcc_lo, v76, v2
	v_ashrrev_i32_e32 v75, 31, v74
	v_add_co_ci_u32_e64 v3, null, v77, v3, vcc_lo
	v_ashrrev_i32_e32 v69, 31, v68
	v_lshlrev_b64 v[70:71], 3, v[72:73]
	flat_store_dwordx2 v[4:5], v[64:65]
	flat_store_dwordx2 v[2:3], v[66:67]
	v_lshlrev_b64 v[2:3], 3, v[74:75]
	v_add_nc_u32_e32 v66, s8, v68
	v_lshlrev_b64 v[64:65], 3, v[68:69]
	v_add_co_u32 v4, vcc_lo, v76, v70
	v_add_co_ci_u32_e64 v5, null, v77, v71, vcc_lo
	v_add_co_u32 v2, vcc_lo, v76, v2
	v_add_co_ci_u32_e64 v3, null, v77, v3, vcc_lo
	v_add_co_u32 v64, vcc_lo, v76, v64
	v_add_nc_u32_e32 v68, s8, v66
	v_add_co_ci_u32_e64 v65, null, v77, v65, vcc_lo
	v_ashrrev_i32_e32 v67, 31, v66
	flat_store_dwordx2 v[4:5], v[62:63]
	flat_store_dwordx2 v[2:3], v[60:61]
	flat_store_dwordx2 v[64:65], v[58:59]
	v_add_nc_u32_e32 v58, s8, v68
	v_ashrrev_i32_e32 v69, 31, v68
	v_lshlrev_b64 v[4:5], 3, v[66:67]
	v_add_nc_u32_e32 v60, s8, v58
	v_lshlrev_b64 v[2:3], 3, v[68:69]
	v_ashrrev_i32_e32 v59, 31, v58
	v_add_co_u32 v4, vcc_lo, v76, v4
	v_add_nc_u32_e32 v62, s8, v60
	v_add_co_ci_u32_e64 v5, null, v77, v5, vcc_lo
	v_add_co_u32 v2, vcc_lo, v76, v2
	v_ashrrev_i32_e32 v61, 31, v60
	v_add_co_ci_u32_e64 v3, null, v77, v3, vcc_lo
	v_ashrrev_i32_e32 v63, 31, v62
	v_lshlrev_b64 v[58:59], 3, v[58:59]
	flat_store_dwordx2 v[4:5], v[56:57]
	flat_store_dwordx2 v[2:3], v[54:55]
	v_lshlrev_b64 v[2:3], 3, v[60:61]
	v_add_nc_u32_e32 v56, s8, v62
	v_lshlrev_b64 v[54:55], 3, v[62:63]
	v_add_co_u32 v4, vcc_lo, v76, v58
	v_add_co_ci_u32_e64 v5, null, v77, v59, vcc_lo
	v_add_co_u32 v2, vcc_lo, v76, v2
	v_add_co_ci_u32_e64 v3, null, v77, v3, vcc_lo
	v_add_co_u32 v54, vcc_lo, v76, v54
	v_add_nc_u32_e32 v58, s8, v56
	v_add_co_ci_u32_e64 v55, null, v77, v55, vcc_lo
	v_ashrrev_i32_e32 v57, 31, v56
	flat_store_dwordx2 v[4:5], v[52:53]
	flat_store_dwordx2 v[2:3], v[48:49]
	flat_store_dwordx2 v[54:55], v[50:51]
	v_add_nc_u32_e32 v48, s8, v58
	v_ashrrev_i32_e32 v59, 31, v58
	v_lshlrev_b64 v[4:5], 3, v[56:57]
	v_add_nc_u32_e32 v50, s8, v48
	v_lshlrev_b64 v[2:3], 3, v[58:59]
	v_ashrrev_i32_e32 v49, 31, v48
	v_add_co_u32 v4, vcc_lo, v76, v4
	v_add_nc_u32_e32 v52, s8, v50
	v_add_co_ci_u32_e64 v5, null, v77, v5, vcc_lo
	;; [unrolled: 30-line block ×4, first 2 shown]
	v_add_co_u32 v2, vcc_lo, v76, v2
	v_ashrrev_i32_e32 v31, 31, v30
	v_add_co_ci_u32_e64 v3, null, v77, v3, vcc_lo
	v_ashrrev_i32_e32 v33, 31, v32
	v_lshlrev_b64 v[28:29], 3, v[28:29]
	flat_store_dwordx2 v[4:5], v[24:25]
	flat_store_dwordx2 v[2:3], v[26:27]
	v_lshlrev_b64 v[2:3], 3, v[30:31]
	v_add_nc_u32_e32 v26, s8, v32
	v_lshlrev_b64 v[24:25], 3, v[32:33]
	v_add_co_u32 v4, vcc_lo, v76, v28
	v_add_co_ci_u32_e64 v5, null, v77, v29, vcc_lo
	v_add_co_u32 v2, vcc_lo, v76, v2
	v_add_nc_u32_e32 v28, s8, v26
	v_add_co_ci_u32_e64 v3, null, v77, v3, vcc_lo
	v_add_co_u32 v24, vcc_lo, v76, v24
	v_ashrrev_i32_e32 v27, 31, v26
	v_add_co_ci_u32_e64 v25, null, v77, v25, vcc_lo
	v_ashrrev_i32_e32 v29, 31, v28
	flat_store_dwordx2 v[4:5], v[22:23]
	v_lshlrev_b64 v[4:5], 3, v[26:27]
	flat_store_dwordx2 v[2:3], v[20:21]
	flat_store_dwordx2 v[24:25], v[18:19]
	v_add_nc_u32_e32 v18, s8, v28
	v_lshlrev_b64 v[2:3], 3, v[28:29]
	v_add_co_u32 v4, vcc_lo, v76, v4
	v_add_nc_u32_e32 v20, s8, v18
	v_add_co_ci_u32_e64 v5, null, v77, v5, vcc_lo
	v_add_co_u32 v2, vcc_lo, v76, v2
	v_add_co_ci_u32_e64 v3, null, v77, v3, vcc_lo
	v_add_nc_u32_e32 v22, s8, v20
	v_ashrrev_i32_e32 v19, 31, v18
	flat_store_dwordx2 v[4:5], v[16:17]
	flat_store_dwordx2 v[2:3], v[14:15]
	v_ashrrev_i32_e32 v21, 31, v20
	v_add_nc_u32_e32 v14, s8, v22
	v_lshlrev_b64 v[4:5], 3, v[18:19]
	v_ashrrev_i32_e32 v23, 31, v22
	v_lshlrev_b64 v[2:3], 3, v[20:21]
	v_add_nc_u32_e32 v18, s8, v14
	v_ashrrev_i32_e32 v15, 31, v14
	v_lshlrev_b64 v[16:17], 3, v[22:23]
	v_add_co_u32 v4, vcc_lo, v76, v4
	v_ashrrev_i32_e32 v19, 31, v18
	v_lshlrev_b64 v[14:15], 3, v[14:15]
	v_add_co_ci_u32_e64 v5, null, v77, v5, vcc_lo
	v_add_co_u32 v2, vcc_lo, v76, v2
	v_lshlrev_b64 v[18:19], 3, v[18:19]
	v_add_co_ci_u32_e64 v3, null, v77, v3, vcc_lo
	v_add_co_u32 v16, vcc_lo, v76, v16
	v_add_co_ci_u32_e64 v17, null, v77, v17, vcc_lo
	v_add_co_u32 v14, vcc_lo, v76, v14
	v_add_co_ci_u32_e64 v15, null, v77, v15, vcc_lo
	v_add_co_u32 v18, vcc_lo, v76, v18
	v_add_co_ci_u32_e64 v19, null, v77, v19, vcc_lo
	flat_store_dwordx2 v[4:5], v[12:13]
	flat_store_dwordx2 v[2:3], v[8:9]
	;; [unrolled: 1-line block ×5, first 2 shown]
.LBB64_558:
	s_endpgm
	.section	.rodata,"a",@progbits
	.p2align	6, 0x0
	.amdhsa_kernel _ZN9rocsolver6v33100L18getf2_small_kernelILi33EdiiPKPdEEvT1_T3_lS5_lPS5_llPT2_S5_S5_S7_l
		.amdhsa_group_segment_fixed_size 0
		.amdhsa_private_segment_fixed_size 0
		.amdhsa_kernarg_size 352
		.amdhsa_user_sgpr_count 6
		.amdhsa_user_sgpr_private_segment_buffer 1
		.amdhsa_user_sgpr_dispatch_ptr 0
		.amdhsa_user_sgpr_queue_ptr 0
		.amdhsa_user_sgpr_kernarg_segment_ptr 1
		.amdhsa_user_sgpr_dispatch_id 0
		.amdhsa_user_sgpr_flat_scratch_init 0
		.amdhsa_user_sgpr_private_segment_size 0
		.amdhsa_wavefront_size32 1
		.amdhsa_uses_dynamic_stack 0
		.amdhsa_system_sgpr_private_segment_wavefront_offset 0
		.amdhsa_system_sgpr_workgroup_id_x 1
		.amdhsa_system_sgpr_workgroup_id_y 1
		.amdhsa_system_sgpr_workgroup_id_z 0
		.amdhsa_system_sgpr_workgroup_info 0
		.amdhsa_system_vgpr_workitem_id 1
		.amdhsa_next_free_vgpr 146
		.amdhsa_next_free_sgpr 14
		.amdhsa_reserve_vcc 1
		.amdhsa_reserve_flat_scratch 1
		.amdhsa_float_round_mode_32 0
		.amdhsa_float_round_mode_16_64 0
		.amdhsa_float_denorm_mode_32 3
		.amdhsa_float_denorm_mode_16_64 3
		.amdhsa_dx10_clamp 1
		.amdhsa_ieee_mode 1
		.amdhsa_fp16_overflow 0
		.amdhsa_workgroup_processor_mode 1
		.amdhsa_memory_ordered 1
		.amdhsa_forward_progress 1
		.amdhsa_shared_vgpr_count 0
		.amdhsa_exception_fp_ieee_invalid_op 0
		.amdhsa_exception_fp_denorm_src 0
		.amdhsa_exception_fp_ieee_div_zero 0
		.amdhsa_exception_fp_ieee_overflow 0
		.amdhsa_exception_fp_ieee_underflow 0
		.amdhsa_exception_fp_ieee_inexact 0
		.amdhsa_exception_int_div_zero 0
	.end_amdhsa_kernel
	.section	.text._ZN9rocsolver6v33100L18getf2_small_kernelILi33EdiiPKPdEEvT1_T3_lS5_lPS5_llPT2_S5_S5_S7_l,"axG",@progbits,_ZN9rocsolver6v33100L18getf2_small_kernelILi33EdiiPKPdEEvT1_T3_lS5_lPS5_llPT2_S5_S5_S7_l,comdat
.Lfunc_end64:
	.size	_ZN9rocsolver6v33100L18getf2_small_kernelILi33EdiiPKPdEEvT1_T3_lS5_lPS5_llPT2_S5_S5_S7_l, .Lfunc_end64-_ZN9rocsolver6v33100L18getf2_small_kernelILi33EdiiPKPdEEvT1_T3_lS5_lPS5_llPT2_S5_S5_S7_l
                                        ; -- End function
	.set _ZN9rocsolver6v33100L18getf2_small_kernelILi33EdiiPKPdEEvT1_T3_lS5_lPS5_llPT2_S5_S5_S7_l.num_vgpr, 146
	.set _ZN9rocsolver6v33100L18getf2_small_kernelILi33EdiiPKPdEEvT1_T3_lS5_lPS5_llPT2_S5_S5_S7_l.num_agpr, 0
	.set _ZN9rocsolver6v33100L18getf2_small_kernelILi33EdiiPKPdEEvT1_T3_lS5_lPS5_llPT2_S5_S5_S7_l.numbered_sgpr, 14
	.set _ZN9rocsolver6v33100L18getf2_small_kernelILi33EdiiPKPdEEvT1_T3_lS5_lPS5_llPT2_S5_S5_S7_l.num_named_barrier, 0
	.set _ZN9rocsolver6v33100L18getf2_small_kernelILi33EdiiPKPdEEvT1_T3_lS5_lPS5_llPT2_S5_S5_S7_l.private_seg_size, 0
	.set _ZN9rocsolver6v33100L18getf2_small_kernelILi33EdiiPKPdEEvT1_T3_lS5_lPS5_llPT2_S5_S5_S7_l.uses_vcc, 1
	.set _ZN9rocsolver6v33100L18getf2_small_kernelILi33EdiiPKPdEEvT1_T3_lS5_lPS5_llPT2_S5_S5_S7_l.uses_flat_scratch, 1
	.set _ZN9rocsolver6v33100L18getf2_small_kernelILi33EdiiPKPdEEvT1_T3_lS5_lPS5_llPT2_S5_S5_S7_l.has_dyn_sized_stack, 0
	.set _ZN9rocsolver6v33100L18getf2_small_kernelILi33EdiiPKPdEEvT1_T3_lS5_lPS5_llPT2_S5_S5_S7_l.has_recursion, 0
	.set _ZN9rocsolver6v33100L18getf2_small_kernelILi33EdiiPKPdEEvT1_T3_lS5_lPS5_llPT2_S5_S5_S7_l.has_indirect_call, 0
	.section	.AMDGPU.csdata,"",@progbits
; Kernel info:
; codeLenInByte = 29700
; TotalNumSgprs: 16
; NumVgprs: 146
; ScratchSize: 0
; MemoryBound: 0
; FloatMode: 240
; IeeeMode: 1
; LDSByteSize: 0 bytes/workgroup (compile time only)
; SGPRBlocks: 0
; VGPRBlocks: 18
; NumSGPRsForWavesPerEU: 16
; NumVGPRsForWavesPerEU: 146
; Occupancy: 6
; WaveLimiterHint : 1
; COMPUTE_PGM_RSRC2:SCRATCH_EN: 0
; COMPUTE_PGM_RSRC2:USER_SGPR: 6
; COMPUTE_PGM_RSRC2:TRAP_HANDLER: 0
; COMPUTE_PGM_RSRC2:TGID_X_EN: 1
; COMPUTE_PGM_RSRC2:TGID_Y_EN: 1
; COMPUTE_PGM_RSRC2:TGID_Z_EN: 0
; COMPUTE_PGM_RSRC2:TIDIG_COMP_CNT: 1
	.section	.text._ZN9rocsolver6v33100L23getf2_npvt_small_kernelILi33EdiiPKPdEEvT1_T3_lS5_lPT2_S5_S5_,"axG",@progbits,_ZN9rocsolver6v33100L23getf2_npvt_small_kernelILi33EdiiPKPdEEvT1_T3_lS5_lPT2_S5_S5_,comdat
	.globl	_ZN9rocsolver6v33100L23getf2_npvt_small_kernelILi33EdiiPKPdEEvT1_T3_lS5_lPT2_S5_S5_ ; -- Begin function _ZN9rocsolver6v33100L23getf2_npvt_small_kernelILi33EdiiPKPdEEvT1_T3_lS5_lPT2_S5_S5_
	.p2align	8
	.type	_ZN9rocsolver6v33100L23getf2_npvt_small_kernelILi33EdiiPKPdEEvT1_T3_lS5_lPT2_S5_S5_,@function
_ZN9rocsolver6v33100L23getf2_npvt_small_kernelILi33EdiiPKPdEEvT1_T3_lS5_lPT2_S5_S5_: ; @_ZN9rocsolver6v33100L23getf2_npvt_small_kernelILi33EdiiPKPdEEvT1_T3_lS5_lPT2_S5_S5_
; %bb.0:
	s_clause 0x1
	s_load_dword s0, s[4:5], 0x44
	s_load_dwordx2 s[8:9], s[4:5], 0x30
	s_waitcnt lgkmcnt(0)
	s_lshr_b32 s10, s0, 16
	s_mov_b32 s0, exec_lo
	v_mad_u64_u32 v[2:3], null, s7, s10, v[1:2]
	v_cmpx_gt_i32_e64 s8, v2
	s_cbranch_execz .LBB65_168
; %bb.1:
	s_clause 0x1
	s_load_dwordx4 s[0:3], s[4:5], 0x8
	s_load_dword s6, s[4:5], 0x18
	v_ashrrev_i32_e32 v3, 31, v2
	v_lshlrev_b32_e32 v70, 3, v0
	v_lshlrev_b32_e32 v136, 3, v1
	s_mulk_i32 s10, 0x108
	v_mad_u32_u24 v200, 0x108, v1, 0
	v_lshlrev_b64 v[4:5], 3, v[2:3]
	v_add3_u32 v1, 0, s10, v136
	s_waitcnt lgkmcnt(0)
	v_add_co_u32 v4, vcc_lo, s0, v4
	v_add_co_ci_u32_e64 v5, null, s1, v5, vcc_lo
	v_add3_u32 v6, s6, s6, v0
	s_lshl_b64 s[2:3], s[2:3], 3
	s_ashr_i32 s7, s6, 31
	global_load_dwordx2 v[4:5], v[4:5], off
	s_lshl_b64 s[0:1], s[6:7], 3
	v_add_nc_u32_e32 v8, s6, v6
	v_ashrrev_i32_e32 v7, 31, v6
	v_add_nc_u32_e32 v10, s6, v8
	v_ashrrev_i32_e32 v9, 31, v8
	v_lshlrev_b64 v[6:7], 3, v[6:7]
	v_add_nc_u32_e32 v12, s6, v10
	v_ashrrev_i32_e32 v11, 31, v10
	v_lshlrev_b64 v[8:9], 3, v[8:9]
	;; [unrolled: 3-line block ×28, first 2 shown]
	v_ashrrev_i32_e32 v65, 31, v64
	v_add_nc_u32_e32 v66, s6, v64
	v_lshlrev_b64 v[62:63], 3, v[62:63]
	v_lshlrev_b64 v[64:65], 3, v[64:65]
	v_ashrrev_i32_e32 v67, 31, v66
	v_lshlrev_b64 v[68:69], 3, v[66:67]
	s_waitcnt vmcnt(0)
	v_add_co_u32 v71, vcc_lo, v4, s2
	v_add_co_ci_u32_e64 v72, null, s3, v5, vcc_lo
	v_add_co_u32 v4, vcc_lo, v71, v6
	v_add_co_ci_u32_e64 v5, null, v72, v7, vcc_lo
	;; [unrolled: 2-line block ×34, first 2 shown]
	s_clause 0x20
	flat_load_dwordx2 v[122:123], v[8:9]
	flat_load_dwordx2 v[106:107], v[10:11]
	;; [unrolled: 1-line block ×33, first 2 shown]
	v_cmp_ne_u32_e64 s1, 0, v0
	v_cmp_eq_u32_e64 s0, 0, v0
	s_and_saveexec_b32 s2, s0
	s_cbranch_execz .LBB65_4
; %bb.2:
	s_waitcnt vmcnt(4) lgkmcnt(4)
	ds_write_b64 v1, v[128:129]
	s_waitcnt vmcnt(2) lgkmcnt(3)
	ds_write2_b64 v200, v[132:133], v[134:135] offset0:1 offset1:2
	s_waitcnt vmcnt(1) lgkmcnt(3)
	ds_write2_b64 v200, v[130:131], v[122:123] offset0:3 offset1:4
	ds_write2_b64 v200, v[106:107], v[120:121] offset0:5 offset1:6
	;; [unrolled: 1-line block ×14, first 2 shown]
	s_waitcnt vmcnt(0) lgkmcnt(16)
	ds_write2_b64 v200, v[68:69], v[126:127] offset0:31 offset1:32
	ds_read_b64 v[136:137], v1
	s_waitcnt lgkmcnt(0)
	v_cmp_neq_f64_e32 vcc_lo, 0, v[136:137]
	s_and_b32 exec_lo, exec_lo, vcc_lo
	s_cbranch_execz .LBB65_4
; %bb.3:
	v_div_scale_f64 v[138:139], null, v[136:137], v[136:137], 1.0
	v_rcp_f64_e32 v[140:141], v[138:139]
	v_fma_f64 v[142:143], -v[138:139], v[140:141], 1.0
	v_fma_f64 v[140:141], v[140:141], v[142:143], v[140:141]
	v_fma_f64 v[142:143], -v[138:139], v[140:141], 1.0
	v_fma_f64 v[140:141], v[140:141], v[142:143], v[140:141]
	v_div_scale_f64 v[142:143], vcc_lo, 1.0, v[136:137], 1.0
	v_mul_f64 v[144:145], v[142:143], v[140:141]
	v_fma_f64 v[138:139], -v[138:139], v[144:145], v[142:143]
	v_div_fmas_f64 v[138:139], v[138:139], v[140:141], v[144:145]
	v_div_fixup_f64 v[136:137], v[138:139], v[136:137], 1.0
	ds_write_b64 v1, v[136:137]
.LBB65_4:
	s_or_b32 exec_lo, exec_lo, s2
	s_waitcnt vmcnt(0) lgkmcnt(0)
	s_barrier
	buffer_gl0_inv
	ds_read_b64 v[136:137], v1
	s_and_saveexec_b32 s2, s1
	s_cbranch_execz .LBB65_6
; %bb.5:
	s_waitcnt lgkmcnt(0)
	v_mul_f64 v[128:129], v[136:137], v[128:129]
	ds_read2_b64 v[138:141], v200 offset0:1 offset1:2
	ds_read2_b64 v[142:145], v200 offset0:3 offset1:4
	;; [unrolled: 1-line block ×13, first 2 shown]
	s_waitcnt lgkmcnt(12)
	v_fma_f64 v[132:133], -v[128:129], v[138:139], v[132:133]
	v_fma_f64 v[134:135], -v[128:129], v[140:141], v[134:135]
	s_waitcnt lgkmcnt(11)
	v_fma_f64 v[130:131], -v[128:129], v[142:143], v[130:131]
	v_fma_f64 v[122:123], -v[128:129], v[144:145], v[122:123]
	s_waitcnt lgkmcnt(10)
	v_fma_f64 v[106:107], -v[128:129], v[146:147], v[106:107]
	v_fma_f64 v[120:121], -v[128:129], v[148:149], v[120:121]
	ds_read2_b64 v[138:141], v200 offset0:27 offset1:28
	ds_read2_b64 v[142:145], v200 offset0:29 offset1:30
	;; [unrolled: 1-line block ×3, first 2 shown]
	s_waitcnt lgkmcnt(12)
	v_fma_f64 v[104:105], -v[128:129], v[150:151], v[104:105]
	v_fma_f64 v[118:119], -v[128:129], v[152:153], v[118:119]
	s_waitcnt lgkmcnt(11)
	v_fma_f64 v[102:103], -v[128:129], v[154:155], v[102:103]
	v_fma_f64 v[116:117], -v[128:129], v[156:157], v[116:117]
	;; [unrolled: 3-line block ×13, first 2 shown]
.LBB65_6:
	s_or_b32 exec_lo, exec_lo, s2
	s_mov_b32 s1, exec_lo
	s_waitcnt lgkmcnt(0)
	s_barrier
	buffer_gl0_inv
	v_cmpx_eq_u32_e32 1, v0
	s_cbranch_execz .LBB65_9
; %bb.7:
	v_mov_b32_e32 v138, v134
	v_mov_b32_e32 v139, v135
	;; [unrolled: 1-line block ×20, first 2 shown]
	ds_write_b64 v1, v[132:133]
	ds_write2_b64 v200, v[138:139], v[140:141] offset0:2 offset1:3
	ds_write2_b64 v200, v[142:143], v[144:145] offset0:4 offset1:5
	;; [unrolled: 1-line block ×5, first 2 shown]
	v_mov_b32_e32 v138, v114
	v_mov_b32_e32 v139, v115
	;; [unrolled: 1-line block ×20, first 2 shown]
	ds_write2_b64 v200, v[138:139], v[140:141] offset0:12 offset1:13
	ds_write2_b64 v200, v[142:143], v[144:145] offset0:14 offset1:15
	;; [unrolled: 1-line block ×5, first 2 shown]
	v_mov_b32_e32 v138, v90
	v_mov_b32_e32 v139, v91
	;; [unrolled: 1-line block ×20, first 2 shown]
	ds_write2_b64 v200, v[138:139], v[140:141] offset0:22 offset1:23
	ds_write2_b64 v200, v[142:143], v[144:145] offset0:24 offset1:25
	ds_write2_b64 v200, v[146:147], v[148:149] offset0:26 offset1:27
	ds_write2_b64 v200, v[150:151], v[152:153] offset0:28 offset1:29
	ds_write2_b64 v200, v[154:155], v[156:157] offset0:30 offset1:31
	ds_write_b64 v200, v[126:127] offset:256
	ds_read_b64 v[138:139], v1
	s_waitcnt lgkmcnt(0)
	v_cmp_neq_f64_e32 vcc_lo, 0, v[138:139]
	s_and_b32 exec_lo, exec_lo, vcc_lo
	s_cbranch_execz .LBB65_9
; %bb.8:
	v_div_scale_f64 v[140:141], null, v[138:139], v[138:139], 1.0
	v_rcp_f64_e32 v[142:143], v[140:141]
	v_fma_f64 v[144:145], -v[140:141], v[142:143], 1.0
	v_fma_f64 v[142:143], v[142:143], v[144:145], v[142:143]
	v_fma_f64 v[144:145], -v[140:141], v[142:143], 1.0
	v_fma_f64 v[142:143], v[142:143], v[144:145], v[142:143]
	v_div_scale_f64 v[144:145], vcc_lo, 1.0, v[138:139], 1.0
	v_mul_f64 v[146:147], v[144:145], v[142:143]
	v_fma_f64 v[140:141], -v[140:141], v[146:147], v[144:145]
	v_div_fmas_f64 v[140:141], v[140:141], v[142:143], v[146:147]
	v_div_fixup_f64 v[138:139], v[140:141], v[138:139], 1.0
	ds_write_b64 v1, v[138:139]
.LBB65_9:
	s_or_b32 exec_lo, exec_lo, s1
	s_waitcnt lgkmcnt(0)
	s_barrier
	buffer_gl0_inv
	ds_read_b64 v[138:139], v1
	s_mov_b32 s1, exec_lo
	v_cmpx_lt_u32_e32 1, v0
	s_cbranch_execz .LBB65_11
; %bb.10:
	s_waitcnt lgkmcnt(0)
	v_mul_f64 v[132:133], v[138:139], v[132:133]
	ds_read2_b64 v[140:143], v200 offset0:2 offset1:3
	ds_read2_b64 v[144:147], v200 offset0:4 offset1:5
	;; [unrolled: 1-line block ×13, first 2 shown]
	s_waitcnt lgkmcnt(12)
	v_fma_f64 v[134:135], -v[132:133], v[140:141], v[134:135]
	v_fma_f64 v[130:131], -v[132:133], v[142:143], v[130:131]
	s_waitcnt lgkmcnt(11)
	v_fma_f64 v[122:123], -v[132:133], v[144:145], v[122:123]
	v_fma_f64 v[106:107], -v[132:133], v[146:147], v[106:107]
	s_waitcnt lgkmcnt(10)
	v_fma_f64 v[120:121], -v[132:133], v[148:149], v[120:121]
	ds_read2_b64 v[140:143], v200 offset0:28 offset1:29
	ds_read2_b64 v[144:147], v200 offset0:30 offset1:31
	ds_read_b64 v[148:149], v200 offset:256
	v_fma_f64 v[104:105], -v[132:133], v[150:151], v[104:105]
	s_waitcnt lgkmcnt(12)
	v_fma_f64 v[118:119], -v[132:133], v[152:153], v[118:119]
	v_fma_f64 v[102:103], -v[132:133], v[154:155], v[102:103]
	s_waitcnt lgkmcnt(11)
	v_fma_f64 v[116:117], -v[132:133], v[156:157], v[116:117]
	;; [unrolled: 3-line block ×13, first 2 shown]
.LBB65_11:
	s_or_b32 exec_lo, exec_lo, s1
	s_mov_b32 s1, exec_lo
	s_waitcnt lgkmcnt(0)
	s_barrier
	buffer_gl0_inv
	v_cmpx_eq_u32_e32 2, v0
	s_cbranch_execz .LBB65_14
; %bb.12:
	ds_write_b64 v1, v[134:135]
	ds_write2_b64 v200, v[130:131], v[122:123] offset0:3 offset1:4
	ds_write2_b64 v200, v[106:107], v[120:121] offset0:5 offset1:6
	;; [unrolled: 1-line block ×15, first 2 shown]
	ds_read_b64 v[140:141], v1
	s_waitcnt lgkmcnt(0)
	v_cmp_neq_f64_e32 vcc_lo, 0, v[140:141]
	s_and_b32 exec_lo, exec_lo, vcc_lo
	s_cbranch_execz .LBB65_14
; %bb.13:
	v_div_scale_f64 v[142:143], null, v[140:141], v[140:141], 1.0
	v_rcp_f64_e32 v[144:145], v[142:143]
	v_fma_f64 v[146:147], -v[142:143], v[144:145], 1.0
	v_fma_f64 v[144:145], v[144:145], v[146:147], v[144:145]
	v_fma_f64 v[146:147], -v[142:143], v[144:145], 1.0
	v_fma_f64 v[144:145], v[144:145], v[146:147], v[144:145]
	v_div_scale_f64 v[146:147], vcc_lo, 1.0, v[140:141], 1.0
	v_mul_f64 v[148:149], v[146:147], v[144:145]
	v_fma_f64 v[142:143], -v[142:143], v[148:149], v[146:147]
	v_div_fmas_f64 v[142:143], v[142:143], v[144:145], v[148:149]
	v_div_fixup_f64 v[140:141], v[142:143], v[140:141], 1.0
	ds_write_b64 v1, v[140:141]
.LBB65_14:
	s_or_b32 exec_lo, exec_lo, s1
	s_waitcnt lgkmcnt(0)
	s_barrier
	buffer_gl0_inv
	ds_read_b64 v[140:141], v1
	s_mov_b32 s1, exec_lo
	v_cmpx_lt_u32_e32 2, v0
	s_cbranch_execz .LBB65_16
; %bb.15:
	s_waitcnt lgkmcnt(0)
	v_mul_f64 v[134:135], v[140:141], v[134:135]
	ds_read2_b64 v[142:145], v200 offset0:3 offset1:4
	ds_read2_b64 v[146:149], v200 offset0:5 offset1:6
	ds_read2_b64 v[150:153], v200 offset0:7 offset1:8
	ds_read2_b64 v[154:157], v200 offset0:9 offset1:10
	ds_read2_b64 v[158:161], v200 offset0:11 offset1:12
	ds_read2_b64 v[162:165], v200 offset0:13 offset1:14
	ds_read2_b64 v[166:169], v200 offset0:15 offset1:16
	ds_read2_b64 v[170:173], v200 offset0:17 offset1:18
	ds_read2_b64 v[174:177], v200 offset0:19 offset1:20
	ds_read2_b64 v[178:181], v200 offset0:21 offset1:22
	ds_read2_b64 v[182:185], v200 offset0:23 offset1:24
	ds_read2_b64 v[186:189], v200 offset0:25 offset1:26
	ds_read2_b64 v[190:193], v200 offset0:27 offset1:28
	ds_read2_b64 v[194:197], v200 offset0:29 offset1:30
	s_waitcnt lgkmcnt(13)
	v_fma_f64 v[130:131], -v[134:135], v[142:143], v[130:131]
	v_fma_f64 v[122:123], -v[134:135], v[144:145], v[122:123]
	ds_read2_b64 v[142:145], v200 offset0:31 offset1:32
	s_waitcnt lgkmcnt(13)
	v_fma_f64 v[106:107], -v[134:135], v[146:147], v[106:107]
	v_fma_f64 v[120:121], -v[134:135], v[148:149], v[120:121]
	s_waitcnt lgkmcnt(12)
	v_fma_f64 v[104:105], -v[134:135], v[150:151], v[104:105]
	v_fma_f64 v[118:119], -v[134:135], v[152:153], v[118:119]
	;; [unrolled: 3-line block ×14, first 2 shown]
.LBB65_16:
	s_or_b32 exec_lo, exec_lo, s1
	s_mov_b32 s1, exec_lo
	s_waitcnt lgkmcnt(0)
	s_barrier
	buffer_gl0_inv
	v_cmpx_eq_u32_e32 3, v0
	s_cbranch_execz .LBB65_19
; %bb.17:
	v_mov_b32_e32 v142, v122
	v_mov_b32_e32 v143, v123
	;; [unrolled: 1-line block ×16, first 2 shown]
	ds_write_b64 v1, v[130:131]
	ds_write2_b64 v200, v[142:143], v[144:145] offset0:4 offset1:5
	ds_write2_b64 v200, v[146:147], v[148:149] offset0:6 offset1:7
	;; [unrolled: 1-line block ×4, first 2 shown]
	v_mov_b32_e32 v142, v114
	v_mov_b32_e32 v143, v115
	;; [unrolled: 1-line block ×20, first 2 shown]
	ds_write2_b64 v200, v[142:143], v[144:145] offset0:12 offset1:13
	ds_write2_b64 v200, v[146:147], v[148:149] offset0:14 offset1:15
	;; [unrolled: 1-line block ×5, first 2 shown]
	v_mov_b32_e32 v142, v90
	v_mov_b32_e32 v143, v91
	v_mov_b32_e32 v144, v76
	v_mov_b32_e32 v145, v77
	v_mov_b32_e32 v146, v88
	v_mov_b32_e32 v147, v89
	v_mov_b32_e32 v148, v74
	v_mov_b32_e32 v149, v75
	v_mov_b32_e32 v150, v86
	v_mov_b32_e32 v151, v87
	v_mov_b32_e32 v152, v72
	v_mov_b32_e32 v153, v73
	v_mov_b32_e32 v154, v84
	v_mov_b32_e32 v155, v85
	v_mov_b32_e32 v156, v70
	v_mov_b32_e32 v157, v71
	v_mov_b32_e32 v158, v82
	v_mov_b32_e32 v159, v83
	v_mov_b32_e32 v160, v68
	v_mov_b32_e32 v161, v69
	ds_write2_b64 v200, v[142:143], v[144:145] offset0:22 offset1:23
	ds_write2_b64 v200, v[146:147], v[148:149] offset0:24 offset1:25
	ds_write2_b64 v200, v[150:151], v[152:153] offset0:26 offset1:27
	ds_write2_b64 v200, v[154:155], v[156:157] offset0:28 offset1:29
	ds_write2_b64 v200, v[158:159], v[160:161] offset0:30 offset1:31
	ds_write_b64 v200, v[126:127] offset:256
	ds_read_b64 v[142:143], v1
	s_waitcnt lgkmcnt(0)
	v_cmp_neq_f64_e32 vcc_lo, 0, v[142:143]
	s_and_b32 exec_lo, exec_lo, vcc_lo
	s_cbranch_execz .LBB65_19
; %bb.18:
	v_div_scale_f64 v[144:145], null, v[142:143], v[142:143], 1.0
	v_rcp_f64_e32 v[146:147], v[144:145]
	v_fma_f64 v[148:149], -v[144:145], v[146:147], 1.0
	v_fma_f64 v[146:147], v[146:147], v[148:149], v[146:147]
	v_fma_f64 v[148:149], -v[144:145], v[146:147], 1.0
	v_fma_f64 v[146:147], v[146:147], v[148:149], v[146:147]
	v_div_scale_f64 v[148:149], vcc_lo, 1.0, v[142:143], 1.0
	v_mul_f64 v[150:151], v[148:149], v[146:147]
	v_fma_f64 v[144:145], -v[144:145], v[150:151], v[148:149]
	v_div_fmas_f64 v[144:145], v[144:145], v[146:147], v[150:151]
	v_div_fixup_f64 v[142:143], v[144:145], v[142:143], 1.0
	ds_write_b64 v1, v[142:143]
.LBB65_19:
	s_or_b32 exec_lo, exec_lo, s1
	s_waitcnt lgkmcnt(0)
	s_barrier
	buffer_gl0_inv
	ds_read_b64 v[142:143], v1
	s_mov_b32 s1, exec_lo
	v_cmpx_lt_u32_e32 3, v0
	s_cbranch_execz .LBB65_21
; %bb.20:
	s_waitcnt lgkmcnt(0)
	v_mul_f64 v[130:131], v[142:143], v[130:131]
	ds_read2_b64 v[144:147], v200 offset0:4 offset1:5
	ds_read2_b64 v[148:151], v200 offset0:6 offset1:7
	;; [unrolled: 1-line block ×14, first 2 shown]
	s_waitcnt lgkmcnt(13)
	v_fma_f64 v[122:123], -v[130:131], v[144:145], v[122:123]
	ds_read_b64 v[144:145], v200 offset:256
	v_fma_f64 v[106:107], -v[130:131], v[146:147], v[106:107]
	s_waitcnt lgkmcnt(13)
	v_fma_f64 v[120:121], -v[130:131], v[148:149], v[120:121]
	v_fma_f64 v[104:105], -v[130:131], v[150:151], v[104:105]
	s_waitcnt lgkmcnt(12)
	v_fma_f64 v[118:119], -v[130:131], v[152:153], v[118:119]
	;; [unrolled: 3-line block ×14, first 2 shown]
.LBB65_21:
	s_or_b32 exec_lo, exec_lo, s1
	s_mov_b32 s1, exec_lo
	s_waitcnt lgkmcnt(0)
	s_barrier
	buffer_gl0_inv
	v_cmpx_eq_u32_e32 4, v0
	s_cbranch_execz .LBB65_24
; %bb.22:
	ds_write_b64 v1, v[122:123]
	ds_write2_b64 v200, v[106:107], v[120:121] offset0:5 offset1:6
	ds_write2_b64 v200, v[104:105], v[118:119] offset0:7 offset1:8
	;; [unrolled: 1-line block ×14, first 2 shown]
	ds_read_b64 v[144:145], v1
	s_waitcnt lgkmcnt(0)
	v_cmp_neq_f64_e32 vcc_lo, 0, v[144:145]
	s_and_b32 exec_lo, exec_lo, vcc_lo
	s_cbranch_execz .LBB65_24
; %bb.23:
	v_div_scale_f64 v[146:147], null, v[144:145], v[144:145], 1.0
	v_rcp_f64_e32 v[148:149], v[146:147]
	v_fma_f64 v[150:151], -v[146:147], v[148:149], 1.0
	v_fma_f64 v[148:149], v[148:149], v[150:151], v[148:149]
	v_fma_f64 v[150:151], -v[146:147], v[148:149], 1.0
	v_fma_f64 v[148:149], v[148:149], v[150:151], v[148:149]
	v_div_scale_f64 v[150:151], vcc_lo, 1.0, v[144:145], 1.0
	v_mul_f64 v[152:153], v[150:151], v[148:149]
	v_fma_f64 v[146:147], -v[146:147], v[152:153], v[150:151]
	v_div_fmas_f64 v[146:147], v[146:147], v[148:149], v[152:153]
	v_div_fixup_f64 v[144:145], v[146:147], v[144:145], 1.0
	ds_write_b64 v1, v[144:145]
.LBB65_24:
	s_or_b32 exec_lo, exec_lo, s1
	s_waitcnt lgkmcnt(0)
	s_barrier
	buffer_gl0_inv
	ds_read_b64 v[144:145], v1
	s_mov_b32 s1, exec_lo
	v_cmpx_lt_u32_e32 4, v0
	s_cbranch_execz .LBB65_26
; %bb.25:
	s_waitcnt lgkmcnt(0)
	v_mul_f64 v[122:123], v[144:145], v[122:123]
	ds_read2_b64 v[146:149], v200 offset0:5 offset1:6
	ds_read2_b64 v[150:153], v200 offset0:7 offset1:8
	;; [unrolled: 1-line block ×14, first 2 shown]
	s_waitcnt lgkmcnt(13)
	v_fma_f64 v[106:107], -v[122:123], v[146:147], v[106:107]
	v_fma_f64 v[120:121], -v[122:123], v[148:149], v[120:121]
	s_waitcnt lgkmcnt(12)
	v_fma_f64 v[104:105], -v[122:123], v[150:151], v[104:105]
	v_fma_f64 v[118:119], -v[122:123], v[152:153], v[118:119]
	;; [unrolled: 3-line block ×14, first 2 shown]
.LBB65_26:
	s_or_b32 exec_lo, exec_lo, s1
	s_mov_b32 s1, exec_lo
	s_waitcnt lgkmcnt(0)
	s_barrier
	buffer_gl0_inv
	v_cmpx_eq_u32_e32 5, v0
	s_cbranch_execz .LBB65_29
; %bb.27:
	v_mov_b32_e32 v146, v120
	v_mov_b32_e32 v147, v121
	;; [unrolled: 1-line block ×12, first 2 shown]
	ds_write_b64 v1, v[106:107]
	ds_write2_b64 v200, v[146:147], v[148:149] offset0:6 offset1:7
	ds_write2_b64 v200, v[150:151], v[152:153] offset0:8 offset1:9
	;; [unrolled: 1-line block ×3, first 2 shown]
	v_mov_b32_e32 v146, v114
	v_mov_b32_e32 v147, v115
	v_mov_b32_e32 v148, v98
	v_mov_b32_e32 v149, v99
	v_mov_b32_e32 v150, v112
	v_mov_b32_e32 v151, v113
	v_mov_b32_e32 v152, v96
	v_mov_b32_e32 v153, v97
	v_mov_b32_e32 v154, v110
	v_mov_b32_e32 v155, v111
	v_mov_b32_e32 v156, v94
	v_mov_b32_e32 v157, v95
	v_mov_b32_e32 v158, v108
	v_mov_b32_e32 v159, v109
	v_mov_b32_e32 v160, v80
	v_mov_b32_e32 v161, v81
	v_mov_b32_e32 v162, v92
	v_mov_b32_e32 v163, v93
	v_mov_b32_e32 v164, v78
	v_mov_b32_e32 v165, v79
	ds_write2_b64 v200, v[146:147], v[148:149] offset0:12 offset1:13
	ds_write2_b64 v200, v[150:151], v[152:153] offset0:14 offset1:15
	;; [unrolled: 1-line block ×5, first 2 shown]
	v_mov_b32_e32 v146, v90
	v_mov_b32_e32 v147, v91
	;; [unrolled: 1-line block ×20, first 2 shown]
	ds_write2_b64 v200, v[146:147], v[148:149] offset0:22 offset1:23
	ds_write2_b64 v200, v[150:151], v[152:153] offset0:24 offset1:25
	;; [unrolled: 1-line block ×5, first 2 shown]
	ds_write_b64 v200, v[126:127] offset:256
	ds_read_b64 v[146:147], v1
	s_waitcnt lgkmcnt(0)
	v_cmp_neq_f64_e32 vcc_lo, 0, v[146:147]
	s_and_b32 exec_lo, exec_lo, vcc_lo
	s_cbranch_execz .LBB65_29
; %bb.28:
	v_div_scale_f64 v[148:149], null, v[146:147], v[146:147], 1.0
	v_rcp_f64_e32 v[150:151], v[148:149]
	v_fma_f64 v[152:153], -v[148:149], v[150:151], 1.0
	v_fma_f64 v[150:151], v[150:151], v[152:153], v[150:151]
	v_fma_f64 v[152:153], -v[148:149], v[150:151], 1.0
	v_fma_f64 v[150:151], v[150:151], v[152:153], v[150:151]
	v_div_scale_f64 v[152:153], vcc_lo, 1.0, v[146:147], 1.0
	v_mul_f64 v[154:155], v[152:153], v[150:151]
	v_fma_f64 v[148:149], -v[148:149], v[154:155], v[152:153]
	v_div_fmas_f64 v[148:149], v[148:149], v[150:151], v[154:155]
	v_div_fixup_f64 v[146:147], v[148:149], v[146:147], 1.0
	ds_write_b64 v1, v[146:147]
.LBB65_29:
	s_or_b32 exec_lo, exec_lo, s1
	s_waitcnt lgkmcnt(0)
	s_barrier
	buffer_gl0_inv
	ds_read_b64 v[146:147], v1
	s_mov_b32 s1, exec_lo
	v_cmpx_lt_u32_e32 5, v0
	s_cbranch_execz .LBB65_31
; %bb.30:
	s_waitcnt lgkmcnt(0)
	v_mul_f64 v[106:107], v[146:147], v[106:107]
	ds_read2_b64 v[148:151], v200 offset0:6 offset1:7
	ds_read2_b64 v[152:155], v200 offset0:8 offset1:9
	;; [unrolled: 1-line block ×13, first 2 shown]
	ds_read_b64 v[201:202], v200 offset:256
	s_waitcnt lgkmcnt(13)
	v_fma_f64 v[120:121], -v[106:107], v[148:149], v[120:121]
	v_fma_f64 v[104:105], -v[106:107], v[150:151], v[104:105]
	s_waitcnt lgkmcnt(12)
	v_fma_f64 v[118:119], -v[106:107], v[152:153], v[118:119]
	v_fma_f64 v[102:103], -v[106:107], v[154:155], v[102:103]
	;; [unrolled: 3-line block ×13, first 2 shown]
	s_waitcnt lgkmcnt(0)
	v_fma_f64 v[126:127], -v[106:107], v[201:202], v[126:127]
.LBB65_31:
	s_or_b32 exec_lo, exec_lo, s1
	s_mov_b32 s1, exec_lo
	s_waitcnt lgkmcnt(0)
	s_barrier
	buffer_gl0_inv
	v_cmpx_eq_u32_e32 6, v0
	s_cbranch_execz .LBB65_34
; %bb.32:
	ds_write_b64 v1, v[120:121]
	ds_write2_b64 v200, v[104:105], v[118:119] offset0:7 offset1:8
	ds_write2_b64 v200, v[102:103], v[116:117] offset0:9 offset1:10
	;; [unrolled: 1-line block ×13, first 2 shown]
	ds_read_b64 v[148:149], v1
	s_waitcnt lgkmcnt(0)
	v_cmp_neq_f64_e32 vcc_lo, 0, v[148:149]
	s_and_b32 exec_lo, exec_lo, vcc_lo
	s_cbranch_execz .LBB65_34
; %bb.33:
	v_div_scale_f64 v[150:151], null, v[148:149], v[148:149], 1.0
	v_rcp_f64_e32 v[152:153], v[150:151]
	v_fma_f64 v[154:155], -v[150:151], v[152:153], 1.0
	v_fma_f64 v[152:153], v[152:153], v[154:155], v[152:153]
	v_fma_f64 v[154:155], -v[150:151], v[152:153], 1.0
	v_fma_f64 v[152:153], v[152:153], v[154:155], v[152:153]
	v_div_scale_f64 v[154:155], vcc_lo, 1.0, v[148:149], 1.0
	v_mul_f64 v[156:157], v[154:155], v[152:153]
	v_fma_f64 v[150:151], -v[150:151], v[156:157], v[154:155]
	v_div_fmas_f64 v[150:151], v[150:151], v[152:153], v[156:157]
	v_div_fixup_f64 v[148:149], v[150:151], v[148:149], 1.0
	ds_write_b64 v1, v[148:149]
.LBB65_34:
	s_or_b32 exec_lo, exec_lo, s1
	s_waitcnt lgkmcnt(0)
	s_barrier
	buffer_gl0_inv
	ds_read_b64 v[148:149], v1
	s_mov_b32 s1, exec_lo
	v_cmpx_lt_u32_e32 6, v0
	s_cbranch_execz .LBB65_36
; %bb.35:
	s_waitcnt lgkmcnt(0)
	v_mul_f64 v[120:121], v[148:149], v[120:121]
	ds_read2_b64 v[150:153], v200 offset0:7 offset1:8
	ds_read2_b64 v[154:157], v200 offset0:9 offset1:10
	;; [unrolled: 1-line block ×13, first 2 shown]
	s_waitcnt lgkmcnt(12)
	v_fma_f64 v[104:105], -v[120:121], v[150:151], v[104:105]
	v_fma_f64 v[118:119], -v[120:121], v[152:153], v[118:119]
	s_waitcnt lgkmcnt(11)
	v_fma_f64 v[102:103], -v[120:121], v[154:155], v[102:103]
	v_fma_f64 v[116:117], -v[120:121], v[156:157], v[116:117]
	;; [unrolled: 3-line block ×13, first 2 shown]
.LBB65_36:
	s_or_b32 exec_lo, exec_lo, s1
	s_mov_b32 s1, exec_lo
	s_waitcnt lgkmcnt(0)
	s_barrier
	buffer_gl0_inv
	v_cmpx_eq_u32_e32 7, v0
	s_cbranch_execz .LBB65_39
; %bb.37:
	v_mov_b32_e32 v150, v118
	v_mov_b32_e32 v151, v119
	;; [unrolled: 1-line block ×8, first 2 shown]
	ds_write_b64 v1, v[104:105]
	ds_write2_b64 v200, v[150:151], v[152:153] offset0:8 offset1:9
	ds_write2_b64 v200, v[154:155], v[156:157] offset0:10 offset1:11
	v_mov_b32_e32 v150, v114
	v_mov_b32_e32 v151, v115
	;; [unrolled: 1-line block ×20, first 2 shown]
	ds_write2_b64 v200, v[150:151], v[152:153] offset0:12 offset1:13
	ds_write2_b64 v200, v[154:155], v[156:157] offset0:14 offset1:15
	;; [unrolled: 1-line block ×5, first 2 shown]
	v_mov_b32_e32 v150, v90
	v_mov_b32_e32 v151, v91
	;; [unrolled: 1-line block ×20, first 2 shown]
	ds_write2_b64 v200, v[150:151], v[152:153] offset0:22 offset1:23
	ds_write2_b64 v200, v[154:155], v[156:157] offset0:24 offset1:25
	;; [unrolled: 1-line block ×5, first 2 shown]
	ds_write_b64 v200, v[126:127] offset:256
	ds_read_b64 v[150:151], v1
	s_waitcnt lgkmcnt(0)
	v_cmp_neq_f64_e32 vcc_lo, 0, v[150:151]
	s_and_b32 exec_lo, exec_lo, vcc_lo
	s_cbranch_execz .LBB65_39
; %bb.38:
	v_div_scale_f64 v[152:153], null, v[150:151], v[150:151], 1.0
	v_rcp_f64_e32 v[154:155], v[152:153]
	v_fma_f64 v[156:157], -v[152:153], v[154:155], 1.0
	v_fma_f64 v[154:155], v[154:155], v[156:157], v[154:155]
	v_fma_f64 v[156:157], -v[152:153], v[154:155], 1.0
	v_fma_f64 v[154:155], v[154:155], v[156:157], v[154:155]
	v_div_scale_f64 v[156:157], vcc_lo, 1.0, v[150:151], 1.0
	v_mul_f64 v[158:159], v[156:157], v[154:155]
	v_fma_f64 v[152:153], -v[152:153], v[158:159], v[156:157]
	v_div_fmas_f64 v[152:153], v[152:153], v[154:155], v[158:159]
	v_div_fixup_f64 v[150:151], v[152:153], v[150:151], 1.0
	ds_write_b64 v1, v[150:151]
.LBB65_39:
	s_or_b32 exec_lo, exec_lo, s1
	s_waitcnt lgkmcnt(0)
	s_barrier
	buffer_gl0_inv
	ds_read_b64 v[150:151], v1
	s_mov_b32 s1, exec_lo
	v_cmpx_lt_u32_e32 7, v0
	s_cbranch_execz .LBB65_41
; %bb.40:
	s_waitcnt lgkmcnt(0)
	v_mul_f64 v[104:105], v[150:151], v[104:105]
	ds_read2_b64 v[152:155], v200 offset0:8 offset1:9
	ds_read2_b64 v[156:159], v200 offset0:10 offset1:11
	;; [unrolled: 1-line block ×12, first 2 shown]
	ds_read_b64 v[201:202], v200 offset:256
	s_waitcnt lgkmcnt(12)
	v_fma_f64 v[118:119], -v[104:105], v[152:153], v[118:119]
	v_fma_f64 v[102:103], -v[104:105], v[154:155], v[102:103]
	s_waitcnt lgkmcnt(11)
	v_fma_f64 v[116:117], -v[104:105], v[156:157], v[116:117]
	v_fma_f64 v[100:101], -v[104:105], v[158:159], v[100:101]
	;; [unrolled: 3-line block ×12, first 2 shown]
	s_waitcnt lgkmcnt(0)
	v_fma_f64 v[126:127], -v[104:105], v[201:202], v[126:127]
.LBB65_41:
	s_or_b32 exec_lo, exec_lo, s1
	s_mov_b32 s1, exec_lo
	s_waitcnt lgkmcnt(0)
	s_barrier
	buffer_gl0_inv
	v_cmpx_eq_u32_e32 8, v0
	s_cbranch_execz .LBB65_44
; %bb.42:
	ds_write_b64 v1, v[118:119]
	ds_write2_b64 v200, v[102:103], v[116:117] offset0:9 offset1:10
	ds_write2_b64 v200, v[100:101], v[114:115] offset0:11 offset1:12
	ds_write2_b64 v200, v[98:99], v[112:113] offset0:13 offset1:14
	ds_write2_b64 v200, v[96:97], v[110:111] offset0:15 offset1:16
	ds_write2_b64 v200, v[94:95], v[108:109] offset0:17 offset1:18
	ds_write2_b64 v200, v[80:81], v[92:93] offset0:19 offset1:20
	ds_write2_b64 v200, v[78:79], v[90:91] offset0:21 offset1:22
	ds_write2_b64 v200, v[76:77], v[88:89] offset0:23 offset1:24
	ds_write2_b64 v200, v[74:75], v[86:87] offset0:25 offset1:26
	ds_write2_b64 v200, v[72:73], v[84:85] offset0:27 offset1:28
	ds_write2_b64 v200, v[70:71], v[82:83] offset0:29 offset1:30
	ds_write2_b64 v200, v[68:69], v[126:127] offset0:31 offset1:32
	ds_read_b64 v[152:153], v1
	s_waitcnt lgkmcnt(0)
	v_cmp_neq_f64_e32 vcc_lo, 0, v[152:153]
	s_and_b32 exec_lo, exec_lo, vcc_lo
	s_cbranch_execz .LBB65_44
; %bb.43:
	v_div_scale_f64 v[154:155], null, v[152:153], v[152:153], 1.0
	v_rcp_f64_e32 v[156:157], v[154:155]
	v_fma_f64 v[158:159], -v[154:155], v[156:157], 1.0
	v_fma_f64 v[156:157], v[156:157], v[158:159], v[156:157]
	v_fma_f64 v[158:159], -v[154:155], v[156:157], 1.0
	v_fma_f64 v[156:157], v[156:157], v[158:159], v[156:157]
	v_div_scale_f64 v[158:159], vcc_lo, 1.0, v[152:153], 1.0
	v_mul_f64 v[160:161], v[158:159], v[156:157]
	v_fma_f64 v[154:155], -v[154:155], v[160:161], v[158:159]
	v_div_fmas_f64 v[154:155], v[154:155], v[156:157], v[160:161]
	v_div_fixup_f64 v[152:153], v[154:155], v[152:153], 1.0
	ds_write_b64 v1, v[152:153]
.LBB65_44:
	s_or_b32 exec_lo, exec_lo, s1
	s_waitcnt lgkmcnt(0)
	s_barrier
	buffer_gl0_inv
	ds_read_b64 v[152:153], v1
	s_mov_b32 s1, exec_lo
	v_cmpx_lt_u32_e32 8, v0
	s_cbranch_execz .LBB65_46
; %bb.45:
	s_waitcnt lgkmcnt(0)
	v_mul_f64 v[118:119], v[152:153], v[118:119]
	ds_read2_b64 v[154:157], v200 offset0:9 offset1:10
	ds_read2_b64 v[158:161], v200 offset0:11 offset1:12
	;; [unrolled: 1-line block ×12, first 2 shown]
	s_waitcnt lgkmcnt(11)
	v_fma_f64 v[102:103], -v[118:119], v[154:155], v[102:103]
	v_fma_f64 v[116:117], -v[118:119], v[156:157], v[116:117]
	s_waitcnt lgkmcnt(10)
	v_fma_f64 v[100:101], -v[118:119], v[158:159], v[100:101]
	v_fma_f64 v[114:115], -v[118:119], v[160:161], v[114:115]
	;; [unrolled: 3-line block ×12, first 2 shown]
.LBB65_46:
	s_or_b32 exec_lo, exec_lo, s1
	s_mov_b32 s1, exec_lo
	s_waitcnt lgkmcnt(0)
	s_barrier
	buffer_gl0_inv
	v_cmpx_eq_u32_e32 9, v0
	s_cbranch_execz .LBB65_49
; %bb.47:
	v_mov_b32_e32 v154, v116
	v_mov_b32_e32 v155, v117
	;; [unrolled: 1-line block ×4, first 2 shown]
	ds_write_b64 v1, v[102:103]
	ds_write2_b64 v200, v[154:155], v[156:157] offset0:10 offset1:11
	v_mov_b32_e32 v154, v114
	v_mov_b32_e32 v155, v115
	;; [unrolled: 1-line block ×20, first 2 shown]
	ds_write2_b64 v200, v[154:155], v[156:157] offset0:12 offset1:13
	ds_write2_b64 v200, v[158:159], v[160:161] offset0:14 offset1:15
	;; [unrolled: 1-line block ×5, first 2 shown]
	v_mov_b32_e32 v154, v90
	v_mov_b32_e32 v155, v91
	;; [unrolled: 1-line block ×20, first 2 shown]
	ds_write2_b64 v200, v[154:155], v[156:157] offset0:22 offset1:23
	ds_write2_b64 v200, v[158:159], v[160:161] offset0:24 offset1:25
	;; [unrolled: 1-line block ×5, first 2 shown]
	ds_write_b64 v200, v[126:127] offset:256
	ds_read_b64 v[154:155], v1
	s_waitcnt lgkmcnt(0)
	v_cmp_neq_f64_e32 vcc_lo, 0, v[154:155]
	s_and_b32 exec_lo, exec_lo, vcc_lo
	s_cbranch_execz .LBB65_49
; %bb.48:
	v_div_scale_f64 v[156:157], null, v[154:155], v[154:155], 1.0
	v_rcp_f64_e32 v[158:159], v[156:157]
	v_fma_f64 v[160:161], -v[156:157], v[158:159], 1.0
	v_fma_f64 v[158:159], v[158:159], v[160:161], v[158:159]
	v_fma_f64 v[160:161], -v[156:157], v[158:159], 1.0
	v_fma_f64 v[158:159], v[158:159], v[160:161], v[158:159]
	v_div_scale_f64 v[160:161], vcc_lo, 1.0, v[154:155], 1.0
	v_mul_f64 v[162:163], v[160:161], v[158:159]
	v_fma_f64 v[156:157], -v[156:157], v[162:163], v[160:161]
	v_div_fmas_f64 v[156:157], v[156:157], v[158:159], v[162:163]
	v_div_fixup_f64 v[154:155], v[156:157], v[154:155], 1.0
	ds_write_b64 v1, v[154:155]
.LBB65_49:
	s_or_b32 exec_lo, exec_lo, s1
	s_waitcnt lgkmcnt(0)
	s_barrier
	buffer_gl0_inv
	ds_read_b64 v[154:155], v1
	s_mov_b32 s1, exec_lo
	v_cmpx_lt_u32_e32 9, v0
	s_cbranch_execz .LBB65_51
; %bb.50:
	s_waitcnt lgkmcnt(0)
	v_mul_f64 v[102:103], v[154:155], v[102:103]
	ds_read2_b64 v[156:159], v200 offset0:10 offset1:11
	ds_read2_b64 v[160:163], v200 offset0:12 offset1:13
	;; [unrolled: 1-line block ×11, first 2 shown]
	ds_read_b64 v[201:202], v200 offset:256
	s_waitcnt lgkmcnt(11)
	v_fma_f64 v[116:117], -v[102:103], v[156:157], v[116:117]
	v_fma_f64 v[100:101], -v[102:103], v[158:159], v[100:101]
	s_waitcnt lgkmcnt(10)
	v_fma_f64 v[114:115], -v[102:103], v[160:161], v[114:115]
	v_fma_f64 v[98:99], -v[102:103], v[162:163], v[98:99]
	s_waitcnt lgkmcnt(9)
	v_fma_f64 v[112:113], -v[102:103], v[164:165], v[112:113]
	v_fma_f64 v[96:97], -v[102:103], v[166:167], v[96:97]
	s_waitcnt lgkmcnt(8)
	v_fma_f64 v[110:111], -v[102:103], v[168:169], v[110:111]
	v_fma_f64 v[94:95], -v[102:103], v[170:171], v[94:95]
	s_waitcnt lgkmcnt(7)
	v_fma_f64 v[108:109], -v[102:103], v[172:173], v[108:109]
	v_fma_f64 v[80:81], -v[102:103], v[174:175], v[80:81]
	s_waitcnt lgkmcnt(6)
	v_fma_f64 v[92:93], -v[102:103], v[176:177], v[92:93]
	v_fma_f64 v[78:79], -v[102:103], v[178:179], v[78:79]
	s_waitcnt lgkmcnt(5)
	v_fma_f64 v[90:91], -v[102:103], v[180:181], v[90:91]
	v_fma_f64 v[76:77], -v[102:103], v[182:183], v[76:77]
	s_waitcnt lgkmcnt(4)
	v_fma_f64 v[88:89], -v[102:103], v[184:185], v[88:89]
	v_fma_f64 v[74:75], -v[102:103], v[186:187], v[74:75]
	s_waitcnt lgkmcnt(3)
	v_fma_f64 v[86:87], -v[102:103], v[188:189], v[86:87]
	v_fma_f64 v[72:73], -v[102:103], v[190:191], v[72:73]
	s_waitcnt lgkmcnt(2)
	v_fma_f64 v[84:85], -v[102:103], v[192:193], v[84:85]
	v_fma_f64 v[70:71], -v[102:103], v[194:195], v[70:71]
	s_waitcnt lgkmcnt(1)
	v_fma_f64 v[82:83], -v[102:103], v[196:197], v[82:83]
	v_fma_f64 v[68:69], -v[102:103], v[198:199], v[68:69]
	s_waitcnt lgkmcnt(0)
	v_fma_f64 v[126:127], -v[102:103], v[201:202], v[126:127]
.LBB65_51:
	s_or_b32 exec_lo, exec_lo, s1
	s_mov_b32 s1, exec_lo
	s_waitcnt lgkmcnt(0)
	s_barrier
	buffer_gl0_inv
	v_cmpx_eq_u32_e32 10, v0
	s_cbranch_execz .LBB65_54
; %bb.52:
	ds_write_b64 v1, v[116:117]
	ds_write2_b64 v200, v[100:101], v[114:115] offset0:11 offset1:12
	ds_write2_b64 v200, v[98:99], v[112:113] offset0:13 offset1:14
	;; [unrolled: 1-line block ×11, first 2 shown]
	ds_read_b64 v[156:157], v1
	s_waitcnt lgkmcnt(0)
	v_cmp_neq_f64_e32 vcc_lo, 0, v[156:157]
	s_and_b32 exec_lo, exec_lo, vcc_lo
	s_cbranch_execz .LBB65_54
; %bb.53:
	v_div_scale_f64 v[158:159], null, v[156:157], v[156:157], 1.0
	v_rcp_f64_e32 v[160:161], v[158:159]
	v_fma_f64 v[162:163], -v[158:159], v[160:161], 1.0
	v_fma_f64 v[160:161], v[160:161], v[162:163], v[160:161]
	v_fma_f64 v[162:163], -v[158:159], v[160:161], 1.0
	v_fma_f64 v[160:161], v[160:161], v[162:163], v[160:161]
	v_div_scale_f64 v[162:163], vcc_lo, 1.0, v[156:157], 1.0
	v_mul_f64 v[164:165], v[162:163], v[160:161]
	v_fma_f64 v[158:159], -v[158:159], v[164:165], v[162:163]
	v_div_fmas_f64 v[158:159], v[158:159], v[160:161], v[164:165]
	v_div_fixup_f64 v[156:157], v[158:159], v[156:157], 1.0
	ds_write_b64 v1, v[156:157]
.LBB65_54:
	s_or_b32 exec_lo, exec_lo, s1
	s_waitcnt lgkmcnt(0)
	s_barrier
	buffer_gl0_inv
	ds_read_b64 v[156:157], v1
	s_mov_b32 s1, exec_lo
	v_cmpx_lt_u32_e32 10, v0
	s_cbranch_execz .LBB65_56
; %bb.55:
	s_waitcnt lgkmcnt(0)
	v_mul_f64 v[116:117], v[156:157], v[116:117]
	ds_read2_b64 v[158:161], v200 offset0:11 offset1:12
	ds_read2_b64 v[162:165], v200 offset0:13 offset1:14
	;; [unrolled: 1-line block ×11, first 2 shown]
	s_waitcnt lgkmcnt(10)
	v_fma_f64 v[100:101], -v[116:117], v[158:159], v[100:101]
	v_fma_f64 v[114:115], -v[116:117], v[160:161], v[114:115]
	s_waitcnt lgkmcnt(9)
	v_fma_f64 v[98:99], -v[116:117], v[162:163], v[98:99]
	v_fma_f64 v[112:113], -v[116:117], v[164:165], v[112:113]
	;; [unrolled: 3-line block ×11, first 2 shown]
.LBB65_56:
	s_or_b32 exec_lo, exec_lo, s1
	s_mov_b32 s1, exec_lo
	s_waitcnt lgkmcnt(0)
	s_barrier
	buffer_gl0_inv
	v_cmpx_eq_u32_e32 11, v0
	s_cbranch_execz .LBB65_59
; %bb.57:
	v_mov_b32_e32 v158, v114
	v_mov_b32_e32 v159, v115
	;; [unrolled: 1-line block ×20, first 2 shown]
	ds_write_b64 v1, v[100:101]
	ds_write2_b64 v200, v[158:159], v[160:161] offset0:12 offset1:13
	ds_write2_b64 v200, v[162:163], v[164:165] offset0:14 offset1:15
	;; [unrolled: 1-line block ×5, first 2 shown]
	v_mov_b32_e32 v158, v90
	v_mov_b32_e32 v159, v91
	;; [unrolled: 1-line block ×20, first 2 shown]
	ds_write2_b64 v200, v[158:159], v[160:161] offset0:22 offset1:23
	ds_write2_b64 v200, v[162:163], v[164:165] offset0:24 offset1:25
	;; [unrolled: 1-line block ×5, first 2 shown]
	ds_write_b64 v200, v[126:127] offset:256
	ds_read_b64 v[158:159], v1
	s_waitcnt lgkmcnt(0)
	v_cmp_neq_f64_e32 vcc_lo, 0, v[158:159]
	s_and_b32 exec_lo, exec_lo, vcc_lo
	s_cbranch_execz .LBB65_59
; %bb.58:
	v_div_scale_f64 v[160:161], null, v[158:159], v[158:159], 1.0
	v_rcp_f64_e32 v[162:163], v[160:161]
	v_fma_f64 v[164:165], -v[160:161], v[162:163], 1.0
	v_fma_f64 v[162:163], v[162:163], v[164:165], v[162:163]
	v_fma_f64 v[164:165], -v[160:161], v[162:163], 1.0
	v_fma_f64 v[162:163], v[162:163], v[164:165], v[162:163]
	v_div_scale_f64 v[164:165], vcc_lo, 1.0, v[158:159], 1.0
	v_mul_f64 v[166:167], v[164:165], v[162:163]
	v_fma_f64 v[160:161], -v[160:161], v[166:167], v[164:165]
	v_div_fmas_f64 v[160:161], v[160:161], v[162:163], v[166:167]
	v_div_fixup_f64 v[158:159], v[160:161], v[158:159], 1.0
	ds_write_b64 v1, v[158:159]
.LBB65_59:
	s_or_b32 exec_lo, exec_lo, s1
	s_waitcnt lgkmcnt(0)
	s_barrier
	buffer_gl0_inv
	ds_read_b64 v[158:159], v1
	s_mov_b32 s1, exec_lo
	v_cmpx_lt_u32_e32 11, v0
	s_cbranch_execz .LBB65_61
; %bb.60:
	s_waitcnt lgkmcnt(0)
	v_mul_f64 v[100:101], v[158:159], v[100:101]
	ds_read2_b64 v[160:163], v200 offset0:12 offset1:13
	ds_read2_b64 v[164:167], v200 offset0:14 offset1:15
	;; [unrolled: 1-line block ×10, first 2 shown]
	ds_read_b64 v[201:202], v200 offset:256
	s_waitcnt lgkmcnt(10)
	v_fma_f64 v[114:115], -v[100:101], v[160:161], v[114:115]
	v_fma_f64 v[98:99], -v[100:101], v[162:163], v[98:99]
	s_waitcnt lgkmcnt(9)
	v_fma_f64 v[112:113], -v[100:101], v[164:165], v[112:113]
	v_fma_f64 v[96:97], -v[100:101], v[166:167], v[96:97]
	s_waitcnt lgkmcnt(8)
	v_fma_f64 v[110:111], -v[100:101], v[168:169], v[110:111]
	v_fma_f64 v[94:95], -v[100:101], v[170:171], v[94:95]
	s_waitcnt lgkmcnt(7)
	v_fma_f64 v[108:109], -v[100:101], v[172:173], v[108:109]
	v_fma_f64 v[80:81], -v[100:101], v[174:175], v[80:81]
	s_waitcnt lgkmcnt(6)
	v_fma_f64 v[92:93], -v[100:101], v[176:177], v[92:93]
	v_fma_f64 v[78:79], -v[100:101], v[178:179], v[78:79]
	s_waitcnt lgkmcnt(5)
	v_fma_f64 v[90:91], -v[100:101], v[180:181], v[90:91]
	v_fma_f64 v[76:77], -v[100:101], v[182:183], v[76:77]
	s_waitcnt lgkmcnt(4)
	v_fma_f64 v[88:89], -v[100:101], v[184:185], v[88:89]
	v_fma_f64 v[74:75], -v[100:101], v[186:187], v[74:75]
	s_waitcnt lgkmcnt(3)
	v_fma_f64 v[86:87], -v[100:101], v[188:189], v[86:87]
	v_fma_f64 v[72:73], -v[100:101], v[190:191], v[72:73]
	s_waitcnt lgkmcnt(2)
	v_fma_f64 v[84:85], -v[100:101], v[192:193], v[84:85]
	v_fma_f64 v[70:71], -v[100:101], v[194:195], v[70:71]
	s_waitcnt lgkmcnt(1)
	v_fma_f64 v[82:83], -v[100:101], v[196:197], v[82:83]
	v_fma_f64 v[68:69], -v[100:101], v[198:199], v[68:69]
	s_waitcnt lgkmcnt(0)
	v_fma_f64 v[126:127], -v[100:101], v[201:202], v[126:127]
.LBB65_61:
	s_or_b32 exec_lo, exec_lo, s1
	s_mov_b32 s1, exec_lo
	s_waitcnt lgkmcnt(0)
	s_barrier
	buffer_gl0_inv
	v_cmpx_eq_u32_e32 12, v0
	s_cbranch_execz .LBB65_64
; %bb.62:
	ds_write_b64 v1, v[114:115]
	ds_write2_b64 v200, v[98:99], v[112:113] offset0:13 offset1:14
	ds_write2_b64 v200, v[96:97], v[110:111] offset0:15 offset1:16
	;; [unrolled: 1-line block ×10, first 2 shown]
	ds_read_b64 v[160:161], v1
	s_waitcnt lgkmcnt(0)
	v_cmp_neq_f64_e32 vcc_lo, 0, v[160:161]
	s_and_b32 exec_lo, exec_lo, vcc_lo
	s_cbranch_execz .LBB65_64
; %bb.63:
	v_div_scale_f64 v[162:163], null, v[160:161], v[160:161], 1.0
	v_rcp_f64_e32 v[164:165], v[162:163]
	v_fma_f64 v[166:167], -v[162:163], v[164:165], 1.0
	v_fma_f64 v[164:165], v[164:165], v[166:167], v[164:165]
	v_fma_f64 v[166:167], -v[162:163], v[164:165], 1.0
	v_fma_f64 v[164:165], v[164:165], v[166:167], v[164:165]
	v_div_scale_f64 v[166:167], vcc_lo, 1.0, v[160:161], 1.0
	v_mul_f64 v[168:169], v[166:167], v[164:165]
	v_fma_f64 v[162:163], -v[162:163], v[168:169], v[166:167]
	v_div_fmas_f64 v[162:163], v[162:163], v[164:165], v[168:169]
	v_div_fixup_f64 v[160:161], v[162:163], v[160:161], 1.0
	ds_write_b64 v1, v[160:161]
.LBB65_64:
	s_or_b32 exec_lo, exec_lo, s1
	s_waitcnt lgkmcnt(0)
	s_barrier
	buffer_gl0_inv
	ds_read_b64 v[160:161], v1
	s_mov_b32 s1, exec_lo
	v_cmpx_lt_u32_e32 12, v0
	s_cbranch_execz .LBB65_66
; %bb.65:
	s_waitcnt lgkmcnt(0)
	v_mul_f64 v[114:115], v[160:161], v[114:115]
	ds_read2_b64 v[162:165], v200 offset0:13 offset1:14
	ds_read2_b64 v[166:169], v200 offset0:15 offset1:16
	;; [unrolled: 1-line block ×10, first 2 shown]
	s_waitcnt lgkmcnt(9)
	v_fma_f64 v[98:99], -v[114:115], v[162:163], v[98:99]
	v_fma_f64 v[112:113], -v[114:115], v[164:165], v[112:113]
	s_waitcnt lgkmcnt(8)
	v_fma_f64 v[96:97], -v[114:115], v[166:167], v[96:97]
	v_fma_f64 v[110:111], -v[114:115], v[168:169], v[110:111]
	;; [unrolled: 3-line block ×10, first 2 shown]
.LBB65_66:
	s_or_b32 exec_lo, exec_lo, s1
	s_mov_b32 s1, exec_lo
	s_waitcnt lgkmcnt(0)
	s_barrier
	buffer_gl0_inv
	v_cmpx_eq_u32_e32 13, v0
	s_cbranch_execz .LBB65_69
; %bb.67:
	v_mov_b32_e32 v162, v112
	v_mov_b32_e32 v163, v113
	;; [unrolled: 1-line block ×16, first 2 shown]
	ds_write_b64 v1, v[98:99]
	ds_write2_b64 v200, v[162:163], v[164:165] offset0:14 offset1:15
	ds_write2_b64 v200, v[166:167], v[168:169] offset0:16 offset1:17
	;; [unrolled: 1-line block ×4, first 2 shown]
	v_mov_b32_e32 v162, v90
	v_mov_b32_e32 v163, v91
	;; [unrolled: 1-line block ×20, first 2 shown]
	ds_write2_b64 v200, v[162:163], v[164:165] offset0:22 offset1:23
	ds_write2_b64 v200, v[166:167], v[168:169] offset0:24 offset1:25
	;; [unrolled: 1-line block ×5, first 2 shown]
	ds_write_b64 v200, v[126:127] offset:256
	ds_read_b64 v[162:163], v1
	s_waitcnt lgkmcnt(0)
	v_cmp_neq_f64_e32 vcc_lo, 0, v[162:163]
	s_and_b32 exec_lo, exec_lo, vcc_lo
	s_cbranch_execz .LBB65_69
; %bb.68:
	v_div_scale_f64 v[164:165], null, v[162:163], v[162:163], 1.0
	v_rcp_f64_e32 v[166:167], v[164:165]
	v_fma_f64 v[168:169], -v[164:165], v[166:167], 1.0
	v_fma_f64 v[166:167], v[166:167], v[168:169], v[166:167]
	v_fma_f64 v[168:169], -v[164:165], v[166:167], 1.0
	v_fma_f64 v[166:167], v[166:167], v[168:169], v[166:167]
	v_div_scale_f64 v[168:169], vcc_lo, 1.0, v[162:163], 1.0
	v_mul_f64 v[170:171], v[168:169], v[166:167]
	v_fma_f64 v[164:165], -v[164:165], v[170:171], v[168:169]
	v_div_fmas_f64 v[164:165], v[164:165], v[166:167], v[170:171]
	v_div_fixup_f64 v[162:163], v[164:165], v[162:163], 1.0
	ds_write_b64 v1, v[162:163]
.LBB65_69:
	s_or_b32 exec_lo, exec_lo, s1
	s_waitcnt lgkmcnt(0)
	s_barrier
	buffer_gl0_inv
	ds_read_b64 v[162:163], v1
	s_mov_b32 s1, exec_lo
	v_cmpx_lt_u32_e32 13, v0
	s_cbranch_execz .LBB65_71
; %bb.70:
	s_waitcnt lgkmcnt(0)
	v_mul_f64 v[98:99], v[162:163], v[98:99]
	ds_read2_b64 v[164:167], v200 offset0:14 offset1:15
	ds_read2_b64 v[168:171], v200 offset0:16 offset1:17
	;; [unrolled: 1-line block ×9, first 2 shown]
	ds_read_b64 v[201:202], v200 offset:256
	s_waitcnt lgkmcnt(9)
	v_fma_f64 v[112:113], -v[98:99], v[164:165], v[112:113]
	v_fma_f64 v[96:97], -v[98:99], v[166:167], v[96:97]
	s_waitcnt lgkmcnt(8)
	v_fma_f64 v[110:111], -v[98:99], v[168:169], v[110:111]
	v_fma_f64 v[94:95], -v[98:99], v[170:171], v[94:95]
	;; [unrolled: 3-line block ×9, first 2 shown]
	s_waitcnt lgkmcnt(0)
	v_fma_f64 v[126:127], -v[98:99], v[201:202], v[126:127]
.LBB65_71:
	s_or_b32 exec_lo, exec_lo, s1
	s_mov_b32 s1, exec_lo
	s_waitcnt lgkmcnt(0)
	s_barrier
	buffer_gl0_inv
	v_cmpx_eq_u32_e32 14, v0
	s_cbranch_execz .LBB65_74
; %bb.72:
	ds_write_b64 v1, v[112:113]
	ds_write2_b64 v200, v[96:97], v[110:111] offset0:15 offset1:16
	ds_write2_b64 v200, v[94:95], v[108:109] offset0:17 offset1:18
	;; [unrolled: 1-line block ×9, first 2 shown]
	ds_read_b64 v[164:165], v1
	s_waitcnt lgkmcnt(0)
	v_cmp_neq_f64_e32 vcc_lo, 0, v[164:165]
	s_and_b32 exec_lo, exec_lo, vcc_lo
	s_cbranch_execz .LBB65_74
; %bb.73:
	v_div_scale_f64 v[166:167], null, v[164:165], v[164:165], 1.0
	v_rcp_f64_e32 v[168:169], v[166:167]
	v_fma_f64 v[170:171], -v[166:167], v[168:169], 1.0
	v_fma_f64 v[168:169], v[168:169], v[170:171], v[168:169]
	v_fma_f64 v[170:171], -v[166:167], v[168:169], 1.0
	v_fma_f64 v[168:169], v[168:169], v[170:171], v[168:169]
	v_div_scale_f64 v[170:171], vcc_lo, 1.0, v[164:165], 1.0
	v_mul_f64 v[172:173], v[170:171], v[168:169]
	v_fma_f64 v[166:167], -v[166:167], v[172:173], v[170:171]
	v_div_fmas_f64 v[166:167], v[166:167], v[168:169], v[172:173]
	v_div_fixup_f64 v[164:165], v[166:167], v[164:165], 1.0
	ds_write_b64 v1, v[164:165]
.LBB65_74:
	s_or_b32 exec_lo, exec_lo, s1
	s_waitcnt lgkmcnt(0)
	s_barrier
	buffer_gl0_inv
	ds_read_b64 v[164:165], v1
	s_mov_b32 s1, exec_lo
	v_cmpx_lt_u32_e32 14, v0
	s_cbranch_execz .LBB65_76
; %bb.75:
	s_waitcnt lgkmcnt(0)
	v_mul_f64 v[112:113], v[164:165], v[112:113]
	ds_read2_b64 v[166:169], v200 offset0:15 offset1:16
	ds_read2_b64 v[170:173], v200 offset0:17 offset1:18
	;; [unrolled: 1-line block ×9, first 2 shown]
	s_waitcnt lgkmcnt(8)
	v_fma_f64 v[96:97], -v[112:113], v[166:167], v[96:97]
	v_fma_f64 v[110:111], -v[112:113], v[168:169], v[110:111]
	s_waitcnt lgkmcnt(7)
	v_fma_f64 v[94:95], -v[112:113], v[170:171], v[94:95]
	v_fma_f64 v[108:109], -v[112:113], v[172:173], v[108:109]
	;; [unrolled: 3-line block ×9, first 2 shown]
.LBB65_76:
	s_or_b32 exec_lo, exec_lo, s1
	s_mov_b32 s1, exec_lo
	s_waitcnt lgkmcnt(0)
	s_barrier
	buffer_gl0_inv
	v_cmpx_eq_u32_e32 15, v0
	s_cbranch_execz .LBB65_79
; %bb.77:
	v_mov_b32_e32 v166, v110
	v_mov_b32_e32 v167, v111
	;; [unrolled: 1-line block ×12, first 2 shown]
	ds_write_b64 v1, v[96:97]
	ds_write2_b64 v200, v[166:167], v[168:169] offset0:16 offset1:17
	ds_write2_b64 v200, v[170:171], v[172:173] offset0:18 offset1:19
	;; [unrolled: 1-line block ×3, first 2 shown]
	v_mov_b32_e32 v166, v90
	v_mov_b32_e32 v167, v91
	;; [unrolled: 1-line block ×20, first 2 shown]
	ds_write2_b64 v200, v[166:167], v[168:169] offset0:22 offset1:23
	ds_write2_b64 v200, v[170:171], v[172:173] offset0:24 offset1:25
	;; [unrolled: 1-line block ×5, first 2 shown]
	ds_write_b64 v200, v[126:127] offset:256
	ds_read_b64 v[166:167], v1
	s_waitcnt lgkmcnt(0)
	v_cmp_neq_f64_e32 vcc_lo, 0, v[166:167]
	s_and_b32 exec_lo, exec_lo, vcc_lo
	s_cbranch_execz .LBB65_79
; %bb.78:
	v_div_scale_f64 v[168:169], null, v[166:167], v[166:167], 1.0
	v_rcp_f64_e32 v[170:171], v[168:169]
	v_fma_f64 v[172:173], -v[168:169], v[170:171], 1.0
	v_fma_f64 v[170:171], v[170:171], v[172:173], v[170:171]
	v_fma_f64 v[172:173], -v[168:169], v[170:171], 1.0
	v_fma_f64 v[170:171], v[170:171], v[172:173], v[170:171]
	v_div_scale_f64 v[172:173], vcc_lo, 1.0, v[166:167], 1.0
	v_mul_f64 v[174:175], v[172:173], v[170:171]
	v_fma_f64 v[168:169], -v[168:169], v[174:175], v[172:173]
	v_div_fmas_f64 v[168:169], v[168:169], v[170:171], v[174:175]
	v_div_fixup_f64 v[166:167], v[168:169], v[166:167], 1.0
	ds_write_b64 v1, v[166:167]
.LBB65_79:
	s_or_b32 exec_lo, exec_lo, s1
	s_waitcnt lgkmcnt(0)
	s_barrier
	buffer_gl0_inv
	ds_read_b64 v[166:167], v1
	s_mov_b32 s1, exec_lo
	v_cmpx_lt_u32_e32 15, v0
	s_cbranch_execz .LBB65_81
; %bb.80:
	s_waitcnt lgkmcnt(0)
	v_mul_f64 v[96:97], v[166:167], v[96:97]
	ds_read2_b64 v[168:171], v200 offset0:16 offset1:17
	ds_read2_b64 v[172:175], v200 offset0:18 offset1:19
	ds_read2_b64 v[176:179], v200 offset0:20 offset1:21
	ds_read2_b64 v[180:183], v200 offset0:22 offset1:23
	ds_read2_b64 v[184:187], v200 offset0:24 offset1:25
	ds_read2_b64 v[188:191], v200 offset0:26 offset1:27
	ds_read2_b64 v[192:195], v200 offset0:28 offset1:29
	ds_read2_b64 v[196:199], v200 offset0:30 offset1:31
	ds_read_b64 v[201:202], v200 offset:256
	s_waitcnt lgkmcnt(8)
	v_fma_f64 v[110:111], -v[96:97], v[168:169], v[110:111]
	v_fma_f64 v[94:95], -v[96:97], v[170:171], v[94:95]
	s_waitcnt lgkmcnt(7)
	v_fma_f64 v[108:109], -v[96:97], v[172:173], v[108:109]
	v_fma_f64 v[80:81], -v[96:97], v[174:175], v[80:81]
	;; [unrolled: 3-line block ×8, first 2 shown]
	s_waitcnt lgkmcnt(0)
	v_fma_f64 v[126:127], -v[96:97], v[201:202], v[126:127]
.LBB65_81:
	s_or_b32 exec_lo, exec_lo, s1
	s_mov_b32 s1, exec_lo
	s_waitcnt lgkmcnt(0)
	s_barrier
	buffer_gl0_inv
	v_cmpx_eq_u32_e32 16, v0
	s_cbranch_execz .LBB65_84
; %bb.82:
	ds_write_b64 v1, v[110:111]
	ds_write2_b64 v200, v[94:95], v[108:109] offset0:17 offset1:18
	ds_write2_b64 v200, v[80:81], v[92:93] offset0:19 offset1:20
	;; [unrolled: 1-line block ×8, first 2 shown]
	ds_read_b64 v[168:169], v1
	s_waitcnt lgkmcnt(0)
	v_cmp_neq_f64_e32 vcc_lo, 0, v[168:169]
	s_and_b32 exec_lo, exec_lo, vcc_lo
	s_cbranch_execz .LBB65_84
; %bb.83:
	v_div_scale_f64 v[170:171], null, v[168:169], v[168:169], 1.0
	v_rcp_f64_e32 v[172:173], v[170:171]
	v_fma_f64 v[174:175], -v[170:171], v[172:173], 1.0
	v_fma_f64 v[172:173], v[172:173], v[174:175], v[172:173]
	v_fma_f64 v[174:175], -v[170:171], v[172:173], 1.0
	v_fma_f64 v[172:173], v[172:173], v[174:175], v[172:173]
	v_div_scale_f64 v[174:175], vcc_lo, 1.0, v[168:169], 1.0
	v_mul_f64 v[176:177], v[174:175], v[172:173]
	v_fma_f64 v[170:171], -v[170:171], v[176:177], v[174:175]
	v_div_fmas_f64 v[170:171], v[170:171], v[172:173], v[176:177]
	v_div_fixup_f64 v[168:169], v[170:171], v[168:169], 1.0
	ds_write_b64 v1, v[168:169]
.LBB65_84:
	s_or_b32 exec_lo, exec_lo, s1
	s_waitcnt lgkmcnt(0)
	s_barrier
	buffer_gl0_inv
	ds_read_b64 v[168:169], v1
	s_mov_b32 s1, exec_lo
	v_cmpx_lt_u32_e32 16, v0
	s_cbranch_execz .LBB65_86
; %bb.85:
	s_waitcnt lgkmcnt(0)
	v_mul_f64 v[110:111], v[168:169], v[110:111]
	ds_read2_b64 v[170:173], v200 offset0:17 offset1:18
	ds_read2_b64 v[174:177], v200 offset0:19 offset1:20
	;; [unrolled: 1-line block ×8, first 2 shown]
	s_waitcnt lgkmcnt(7)
	v_fma_f64 v[94:95], -v[110:111], v[170:171], v[94:95]
	v_fma_f64 v[108:109], -v[110:111], v[172:173], v[108:109]
	s_waitcnt lgkmcnt(6)
	v_fma_f64 v[80:81], -v[110:111], v[174:175], v[80:81]
	v_fma_f64 v[92:93], -v[110:111], v[176:177], v[92:93]
	;; [unrolled: 3-line block ×8, first 2 shown]
.LBB65_86:
	s_or_b32 exec_lo, exec_lo, s1
	s_mov_b32 s1, exec_lo
	s_waitcnt lgkmcnt(0)
	s_barrier
	buffer_gl0_inv
	v_cmpx_eq_u32_e32 17, v0
	s_cbranch_execz .LBB65_89
; %bb.87:
	v_mov_b32_e32 v170, v108
	v_mov_b32_e32 v171, v109
	v_mov_b32_e32 v172, v80
	v_mov_b32_e32 v173, v81
	v_mov_b32_e32 v174, v92
	v_mov_b32_e32 v175, v93
	v_mov_b32_e32 v176, v78
	v_mov_b32_e32 v177, v79
	ds_write_b64 v1, v[94:95]
	ds_write2_b64 v200, v[170:171], v[172:173] offset0:18 offset1:19
	ds_write2_b64 v200, v[174:175], v[176:177] offset0:20 offset1:21
	v_mov_b32_e32 v170, v90
	v_mov_b32_e32 v171, v91
	;; [unrolled: 1-line block ×20, first 2 shown]
	ds_write2_b64 v200, v[170:171], v[172:173] offset0:22 offset1:23
	ds_write2_b64 v200, v[174:175], v[176:177] offset0:24 offset1:25
	;; [unrolled: 1-line block ×5, first 2 shown]
	ds_write_b64 v200, v[126:127] offset:256
	ds_read_b64 v[170:171], v1
	s_waitcnt lgkmcnt(0)
	v_cmp_neq_f64_e32 vcc_lo, 0, v[170:171]
	s_and_b32 exec_lo, exec_lo, vcc_lo
	s_cbranch_execz .LBB65_89
; %bb.88:
	v_div_scale_f64 v[172:173], null, v[170:171], v[170:171], 1.0
	v_rcp_f64_e32 v[174:175], v[172:173]
	v_fma_f64 v[176:177], -v[172:173], v[174:175], 1.0
	v_fma_f64 v[174:175], v[174:175], v[176:177], v[174:175]
	v_fma_f64 v[176:177], -v[172:173], v[174:175], 1.0
	v_fma_f64 v[174:175], v[174:175], v[176:177], v[174:175]
	v_div_scale_f64 v[176:177], vcc_lo, 1.0, v[170:171], 1.0
	v_mul_f64 v[178:179], v[176:177], v[174:175]
	v_fma_f64 v[172:173], -v[172:173], v[178:179], v[176:177]
	v_div_fmas_f64 v[172:173], v[172:173], v[174:175], v[178:179]
	v_div_fixup_f64 v[170:171], v[172:173], v[170:171], 1.0
	ds_write_b64 v1, v[170:171]
.LBB65_89:
	s_or_b32 exec_lo, exec_lo, s1
	s_waitcnt lgkmcnt(0)
	s_barrier
	buffer_gl0_inv
	ds_read_b64 v[170:171], v1
	s_mov_b32 s1, exec_lo
	v_cmpx_lt_u32_e32 17, v0
	s_cbranch_execz .LBB65_91
; %bb.90:
	s_waitcnt lgkmcnt(0)
	v_mul_f64 v[94:95], v[170:171], v[94:95]
	ds_read2_b64 v[172:175], v200 offset0:18 offset1:19
	ds_read2_b64 v[176:179], v200 offset0:20 offset1:21
	;; [unrolled: 1-line block ×7, first 2 shown]
	ds_read_b64 v[201:202], v200 offset:256
	s_waitcnt lgkmcnt(7)
	v_fma_f64 v[108:109], -v[94:95], v[172:173], v[108:109]
	v_fma_f64 v[80:81], -v[94:95], v[174:175], v[80:81]
	s_waitcnt lgkmcnt(6)
	v_fma_f64 v[92:93], -v[94:95], v[176:177], v[92:93]
	v_fma_f64 v[78:79], -v[94:95], v[178:179], v[78:79]
	;; [unrolled: 3-line block ×7, first 2 shown]
	s_waitcnt lgkmcnt(0)
	v_fma_f64 v[126:127], -v[94:95], v[201:202], v[126:127]
.LBB65_91:
	s_or_b32 exec_lo, exec_lo, s1
	s_mov_b32 s1, exec_lo
	s_waitcnt lgkmcnt(0)
	s_barrier
	buffer_gl0_inv
	v_cmpx_eq_u32_e32 18, v0
	s_cbranch_execz .LBB65_94
; %bb.92:
	ds_write_b64 v1, v[108:109]
	ds_write2_b64 v200, v[80:81], v[92:93] offset0:19 offset1:20
	ds_write2_b64 v200, v[78:79], v[90:91] offset0:21 offset1:22
	;; [unrolled: 1-line block ×7, first 2 shown]
	ds_read_b64 v[172:173], v1
	s_waitcnt lgkmcnt(0)
	v_cmp_neq_f64_e32 vcc_lo, 0, v[172:173]
	s_and_b32 exec_lo, exec_lo, vcc_lo
	s_cbranch_execz .LBB65_94
; %bb.93:
	v_div_scale_f64 v[174:175], null, v[172:173], v[172:173], 1.0
	v_rcp_f64_e32 v[176:177], v[174:175]
	v_fma_f64 v[178:179], -v[174:175], v[176:177], 1.0
	v_fma_f64 v[176:177], v[176:177], v[178:179], v[176:177]
	v_fma_f64 v[178:179], -v[174:175], v[176:177], 1.0
	v_fma_f64 v[176:177], v[176:177], v[178:179], v[176:177]
	v_div_scale_f64 v[178:179], vcc_lo, 1.0, v[172:173], 1.0
	v_mul_f64 v[180:181], v[178:179], v[176:177]
	v_fma_f64 v[174:175], -v[174:175], v[180:181], v[178:179]
	v_div_fmas_f64 v[174:175], v[174:175], v[176:177], v[180:181]
	v_div_fixup_f64 v[172:173], v[174:175], v[172:173], 1.0
	ds_write_b64 v1, v[172:173]
.LBB65_94:
	s_or_b32 exec_lo, exec_lo, s1
	s_waitcnt lgkmcnt(0)
	s_barrier
	buffer_gl0_inv
	ds_read_b64 v[172:173], v1
	s_mov_b32 s1, exec_lo
	v_cmpx_lt_u32_e32 18, v0
	s_cbranch_execz .LBB65_96
; %bb.95:
	s_waitcnt lgkmcnt(0)
	v_mul_f64 v[108:109], v[172:173], v[108:109]
	ds_read2_b64 v[174:177], v200 offset0:19 offset1:20
	ds_read2_b64 v[178:181], v200 offset0:21 offset1:22
	;; [unrolled: 1-line block ×7, first 2 shown]
	s_waitcnt lgkmcnt(6)
	v_fma_f64 v[80:81], -v[108:109], v[174:175], v[80:81]
	v_fma_f64 v[92:93], -v[108:109], v[176:177], v[92:93]
	s_waitcnt lgkmcnt(5)
	v_fma_f64 v[78:79], -v[108:109], v[178:179], v[78:79]
	v_fma_f64 v[90:91], -v[108:109], v[180:181], v[90:91]
	;; [unrolled: 3-line block ×7, first 2 shown]
.LBB65_96:
	s_or_b32 exec_lo, exec_lo, s1
	s_mov_b32 s1, exec_lo
	s_waitcnt lgkmcnt(0)
	s_barrier
	buffer_gl0_inv
	v_cmpx_eq_u32_e32 19, v0
	s_cbranch_execz .LBB65_99
; %bb.97:
	v_mov_b32_e32 v174, v92
	v_mov_b32_e32 v175, v93
	;; [unrolled: 1-line block ×4, first 2 shown]
	ds_write_b64 v1, v[80:81]
	ds_write2_b64 v200, v[174:175], v[176:177] offset0:20 offset1:21
	v_mov_b32_e32 v174, v90
	v_mov_b32_e32 v175, v91
	;; [unrolled: 1-line block ×20, first 2 shown]
	ds_write2_b64 v200, v[174:175], v[176:177] offset0:22 offset1:23
	ds_write2_b64 v200, v[178:179], v[180:181] offset0:24 offset1:25
	;; [unrolled: 1-line block ×5, first 2 shown]
	ds_write_b64 v200, v[126:127] offset:256
	ds_read_b64 v[174:175], v1
	s_waitcnt lgkmcnt(0)
	v_cmp_neq_f64_e32 vcc_lo, 0, v[174:175]
	s_and_b32 exec_lo, exec_lo, vcc_lo
	s_cbranch_execz .LBB65_99
; %bb.98:
	v_div_scale_f64 v[176:177], null, v[174:175], v[174:175], 1.0
	v_rcp_f64_e32 v[178:179], v[176:177]
	v_fma_f64 v[180:181], -v[176:177], v[178:179], 1.0
	v_fma_f64 v[178:179], v[178:179], v[180:181], v[178:179]
	v_fma_f64 v[180:181], -v[176:177], v[178:179], 1.0
	v_fma_f64 v[178:179], v[178:179], v[180:181], v[178:179]
	v_div_scale_f64 v[180:181], vcc_lo, 1.0, v[174:175], 1.0
	v_mul_f64 v[182:183], v[180:181], v[178:179]
	v_fma_f64 v[176:177], -v[176:177], v[182:183], v[180:181]
	v_div_fmas_f64 v[176:177], v[176:177], v[178:179], v[182:183]
	v_div_fixup_f64 v[174:175], v[176:177], v[174:175], 1.0
	ds_write_b64 v1, v[174:175]
.LBB65_99:
	s_or_b32 exec_lo, exec_lo, s1
	s_waitcnt lgkmcnt(0)
	s_barrier
	buffer_gl0_inv
	ds_read_b64 v[174:175], v1
	s_mov_b32 s1, exec_lo
	v_cmpx_lt_u32_e32 19, v0
	s_cbranch_execz .LBB65_101
; %bb.100:
	s_waitcnt lgkmcnt(0)
	v_mul_f64 v[80:81], v[174:175], v[80:81]
	ds_read2_b64 v[176:179], v200 offset0:20 offset1:21
	ds_read2_b64 v[180:183], v200 offset0:22 offset1:23
	;; [unrolled: 1-line block ×6, first 2 shown]
	ds_read_b64 v[201:202], v200 offset:256
	s_waitcnt lgkmcnt(6)
	v_fma_f64 v[92:93], -v[80:81], v[176:177], v[92:93]
	v_fma_f64 v[78:79], -v[80:81], v[178:179], v[78:79]
	s_waitcnt lgkmcnt(5)
	v_fma_f64 v[90:91], -v[80:81], v[180:181], v[90:91]
	v_fma_f64 v[76:77], -v[80:81], v[182:183], v[76:77]
	;; [unrolled: 3-line block ×6, first 2 shown]
	s_waitcnt lgkmcnt(0)
	v_fma_f64 v[126:127], -v[80:81], v[201:202], v[126:127]
.LBB65_101:
	s_or_b32 exec_lo, exec_lo, s1
	s_mov_b32 s1, exec_lo
	s_waitcnt lgkmcnt(0)
	s_barrier
	buffer_gl0_inv
	v_cmpx_eq_u32_e32 20, v0
	s_cbranch_execz .LBB65_104
; %bb.102:
	ds_write_b64 v1, v[92:93]
	ds_write2_b64 v200, v[78:79], v[90:91] offset0:21 offset1:22
	ds_write2_b64 v200, v[76:77], v[88:89] offset0:23 offset1:24
	;; [unrolled: 1-line block ×6, first 2 shown]
	ds_read_b64 v[176:177], v1
	s_waitcnt lgkmcnt(0)
	v_cmp_neq_f64_e32 vcc_lo, 0, v[176:177]
	s_and_b32 exec_lo, exec_lo, vcc_lo
	s_cbranch_execz .LBB65_104
; %bb.103:
	v_div_scale_f64 v[178:179], null, v[176:177], v[176:177], 1.0
	v_rcp_f64_e32 v[180:181], v[178:179]
	v_fma_f64 v[182:183], -v[178:179], v[180:181], 1.0
	v_fma_f64 v[180:181], v[180:181], v[182:183], v[180:181]
	v_fma_f64 v[182:183], -v[178:179], v[180:181], 1.0
	v_fma_f64 v[180:181], v[180:181], v[182:183], v[180:181]
	v_div_scale_f64 v[182:183], vcc_lo, 1.0, v[176:177], 1.0
	v_mul_f64 v[184:185], v[182:183], v[180:181]
	v_fma_f64 v[178:179], -v[178:179], v[184:185], v[182:183]
	v_div_fmas_f64 v[178:179], v[178:179], v[180:181], v[184:185]
	v_div_fixup_f64 v[176:177], v[178:179], v[176:177], 1.0
	ds_write_b64 v1, v[176:177]
.LBB65_104:
	s_or_b32 exec_lo, exec_lo, s1
	s_waitcnt lgkmcnt(0)
	s_barrier
	buffer_gl0_inv
	ds_read_b64 v[176:177], v1
	s_mov_b32 s1, exec_lo
	v_cmpx_lt_u32_e32 20, v0
	s_cbranch_execz .LBB65_106
; %bb.105:
	s_waitcnt lgkmcnt(0)
	v_mul_f64 v[92:93], v[176:177], v[92:93]
	ds_read2_b64 v[178:181], v200 offset0:21 offset1:22
	ds_read2_b64 v[182:185], v200 offset0:23 offset1:24
	;; [unrolled: 1-line block ×6, first 2 shown]
	s_waitcnt lgkmcnt(5)
	v_fma_f64 v[78:79], -v[92:93], v[178:179], v[78:79]
	v_fma_f64 v[90:91], -v[92:93], v[180:181], v[90:91]
	s_waitcnt lgkmcnt(4)
	v_fma_f64 v[76:77], -v[92:93], v[182:183], v[76:77]
	v_fma_f64 v[88:89], -v[92:93], v[184:185], v[88:89]
	;; [unrolled: 3-line block ×6, first 2 shown]
.LBB65_106:
	s_or_b32 exec_lo, exec_lo, s1
	s_mov_b32 s1, exec_lo
	s_waitcnt lgkmcnt(0)
	s_barrier
	buffer_gl0_inv
	v_cmpx_eq_u32_e32 21, v0
	s_cbranch_execz .LBB65_109
; %bb.107:
	v_mov_b32_e32 v178, v90
	v_mov_b32_e32 v179, v91
	;; [unrolled: 1-line block ×20, first 2 shown]
	ds_write_b64 v1, v[78:79]
	ds_write2_b64 v200, v[178:179], v[180:181] offset0:22 offset1:23
	ds_write2_b64 v200, v[182:183], v[184:185] offset0:24 offset1:25
	;; [unrolled: 1-line block ×5, first 2 shown]
	ds_write_b64 v200, v[126:127] offset:256
	ds_read_b64 v[178:179], v1
	s_waitcnt lgkmcnt(0)
	v_cmp_neq_f64_e32 vcc_lo, 0, v[178:179]
	s_and_b32 exec_lo, exec_lo, vcc_lo
	s_cbranch_execz .LBB65_109
; %bb.108:
	v_div_scale_f64 v[180:181], null, v[178:179], v[178:179], 1.0
	v_rcp_f64_e32 v[182:183], v[180:181]
	v_fma_f64 v[184:185], -v[180:181], v[182:183], 1.0
	v_fma_f64 v[182:183], v[182:183], v[184:185], v[182:183]
	v_fma_f64 v[184:185], -v[180:181], v[182:183], 1.0
	v_fma_f64 v[182:183], v[182:183], v[184:185], v[182:183]
	v_div_scale_f64 v[184:185], vcc_lo, 1.0, v[178:179], 1.0
	v_mul_f64 v[186:187], v[184:185], v[182:183]
	v_fma_f64 v[180:181], -v[180:181], v[186:187], v[184:185]
	v_div_fmas_f64 v[180:181], v[180:181], v[182:183], v[186:187]
	v_div_fixup_f64 v[178:179], v[180:181], v[178:179], 1.0
	ds_write_b64 v1, v[178:179]
.LBB65_109:
	s_or_b32 exec_lo, exec_lo, s1
	s_waitcnt lgkmcnt(0)
	s_barrier
	buffer_gl0_inv
	ds_read_b64 v[178:179], v1
	s_mov_b32 s1, exec_lo
	v_cmpx_lt_u32_e32 21, v0
	s_cbranch_execz .LBB65_111
; %bb.110:
	s_waitcnt lgkmcnt(0)
	v_mul_f64 v[78:79], v[178:179], v[78:79]
	ds_read2_b64 v[180:183], v200 offset0:22 offset1:23
	ds_read2_b64 v[184:187], v200 offset0:24 offset1:25
	;; [unrolled: 1-line block ×5, first 2 shown]
	ds_read_b64 v[201:202], v200 offset:256
	s_waitcnt lgkmcnt(5)
	v_fma_f64 v[90:91], -v[78:79], v[180:181], v[90:91]
	v_fma_f64 v[76:77], -v[78:79], v[182:183], v[76:77]
	s_waitcnt lgkmcnt(4)
	v_fma_f64 v[88:89], -v[78:79], v[184:185], v[88:89]
	v_fma_f64 v[74:75], -v[78:79], v[186:187], v[74:75]
	;; [unrolled: 3-line block ×5, first 2 shown]
	s_waitcnt lgkmcnt(0)
	v_fma_f64 v[126:127], -v[78:79], v[201:202], v[126:127]
.LBB65_111:
	s_or_b32 exec_lo, exec_lo, s1
	s_mov_b32 s1, exec_lo
	s_waitcnt lgkmcnt(0)
	s_barrier
	buffer_gl0_inv
	v_cmpx_eq_u32_e32 22, v0
	s_cbranch_execz .LBB65_114
; %bb.112:
	ds_write_b64 v1, v[90:91]
	ds_write2_b64 v200, v[76:77], v[88:89] offset0:23 offset1:24
	ds_write2_b64 v200, v[74:75], v[86:87] offset0:25 offset1:26
	ds_write2_b64 v200, v[72:73], v[84:85] offset0:27 offset1:28
	ds_write2_b64 v200, v[70:71], v[82:83] offset0:29 offset1:30
	ds_write2_b64 v200, v[68:69], v[126:127] offset0:31 offset1:32
	ds_read_b64 v[180:181], v1
	s_waitcnt lgkmcnt(0)
	v_cmp_neq_f64_e32 vcc_lo, 0, v[180:181]
	s_and_b32 exec_lo, exec_lo, vcc_lo
	s_cbranch_execz .LBB65_114
; %bb.113:
	v_div_scale_f64 v[182:183], null, v[180:181], v[180:181], 1.0
	v_rcp_f64_e32 v[184:185], v[182:183]
	v_fma_f64 v[186:187], -v[182:183], v[184:185], 1.0
	v_fma_f64 v[184:185], v[184:185], v[186:187], v[184:185]
	v_fma_f64 v[186:187], -v[182:183], v[184:185], 1.0
	v_fma_f64 v[184:185], v[184:185], v[186:187], v[184:185]
	v_div_scale_f64 v[186:187], vcc_lo, 1.0, v[180:181], 1.0
	v_mul_f64 v[188:189], v[186:187], v[184:185]
	v_fma_f64 v[182:183], -v[182:183], v[188:189], v[186:187]
	v_div_fmas_f64 v[182:183], v[182:183], v[184:185], v[188:189]
	v_div_fixup_f64 v[180:181], v[182:183], v[180:181], 1.0
	ds_write_b64 v1, v[180:181]
.LBB65_114:
	s_or_b32 exec_lo, exec_lo, s1
	s_waitcnt lgkmcnt(0)
	s_barrier
	buffer_gl0_inv
	ds_read_b64 v[180:181], v1
	s_mov_b32 s1, exec_lo
	v_cmpx_lt_u32_e32 22, v0
	s_cbranch_execz .LBB65_116
; %bb.115:
	s_waitcnt lgkmcnt(0)
	v_mul_f64 v[90:91], v[180:181], v[90:91]
	ds_read2_b64 v[182:185], v200 offset0:23 offset1:24
	ds_read2_b64 v[186:189], v200 offset0:25 offset1:26
	;; [unrolled: 1-line block ×5, first 2 shown]
	s_waitcnt lgkmcnt(4)
	v_fma_f64 v[76:77], -v[90:91], v[182:183], v[76:77]
	v_fma_f64 v[88:89], -v[90:91], v[184:185], v[88:89]
	s_waitcnt lgkmcnt(3)
	v_fma_f64 v[74:75], -v[90:91], v[186:187], v[74:75]
	v_fma_f64 v[86:87], -v[90:91], v[188:189], v[86:87]
	;; [unrolled: 3-line block ×5, first 2 shown]
.LBB65_116:
	s_or_b32 exec_lo, exec_lo, s1
	s_mov_b32 s1, exec_lo
	s_waitcnt lgkmcnt(0)
	s_barrier
	buffer_gl0_inv
	v_cmpx_eq_u32_e32 23, v0
	s_cbranch_execz .LBB65_119
; %bb.117:
	v_mov_b32_e32 v182, v88
	v_mov_b32_e32 v183, v89
	;; [unrolled: 1-line block ×16, first 2 shown]
	ds_write_b64 v1, v[76:77]
	ds_write2_b64 v200, v[182:183], v[184:185] offset0:24 offset1:25
	ds_write2_b64 v200, v[186:187], v[188:189] offset0:26 offset1:27
	;; [unrolled: 1-line block ×4, first 2 shown]
	ds_write_b64 v200, v[126:127] offset:256
	ds_read_b64 v[182:183], v1
	s_waitcnt lgkmcnt(0)
	v_cmp_neq_f64_e32 vcc_lo, 0, v[182:183]
	s_and_b32 exec_lo, exec_lo, vcc_lo
	s_cbranch_execz .LBB65_119
; %bb.118:
	v_div_scale_f64 v[184:185], null, v[182:183], v[182:183], 1.0
	v_rcp_f64_e32 v[186:187], v[184:185]
	v_fma_f64 v[188:189], -v[184:185], v[186:187], 1.0
	v_fma_f64 v[186:187], v[186:187], v[188:189], v[186:187]
	v_fma_f64 v[188:189], -v[184:185], v[186:187], 1.0
	v_fma_f64 v[186:187], v[186:187], v[188:189], v[186:187]
	v_div_scale_f64 v[188:189], vcc_lo, 1.0, v[182:183], 1.0
	v_mul_f64 v[190:191], v[188:189], v[186:187]
	v_fma_f64 v[184:185], -v[184:185], v[190:191], v[188:189]
	v_div_fmas_f64 v[184:185], v[184:185], v[186:187], v[190:191]
	v_div_fixup_f64 v[182:183], v[184:185], v[182:183], 1.0
	ds_write_b64 v1, v[182:183]
.LBB65_119:
	s_or_b32 exec_lo, exec_lo, s1
	s_waitcnt lgkmcnt(0)
	s_barrier
	buffer_gl0_inv
	ds_read_b64 v[182:183], v1
	s_mov_b32 s1, exec_lo
	v_cmpx_lt_u32_e32 23, v0
	s_cbranch_execz .LBB65_121
; %bb.120:
	s_waitcnt lgkmcnt(0)
	v_mul_f64 v[76:77], v[182:183], v[76:77]
	ds_read2_b64 v[184:187], v200 offset0:24 offset1:25
	ds_read2_b64 v[188:191], v200 offset0:26 offset1:27
	;; [unrolled: 1-line block ×4, first 2 shown]
	ds_read_b64 v[201:202], v200 offset:256
	s_waitcnt lgkmcnt(4)
	v_fma_f64 v[88:89], -v[76:77], v[184:185], v[88:89]
	v_fma_f64 v[74:75], -v[76:77], v[186:187], v[74:75]
	s_waitcnt lgkmcnt(3)
	v_fma_f64 v[86:87], -v[76:77], v[188:189], v[86:87]
	v_fma_f64 v[72:73], -v[76:77], v[190:191], v[72:73]
	;; [unrolled: 3-line block ×4, first 2 shown]
	s_waitcnt lgkmcnt(0)
	v_fma_f64 v[126:127], -v[76:77], v[201:202], v[126:127]
.LBB65_121:
	s_or_b32 exec_lo, exec_lo, s1
	s_mov_b32 s1, exec_lo
	s_waitcnt lgkmcnt(0)
	s_barrier
	buffer_gl0_inv
	v_cmpx_eq_u32_e32 24, v0
	s_cbranch_execz .LBB65_124
; %bb.122:
	ds_write_b64 v1, v[88:89]
	ds_write2_b64 v200, v[74:75], v[86:87] offset0:25 offset1:26
	ds_write2_b64 v200, v[72:73], v[84:85] offset0:27 offset1:28
	;; [unrolled: 1-line block ×4, first 2 shown]
	ds_read_b64 v[184:185], v1
	s_waitcnt lgkmcnt(0)
	v_cmp_neq_f64_e32 vcc_lo, 0, v[184:185]
	s_and_b32 exec_lo, exec_lo, vcc_lo
	s_cbranch_execz .LBB65_124
; %bb.123:
	v_div_scale_f64 v[186:187], null, v[184:185], v[184:185], 1.0
	v_rcp_f64_e32 v[188:189], v[186:187]
	v_fma_f64 v[190:191], -v[186:187], v[188:189], 1.0
	v_fma_f64 v[188:189], v[188:189], v[190:191], v[188:189]
	v_fma_f64 v[190:191], -v[186:187], v[188:189], 1.0
	v_fma_f64 v[188:189], v[188:189], v[190:191], v[188:189]
	v_div_scale_f64 v[190:191], vcc_lo, 1.0, v[184:185], 1.0
	v_mul_f64 v[192:193], v[190:191], v[188:189]
	v_fma_f64 v[186:187], -v[186:187], v[192:193], v[190:191]
	v_div_fmas_f64 v[186:187], v[186:187], v[188:189], v[192:193]
	v_div_fixup_f64 v[184:185], v[186:187], v[184:185], 1.0
	ds_write_b64 v1, v[184:185]
.LBB65_124:
	s_or_b32 exec_lo, exec_lo, s1
	s_waitcnt lgkmcnt(0)
	s_barrier
	buffer_gl0_inv
	ds_read_b64 v[184:185], v1
	s_mov_b32 s1, exec_lo
	v_cmpx_lt_u32_e32 24, v0
	s_cbranch_execz .LBB65_126
; %bb.125:
	s_waitcnt lgkmcnt(0)
	v_mul_f64 v[88:89], v[184:185], v[88:89]
	ds_read2_b64 v[186:189], v200 offset0:25 offset1:26
	ds_read2_b64 v[190:193], v200 offset0:27 offset1:28
	;; [unrolled: 1-line block ×4, first 2 shown]
	s_waitcnt lgkmcnt(3)
	v_fma_f64 v[74:75], -v[88:89], v[186:187], v[74:75]
	v_fma_f64 v[86:87], -v[88:89], v[188:189], v[86:87]
	s_waitcnt lgkmcnt(2)
	v_fma_f64 v[72:73], -v[88:89], v[190:191], v[72:73]
	v_fma_f64 v[84:85], -v[88:89], v[192:193], v[84:85]
	;; [unrolled: 3-line block ×4, first 2 shown]
.LBB65_126:
	s_or_b32 exec_lo, exec_lo, s1
	s_mov_b32 s1, exec_lo
	s_waitcnt lgkmcnt(0)
	s_barrier
	buffer_gl0_inv
	v_cmpx_eq_u32_e32 25, v0
	s_cbranch_execz .LBB65_129
; %bb.127:
	v_mov_b32_e32 v186, v86
	v_mov_b32_e32 v187, v87
	;; [unrolled: 1-line block ×12, first 2 shown]
	ds_write_b64 v1, v[74:75]
	ds_write2_b64 v200, v[186:187], v[188:189] offset0:26 offset1:27
	ds_write2_b64 v200, v[190:191], v[192:193] offset0:28 offset1:29
	;; [unrolled: 1-line block ×3, first 2 shown]
	ds_write_b64 v200, v[126:127] offset:256
	ds_read_b64 v[186:187], v1
	s_waitcnt lgkmcnt(0)
	v_cmp_neq_f64_e32 vcc_lo, 0, v[186:187]
	s_and_b32 exec_lo, exec_lo, vcc_lo
	s_cbranch_execz .LBB65_129
; %bb.128:
	v_div_scale_f64 v[188:189], null, v[186:187], v[186:187], 1.0
	v_rcp_f64_e32 v[190:191], v[188:189]
	v_fma_f64 v[192:193], -v[188:189], v[190:191], 1.0
	v_fma_f64 v[190:191], v[190:191], v[192:193], v[190:191]
	v_fma_f64 v[192:193], -v[188:189], v[190:191], 1.0
	v_fma_f64 v[190:191], v[190:191], v[192:193], v[190:191]
	v_div_scale_f64 v[192:193], vcc_lo, 1.0, v[186:187], 1.0
	v_mul_f64 v[194:195], v[192:193], v[190:191]
	v_fma_f64 v[188:189], -v[188:189], v[194:195], v[192:193]
	v_div_fmas_f64 v[188:189], v[188:189], v[190:191], v[194:195]
	v_div_fixup_f64 v[186:187], v[188:189], v[186:187], 1.0
	ds_write_b64 v1, v[186:187]
.LBB65_129:
	s_or_b32 exec_lo, exec_lo, s1
	s_waitcnt lgkmcnt(0)
	s_barrier
	buffer_gl0_inv
	ds_read_b64 v[186:187], v1
	s_mov_b32 s1, exec_lo
	v_cmpx_lt_u32_e32 25, v0
	s_cbranch_execz .LBB65_131
; %bb.130:
	s_waitcnt lgkmcnt(0)
	v_mul_f64 v[74:75], v[186:187], v[74:75]
	ds_read2_b64 v[188:191], v200 offset0:26 offset1:27
	ds_read2_b64 v[192:195], v200 offset0:28 offset1:29
	;; [unrolled: 1-line block ×3, first 2 shown]
	ds_read_b64 v[201:202], v200 offset:256
	s_waitcnt lgkmcnt(3)
	v_fma_f64 v[86:87], -v[74:75], v[188:189], v[86:87]
	v_fma_f64 v[72:73], -v[74:75], v[190:191], v[72:73]
	s_waitcnt lgkmcnt(2)
	v_fma_f64 v[84:85], -v[74:75], v[192:193], v[84:85]
	v_fma_f64 v[70:71], -v[74:75], v[194:195], v[70:71]
	;; [unrolled: 3-line block ×3, first 2 shown]
	s_waitcnt lgkmcnt(0)
	v_fma_f64 v[126:127], -v[74:75], v[201:202], v[126:127]
.LBB65_131:
	s_or_b32 exec_lo, exec_lo, s1
	s_mov_b32 s1, exec_lo
	s_waitcnt lgkmcnt(0)
	s_barrier
	buffer_gl0_inv
	v_cmpx_eq_u32_e32 26, v0
	s_cbranch_execz .LBB65_134
; %bb.132:
	ds_write_b64 v1, v[86:87]
	ds_write2_b64 v200, v[72:73], v[84:85] offset0:27 offset1:28
	ds_write2_b64 v200, v[70:71], v[82:83] offset0:29 offset1:30
	;; [unrolled: 1-line block ×3, first 2 shown]
	ds_read_b64 v[188:189], v1
	s_waitcnt lgkmcnt(0)
	v_cmp_neq_f64_e32 vcc_lo, 0, v[188:189]
	s_and_b32 exec_lo, exec_lo, vcc_lo
	s_cbranch_execz .LBB65_134
; %bb.133:
	v_div_scale_f64 v[190:191], null, v[188:189], v[188:189], 1.0
	v_rcp_f64_e32 v[192:193], v[190:191]
	v_fma_f64 v[194:195], -v[190:191], v[192:193], 1.0
	v_fma_f64 v[192:193], v[192:193], v[194:195], v[192:193]
	v_fma_f64 v[194:195], -v[190:191], v[192:193], 1.0
	v_fma_f64 v[192:193], v[192:193], v[194:195], v[192:193]
	v_div_scale_f64 v[194:195], vcc_lo, 1.0, v[188:189], 1.0
	v_mul_f64 v[196:197], v[194:195], v[192:193]
	v_fma_f64 v[190:191], -v[190:191], v[196:197], v[194:195]
	v_div_fmas_f64 v[190:191], v[190:191], v[192:193], v[196:197]
	v_div_fixup_f64 v[188:189], v[190:191], v[188:189], 1.0
	ds_write_b64 v1, v[188:189]
.LBB65_134:
	s_or_b32 exec_lo, exec_lo, s1
	s_waitcnt lgkmcnt(0)
	s_barrier
	buffer_gl0_inv
	ds_read_b64 v[188:189], v1
	s_mov_b32 s1, exec_lo
	v_cmpx_lt_u32_e32 26, v0
	s_cbranch_execz .LBB65_136
; %bb.135:
	s_waitcnt lgkmcnt(0)
	v_mul_f64 v[86:87], v[188:189], v[86:87]
	ds_read2_b64 v[190:193], v200 offset0:27 offset1:28
	ds_read2_b64 v[194:197], v200 offset0:29 offset1:30
	;; [unrolled: 1-line block ×3, first 2 shown]
	s_waitcnt lgkmcnt(2)
	v_fma_f64 v[72:73], -v[86:87], v[190:191], v[72:73]
	v_fma_f64 v[84:85], -v[86:87], v[192:193], v[84:85]
	s_waitcnt lgkmcnt(1)
	v_fma_f64 v[70:71], -v[86:87], v[194:195], v[70:71]
	v_fma_f64 v[82:83], -v[86:87], v[196:197], v[82:83]
	;; [unrolled: 3-line block ×3, first 2 shown]
.LBB65_136:
	s_or_b32 exec_lo, exec_lo, s1
	s_mov_b32 s1, exec_lo
	s_waitcnt lgkmcnt(0)
	s_barrier
	buffer_gl0_inv
	v_cmpx_eq_u32_e32 27, v0
	s_cbranch_execz .LBB65_139
; %bb.137:
	v_mov_b32_e32 v190, v84
	v_mov_b32_e32 v191, v85
	;; [unrolled: 1-line block ×8, first 2 shown]
	ds_write_b64 v1, v[72:73]
	ds_write2_b64 v200, v[190:191], v[192:193] offset0:28 offset1:29
	ds_write2_b64 v200, v[194:195], v[196:197] offset0:30 offset1:31
	ds_write_b64 v200, v[126:127] offset:256
	ds_read_b64 v[190:191], v1
	s_waitcnt lgkmcnt(0)
	v_cmp_neq_f64_e32 vcc_lo, 0, v[190:191]
	s_and_b32 exec_lo, exec_lo, vcc_lo
	s_cbranch_execz .LBB65_139
; %bb.138:
	v_div_scale_f64 v[192:193], null, v[190:191], v[190:191], 1.0
	v_rcp_f64_e32 v[194:195], v[192:193]
	v_fma_f64 v[196:197], -v[192:193], v[194:195], 1.0
	v_fma_f64 v[194:195], v[194:195], v[196:197], v[194:195]
	v_fma_f64 v[196:197], -v[192:193], v[194:195], 1.0
	v_fma_f64 v[194:195], v[194:195], v[196:197], v[194:195]
	v_div_scale_f64 v[196:197], vcc_lo, 1.0, v[190:191], 1.0
	v_mul_f64 v[198:199], v[196:197], v[194:195]
	v_fma_f64 v[192:193], -v[192:193], v[198:199], v[196:197]
	v_div_fmas_f64 v[192:193], v[192:193], v[194:195], v[198:199]
	v_div_fixup_f64 v[190:191], v[192:193], v[190:191], 1.0
	ds_write_b64 v1, v[190:191]
.LBB65_139:
	s_or_b32 exec_lo, exec_lo, s1
	s_waitcnt lgkmcnt(0)
	s_barrier
	buffer_gl0_inv
	ds_read_b64 v[190:191], v1
	s_mov_b32 s1, exec_lo
	v_cmpx_lt_u32_e32 27, v0
	s_cbranch_execz .LBB65_141
; %bb.140:
	s_waitcnt lgkmcnt(0)
	v_mul_f64 v[72:73], v[190:191], v[72:73]
	ds_read2_b64 v[192:195], v200 offset0:28 offset1:29
	ds_read2_b64 v[196:199], v200 offset0:30 offset1:31
	ds_read_b64 v[201:202], v200 offset:256
	s_waitcnt lgkmcnt(2)
	v_fma_f64 v[84:85], -v[72:73], v[192:193], v[84:85]
	v_fma_f64 v[70:71], -v[72:73], v[194:195], v[70:71]
	s_waitcnt lgkmcnt(1)
	v_fma_f64 v[82:83], -v[72:73], v[196:197], v[82:83]
	v_fma_f64 v[68:69], -v[72:73], v[198:199], v[68:69]
	s_waitcnt lgkmcnt(0)
	v_fma_f64 v[126:127], -v[72:73], v[201:202], v[126:127]
.LBB65_141:
	s_or_b32 exec_lo, exec_lo, s1
	s_mov_b32 s1, exec_lo
	s_waitcnt lgkmcnt(0)
	s_barrier
	buffer_gl0_inv
	v_cmpx_eq_u32_e32 28, v0
	s_cbranch_execz .LBB65_144
; %bb.142:
	ds_write_b64 v1, v[84:85]
	ds_write2_b64 v200, v[70:71], v[82:83] offset0:29 offset1:30
	ds_write2_b64 v200, v[68:69], v[126:127] offset0:31 offset1:32
	ds_read_b64 v[192:193], v1
	s_waitcnt lgkmcnt(0)
	v_cmp_neq_f64_e32 vcc_lo, 0, v[192:193]
	s_and_b32 exec_lo, exec_lo, vcc_lo
	s_cbranch_execz .LBB65_144
; %bb.143:
	v_div_scale_f64 v[194:195], null, v[192:193], v[192:193], 1.0
	v_rcp_f64_e32 v[196:197], v[194:195]
	v_fma_f64 v[198:199], -v[194:195], v[196:197], 1.0
	v_fma_f64 v[196:197], v[196:197], v[198:199], v[196:197]
	v_fma_f64 v[198:199], -v[194:195], v[196:197], 1.0
	v_fma_f64 v[196:197], v[196:197], v[198:199], v[196:197]
	v_div_scale_f64 v[198:199], vcc_lo, 1.0, v[192:193], 1.0
	v_mul_f64 v[201:202], v[198:199], v[196:197]
	v_fma_f64 v[194:195], -v[194:195], v[201:202], v[198:199]
	v_div_fmas_f64 v[194:195], v[194:195], v[196:197], v[201:202]
	v_div_fixup_f64 v[192:193], v[194:195], v[192:193], 1.0
	ds_write_b64 v1, v[192:193]
.LBB65_144:
	s_or_b32 exec_lo, exec_lo, s1
	s_waitcnt lgkmcnt(0)
	s_barrier
	buffer_gl0_inv
	ds_read_b64 v[192:193], v1
	s_mov_b32 s1, exec_lo
	v_cmpx_lt_u32_e32 28, v0
	s_cbranch_execz .LBB65_146
; %bb.145:
	s_waitcnt lgkmcnt(0)
	v_mul_f64 v[84:85], v[192:193], v[84:85]
	ds_read2_b64 v[194:197], v200 offset0:29 offset1:30
	ds_read2_b64 v[201:204], v200 offset0:31 offset1:32
	s_waitcnt lgkmcnt(1)
	v_fma_f64 v[70:71], -v[84:85], v[194:195], v[70:71]
	v_fma_f64 v[82:83], -v[84:85], v[196:197], v[82:83]
	s_waitcnt lgkmcnt(0)
	v_fma_f64 v[68:69], -v[84:85], v[201:202], v[68:69]
	v_fma_f64 v[126:127], -v[84:85], v[203:204], v[126:127]
.LBB65_146:
	s_or_b32 exec_lo, exec_lo, s1
	s_mov_b32 s1, exec_lo
	s_waitcnt lgkmcnt(0)
	s_barrier
	buffer_gl0_inv
	v_cmpx_eq_u32_e32 29, v0
	s_cbranch_execz .LBB65_149
; %bb.147:
	v_mov_b32_e32 v194, v82
	v_mov_b32_e32 v195, v83
	;; [unrolled: 1-line block ×4, first 2 shown]
	ds_write_b64 v1, v[70:71]
	ds_write2_b64 v200, v[194:195], v[196:197] offset0:30 offset1:31
	ds_write_b64 v200, v[126:127] offset:256
	ds_read_b64 v[194:195], v1
	s_waitcnt lgkmcnt(0)
	v_cmp_neq_f64_e32 vcc_lo, 0, v[194:195]
	s_and_b32 exec_lo, exec_lo, vcc_lo
	s_cbranch_execz .LBB65_149
; %bb.148:
	v_div_scale_f64 v[196:197], null, v[194:195], v[194:195], 1.0
	v_rcp_f64_e32 v[198:199], v[196:197]
	v_fma_f64 v[201:202], -v[196:197], v[198:199], 1.0
	v_fma_f64 v[198:199], v[198:199], v[201:202], v[198:199]
	v_fma_f64 v[201:202], -v[196:197], v[198:199], 1.0
	v_fma_f64 v[198:199], v[198:199], v[201:202], v[198:199]
	v_div_scale_f64 v[201:202], vcc_lo, 1.0, v[194:195], 1.0
	v_mul_f64 v[203:204], v[201:202], v[198:199]
	v_fma_f64 v[196:197], -v[196:197], v[203:204], v[201:202]
	v_div_fmas_f64 v[196:197], v[196:197], v[198:199], v[203:204]
	v_div_fixup_f64 v[194:195], v[196:197], v[194:195], 1.0
	ds_write_b64 v1, v[194:195]
.LBB65_149:
	s_or_b32 exec_lo, exec_lo, s1
	s_waitcnt lgkmcnt(0)
	s_barrier
	buffer_gl0_inv
	ds_read_b64 v[194:195], v1
	s_mov_b32 s1, exec_lo
	v_cmpx_lt_u32_e32 29, v0
	s_cbranch_execz .LBB65_151
; %bb.150:
	s_waitcnt lgkmcnt(0)
	v_mul_f64 v[70:71], v[194:195], v[70:71]
	ds_read2_b64 v[196:199], v200 offset0:30 offset1:31
	ds_read_b64 v[201:202], v200 offset:256
	s_waitcnt lgkmcnt(1)
	v_fma_f64 v[82:83], -v[70:71], v[196:197], v[82:83]
	v_fma_f64 v[68:69], -v[70:71], v[198:199], v[68:69]
	s_waitcnt lgkmcnt(0)
	v_fma_f64 v[126:127], -v[70:71], v[201:202], v[126:127]
.LBB65_151:
	s_or_b32 exec_lo, exec_lo, s1
	s_mov_b32 s1, exec_lo
	s_waitcnt lgkmcnt(0)
	s_barrier
	buffer_gl0_inv
	v_cmpx_eq_u32_e32 30, v0
	s_cbranch_execz .LBB65_154
; %bb.152:
	ds_write_b64 v1, v[82:83]
	ds_write2_b64 v200, v[68:69], v[126:127] offset0:31 offset1:32
	ds_read_b64 v[196:197], v1
	s_waitcnt lgkmcnt(0)
	v_cmp_neq_f64_e32 vcc_lo, 0, v[196:197]
	s_and_b32 exec_lo, exec_lo, vcc_lo
	s_cbranch_execz .LBB65_154
; %bb.153:
	v_div_scale_f64 v[198:199], null, v[196:197], v[196:197], 1.0
	v_rcp_f64_e32 v[201:202], v[198:199]
	v_fma_f64 v[203:204], -v[198:199], v[201:202], 1.0
	v_fma_f64 v[201:202], v[201:202], v[203:204], v[201:202]
	v_fma_f64 v[203:204], -v[198:199], v[201:202], 1.0
	v_fma_f64 v[201:202], v[201:202], v[203:204], v[201:202]
	v_div_scale_f64 v[203:204], vcc_lo, 1.0, v[196:197], 1.0
	v_mul_f64 v[205:206], v[203:204], v[201:202]
	v_fma_f64 v[198:199], -v[198:199], v[205:206], v[203:204]
	v_div_fmas_f64 v[198:199], v[198:199], v[201:202], v[205:206]
	v_div_fixup_f64 v[196:197], v[198:199], v[196:197], 1.0
	ds_write_b64 v1, v[196:197]
.LBB65_154:
	s_or_b32 exec_lo, exec_lo, s1
	s_waitcnt lgkmcnt(0)
	s_barrier
	buffer_gl0_inv
	ds_read_b64 v[196:197], v1
	s_mov_b32 s1, exec_lo
	v_cmpx_lt_u32_e32 30, v0
	s_cbranch_execz .LBB65_156
; %bb.155:
	s_waitcnt lgkmcnt(0)
	v_mul_f64 v[82:83], v[196:197], v[82:83]
	ds_read2_b64 v[201:204], v200 offset0:31 offset1:32
	s_waitcnt lgkmcnt(0)
	v_fma_f64 v[68:69], -v[82:83], v[201:202], v[68:69]
	v_fma_f64 v[126:127], -v[82:83], v[203:204], v[126:127]
.LBB65_156:
	s_or_b32 exec_lo, exec_lo, s1
	s_mov_b32 s1, exec_lo
	s_waitcnt lgkmcnt(0)
	s_barrier
	buffer_gl0_inv
	v_cmpx_eq_u32_e32 31, v0
	s_cbranch_execz .LBB65_159
; %bb.157:
	ds_write_b64 v1, v[68:69]
	ds_write_b64 v200, v[126:127] offset:256
	ds_read_b64 v[198:199], v1
	s_waitcnt lgkmcnt(0)
	v_cmp_neq_f64_e32 vcc_lo, 0, v[198:199]
	s_and_b32 exec_lo, exec_lo, vcc_lo
	s_cbranch_execz .LBB65_159
; %bb.158:
	v_div_scale_f64 v[201:202], null, v[198:199], v[198:199], 1.0
	v_rcp_f64_e32 v[203:204], v[201:202]
	v_fma_f64 v[205:206], -v[201:202], v[203:204], 1.0
	v_fma_f64 v[203:204], v[203:204], v[205:206], v[203:204]
	v_fma_f64 v[205:206], -v[201:202], v[203:204], 1.0
	v_fma_f64 v[203:204], v[203:204], v[205:206], v[203:204]
	v_div_scale_f64 v[205:206], vcc_lo, 1.0, v[198:199], 1.0
	v_mul_f64 v[207:208], v[205:206], v[203:204]
	v_fma_f64 v[201:202], -v[201:202], v[207:208], v[205:206]
	v_div_fmas_f64 v[201:202], v[201:202], v[203:204], v[207:208]
	v_div_fixup_f64 v[198:199], v[201:202], v[198:199], 1.0
	ds_write_b64 v1, v[198:199]
.LBB65_159:
	s_or_b32 exec_lo, exec_lo, s1
	s_waitcnt lgkmcnt(0)
	s_barrier
	buffer_gl0_inv
	ds_read_b64 v[198:199], v1
	s_mov_b32 s1, exec_lo
	v_cmpx_lt_u32_e32 31, v0
	s_cbranch_execz .LBB65_161
; %bb.160:
	s_waitcnt lgkmcnt(0)
	v_mul_f64 v[68:69], v[198:199], v[68:69]
	ds_read_b64 v[200:201], v200 offset:256
	s_waitcnt lgkmcnt(0)
	v_fma_f64 v[126:127], -v[68:69], v[200:201], v[126:127]
.LBB65_161:
	s_or_b32 exec_lo, exec_lo, s1
	s_mov_b32 s1, exec_lo
	s_waitcnt lgkmcnt(0)
	s_barrier
	buffer_gl0_inv
	v_cmpx_eq_u32_e32 32, v0
	s_cbranch_execz .LBB65_164
; %bb.162:
	v_cmp_neq_f64_e32 vcc_lo, 0, v[126:127]
	ds_write_b64 v1, v[126:127]
	s_and_b32 exec_lo, exec_lo, vcc_lo
	s_cbranch_execz .LBB65_164
; %bb.163:
	v_div_scale_f64 v[200:201], null, v[126:127], v[126:127], 1.0
	v_rcp_f64_e32 v[202:203], v[200:201]
	v_fma_f64 v[204:205], -v[200:201], v[202:203], 1.0
	v_fma_f64 v[202:203], v[202:203], v[204:205], v[202:203]
	v_fma_f64 v[204:205], -v[200:201], v[202:203], 1.0
	v_fma_f64 v[202:203], v[202:203], v[204:205], v[202:203]
	v_div_scale_f64 v[204:205], vcc_lo, 1.0, v[126:127], 1.0
	v_mul_f64 v[206:207], v[204:205], v[202:203]
	v_fma_f64 v[200:201], -v[200:201], v[206:207], v[204:205]
	v_div_fmas_f64 v[200:201], v[200:201], v[202:203], v[206:207]
	v_div_fixup_f64 v[200:201], v[200:201], v[126:127], 1.0
	ds_write_b64 v1, v[200:201]
.LBB65_164:
	s_or_b32 exec_lo, exec_lo, s1
	s_waitcnt lgkmcnt(0)
	s_barrier
	buffer_gl0_inv
	ds_read_b64 v[200:201], v1
	s_waitcnt lgkmcnt(0)
	s_barrier
	buffer_gl0_inv
	s_and_saveexec_b32 s6, s0
	s_cbranch_execz .LBB65_167
; %bb.165:
	v_cmp_eq_f64_e32 vcc_lo, 0, v[136:137]
	v_cmp_neq_f64_e64 s0, 0, v[138:139]
	v_cmp_eq_f64_e64 s1, 0, v[140:141]
	v_cmp_eq_f64_e64 s2, 0, v[142:143]
	s_load_dwordx2 s[4:5], s[4:5], 0x28
	v_cndmask_b32_e64 v1, 0, 1, vcc_lo
	s_or_b32 vcc_lo, s0, vcc_lo
	v_cmp_eq_f64_e64 s0, 0, v[144:145]
	v_cndmask_b32_e32 v1, 2, v1, vcc_lo
	v_cmp_eq_u32_e32 vcc_lo, 0, v1
	s_and_b32 s1, s1, vcc_lo
	v_cmp_eq_f64_e32 vcc_lo, 0, v[146:147]
	v_cndmask_b32_e64 v136, v1, 3, s1
	v_lshlrev_b64 v[1:2], 2, v[2:3]
	v_cmp_eq_u32_e64 s1, 0, v136
	s_waitcnt lgkmcnt(0)
	v_add_co_u32 v1, s3, s4, v1
	v_add_co_ci_u32_e64 v2, null, s5, v2, s3
	s_and_b32 s1, s2, s1
	v_cmp_eq_f64_e64 s2, 0, v[148:149]
	v_cndmask_b32_e64 v3, v136, 4, s1
	global_load_dword v136, v[1:2], off
	v_cmp_eq_u32_e64 s1, 0, v3
	s_and_b32 s0, s0, s1
	v_cmp_eq_f64_e64 s1, 0, v[150:151]
	v_cndmask_b32_e64 v3, v3, 5, s0
	v_cmp_eq_u32_e64 s0, 0, v3
	s_and_b32 s0, vcc_lo, s0
	v_cndmask_b32_e64 v3, v3, 6, s0
	v_cmp_eq_f64_e64 s0, 0, v[152:153]
	v_cmp_eq_u32_e32 vcc_lo, 0, v3
	s_and_b32 s2, s2, vcc_lo
	v_cndmask_b32_e64 v3, v3, 7, s2
	v_cmp_eq_f64_e64 s2, 0, v[154:155]
	v_cmp_eq_u32_e32 vcc_lo, 0, v3
	s_and_b32 s1, s1, vcc_lo
	;; [unrolled: 4-line block ×25, first 2 shown]
	v_cndmask_b32_e64 v3, v3, 31, s2
	v_cmp_eq_u32_e32 vcc_lo, 0, v3
	s_and_b32 s1, s1, vcc_lo
	v_cndmask_b32_e64 v3, v3, 32, s1
	v_cmp_eq_u32_e32 vcc_lo, 0, v3
	s_and_b32 s0, s0, vcc_lo
	s_waitcnt vmcnt(0)
	v_cmp_eq_u32_e32 vcc_lo, 0, v136
	v_cndmask_b32_e64 v3, v3, 33, s0
	v_cmp_ne_u32_e64 s0, 0, v3
	s_and_b32 s0, vcc_lo, s0
	s_and_b32 exec_lo, exec_lo, s0
	s_cbranch_execz .LBB65_167
; %bb.166:
	v_add_nc_u32_e32 v3, s9, v3
	global_store_dword v[1:2], v3, off
.LBB65_167:
	s_or_b32 exec_lo, exec_lo, s6
	v_mul_f64 v[1:2], v[200:201], v[126:127]
	v_cmp_lt_u32_e32 vcc_lo, 32, v0
	flat_store_dwordx2 v[66:67], v[128:129]
	flat_store_dwordx2 v[124:125], v[132:133]
	;; [unrolled: 1-line block ×19, first 2 shown]
	v_cndmask_b32_e32 v2, v127, v2, vcc_lo
	v_cndmask_b32_e32 v1, v126, v1, vcc_lo
	flat_store_dwordx2 v[36:37], v[80:81]
	flat_store_dwordx2 v[40:41], v[92:93]
	;; [unrolled: 1-line block ×14, first 2 shown]
.LBB65_168:
	s_endpgm
	.section	.rodata,"a",@progbits
	.p2align	6, 0x0
	.amdhsa_kernel _ZN9rocsolver6v33100L23getf2_npvt_small_kernelILi33EdiiPKPdEEvT1_T3_lS5_lPT2_S5_S5_
		.amdhsa_group_segment_fixed_size 0
		.amdhsa_private_segment_fixed_size 0
		.amdhsa_kernarg_size 312
		.amdhsa_user_sgpr_count 6
		.amdhsa_user_sgpr_private_segment_buffer 1
		.amdhsa_user_sgpr_dispatch_ptr 0
		.amdhsa_user_sgpr_queue_ptr 0
		.amdhsa_user_sgpr_kernarg_segment_ptr 1
		.amdhsa_user_sgpr_dispatch_id 0
		.amdhsa_user_sgpr_flat_scratch_init 0
		.amdhsa_user_sgpr_private_segment_size 0
		.amdhsa_wavefront_size32 1
		.amdhsa_uses_dynamic_stack 0
		.amdhsa_system_sgpr_private_segment_wavefront_offset 0
		.amdhsa_system_sgpr_workgroup_id_x 1
		.amdhsa_system_sgpr_workgroup_id_y 1
		.amdhsa_system_sgpr_workgroup_id_z 0
		.amdhsa_system_sgpr_workgroup_info 0
		.amdhsa_system_vgpr_workitem_id 1
		.amdhsa_next_free_vgpr 209
		.amdhsa_next_free_sgpr 11
		.amdhsa_reserve_vcc 1
		.amdhsa_reserve_flat_scratch 1
		.amdhsa_float_round_mode_32 0
		.amdhsa_float_round_mode_16_64 0
		.amdhsa_float_denorm_mode_32 3
		.amdhsa_float_denorm_mode_16_64 3
		.amdhsa_dx10_clamp 1
		.amdhsa_ieee_mode 1
		.amdhsa_fp16_overflow 0
		.amdhsa_workgroup_processor_mode 1
		.amdhsa_memory_ordered 1
		.amdhsa_forward_progress 1
		.amdhsa_shared_vgpr_count 0
		.amdhsa_exception_fp_ieee_invalid_op 0
		.amdhsa_exception_fp_denorm_src 0
		.amdhsa_exception_fp_ieee_div_zero 0
		.amdhsa_exception_fp_ieee_overflow 0
		.amdhsa_exception_fp_ieee_underflow 0
		.amdhsa_exception_fp_ieee_inexact 0
		.amdhsa_exception_int_div_zero 0
	.end_amdhsa_kernel
	.section	.text._ZN9rocsolver6v33100L23getf2_npvt_small_kernelILi33EdiiPKPdEEvT1_T3_lS5_lPT2_S5_S5_,"axG",@progbits,_ZN9rocsolver6v33100L23getf2_npvt_small_kernelILi33EdiiPKPdEEvT1_T3_lS5_lPT2_S5_S5_,comdat
.Lfunc_end65:
	.size	_ZN9rocsolver6v33100L23getf2_npvt_small_kernelILi33EdiiPKPdEEvT1_T3_lS5_lPT2_S5_S5_, .Lfunc_end65-_ZN9rocsolver6v33100L23getf2_npvt_small_kernelILi33EdiiPKPdEEvT1_T3_lS5_lPT2_S5_S5_
                                        ; -- End function
	.set _ZN9rocsolver6v33100L23getf2_npvt_small_kernelILi33EdiiPKPdEEvT1_T3_lS5_lPT2_S5_S5_.num_vgpr, 209
	.set _ZN9rocsolver6v33100L23getf2_npvt_small_kernelILi33EdiiPKPdEEvT1_T3_lS5_lPT2_S5_S5_.num_agpr, 0
	.set _ZN9rocsolver6v33100L23getf2_npvt_small_kernelILi33EdiiPKPdEEvT1_T3_lS5_lPT2_S5_S5_.numbered_sgpr, 11
	.set _ZN9rocsolver6v33100L23getf2_npvt_small_kernelILi33EdiiPKPdEEvT1_T3_lS5_lPT2_S5_S5_.num_named_barrier, 0
	.set _ZN9rocsolver6v33100L23getf2_npvt_small_kernelILi33EdiiPKPdEEvT1_T3_lS5_lPT2_S5_S5_.private_seg_size, 0
	.set _ZN9rocsolver6v33100L23getf2_npvt_small_kernelILi33EdiiPKPdEEvT1_T3_lS5_lPT2_S5_S5_.uses_vcc, 1
	.set _ZN9rocsolver6v33100L23getf2_npvt_small_kernelILi33EdiiPKPdEEvT1_T3_lS5_lPT2_S5_S5_.uses_flat_scratch, 1
	.set _ZN9rocsolver6v33100L23getf2_npvt_small_kernelILi33EdiiPKPdEEvT1_T3_lS5_lPT2_S5_S5_.has_dyn_sized_stack, 0
	.set _ZN9rocsolver6v33100L23getf2_npvt_small_kernelILi33EdiiPKPdEEvT1_T3_lS5_lPT2_S5_S5_.has_recursion, 0
	.set _ZN9rocsolver6v33100L23getf2_npvt_small_kernelILi33EdiiPKPdEEvT1_T3_lS5_lPT2_S5_S5_.has_indirect_call, 0
	.section	.AMDGPU.csdata,"",@progbits
; Kernel info:
; codeLenInByte = 21068
; TotalNumSgprs: 13
; NumVgprs: 209
; ScratchSize: 0
; MemoryBound: 0
; FloatMode: 240
; IeeeMode: 1
; LDSByteSize: 0 bytes/workgroup (compile time only)
; SGPRBlocks: 0
; VGPRBlocks: 26
; NumSGPRsForWavesPerEU: 13
; NumVGPRsForWavesPerEU: 209
; Occupancy: 4
; WaveLimiterHint : 1
; COMPUTE_PGM_RSRC2:SCRATCH_EN: 0
; COMPUTE_PGM_RSRC2:USER_SGPR: 6
; COMPUTE_PGM_RSRC2:TRAP_HANDLER: 0
; COMPUTE_PGM_RSRC2:TGID_X_EN: 1
; COMPUTE_PGM_RSRC2:TGID_Y_EN: 1
; COMPUTE_PGM_RSRC2:TGID_Z_EN: 0
; COMPUTE_PGM_RSRC2:TIDIG_COMP_CNT: 1
	.section	.text._ZN9rocsolver6v33100L18getf2_small_kernelILi34EdiiPKPdEEvT1_T3_lS5_lPS5_llPT2_S5_S5_S7_l,"axG",@progbits,_ZN9rocsolver6v33100L18getf2_small_kernelILi34EdiiPKPdEEvT1_T3_lS5_lPS5_llPT2_S5_S5_S7_l,comdat
	.globl	_ZN9rocsolver6v33100L18getf2_small_kernelILi34EdiiPKPdEEvT1_T3_lS5_lPS5_llPT2_S5_S5_S7_l ; -- Begin function _ZN9rocsolver6v33100L18getf2_small_kernelILi34EdiiPKPdEEvT1_T3_lS5_lPS5_llPT2_S5_S5_S7_l
	.p2align	8
	.type	_ZN9rocsolver6v33100L18getf2_small_kernelILi34EdiiPKPdEEvT1_T3_lS5_lPS5_llPT2_S5_S5_S7_l,@function
_ZN9rocsolver6v33100L18getf2_small_kernelILi34EdiiPKPdEEvT1_T3_lS5_lPS5_llPT2_S5_S5_S7_l: ; @_ZN9rocsolver6v33100L18getf2_small_kernelILi34EdiiPKPdEEvT1_T3_lS5_lPS5_llPT2_S5_S5_S7_l
; %bb.0:
	s_clause 0x1
	s_load_dword s0, s[4:5], 0x6c
	s_load_dwordx2 s[12:13], s[4:5], 0x48
	s_waitcnt lgkmcnt(0)
	s_lshr_b32 s0, s0, 16
	v_mad_u64_u32 v[2:3], null, s7, s0, v[1:2]
	s_mov_b32 s0, exec_lo
	v_cmpx_gt_i32_e64 s12, v2
	s_cbranch_execz .LBB66_575
; %bb.1:
	s_clause 0x1
	s_load_dwordx4 s[0:3], s[4:5], 0x8
	s_load_dwordx4 s[8:11], s[4:5], 0x50
	v_ashrrev_i32_e32 v3, 31, v2
	v_lshlrev_b64 v[4:5], 3, v[2:3]
	s_waitcnt lgkmcnt(0)
	v_add_co_u32 v4, vcc_lo, s0, v4
	v_add_co_ci_u32_e64 v5, null, s1, v5, vcc_lo
	s_cmp_eq_u64 s[8:9], 0
	s_cselect_b32 s6, -1, 0
	global_load_dwordx2 v[6:7], v[4:5], off
	v_mov_b32_e32 v4, 0
	v_mov_b32_e32 v5, 0
	s_and_b32 vcc_lo, exec_lo, s6
	s_cbranch_vccnz .LBB66_3
; %bb.2:
	v_mul_lo_u32 v8, s11, v2
	v_mul_lo_u32 v9, s10, v3
	v_mad_u64_u32 v[4:5], null, s10, v2, 0
	v_add3_u32 v5, v5, v9, v8
	v_lshlrev_b64 v[4:5], 2, v[4:5]
	v_add_co_u32 v4, vcc_lo, s8, v4
	v_add_co_ci_u32_e64 v5, null, s9, v5, vcc_lo
.LBB66_3:
	s_clause 0x1
	s_load_dword s8, s[4:5], 0x18
	s_load_dword s7, s[4:5], 0x0
	s_lshl_b64 s[0:1], s[2:3], 3
	v_lshlrev_b32_e32 v106, 3, v0
	s_waitcnt vmcnt(0)
	v_add_co_u32 v78, vcc_lo, v6, s0
	v_add_co_ci_u32_e64 v79, null, s1, v7, vcc_lo
	s_waitcnt lgkmcnt(0)
	v_add3_u32 v8, s8, s8, v0
	s_ashr_i32 s9, s8, 31
	s_max_i32 s0, s7, 34
	s_lshl_b64 s[10:11], s[8:9], 3
	v_mul_lo_u32 v1, s0, v1
	v_add_nc_u32_e32 v10, s8, v8
	v_ashrrev_i32_e32 v9, 31, v8
	s_cmp_lt_i32 s7, 2
	v_ashrrev_i32_e32 v11, 31, v10
	v_add_nc_u32_e32 v12, s8, v10
	v_lshlrev_b64 v[8:9], 3, v[8:9]
	v_lshlrev_b64 v[6:7], 3, v[10:11]
	v_add_nc_u32_e32 v10, s8, v12
	v_ashrrev_i32_e32 v13, 31, v12
	v_add_co_u32 v8, vcc_lo, v78, v8
	v_add_co_ci_u32_e64 v9, null, v79, v9, vcc_lo
	v_add_nc_u32_e32 v14, s8, v10
	v_ashrrev_i32_e32 v11, 31, v10
	v_lshlrev_b64 v[12:13], 3, v[12:13]
	v_add_co_u32 v6, vcc_lo, v78, v6
	v_add_nc_u32_e32 v16, s8, v14
	v_ashrrev_i32_e32 v15, 31, v14
	v_lshlrev_b64 v[10:11], 3, v[10:11]
	v_add_co_ci_u32_e64 v7, null, v79, v7, vcc_lo
	v_add_nc_u32_e32 v18, s8, v16
	v_ashrrev_i32_e32 v17, 31, v16
	v_lshlrev_b64 v[14:15], 3, v[14:15]
	v_add_co_u32 v12, vcc_lo, v78, v12
	v_add_nc_u32_e32 v20, s8, v18
	v_ashrrev_i32_e32 v19, 31, v18
	v_lshlrev_b64 v[16:17], 3, v[16:17]
	v_add_co_ci_u32_e64 v13, null, v79, v13, vcc_lo
	v_add_nc_u32_e32 v22, s8, v20
	v_ashrrev_i32_e32 v21, 31, v20
	v_add_co_u32 v10, vcc_lo, v78, v10
	v_lshlrev_b64 v[18:19], 3, v[18:19]
	v_add_nc_u32_e32 v24, s8, v22
	v_ashrrev_i32_e32 v23, 31, v22
	v_add_co_ci_u32_e64 v11, null, v79, v11, vcc_lo
	v_add_co_u32 v14, vcc_lo, v78, v14
	v_add_nc_u32_e32 v26, s8, v24
	v_ashrrev_i32_e32 v25, 31, v24
	v_lshlrev_b64 v[20:21], 3, v[20:21]
	v_add_co_ci_u32_e64 v15, null, v79, v15, vcc_lo
	v_add_nc_u32_e32 v28, s8, v26
	v_ashrrev_i32_e32 v27, 31, v26
	v_add_co_u32 v16, vcc_lo, v78, v16
	v_lshlrev_b64 v[22:23], 3, v[22:23]
	v_add_nc_u32_e32 v30, s8, v28
	v_ashrrev_i32_e32 v29, 31, v28
	v_add_co_ci_u32_e64 v17, null, v79, v17, vcc_lo
	v_add_co_u32 v18, vcc_lo, v78, v18
	v_add_nc_u32_e32 v32, s8, v30
	v_lshlrev_b64 v[24:25], 3, v[24:25]
	v_ashrrev_i32_e32 v31, 31, v30
	v_add_co_ci_u32_e64 v19, null, v79, v19, vcc_lo
	v_add_nc_u32_e32 v34, s8, v32
	v_add_co_u32 v20, vcc_lo, v78, v20
	v_lshlrev_b64 v[26:27], 3, v[26:27]
	v_ashrrev_i32_e32 v33, 31, v32
	v_add_nc_u32_e32 v36, s8, v34
	v_add_co_ci_u32_e64 v21, null, v79, v21, vcc_lo
	v_add_co_u32 v22, vcc_lo, v78, v22
	v_add_nc_u32_e32 v38, s8, v36
	v_lshlrev_b64 v[28:29], 3, v[28:29]
	v_ashrrev_i32_e32 v35, 31, v34
	v_add_co_ci_u32_e64 v23, null, v79, v23, vcc_lo
	v_add_co_u32 v24, vcc_lo, v78, v24
	v_lshlrev_b64 v[30:31], 3, v[30:31]
	v_ashrrev_i32_e32 v37, 31, v36
	v_add_nc_u32_e32 v40, s8, v38
	v_add_co_ci_u32_e64 v25, null, v79, v25, vcc_lo
	v_add_co_u32 v26, vcc_lo, v78, v26
	v_lshlrev_b64 v[32:33], 3, v[32:33]
	v_ashrrev_i32_e32 v39, 31, v38
	v_add_co_ci_u32_e64 v27, null, v79, v27, vcc_lo
	v_add_co_u32 v28, vcc_lo, v78, v28
	v_lshlrev_b64 v[34:35], 3, v[34:35]
	v_add_co_ci_u32_e64 v29, null, v79, v29, vcc_lo
	v_add_co_u32 v30, vcc_lo, v78, v30
	v_lshlrev_b64 v[36:37], 3, v[36:37]
	v_add_nc_u32_e32 v42, s8, v40
	v_add_co_ci_u32_e64 v31, null, v79, v31, vcc_lo
	v_add_co_u32 v32, vcc_lo, v78, v32
	v_lshlrev_b64 v[38:39], 3, v[38:39]
	v_ashrrev_i32_e32 v41, 31, v40
	v_add_co_ci_u32_e64 v33, null, v79, v33, vcc_lo
	v_add_co_u32 v34, vcc_lo, v78, v34
	v_ashrrev_i32_e32 v43, 31, v42
	v_add_nc_u32_e32 v44, s8, v42
	v_add_co_ci_u32_e64 v35, null, v79, v35, vcc_lo
	v_add_co_u32 v36, vcc_lo, v78, v36
	v_lshlrev_b64 v[40:41], 3, v[40:41]
	v_add_co_ci_u32_e64 v37, null, v79, v37, vcc_lo
	v_add_co_u32 v72, vcc_lo, v78, v38
	v_add_co_ci_u32_e64 v73, null, v79, v39, vcc_lo
	v_lshlrev_b64 v[38:39], 3, v[42:43]
	v_ashrrev_i32_e32 v45, 31, v44
	v_add_nc_u32_e32 v42, s8, v44
	v_add_co_u32 v74, vcc_lo, v78, v40
	v_add_co_ci_u32_e64 v75, null, v79, v41, vcc_lo
	v_lshlrev_b64 v[40:41], 3, v[44:45]
	v_ashrrev_i32_e32 v43, 31, v42
	v_add_nc_u32_e32 v44, s8, v42
	;; [unrolled: 5-line block ×10, first 2 shown]
	v_add_co_u32 v94, vcc_lo, v78, v38
	v_add_co_ci_u32_e64 v95, null, v79, v39, vcc_lo
	v_lshlrev_b64 v[38:39], 3, v[42:43]
	v_add_nc_u32_e32 v42, s8, v44
	v_ashrrev_i32_e32 v45, 31, v44
	v_add_co_u32 v96, vcc_lo, v78, v40
	v_add_co_ci_u32_e64 v97, null, v79, v41, vcc_lo
	v_ashrrev_i32_e32 v43, 31, v42
	v_lshlrev_b64 v[40:41], 3, v[44:45]
	v_add_co_u32 v98, vcc_lo, v78, v38
	v_add_co_ci_u32_e64 v99, null, v79, v39, vcc_lo
	v_lshlrev_b64 v[38:39], 3, v[42:43]
	v_add_nc_u32_e32 v42, s8, v42
	v_add_co_u32 v100, vcc_lo, v78, v40
	v_add_co_ci_u32_e64 v101, null, v79, v41, vcc_lo
	v_ashrrev_i32_e32 v43, 31, v42
	v_add_co_u32 v102, vcc_lo, v78, v38
	v_add_co_ci_u32_e64 v103, null, v79, v39, vcc_lo
	v_add_co_u32 v40, vcc_lo, v78, v106
	v_add_co_ci_u32_e64 v41, null, 0, v79, vcc_lo
	v_lshlrev_b64 v[38:39], 3, v[42:43]
	v_add_co_u32 v42, vcc_lo, v40, s10
	v_add_co_ci_u32_e64 v43, null, s11, v41, vcc_lo
	v_add_co_u32 v104, vcc_lo, v78, v38
	v_add_co_ci_u32_e64 v105, null, v79, v39, vcc_lo
	s_clause 0x21
	flat_load_dwordx2 v[70:71], v[40:41]
	flat_load_dwordx2 v[68:69], v[42:43]
	;; [unrolled: 1-line block ×34, first 2 shown]
	v_lshl_add_u32 v80, v1, 3, 0
	v_lshlrev_b32_e32 v81, 3, v1
	v_mov_b32_e32 v76, 0
	v_add_nc_u32_e32 v74, v80, v106
	s_waitcnt vmcnt(33) lgkmcnt(33)
	ds_write_b64 v74, v[70:71]
	s_waitcnt vmcnt(0) lgkmcnt(0)
	s_barrier
	buffer_gl0_inv
	ds_read_b64 v[74:75], v80
	s_cbranch_scc1 .LBB66_6
; %bb.4:
	v_add3_u32 v1, v81, 0, 8
	v_mov_b32_e32 v76, 0
	s_mov_b32 s0, 1
.LBB66_5:                               ; =>This Inner Loop Header: Depth=1
	ds_read_b64 v[82:83], v1
	v_add_nc_u32_e32 v1, 8, v1
	s_waitcnt lgkmcnt(0)
	v_cmp_lt_f64_e64 vcc_lo, |v[74:75]|, |v[82:83]|
	v_cndmask_b32_e32 v75, v75, v83, vcc_lo
	v_cndmask_b32_e32 v74, v74, v82, vcc_lo
	v_cndmask_b32_e64 v76, v76, s0, vcc_lo
	s_add_i32 s0, s0, 1
	s_cmp_eq_u32 s7, s0
	s_cbranch_scc0 .LBB66_5
.LBB66_6:
	s_mov_b32 s0, exec_lo
                                        ; implicit-def: $vgpr83
	v_cmpx_ne_u32_e64 v0, v76
	s_xor_b32 s0, exec_lo, s0
	s_cbranch_execz .LBB66_12
; %bb.7:
	s_mov_b32 s1, exec_lo
	v_cmpx_eq_u32_e32 0, v0
	s_cbranch_execz .LBB66_11
; %bb.8:
	v_cmp_ne_u32_e32 vcc_lo, 0, v76
	s_xor_b32 s2, s6, -1
	s_and_b32 s3, s2, vcc_lo
	s_and_saveexec_b32 s2, s3
	s_cbranch_execz .LBB66_10
; %bb.9:
	v_ashrrev_i32_e32 v77, 31, v76
	v_lshlrev_b64 v[0:1], 2, v[76:77]
	v_add_co_u32 v0, vcc_lo, v4, v0
	v_add_co_ci_u32_e64 v1, null, v5, v1, vcc_lo
	s_clause 0x1
	global_load_dword v77, v[0:1], off
	global_load_dword v82, v[4:5], off
	s_waitcnt vmcnt(1)
	global_store_dword v[4:5], v77, off
	s_waitcnt vmcnt(0)
	global_store_dword v[0:1], v82, off
.LBB66_10:
	s_or_b32 exec_lo, exec_lo, s2
	v_mov_b32_e32 v0, v76
.LBB66_11:
	s_or_b32 exec_lo, exec_lo, s1
	v_mov_b32_e32 v83, v0
                                        ; implicit-def: $vgpr0
.LBB66_12:
	s_or_saveexec_b32 s0, s0
	v_mov_b32_e32 v77, v83
	s_xor_b32 exec_lo, exec_lo, s0
	s_cbranch_execz .LBB66_14
; %bb.13:
	v_mov_b32_e32 v83, 0
	v_mov_b32_e32 v77, v0
	ds_write2_b64 v80, v[68:69], v[66:67] offset0:1 offset1:2
	ds_write2_b64 v80, v[64:65], v[62:63] offset0:3 offset1:4
	;; [unrolled: 1-line block ×16, first 2 shown]
	ds_write_b64 v80, v[72:73] offset:264
.LBB66_14:
	s_or_b32 exec_lo, exec_lo, s0
	s_waitcnt lgkmcnt(0)
	v_cmp_eq_f64_e64 s0, 0, v[74:75]
	s_mov_b32 s1, exec_lo
	s_waitcnt_vscnt null, 0x0
	s_barrier
	buffer_gl0_inv
	v_cmpx_lt_i32_e32 0, v83
	s_cbranch_execz .LBB66_16
; %bb.15:
	v_div_scale_f64 v[0:1], null, v[74:75], v[74:75], 1.0
	v_div_scale_f64 v[88:89], vcc_lo, 1.0, v[74:75], 1.0
	v_rcp_f64_e32 v[84:85], v[0:1]
	v_fma_f64 v[86:87], -v[0:1], v[84:85], 1.0
	v_fma_f64 v[84:85], v[84:85], v[86:87], v[84:85]
	v_fma_f64 v[86:87], -v[0:1], v[84:85], 1.0
	v_fma_f64 v[84:85], v[84:85], v[86:87], v[84:85]
	v_mul_f64 v[86:87], v[88:89], v[84:85]
	v_fma_f64 v[0:1], -v[0:1], v[86:87], v[88:89]
	v_div_fmas_f64 v[0:1], v[0:1], v[84:85], v[86:87]
	v_div_fixup_f64 v[0:1], v[0:1], v[74:75], 1.0
	v_cndmask_b32_e64 v1, v1, v75, s0
	v_cndmask_b32_e64 v0, v0, v74, s0
	v_mul_f64 v[70:71], v[0:1], v[70:71]
	ds_read2_b64 v[84:87], v80 offset0:1 offset1:2
	ds_read2_b64 v[88:91], v80 offset0:3 offset1:4
	;; [unrolled: 1-line block ×16, first 2 shown]
	ds_read_b64 v[0:1], v80 offset:264
	s_waitcnt lgkmcnt(16)
	v_fma_f64 v[68:69], -v[70:71], v[84:85], v[68:69]
	v_fma_f64 v[66:67], -v[70:71], v[86:87], v[66:67]
	s_waitcnt lgkmcnt(15)
	v_fma_f64 v[64:65], -v[70:71], v[88:89], v[64:65]
	v_fma_f64 v[62:63], -v[70:71], v[90:91], v[62:63]
	s_waitcnt lgkmcnt(14)
	v_fma_f64 v[58:59], -v[70:71], v[92:93], v[58:59]
	v_fma_f64 v[60:61], -v[70:71], v[94:95], v[60:61]
	s_waitcnt lgkmcnt(13)
	v_fma_f64 v[54:55], -v[70:71], v[96:97], v[54:55]
	v_fma_f64 v[56:57], -v[70:71], v[98:99], v[56:57]
	s_waitcnt lgkmcnt(12)
	v_fma_f64 v[52:53], -v[70:71], v[100:101], v[52:53]
	v_fma_f64 v[50:51], -v[70:71], v[102:103], v[50:51]
	s_waitcnt lgkmcnt(11)
	v_fma_f64 v[48:49], -v[70:71], v[104:105], v[48:49]
	v_fma_f64 v[46:47], -v[70:71], v[106:107], v[46:47]
	s_waitcnt lgkmcnt(10)
	v_fma_f64 v[44:45], -v[70:71], v[108:109], v[44:45]
	v_fma_f64 v[42:43], -v[70:71], v[110:111], v[42:43]
	s_waitcnt lgkmcnt(9)
	v_fma_f64 v[38:39], -v[70:71], v[112:113], v[38:39]
	v_fma_f64 v[40:41], -v[70:71], v[114:115], v[40:41]
	s_waitcnt lgkmcnt(8)
	v_fma_f64 v[34:35], -v[70:71], v[116:117], v[34:35]
	v_fma_f64 v[36:37], -v[70:71], v[118:119], v[36:37]
	s_waitcnt lgkmcnt(7)
	v_fma_f64 v[32:33], -v[70:71], v[120:121], v[32:33]
	v_fma_f64 v[30:31], -v[70:71], v[122:123], v[30:31]
	s_waitcnt lgkmcnt(6)
	v_fma_f64 v[28:29], -v[70:71], v[124:125], v[28:29]
	v_fma_f64 v[26:27], -v[70:71], v[126:127], v[26:27]
	s_waitcnt lgkmcnt(5)
	v_fma_f64 v[24:25], -v[70:71], v[128:129], v[24:25]
	v_fma_f64 v[22:23], -v[70:71], v[130:131], v[22:23]
	s_waitcnt lgkmcnt(4)
	v_fma_f64 v[18:19], -v[70:71], v[132:133], v[18:19]
	v_fma_f64 v[20:21], -v[70:71], v[134:135], v[20:21]
	s_waitcnt lgkmcnt(3)
	v_fma_f64 v[16:17], -v[70:71], v[136:137], v[16:17]
	v_fma_f64 v[14:15], -v[70:71], v[138:139], v[14:15]
	s_waitcnt lgkmcnt(2)
	v_fma_f64 v[8:9], -v[70:71], v[140:141], v[8:9]
	v_fma_f64 v[12:13], -v[70:71], v[142:143], v[12:13]
	s_waitcnt lgkmcnt(1)
	v_fma_f64 v[6:7], -v[70:71], v[144:145], v[6:7]
	v_fma_f64 v[10:11], -v[70:71], v[146:147], v[10:11]
	s_waitcnt lgkmcnt(0)
	v_fma_f64 v[72:73], -v[70:71], v[0:1], v[72:73]
.LBB66_16:
	s_or_b32 exec_lo, exec_lo, s1
	v_lshl_add_u32 v0, v83, 3, v80
	s_barrier
	buffer_gl0_inv
	v_mov_b32_e32 v74, 1
	ds_write_b64 v0, v[68:69]
	s_waitcnt lgkmcnt(0)
	s_barrier
	buffer_gl0_inv
	ds_read_b64 v[0:1], v80 offset:8
	s_cmp_lt_i32 s7, 3
	s_cbranch_scc1 .LBB66_19
; %bb.17:
	v_add3_u32 v75, v81, 0, 16
	v_mov_b32_e32 v74, 1
	s_mov_b32 s1, 2
.LBB66_18:                              ; =>This Inner Loop Header: Depth=1
	ds_read_b64 v[84:85], v75
	v_add_nc_u32_e32 v75, 8, v75
	s_waitcnt lgkmcnt(0)
	v_cmp_lt_f64_e64 vcc_lo, |v[0:1]|, |v[84:85]|
	v_cndmask_b32_e32 v1, v1, v85, vcc_lo
	v_cndmask_b32_e32 v0, v0, v84, vcc_lo
	v_cndmask_b32_e64 v74, v74, s1, vcc_lo
	s_add_i32 s1, s1, 1
	s_cmp_lg_u32 s7, s1
	s_cbranch_scc1 .LBB66_18
.LBB66_19:
	s_mov_b32 s1, exec_lo
	v_cmpx_ne_u32_e64 v83, v74
	s_xor_b32 s1, exec_lo, s1
	s_cbranch_execz .LBB66_25
; %bb.20:
	s_mov_b32 s2, exec_lo
	v_cmpx_eq_u32_e32 1, v83
	s_cbranch_execz .LBB66_24
; %bb.21:
	v_cmp_ne_u32_e32 vcc_lo, 1, v74
	s_xor_b32 s3, s6, -1
	s_and_b32 s9, s3, vcc_lo
	s_and_saveexec_b32 s3, s9
	s_cbranch_execz .LBB66_23
; %bb.22:
	v_ashrrev_i32_e32 v75, 31, v74
	v_lshlrev_b64 v[75:76], 2, v[74:75]
	v_add_co_u32 v75, vcc_lo, v4, v75
	v_add_co_ci_u32_e64 v76, null, v5, v76, vcc_lo
	s_clause 0x1
	global_load_dword v77, v[75:76], off
	global_load_dword v82, v[4:5], off offset:4
	s_waitcnt vmcnt(1)
	global_store_dword v[4:5], v77, off offset:4
	s_waitcnt vmcnt(0)
	global_store_dword v[75:76], v82, off
.LBB66_23:
	s_or_b32 exec_lo, exec_lo, s3
	v_mov_b32_e32 v77, v74
	v_mov_b32_e32 v83, v74
.LBB66_24:
	s_or_b32 exec_lo, exec_lo, s2
.LBB66_25:
	s_andn2_saveexec_b32 s1, s1
	s_cbranch_execz .LBB66_27
; %bb.26:
	v_mov_b32_e32 v74, v66
	v_mov_b32_e32 v75, v67
	;; [unrolled: 1-line block ×8, first 2 shown]
	ds_write2_b64 v80, v[74:75], v[82:83] offset0:2 offset1:3
	ds_write2_b64 v80, v[84:85], v[86:87] offset0:4 offset1:5
	v_mov_b32_e32 v74, v60
	v_mov_b32_e32 v75, v61
	;; [unrolled: 1-line block ×20, first 2 shown]
	ds_write2_b64 v80, v[74:75], v[82:83] offset0:6 offset1:7
	ds_write2_b64 v80, v[84:85], v[86:87] offset0:8 offset1:9
	;; [unrolled: 1-line block ×5, first 2 shown]
	v_mov_b32_e32 v74, v40
	v_mov_b32_e32 v75, v41
	;; [unrolled: 1-line block ×20, first 2 shown]
	ds_write2_b64 v80, v[74:75], v[82:83] offset0:16 offset1:17
	ds_write2_b64 v80, v[84:85], v[86:87] offset0:18 offset1:19
	;; [unrolled: 1-line block ×5, first 2 shown]
	v_mov_b32_e32 v74, v20
	v_mov_b32_e32 v75, v21
	;; [unrolled: 1-line block ×15, first 2 shown]
	ds_write2_b64 v80, v[74:75], v[84:85] offset0:26 offset1:27
	ds_write2_b64 v80, v[86:87], v[88:89] offset0:28 offset1:29
	;; [unrolled: 1-line block ×4, first 2 shown]
.LBB66_27:
	s_or_b32 exec_lo, exec_lo, s1
	s_waitcnt lgkmcnt(0)
	v_cmp_neq_f64_e64 s1, 0, v[0:1]
	s_mov_b32 s2, exec_lo
	s_waitcnt_vscnt null, 0x0
	s_barrier
	buffer_gl0_inv
	v_cmpx_lt_i32_e32 1, v83
	s_cbranch_execz .LBB66_29
; %bb.28:
	v_div_scale_f64 v[74:75], null, v[0:1], v[0:1], 1.0
	v_div_scale_f64 v[88:89], vcc_lo, 1.0, v[0:1], 1.0
	v_rcp_f64_e32 v[84:85], v[74:75]
	v_fma_f64 v[86:87], -v[74:75], v[84:85], 1.0
	v_fma_f64 v[84:85], v[84:85], v[86:87], v[84:85]
	v_fma_f64 v[86:87], -v[74:75], v[84:85], 1.0
	v_fma_f64 v[84:85], v[84:85], v[86:87], v[84:85]
	v_mul_f64 v[86:87], v[88:89], v[84:85]
	v_fma_f64 v[74:75], -v[74:75], v[86:87], v[88:89]
	v_div_fmas_f64 v[74:75], v[74:75], v[84:85], v[86:87]
	ds_read2_b64 v[84:87], v80 offset0:2 offset1:3
	ds_read2_b64 v[88:91], v80 offset0:4 offset1:5
	;; [unrolled: 1-line block ×16, first 2 shown]
	v_div_fixup_f64 v[74:75], v[74:75], v[0:1], 1.0
	v_cndmask_b32_e64 v1, v1, v75, s1
	v_cndmask_b32_e64 v0, v0, v74, s1
	v_mul_f64 v[68:69], v[0:1], v[68:69]
	s_waitcnt lgkmcnt(15)
	v_fma_f64 v[66:67], -v[68:69], v[84:85], v[66:67]
	v_fma_f64 v[64:65], -v[68:69], v[86:87], v[64:65]
	s_waitcnt lgkmcnt(14)
	v_fma_f64 v[62:63], -v[68:69], v[88:89], v[62:63]
	v_fma_f64 v[58:59], -v[68:69], v[90:91], v[58:59]
	;; [unrolled: 3-line block ×16, first 2 shown]
.LBB66_29:
	s_or_b32 exec_lo, exec_lo, s2
	v_lshl_add_u32 v0, v83, 3, v80
	s_barrier
	buffer_gl0_inv
	v_mov_b32_e32 v74, 2
	ds_write_b64 v0, v[66:67]
	s_waitcnt lgkmcnt(0)
	s_barrier
	buffer_gl0_inv
	ds_read_b64 v[0:1], v80 offset:16
	s_cmp_lt_i32 s7, 4
	s_mov_b32 s2, 3
	s_cbranch_scc1 .LBB66_32
; %bb.30:
	v_add3_u32 v75, v81, 0, 24
	v_mov_b32_e32 v74, 2
.LBB66_31:                              ; =>This Inner Loop Header: Depth=1
	ds_read_b64 v[84:85], v75
	v_add_nc_u32_e32 v75, 8, v75
	s_waitcnt lgkmcnt(0)
	v_cmp_lt_f64_e64 vcc_lo, |v[0:1]|, |v[84:85]|
	v_cndmask_b32_e32 v1, v1, v85, vcc_lo
	v_cndmask_b32_e32 v0, v0, v84, vcc_lo
	v_cndmask_b32_e64 v74, v74, s2, vcc_lo
	s_add_i32 s2, s2, 1
	s_cmp_lg_u32 s7, s2
	s_cbranch_scc1 .LBB66_31
.LBB66_32:
	v_cndmask_b32_e64 v75, 2, 1, s0
	v_cndmask_b32_e64 v76, 0, 1, s0
	s_mov_b32 s0, exec_lo
	v_cndmask_b32_e64 v82, v75, v76, s1
	s_waitcnt lgkmcnt(0)
	v_cmpx_eq_f64_e32 0, v[0:1]
	s_xor_b32 s0, exec_lo, s0
; %bb.33:
	v_cmp_ne_u32_e32 vcc_lo, 0, v82
	v_cndmask_b32_e32 v82, 3, v82, vcc_lo
; %bb.34:
	s_andn2_saveexec_b32 s0, s0
	s_cbranch_execz .LBB66_36
; %bb.35:
	v_div_scale_f64 v[75:76], null, v[0:1], v[0:1], 1.0
	v_rcp_f64_e32 v[84:85], v[75:76]
	v_fma_f64 v[86:87], -v[75:76], v[84:85], 1.0
	v_fma_f64 v[84:85], v[84:85], v[86:87], v[84:85]
	v_fma_f64 v[86:87], -v[75:76], v[84:85], 1.0
	v_fma_f64 v[84:85], v[84:85], v[86:87], v[84:85]
	v_div_scale_f64 v[86:87], vcc_lo, 1.0, v[0:1], 1.0
	v_mul_f64 v[88:89], v[86:87], v[84:85]
	v_fma_f64 v[75:76], -v[75:76], v[88:89], v[86:87]
	v_div_fmas_f64 v[75:76], v[75:76], v[84:85], v[88:89]
	v_div_fixup_f64 v[0:1], v[75:76], v[0:1], 1.0
.LBB66_36:
	s_or_b32 exec_lo, exec_lo, s0
	s_mov_b32 s0, exec_lo
	v_cmpx_ne_u32_e64 v83, v74
	s_xor_b32 s0, exec_lo, s0
	s_cbranch_execz .LBB66_42
; %bb.37:
	s_mov_b32 s1, exec_lo
	v_cmpx_eq_u32_e32 2, v83
	s_cbranch_execz .LBB66_41
; %bb.38:
	v_cmp_ne_u32_e32 vcc_lo, 2, v74
	s_xor_b32 s2, s6, -1
	s_and_b32 s3, s2, vcc_lo
	s_and_saveexec_b32 s2, s3
	s_cbranch_execz .LBB66_40
; %bb.39:
	v_ashrrev_i32_e32 v75, 31, v74
	v_lshlrev_b64 v[75:76], 2, v[74:75]
	v_add_co_u32 v75, vcc_lo, v4, v75
	v_add_co_ci_u32_e64 v76, null, v5, v76, vcc_lo
	s_clause 0x1
	global_load_dword v77, v[75:76], off
	global_load_dword v83, v[4:5], off offset:8
	s_waitcnt vmcnt(1)
	global_store_dword v[4:5], v77, off offset:8
	s_waitcnt vmcnt(0)
	global_store_dword v[75:76], v83, off
.LBB66_40:
	s_or_b32 exec_lo, exec_lo, s2
	v_mov_b32_e32 v77, v74
	v_mov_b32_e32 v83, v74
.LBB66_41:
	s_or_b32 exec_lo, exec_lo, s1
.LBB66_42:
	s_andn2_saveexec_b32 s0, s0
	s_cbranch_execz .LBB66_44
; %bb.43:
	v_mov_b32_e32 v83, 2
	ds_write2_b64 v80, v[64:65], v[62:63] offset0:3 offset1:4
	ds_write2_b64 v80, v[58:59], v[60:61] offset0:5 offset1:6
	;; [unrolled: 1-line block ×15, first 2 shown]
	ds_write_b64 v80, v[72:73] offset:264
.LBB66_44:
	s_or_b32 exec_lo, exec_lo, s0
	s_mov_b32 s0, exec_lo
	s_waitcnt lgkmcnt(0)
	s_waitcnt_vscnt null, 0x0
	s_barrier
	buffer_gl0_inv
	v_cmpx_lt_i32_e32 2, v83
	s_cbranch_execz .LBB66_46
; %bb.45:
	v_mul_f64 v[66:67], v[0:1], v[66:67]
	ds_read2_b64 v[84:87], v80 offset0:3 offset1:4
	ds_read2_b64 v[88:91], v80 offset0:5 offset1:6
	;; [unrolled: 1-line block ×13, first 2 shown]
	ds_read_b64 v[0:1], v80 offset:264
	s_waitcnt lgkmcnt(13)
	v_fma_f64 v[64:65], -v[66:67], v[84:85], v[64:65]
	v_fma_f64 v[62:63], -v[66:67], v[86:87], v[62:63]
	s_waitcnt lgkmcnt(12)
	v_fma_f64 v[58:59], -v[66:67], v[88:89], v[58:59]
	v_fma_f64 v[60:61], -v[66:67], v[90:91], v[60:61]
	ds_read2_b64 v[84:87], v80 offset0:29 offset1:30
	ds_read2_b64 v[88:91], v80 offset0:31 offset1:32
	s_waitcnt lgkmcnt(13)
	v_fma_f64 v[54:55], -v[66:67], v[92:93], v[54:55]
	v_fma_f64 v[56:57], -v[66:67], v[94:95], v[56:57]
	s_waitcnt lgkmcnt(12)
	v_fma_f64 v[52:53], -v[66:67], v[96:97], v[52:53]
	v_fma_f64 v[50:51], -v[66:67], v[98:99], v[50:51]
	s_waitcnt lgkmcnt(11)
	v_fma_f64 v[48:49], -v[66:67], v[100:101], v[48:49]
	v_fma_f64 v[46:47], -v[66:67], v[102:103], v[46:47]
	s_waitcnt lgkmcnt(10)
	v_fma_f64 v[44:45], -v[66:67], v[104:105], v[44:45]
	v_fma_f64 v[42:43], -v[66:67], v[106:107], v[42:43]
	s_waitcnt lgkmcnt(9)
	v_fma_f64 v[38:39], -v[66:67], v[108:109], v[38:39]
	v_fma_f64 v[40:41], -v[66:67], v[110:111], v[40:41]
	s_waitcnt lgkmcnt(8)
	v_fma_f64 v[34:35], -v[66:67], v[112:113], v[34:35]
	v_fma_f64 v[36:37], -v[66:67], v[114:115], v[36:37]
	s_waitcnt lgkmcnt(7)
	v_fma_f64 v[32:33], -v[66:67], v[116:117], v[32:33]
	v_fma_f64 v[30:31], -v[66:67], v[118:119], v[30:31]
	s_waitcnt lgkmcnt(6)
	v_fma_f64 v[28:29], -v[66:67], v[120:121], v[28:29]
	v_fma_f64 v[26:27], -v[66:67], v[122:123], v[26:27]
	s_waitcnt lgkmcnt(5)
	v_fma_f64 v[24:25], -v[66:67], v[124:125], v[24:25]
	v_fma_f64 v[22:23], -v[66:67], v[126:127], v[22:23]
	s_waitcnt lgkmcnt(4)
	v_fma_f64 v[18:19], -v[66:67], v[128:129], v[18:19]
	v_fma_f64 v[20:21], -v[66:67], v[130:131], v[20:21]
	s_waitcnt lgkmcnt(3)
	v_fma_f64 v[16:17], -v[66:67], v[132:133], v[16:17]
	v_fma_f64 v[14:15], -v[66:67], v[134:135], v[14:15]
	s_waitcnt lgkmcnt(1)
	v_fma_f64 v[8:9], -v[66:67], v[84:85], v[8:9]
	v_fma_f64 v[12:13], -v[66:67], v[86:87], v[12:13]
	s_waitcnt lgkmcnt(0)
	v_fma_f64 v[6:7], -v[66:67], v[88:89], v[6:7]
	v_fma_f64 v[10:11], -v[66:67], v[90:91], v[10:11]
	v_fma_f64 v[72:73], -v[66:67], v[0:1], v[72:73]
.LBB66_46:
	s_or_b32 exec_lo, exec_lo, s0
	v_lshl_add_u32 v0, v83, 3, v80
	s_barrier
	buffer_gl0_inv
	v_mov_b32_e32 v74, 3
	ds_write_b64 v0, v[64:65]
	s_waitcnt lgkmcnt(0)
	s_barrier
	buffer_gl0_inv
	ds_read_b64 v[0:1], v80 offset:24
	s_cmp_lt_i32 s7, 5
	s_cbranch_scc1 .LBB66_49
; %bb.47:
	v_mov_b32_e32 v74, 3
	v_add3_u32 v75, v81, 0, 32
	s_mov_b32 s0, 4
.LBB66_48:                              ; =>This Inner Loop Header: Depth=1
	ds_read_b64 v[84:85], v75
	v_add_nc_u32_e32 v75, 8, v75
	s_waitcnt lgkmcnt(0)
	v_cmp_lt_f64_e64 vcc_lo, |v[0:1]|, |v[84:85]|
	v_cndmask_b32_e32 v1, v1, v85, vcc_lo
	v_cndmask_b32_e32 v0, v0, v84, vcc_lo
	v_cndmask_b32_e64 v74, v74, s0, vcc_lo
	s_add_i32 s0, s0, 1
	s_cmp_lg_u32 s7, s0
	s_cbranch_scc1 .LBB66_48
.LBB66_49:
	s_mov_b32 s0, exec_lo
	s_waitcnt lgkmcnt(0)
	v_cmpx_eq_f64_e32 0, v[0:1]
	s_xor_b32 s0, exec_lo, s0
; %bb.50:
	v_cmp_ne_u32_e32 vcc_lo, 0, v82
	v_cndmask_b32_e32 v82, 4, v82, vcc_lo
; %bb.51:
	s_andn2_saveexec_b32 s0, s0
	s_cbranch_execz .LBB66_53
; %bb.52:
	v_div_scale_f64 v[75:76], null, v[0:1], v[0:1], 1.0
	v_rcp_f64_e32 v[84:85], v[75:76]
	v_fma_f64 v[86:87], -v[75:76], v[84:85], 1.0
	v_fma_f64 v[84:85], v[84:85], v[86:87], v[84:85]
	v_fma_f64 v[86:87], -v[75:76], v[84:85], 1.0
	v_fma_f64 v[84:85], v[84:85], v[86:87], v[84:85]
	v_div_scale_f64 v[86:87], vcc_lo, 1.0, v[0:1], 1.0
	v_mul_f64 v[88:89], v[86:87], v[84:85]
	v_fma_f64 v[75:76], -v[75:76], v[88:89], v[86:87]
	v_div_fmas_f64 v[75:76], v[75:76], v[84:85], v[88:89]
	v_div_fixup_f64 v[0:1], v[75:76], v[0:1], 1.0
.LBB66_53:
	s_or_b32 exec_lo, exec_lo, s0
	s_mov_b32 s0, exec_lo
	v_cmpx_ne_u32_e64 v83, v74
	s_xor_b32 s0, exec_lo, s0
	s_cbranch_execz .LBB66_59
; %bb.54:
	s_mov_b32 s1, exec_lo
	v_cmpx_eq_u32_e32 3, v83
	s_cbranch_execz .LBB66_58
; %bb.55:
	v_cmp_ne_u32_e32 vcc_lo, 3, v74
	s_xor_b32 s2, s6, -1
	s_and_b32 s3, s2, vcc_lo
	s_and_saveexec_b32 s2, s3
	s_cbranch_execz .LBB66_57
; %bb.56:
	v_ashrrev_i32_e32 v75, 31, v74
	v_lshlrev_b64 v[75:76], 2, v[74:75]
	v_add_co_u32 v75, vcc_lo, v4, v75
	v_add_co_ci_u32_e64 v76, null, v5, v76, vcc_lo
	s_clause 0x1
	global_load_dword v77, v[75:76], off
	global_load_dword v83, v[4:5], off offset:12
	s_waitcnt vmcnt(1)
	global_store_dword v[4:5], v77, off offset:12
	s_waitcnt vmcnt(0)
	global_store_dword v[75:76], v83, off
.LBB66_57:
	s_or_b32 exec_lo, exec_lo, s2
	v_mov_b32_e32 v77, v74
	v_mov_b32_e32 v83, v74
.LBB66_58:
	s_or_b32 exec_lo, exec_lo, s1
.LBB66_59:
	s_andn2_saveexec_b32 s0, s0
	s_cbranch_execz .LBB66_61
; %bb.60:
	v_mov_b32_e32 v74, v62
	v_mov_b32_e32 v75, v63
	;; [unrolled: 1-line block ×8, first 2 shown]
	ds_write2_b64 v80, v[74:75], v[83:84] offset0:4 offset1:5
	v_mov_b32_e32 v74, v54
	v_mov_b32_e32 v75, v55
	;; [unrolled: 1-line block ×16, first 2 shown]
	ds_write2_b64 v80, v[85:86], v[74:75] offset0:6 offset1:7
	ds_write2_b64 v80, v[83:84], v[87:88] offset0:8 offset1:9
	;; [unrolled: 1-line block ×5, first 2 shown]
	v_mov_b32_e32 v74, v40
	v_mov_b32_e32 v75, v41
	;; [unrolled: 1-line block ×20, first 2 shown]
	ds_write2_b64 v80, v[74:75], v[83:84] offset0:16 offset1:17
	ds_write2_b64 v80, v[85:86], v[87:88] offset0:18 offset1:19
	;; [unrolled: 1-line block ×5, first 2 shown]
	v_mov_b32_e32 v74, v20
	v_mov_b32_e32 v75, v21
	;; [unrolled: 1-line block ×15, first 2 shown]
	ds_write2_b64 v80, v[74:75], v[84:85] offset0:26 offset1:27
	ds_write2_b64 v80, v[86:87], v[88:89] offset0:28 offset1:29
	;; [unrolled: 1-line block ×4, first 2 shown]
.LBB66_61:
	s_or_b32 exec_lo, exec_lo, s0
	s_mov_b32 s0, exec_lo
	s_waitcnt lgkmcnt(0)
	s_waitcnt_vscnt null, 0x0
	s_barrier
	buffer_gl0_inv
	v_cmpx_lt_i32_e32 3, v83
	s_cbranch_execz .LBB66_63
; %bb.62:
	v_mul_f64 v[64:65], v[0:1], v[64:65]
	ds_read2_b64 v[84:87], v80 offset0:4 offset1:5
	ds_read2_b64 v[88:91], v80 offset0:6 offset1:7
	;; [unrolled: 1-line block ×14, first 2 shown]
	s_waitcnt lgkmcnt(13)
	v_fma_f64 v[62:63], -v[64:65], v[84:85], v[62:63]
	v_fma_f64 v[58:59], -v[64:65], v[86:87], v[58:59]
	ds_read2_b64 v[84:87], v80 offset0:32 offset1:33
	s_waitcnt lgkmcnt(13)
	v_fma_f64 v[60:61], -v[64:65], v[88:89], v[60:61]
	v_fma_f64 v[54:55], -v[64:65], v[90:91], v[54:55]
	s_waitcnt lgkmcnt(12)
	v_fma_f64 v[56:57], -v[64:65], v[92:93], v[56:57]
	v_fma_f64 v[52:53], -v[64:65], v[94:95], v[52:53]
	;; [unrolled: 3-line block ×14, first 2 shown]
.LBB66_63:
	s_or_b32 exec_lo, exec_lo, s0
	v_lshl_add_u32 v0, v83, 3, v80
	s_barrier
	buffer_gl0_inv
	v_mov_b32_e32 v74, 4
	ds_write_b64 v0, v[62:63]
	s_waitcnt lgkmcnt(0)
	s_barrier
	buffer_gl0_inv
	ds_read_b64 v[0:1], v80 offset:32
	s_cmp_lt_i32 s7, 6
	s_cbranch_scc1 .LBB66_66
; %bb.64:
	v_add3_u32 v75, v81, 0, 40
	v_mov_b32_e32 v74, 4
	s_mov_b32 s0, 5
.LBB66_65:                              ; =>This Inner Loop Header: Depth=1
	ds_read_b64 v[84:85], v75
	v_add_nc_u32_e32 v75, 8, v75
	s_waitcnt lgkmcnt(0)
	v_cmp_lt_f64_e64 vcc_lo, |v[0:1]|, |v[84:85]|
	v_cndmask_b32_e32 v1, v1, v85, vcc_lo
	v_cndmask_b32_e32 v0, v0, v84, vcc_lo
	v_cndmask_b32_e64 v74, v74, s0, vcc_lo
	s_add_i32 s0, s0, 1
	s_cmp_lg_u32 s7, s0
	s_cbranch_scc1 .LBB66_65
.LBB66_66:
	s_mov_b32 s0, exec_lo
	s_waitcnt lgkmcnt(0)
	v_cmpx_eq_f64_e32 0, v[0:1]
	s_xor_b32 s0, exec_lo, s0
; %bb.67:
	v_cmp_ne_u32_e32 vcc_lo, 0, v82
	v_cndmask_b32_e32 v82, 5, v82, vcc_lo
; %bb.68:
	s_andn2_saveexec_b32 s0, s0
	s_cbranch_execz .LBB66_70
; %bb.69:
	v_div_scale_f64 v[75:76], null, v[0:1], v[0:1], 1.0
	v_rcp_f64_e32 v[84:85], v[75:76]
	v_fma_f64 v[86:87], -v[75:76], v[84:85], 1.0
	v_fma_f64 v[84:85], v[84:85], v[86:87], v[84:85]
	v_fma_f64 v[86:87], -v[75:76], v[84:85], 1.0
	v_fma_f64 v[84:85], v[84:85], v[86:87], v[84:85]
	v_div_scale_f64 v[86:87], vcc_lo, 1.0, v[0:1], 1.0
	v_mul_f64 v[88:89], v[86:87], v[84:85]
	v_fma_f64 v[75:76], -v[75:76], v[88:89], v[86:87]
	v_div_fmas_f64 v[75:76], v[75:76], v[84:85], v[88:89]
	v_div_fixup_f64 v[0:1], v[75:76], v[0:1], 1.0
.LBB66_70:
	s_or_b32 exec_lo, exec_lo, s0
	s_mov_b32 s0, exec_lo
	v_cmpx_ne_u32_e64 v83, v74
	s_xor_b32 s0, exec_lo, s0
	s_cbranch_execz .LBB66_76
; %bb.71:
	s_mov_b32 s1, exec_lo
	v_cmpx_eq_u32_e32 4, v83
	s_cbranch_execz .LBB66_75
; %bb.72:
	v_cmp_ne_u32_e32 vcc_lo, 4, v74
	s_xor_b32 s2, s6, -1
	s_and_b32 s3, s2, vcc_lo
	s_and_saveexec_b32 s2, s3
	s_cbranch_execz .LBB66_74
; %bb.73:
	v_ashrrev_i32_e32 v75, 31, v74
	v_lshlrev_b64 v[75:76], 2, v[74:75]
	v_add_co_u32 v75, vcc_lo, v4, v75
	v_add_co_ci_u32_e64 v76, null, v5, v76, vcc_lo
	s_clause 0x1
	global_load_dword v77, v[75:76], off
	global_load_dword v83, v[4:5], off offset:16
	s_waitcnt vmcnt(1)
	global_store_dword v[4:5], v77, off offset:16
	s_waitcnt vmcnt(0)
	global_store_dword v[75:76], v83, off
.LBB66_74:
	s_or_b32 exec_lo, exec_lo, s2
	v_mov_b32_e32 v77, v74
	v_mov_b32_e32 v83, v74
.LBB66_75:
	s_or_b32 exec_lo, exec_lo, s1
.LBB66_76:
	s_andn2_saveexec_b32 s0, s0
	s_cbranch_execz .LBB66_78
; %bb.77:
	v_mov_b32_e32 v83, 4
	ds_write2_b64 v80, v[58:59], v[60:61] offset0:5 offset1:6
	ds_write2_b64 v80, v[54:55], v[56:57] offset0:7 offset1:8
	;; [unrolled: 1-line block ×14, first 2 shown]
	ds_write_b64 v80, v[72:73] offset:264
.LBB66_78:
	s_or_b32 exec_lo, exec_lo, s0
	s_mov_b32 s0, exec_lo
	s_waitcnt lgkmcnt(0)
	s_waitcnt_vscnt null, 0x0
	s_barrier
	buffer_gl0_inv
	v_cmpx_lt_i32_e32 4, v83
	s_cbranch_execz .LBB66_80
; %bb.79:
	v_mul_f64 v[62:63], v[0:1], v[62:63]
	ds_read2_b64 v[84:87], v80 offset0:5 offset1:6
	ds_read2_b64 v[88:91], v80 offset0:7 offset1:8
	;; [unrolled: 1-line block ×14, first 2 shown]
	ds_read_b64 v[0:1], v80 offset:264
	s_waitcnt lgkmcnt(14)
	v_fma_f64 v[58:59], -v[62:63], v[84:85], v[58:59]
	v_fma_f64 v[60:61], -v[62:63], v[86:87], v[60:61]
	s_waitcnt lgkmcnt(13)
	v_fma_f64 v[54:55], -v[62:63], v[88:89], v[54:55]
	v_fma_f64 v[56:57], -v[62:63], v[90:91], v[56:57]
	;; [unrolled: 3-line block ×14, first 2 shown]
	s_waitcnt lgkmcnt(0)
	v_fma_f64 v[72:73], -v[62:63], v[0:1], v[72:73]
.LBB66_80:
	s_or_b32 exec_lo, exec_lo, s0
	v_lshl_add_u32 v0, v83, 3, v80
	s_barrier
	buffer_gl0_inv
	v_mov_b32_e32 v74, 5
	ds_write_b64 v0, v[58:59]
	s_waitcnt lgkmcnt(0)
	s_barrier
	buffer_gl0_inv
	ds_read_b64 v[0:1], v80 offset:40
	s_cmp_lt_i32 s7, 7
	s_cbranch_scc1 .LBB66_83
; %bb.81:
	v_add3_u32 v75, v81, 0, 48
	v_mov_b32_e32 v74, 5
	s_mov_b32 s0, 6
.LBB66_82:                              ; =>This Inner Loop Header: Depth=1
	ds_read_b64 v[84:85], v75
	v_add_nc_u32_e32 v75, 8, v75
	s_waitcnt lgkmcnt(0)
	v_cmp_lt_f64_e64 vcc_lo, |v[0:1]|, |v[84:85]|
	v_cndmask_b32_e32 v1, v1, v85, vcc_lo
	v_cndmask_b32_e32 v0, v0, v84, vcc_lo
	v_cndmask_b32_e64 v74, v74, s0, vcc_lo
	s_add_i32 s0, s0, 1
	s_cmp_lg_u32 s7, s0
	s_cbranch_scc1 .LBB66_82
.LBB66_83:
	s_mov_b32 s0, exec_lo
	s_waitcnt lgkmcnt(0)
	v_cmpx_eq_f64_e32 0, v[0:1]
	s_xor_b32 s0, exec_lo, s0
; %bb.84:
	v_cmp_ne_u32_e32 vcc_lo, 0, v82
	v_cndmask_b32_e32 v82, 6, v82, vcc_lo
; %bb.85:
	s_andn2_saveexec_b32 s0, s0
	s_cbranch_execz .LBB66_87
; %bb.86:
	v_div_scale_f64 v[75:76], null, v[0:1], v[0:1], 1.0
	v_rcp_f64_e32 v[84:85], v[75:76]
	v_fma_f64 v[86:87], -v[75:76], v[84:85], 1.0
	v_fma_f64 v[84:85], v[84:85], v[86:87], v[84:85]
	v_fma_f64 v[86:87], -v[75:76], v[84:85], 1.0
	v_fma_f64 v[84:85], v[84:85], v[86:87], v[84:85]
	v_div_scale_f64 v[86:87], vcc_lo, 1.0, v[0:1], 1.0
	v_mul_f64 v[88:89], v[86:87], v[84:85]
	v_fma_f64 v[75:76], -v[75:76], v[88:89], v[86:87]
	v_div_fmas_f64 v[75:76], v[75:76], v[84:85], v[88:89]
	v_div_fixup_f64 v[0:1], v[75:76], v[0:1], 1.0
.LBB66_87:
	s_or_b32 exec_lo, exec_lo, s0
	s_mov_b32 s0, exec_lo
	v_cmpx_ne_u32_e64 v83, v74
	s_xor_b32 s0, exec_lo, s0
	s_cbranch_execz .LBB66_93
; %bb.88:
	s_mov_b32 s1, exec_lo
	v_cmpx_eq_u32_e32 5, v83
	s_cbranch_execz .LBB66_92
; %bb.89:
	v_cmp_ne_u32_e32 vcc_lo, 5, v74
	s_xor_b32 s2, s6, -1
	s_and_b32 s3, s2, vcc_lo
	s_and_saveexec_b32 s2, s3
	s_cbranch_execz .LBB66_91
; %bb.90:
	v_ashrrev_i32_e32 v75, 31, v74
	v_lshlrev_b64 v[75:76], 2, v[74:75]
	v_add_co_u32 v75, vcc_lo, v4, v75
	v_add_co_ci_u32_e64 v76, null, v5, v76, vcc_lo
	s_clause 0x1
	global_load_dword v77, v[75:76], off
	global_load_dword v83, v[4:5], off offset:20
	s_waitcnt vmcnt(1)
	global_store_dword v[4:5], v77, off offset:20
	s_waitcnt vmcnt(0)
	global_store_dword v[75:76], v83, off
.LBB66_91:
	s_or_b32 exec_lo, exec_lo, s2
	v_mov_b32_e32 v77, v74
	v_mov_b32_e32 v83, v74
.LBB66_92:
	s_or_b32 exec_lo, exec_lo, s1
.LBB66_93:
	s_andn2_saveexec_b32 s0, s0
	s_cbranch_execz .LBB66_95
; %bb.94:
	v_mov_b32_e32 v74, v60
	v_mov_b32_e32 v75, v61
	;; [unrolled: 1-line block ×20, first 2 shown]
	ds_write2_b64 v80, v[74:75], v[83:84] offset0:6 offset1:7
	ds_write2_b64 v80, v[85:86], v[87:88] offset0:8 offset1:9
	;; [unrolled: 1-line block ×5, first 2 shown]
	v_mov_b32_e32 v74, v40
	v_mov_b32_e32 v75, v41
	;; [unrolled: 1-line block ×20, first 2 shown]
	ds_write2_b64 v80, v[74:75], v[83:84] offset0:16 offset1:17
	ds_write2_b64 v80, v[85:86], v[87:88] offset0:18 offset1:19
	;; [unrolled: 1-line block ×5, first 2 shown]
	v_mov_b32_e32 v74, v20
	v_mov_b32_e32 v75, v21
	;; [unrolled: 1-line block ×15, first 2 shown]
	ds_write2_b64 v80, v[74:75], v[84:85] offset0:26 offset1:27
	ds_write2_b64 v80, v[86:87], v[88:89] offset0:28 offset1:29
	;; [unrolled: 1-line block ×4, first 2 shown]
.LBB66_95:
	s_or_b32 exec_lo, exec_lo, s0
	s_mov_b32 s0, exec_lo
	s_waitcnt lgkmcnt(0)
	s_waitcnt_vscnt null, 0x0
	s_barrier
	buffer_gl0_inv
	v_cmpx_lt_i32_e32 5, v83
	s_cbranch_execz .LBB66_97
; %bb.96:
	v_mul_f64 v[58:59], v[0:1], v[58:59]
	ds_read2_b64 v[84:87], v80 offset0:6 offset1:7
	ds_read2_b64 v[88:91], v80 offset0:8 offset1:9
	;; [unrolled: 1-line block ×14, first 2 shown]
	s_waitcnt lgkmcnt(13)
	v_fma_f64 v[60:61], -v[58:59], v[84:85], v[60:61]
	v_fma_f64 v[54:55], -v[58:59], v[86:87], v[54:55]
	s_waitcnt lgkmcnt(12)
	v_fma_f64 v[56:57], -v[58:59], v[88:89], v[56:57]
	v_fma_f64 v[52:53], -v[58:59], v[90:91], v[52:53]
	;; [unrolled: 3-line block ×14, first 2 shown]
.LBB66_97:
	s_or_b32 exec_lo, exec_lo, s0
	v_lshl_add_u32 v0, v83, 3, v80
	s_barrier
	buffer_gl0_inv
	v_mov_b32_e32 v74, 6
	ds_write_b64 v0, v[60:61]
	s_waitcnt lgkmcnt(0)
	s_barrier
	buffer_gl0_inv
	ds_read_b64 v[0:1], v80 offset:48
	s_cmp_lt_i32 s7, 8
	s_cbranch_scc1 .LBB66_100
; %bb.98:
	v_add3_u32 v75, v81, 0, 56
	v_mov_b32_e32 v74, 6
	s_mov_b32 s0, 7
.LBB66_99:                              ; =>This Inner Loop Header: Depth=1
	ds_read_b64 v[84:85], v75
	v_add_nc_u32_e32 v75, 8, v75
	s_waitcnt lgkmcnt(0)
	v_cmp_lt_f64_e64 vcc_lo, |v[0:1]|, |v[84:85]|
	v_cndmask_b32_e32 v1, v1, v85, vcc_lo
	v_cndmask_b32_e32 v0, v0, v84, vcc_lo
	v_cndmask_b32_e64 v74, v74, s0, vcc_lo
	s_add_i32 s0, s0, 1
	s_cmp_lg_u32 s7, s0
	s_cbranch_scc1 .LBB66_99
.LBB66_100:
	s_mov_b32 s0, exec_lo
	s_waitcnt lgkmcnt(0)
	v_cmpx_eq_f64_e32 0, v[0:1]
	s_xor_b32 s0, exec_lo, s0
; %bb.101:
	v_cmp_ne_u32_e32 vcc_lo, 0, v82
	v_cndmask_b32_e32 v82, 7, v82, vcc_lo
; %bb.102:
	s_andn2_saveexec_b32 s0, s0
	s_cbranch_execz .LBB66_104
; %bb.103:
	v_div_scale_f64 v[75:76], null, v[0:1], v[0:1], 1.0
	v_rcp_f64_e32 v[84:85], v[75:76]
	v_fma_f64 v[86:87], -v[75:76], v[84:85], 1.0
	v_fma_f64 v[84:85], v[84:85], v[86:87], v[84:85]
	v_fma_f64 v[86:87], -v[75:76], v[84:85], 1.0
	v_fma_f64 v[84:85], v[84:85], v[86:87], v[84:85]
	v_div_scale_f64 v[86:87], vcc_lo, 1.0, v[0:1], 1.0
	v_mul_f64 v[88:89], v[86:87], v[84:85]
	v_fma_f64 v[75:76], -v[75:76], v[88:89], v[86:87]
	v_div_fmas_f64 v[75:76], v[75:76], v[84:85], v[88:89]
	v_div_fixup_f64 v[0:1], v[75:76], v[0:1], 1.0
.LBB66_104:
	s_or_b32 exec_lo, exec_lo, s0
	s_mov_b32 s0, exec_lo
	v_cmpx_ne_u32_e64 v83, v74
	s_xor_b32 s0, exec_lo, s0
	s_cbranch_execz .LBB66_110
; %bb.105:
	s_mov_b32 s1, exec_lo
	v_cmpx_eq_u32_e32 6, v83
	s_cbranch_execz .LBB66_109
; %bb.106:
	v_cmp_ne_u32_e32 vcc_lo, 6, v74
	s_xor_b32 s2, s6, -1
	s_and_b32 s3, s2, vcc_lo
	s_and_saveexec_b32 s2, s3
	s_cbranch_execz .LBB66_108
; %bb.107:
	v_ashrrev_i32_e32 v75, 31, v74
	v_lshlrev_b64 v[75:76], 2, v[74:75]
	v_add_co_u32 v75, vcc_lo, v4, v75
	v_add_co_ci_u32_e64 v76, null, v5, v76, vcc_lo
	s_clause 0x1
	global_load_dword v77, v[75:76], off
	global_load_dword v83, v[4:5], off offset:24
	s_waitcnt vmcnt(1)
	global_store_dword v[4:5], v77, off offset:24
	s_waitcnt vmcnt(0)
	global_store_dword v[75:76], v83, off
.LBB66_108:
	s_or_b32 exec_lo, exec_lo, s2
	v_mov_b32_e32 v77, v74
	v_mov_b32_e32 v83, v74
.LBB66_109:
	s_or_b32 exec_lo, exec_lo, s1
.LBB66_110:
	s_andn2_saveexec_b32 s0, s0
	s_cbranch_execz .LBB66_112
; %bb.111:
	v_mov_b32_e32 v83, 6
	ds_write2_b64 v80, v[54:55], v[56:57] offset0:7 offset1:8
	ds_write2_b64 v80, v[52:53], v[50:51] offset0:9 offset1:10
	;; [unrolled: 1-line block ×13, first 2 shown]
	ds_write_b64 v80, v[72:73] offset:264
.LBB66_112:
	s_or_b32 exec_lo, exec_lo, s0
	s_mov_b32 s0, exec_lo
	s_waitcnt lgkmcnt(0)
	s_waitcnt_vscnt null, 0x0
	s_barrier
	buffer_gl0_inv
	v_cmpx_lt_i32_e32 6, v83
	s_cbranch_execz .LBB66_114
; %bb.113:
	v_mul_f64 v[60:61], v[0:1], v[60:61]
	ds_read2_b64 v[84:87], v80 offset0:7 offset1:8
	ds_read2_b64 v[88:91], v80 offset0:9 offset1:10
	;; [unrolled: 1-line block ×13, first 2 shown]
	ds_read_b64 v[0:1], v80 offset:264
	s_waitcnt lgkmcnt(13)
	v_fma_f64 v[54:55], -v[60:61], v[84:85], v[54:55]
	v_fma_f64 v[56:57], -v[60:61], v[86:87], v[56:57]
	s_waitcnt lgkmcnt(12)
	v_fma_f64 v[52:53], -v[60:61], v[88:89], v[52:53]
	v_fma_f64 v[50:51], -v[60:61], v[90:91], v[50:51]
	s_waitcnt lgkmcnt(11)
	v_fma_f64 v[48:49], -v[60:61], v[92:93], v[48:49]
	v_fma_f64 v[46:47], -v[60:61], v[94:95], v[46:47]
	s_waitcnt lgkmcnt(10)
	v_fma_f64 v[44:45], -v[60:61], v[96:97], v[44:45]
	v_fma_f64 v[42:43], -v[60:61], v[98:99], v[42:43]
	s_waitcnt lgkmcnt(9)
	v_fma_f64 v[38:39], -v[60:61], v[100:101], v[38:39]
	v_fma_f64 v[40:41], -v[60:61], v[102:103], v[40:41]
	s_waitcnt lgkmcnt(8)
	v_fma_f64 v[34:35], -v[60:61], v[104:105], v[34:35]
	v_fma_f64 v[36:37], -v[60:61], v[106:107], v[36:37]
	s_waitcnt lgkmcnt(7)
	v_fma_f64 v[32:33], -v[60:61], v[108:109], v[32:33]
	v_fma_f64 v[30:31], -v[60:61], v[110:111], v[30:31]
	s_waitcnt lgkmcnt(6)
	v_fma_f64 v[28:29], -v[60:61], v[112:113], v[28:29]
	v_fma_f64 v[26:27], -v[60:61], v[114:115], v[26:27]
	s_waitcnt lgkmcnt(5)
	v_fma_f64 v[24:25], -v[60:61], v[116:117], v[24:25]
	v_fma_f64 v[22:23], -v[60:61], v[118:119], v[22:23]
	s_waitcnt lgkmcnt(4)
	v_fma_f64 v[18:19], -v[60:61], v[120:121], v[18:19]
	v_fma_f64 v[20:21], -v[60:61], v[122:123], v[20:21]
	s_waitcnt lgkmcnt(3)
	v_fma_f64 v[16:17], -v[60:61], v[124:125], v[16:17]
	v_fma_f64 v[14:15], -v[60:61], v[126:127], v[14:15]
	s_waitcnt lgkmcnt(2)
	v_fma_f64 v[8:9], -v[60:61], v[128:129], v[8:9]
	v_fma_f64 v[12:13], -v[60:61], v[130:131], v[12:13]
	s_waitcnt lgkmcnt(1)
	v_fma_f64 v[6:7], -v[60:61], v[132:133], v[6:7]
	v_fma_f64 v[10:11], -v[60:61], v[134:135], v[10:11]
	s_waitcnt lgkmcnt(0)
	v_fma_f64 v[72:73], -v[60:61], v[0:1], v[72:73]
.LBB66_114:
	s_or_b32 exec_lo, exec_lo, s0
	v_lshl_add_u32 v0, v83, 3, v80
	s_barrier
	buffer_gl0_inv
	v_mov_b32_e32 v74, 7
	ds_write_b64 v0, v[54:55]
	s_waitcnt lgkmcnt(0)
	s_barrier
	buffer_gl0_inv
	ds_read_b64 v[0:1], v80 offset:56
	s_cmp_lt_i32 s7, 9
	s_cbranch_scc1 .LBB66_117
; %bb.115:
	v_add3_u32 v75, v81, 0, 64
	v_mov_b32_e32 v74, 7
	s_mov_b32 s0, 8
.LBB66_116:                             ; =>This Inner Loop Header: Depth=1
	ds_read_b64 v[84:85], v75
	v_add_nc_u32_e32 v75, 8, v75
	s_waitcnt lgkmcnt(0)
	v_cmp_lt_f64_e64 vcc_lo, |v[0:1]|, |v[84:85]|
	v_cndmask_b32_e32 v1, v1, v85, vcc_lo
	v_cndmask_b32_e32 v0, v0, v84, vcc_lo
	v_cndmask_b32_e64 v74, v74, s0, vcc_lo
	s_add_i32 s0, s0, 1
	s_cmp_lg_u32 s7, s0
	s_cbranch_scc1 .LBB66_116
.LBB66_117:
	s_mov_b32 s0, exec_lo
	s_waitcnt lgkmcnt(0)
	v_cmpx_eq_f64_e32 0, v[0:1]
	s_xor_b32 s0, exec_lo, s0
; %bb.118:
	v_cmp_ne_u32_e32 vcc_lo, 0, v82
	v_cndmask_b32_e32 v82, 8, v82, vcc_lo
; %bb.119:
	s_andn2_saveexec_b32 s0, s0
	s_cbranch_execz .LBB66_121
; %bb.120:
	v_div_scale_f64 v[75:76], null, v[0:1], v[0:1], 1.0
	v_rcp_f64_e32 v[84:85], v[75:76]
	v_fma_f64 v[86:87], -v[75:76], v[84:85], 1.0
	v_fma_f64 v[84:85], v[84:85], v[86:87], v[84:85]
	v_fma_f64 v[86:87], -v[75:76], v[84:85], 1.0
	v_fma_f64 v[84:85], v[84:85], v[86:87], v[84:85]
	v_div_scale_f64 v[86:87], vcc_lo, 1.0, v[0:1], 1.0
	v_mul_f64 v[88:89], v[86:87], v[84:85]
	v_fma_f64 v[75:76], -v[75:76], v[88:89], v[86:87]
	v_div_fmas_f64 v[75:76], v[75:76], v[84:85], v[88:89]
	v_div_fixup_f64 v[0:1], v[75:76], v[0:1], 1.0
.LBB66_121:
	s_or_b32 exec_lo, exec_lo, s0
	s_mov_b32 s0, exec_lo
	v_cmpx_ne_u32_e64 v83, v74
	s_xor_b32 s0, exec_lo, s0
	s_cbranch_execz .LBB66_127
; %bb.122:
	s_mov_b32 s1, exec_lo
	v_cmpx_eq_u32_e32 7, v83
	s_cbranch_execz .LBB66_126
; %bb.123:
	v_cmp_ne_u32_e32 vcc_lo, 7, v74
	s_xor_b32 s2, s6, -1
	s_and_b32 s3, s2, vcc_lo
	s_and_saveexec_b32 s2, s3
	s_cbranch_execz .LBB66_125
; %bb.124:
	v_ashrrev_i32_e32 v75, 31, v74
	v_lshlrev_b64 v[75:76], 2, v[74:75]
	v_add_co_u32 v75, vcc_lo, v4, v75
	v_add_co_ci_u32_e64 v76, null, v5, v76, vcc_lo
	s_clause 0x1
	global_load_dword v77, v[75:76], off
	global_load_dword v83, v[4:5], off offset:28
	s_waitcnt vmcnt(1)
	global_store_dword v[4:5], v77, off offset:28
	s_waitcnt vmcnt(0)
	global_store_dword v[75:76], v83, off
.LBB66_125:
	s_or_b32 exec_lo, exec_lo, s2
	v_mov_b32_e32 v77, v74
	v_mov_b32_e32 v83, v74
.LBB66_126:
	s_or_b32 exec_lo, exec_lo, s1
.LBB66_127:
	s_andn2_saveexec_b32 s0, s0
	s_cbranch_execz .LBB66_129
; %bb.128:
	v_mov_b32_e32 v74, v56
	v_mov_b32_e32 v75, v57
	;; [unrolled: 1-line block ×16, first 2 shown]
	ds_write2_b64 v80, v[74:75], v[83:84] offset0:8 offset1:9
	ds_write2_b64 v80, v[85:86], v[87:88] offset0:10 offset1:11
	;; [unrolled: 1-line block ×4, first 2 shown]
	v_mov_b32_e32 v74, v40
	v_mov_b32_e32 v75, v41
	;; [unrolled: 1-line block ×20, first 2 shown]
	ds_write2_b64 v80, v[74:75], v[83:84] offset0:16 offset1:17
	ds_write2_b64 v80, v[85:86], v[87:88] offset0:18 offset1:19
	;; [unrolled: 1-line block ×5, first 2 shown]
	v_mov_b32_e32 v74, v20
	v_mov_b32_e32 v75, v21
	;; [unrolled: 1-line block ×15, first 2 shown]
	ds_write2_b64 v80, v[74:75], v[84:85] offset0:26 offset1:27
	ds_write2_b64 v80, v[86:87], v[88:89] offset0:28 offset1:29
	;; [unrolled: 1-line block ×4, first 2 shown]
.LBB66_129:
	s_or_b32 exec_lo, exec_lo, s0
	s_mov_b32 s0, exec_lo
	s_waitcnt lgkmcnt(0)
	s_waitcnt_vscnt null, 0x0
	s_barrier
	buffer_gl0_inv
	v_cmpx_lt_i32_e32 7, v83
	s_cbranch_execz .LBB66_131
; %bb.130:
	v_mul_f64 v[54:55], v[0:1], v[54:55]
	ds_read2_b64 v[84:87], v80 offset0:8 offset1:9
	ds_read2_b64 v[88:91], v80 offset0:10 offset1:11
	;; [unrolled: 1-line block ×13, first 2 shown]
	s_waitcnt lgkmcnt(12)
	v_fma_f64 v[56:57], -v[54:55], v[84:85], v[56:57]
	v_fma_f64 v[52:53], -v[54:55], v[86:87], v[52:53]
	s_waitcnt lgkmcnt(11)
	v_fma_f64 v[50:51], -v[54:55], v[88:89], v[50:51]
	v_fma_f64 v[48:49], -v[54:55], v[90:91], v[48:49]
	;; [unrolled: 3-line block ×13, first 2 shown]
.LBB66_131:
	s_or_b32 exec_lo, exec_lo, s0
	v_lshl_add_u32 v0, v83, 3, v80
	s_barrier
	buffer_gl0_inv
	v_mov_b32_e32 v74, 8
	ds_write_b64 v0, v[56:57]
	s_waitcnt lgkmcnt(0)
	s_barrier
	buffer_gl0_inv
	ds_read_b64 v[0:1], v80 offset:64
	s_cmp_lt_i32 s7, 10
	s_cbranch_scc1 .LBB66_134
; %bb.132:
	v_add3_u32 v75, v81, 0, 0x48
	v_mov_b32_e32 v74, 8
	s_mov_b32 s0, 9
.LBB66_133:                             ; =>This Inner Loop Header: Depth=1
	ds_read_b64 v[84:85], v75
	v_add_nc_u32_e32 v75, 8, v75
	s_waitcnt lgkmcnt(0)
	v_cmp_lt_f64_e64 vcc_lo, |v[0:1]|, |v[84:85]|
	v_cndmask_b32_e32 v1, v1, v85, vcc_lo
	v_cndmask_b32_e32 v0, v0, v84, vcc_lo
	v_cndmask_b32_e64 v74, v74, s0, vcc_lo
	s_add_i32 s0, s0, 1
	s_cmp_lg_u32 s7, s0
	s_cbranch_scc1 .LBB66_133
.LBB66_134:
	s_mov_b32 s0, exec_lo
	s_waitcnt lgkmcnt(0)
	v_cmpx_eq_f64_e32 0, v[0:1]
	s_xor_b32 s0, exec_lo, s0
; %bb.135:
	v_cmp_ne_u32_e32 vcc_lo, 0, v82
	v_cndmask_b32_e32 v82, 9, v82, vcc_lo
; %bb.136:
	s_andn2_saveexec_b32 s0, s0
	s_cbranch_execz .LBB66_138
; %bb.137:
	v_div_scale_f64 v[75:76], null, v[0:1], v[0:1], 1.0
	v_rcp_f64_e32 v[84:85], v[75:76]
	v_fma_f64 v[86:87], -v[75:76], v[84:85], 1.0
	v_fma_f64 v[84:85], v[84:85], v[86:87], v[84:85]
	v_fma_f64 v[86:87], -v[75:76], v[84:85], 1.0
	v_fma_f64 v[84:85], v[84:85], v[86:87], v[84:85]
	v_div_scale_f64 v[86:87], vcc_lo, 1.0, v[0:1], 1.0
	v_mul_f64 v[88:89], v[86:87], v[84:85]
	v_fma_f64 v[75:76], -v[75:76], v[88:89], v[86:87]
	v_div_fmas_f64 v[75:76], v[75:76], v[84:85], v[88:89]
	v_div_fixup_f64 v[0:1], v[75:76], v[0:1], 1.0
.LBB66_138:
	s_or_b32 exec_lo, exec_lo, s0
	s_mov_b32 s0, exec_lo
	v_cmpx_ne_u32_e64 v83, v74
	s_xor_b32 s0, exec_lo, s0
	s_cbranch_execz .LBB66_144
; %bb.139:
	s_mov_b32 s1, exec_lo
	v_cmpx_eq_u32_e32 8, v83
	s_cbranch_execz .LBB66_143
; %bb.140:
	v_cmp_ne_u32_e32 vcc_lo, 8, v74
	s_xor_b32 s2, s6, -1
	s_and_b32 s3, s2, vcc_lo
	s_and_saveexec_b32 s2, s3
	s_cbranch_execz .LBB66_142
; %bb.141:
	v_ashrrev_i32_e32 v75, 31, v74
	v_lshlrev_b64 v[75:76], 2, v[74:75]
	v_add_co_u32 v75, vcc_lo, v4, v75
	v_add_co_ci_u32_e64 v76, null, v5, v76, vcc_lo
	s_clause 0x1
	global_load_dword v77, v[75:76], off
	global_load_dword v83, v[4:5], off offset:32
	s_waitcnt vmcnt(1)
	global_store_dword v[4:5], v77, off offset:32
	s_waitcnt vmcnt(0)
	global_store_dword v[75:76], v83, off
.LBB66_142:
	s_or_b32 exec_lo, exec_lo, s2
	v_mov_b32_e32 v77, v74
	v_mov_b32_e32 v83, v74
.LBB66_143:
	s_or_b32 exec_lo, exec_lo, s1
.LBB66_144:
	s_andn2_saveexec_b32 s0, s0
	s_cbranch_execz .LBB66_146
; %bb.145:
	v_mov_b32_e32 v83, 8
	ds_write2_b64 v80, v[52:53], v[50:51] offset0:9 offset1:10
	ds_write2_b64 v80, v[48:49], v[46:47] offset0:11 offset1:12
	;; [unrolled: 1-line block ×12, first 2 shown]
	ds_write_b64 v80, v[72:73] offset:264
.LBB66_146:
	s_or_b32 exec_lo, exec_lo, s0
	s_mov_b32 s0, exec_lo
	s_waitcnt lgkmcnt(0)
	s_waitcnt_vscnt null, 0x0
	s_barrier
	buffer_gl0_inv
	v_cmpx_lt_i32_e32 8, v83
	s_cbranch_execz .LBB66_148
; %bb.147:
	v_mul_f64 v[56:57], v[0:1], v[56:57]
	ds_read2_b64 v[84:87], v80 offset0:9 offset1:10
	ds_read2_b64 v[88:91], v80 offset0:11 offset1:12
	;; [unrolled: 1-line block ×12, first 2 shown]
	ds_read_b64 v[0:1], v80 offset:264
	s_waitcnt lgkmcnt(12)
	v_fma_f64 v[52:53], -v[56:57], v[84:85], v[52:53]
	v_fma_f64 v[50:51], -v[56:57], v[86:87], v[50:51]
	s_waitcnt lgkmcnt(11)
	v_fma_f64 v[48:49], -v[56:57], v[88:89], v[48:49]
	v_fma_f64 v[46:47], -v[56:57], v[90:91], v[46:47]
	;; [unrolled: 3-line block ×12, first 2 shown]
	s_waitcnt lgkmcnt(0)
	v_fma_f64 v[72:73], -v[56:57], v[0:1], v[72:73]
.LBB66_148:
	s_or_b32 exec_lo, exec_lo, s0
	v_lshl_add_u32 v0, v83, 3, v80
	s_barrier
	buffer_gl0_inv
	v_mov_b32_e32 v74, 9
	ds_write_b64 v0, v[52:53]
	s_waitcnt lgkmcnt(0)
	s_barrier
	buffer_gl0_inv
	ds_read_b64 v[0:1], v80 offset:72
	s_cmp_lt_i32 s7, 11
	s_cbranch_scc1 .LBB66_151
; %bb.149:
	v_add3_u32 v75, v81, 0, 0x50
	v_mov_b32_e32 v74, 9
	s_mov_b32 s0, 10
.LBB66_150:                             ; =>This Inner Loop Header: Depth=1
	ds_read_b64 v[84:85], v75
	v_add_nc_u32_e32 v75, 8, v75
	s_waitcnt lgkmcnt(0)
	v_cmp_lt_f64_e64 vcc_lo, |v[0:1]|, |v[84:85]|
	v_cndmask_b32_e32 v1, v1, v85, vcc_lo
	v_cndmask_b32_e32 v0, v0, v84, vcc_lo
	v_cndmask_b32_e64 v74, v74, s0, vcc_lo
	s_add_i32 s0, s0, 1
	s_cmp_lg_u32 s7, s0
	s_cbranch_scc1 .LBB66_150
.LBB66_151:
	s_mov_b32 s0, exec_lo
	s_waitcnt lgkmcnt(0)
	v_cmpx_eq_f64_e32 0, v[0:1]
	s_xor_b32 s0, exec_lo, s0
; %bb.152:
	v_cmp_ne_u32_e32 vcc_lo, 0, v82
	v_cndmask_b32_e32 v82, 10, v82, vcc_lo
; %bb.153:
	s_andn2_saveexec_b32 s0, s0
	s_cbranch_execz .LBB66_155
; %bb.154:
	v_div_scale_f64 v[75:76], null, v[0:1], v[0:1], 1.0
	v_rcp_f64_e32 v[84:85], v[75:76]
	v_fma_f64 v[86:87], -v[75:76], v[84:85], 1.0
	v_fma_f64 v[84:85], v[84:85], v[86:87], v[84:85]
	v_fma_f64 v[86:87], -v[75:76], v[84:85], 1.0
	v_fma_f64 v[84:85], v[84:85], v[86:87], v[84:85]
	v_div_scale_f64 v[86:87], vcc_lo, 1.0, v[0:1], 1.0
	v_mul_f64 v[88:89], v[86:87], v[84:85]
	v_fma_f64 v[75:76], -v[75:76], v[88:89], v[86:87]
	v_div_fmas_f64 v[75:76], v[75:76], v[84:85], v[88:89]
	v_div_fixup_f64 v[0:1], v[75:76], v[0:1], 1.0
.LBB66_155:
	s_or_b32 exec_lo, exec_lo, s0
	s_mov_b32 s0, exec_lo
	v_cmpx_ne_u32_e64 v83, v74
	s_xor_b32 s0, exec_lo, s0
	s_cbranch_execz .LBB66_161
; %bb.156:
	s_mov_b32 s1, exec_lo
	v_cmpx_eq_u32_e32 9, v83
	s_cbranch_execz .LBB66_160
; %bb.157:
	v_cmp_ne_u32_e32 vcc_lo, 9, v74
	s_xor_b32 s2, s6, -1
	s_and_b32 s3, s2, vcc_lo
	s_and_saveexec_b32 s2, s3
	s_cbranch_execz .LBB66_159
; %bb.158:
	v_ashrrev_i32_e32 v75, 31, v74
	v_lshlrev_b64 v[75:76], 2, v[74:75]
	v_add_co_u32 v75, vcc_lo, v4, v75
	v_add_co_ci_u32_e64 v76, null, v5, v76, vcc_lo
	s_clause 0x1
	global_load_dword v77, v[75:76], off
	global_load_dword v83, v[4:5], off offset:36
	s_waitcnt vmcnt(1)
	global_store_dword v[4:5], v77, off offset:36
	s_waitcnt vmcnt(0)
	global_store_dword v[75:76], v83, off
.LBB66_159:
	s_or_b32 exec_lo, exec_lo, s2
	v_mov_b32_e32 v77, v74
	v_mov_b32_e32 v83, v74
.LBB66_160:
	s_or_b32 exec_lo, exec_lo, s1
.LBB66_161:
	s_andn2_saveexec_b32 s0, s0
	s_cbranch_execz .LBB66_163
; %bb.162:
	v_mov_b32_e32 v74, v50
	v_mov_b32_e32 v75, v51
	;; [unrolled: 1-line block ×12, first 2 shown]
	ds_write2_b64 v80, v[74:75], v[83:84] offset0:10 offset1:11
	ds_write2_b64 v80, v[85:86], v[87:88] offset0:12 offset1:13
	;; [unrolled: 1-line block ×3, first 2 shown]
	v_mov_b32_e32 v74, v40
	v_mov_b32_e32 v75, v41
	;; [unrolled: 1-line block ×20, first 2 shown]
	ds_write2_b64 v80, v[74:75], v[83:84] offset0:16 offset1:17
	ds_write2_b64 v80, v[85:86], v[87:88] offset0:18 offset1:19
	;; [unrolled: 1-line block ×5, first 2 shown]
	v_mov_b32_e32 v74, v20
	v_mov_b32_e32 v75, v21
	;; [unrolled: 1-line block ×15, first 2 shown]
	ds_write2_b64 v80, v[74:75], v[84:85] offset0:26 offset1:27
	ds_write2_b64 v80, v[86:87], v[88:89] offset0:28 offset1:29
	;; [unrolled: 1-line block ×4, first 2 shown]
.LBB66_163:
	s_or_b32 exec_lo, exec_lo, s0
	s_mov_b32 s0, exec_lo
	s_waitcnt lgkmcnt(0)
	s_waitcnt_vscnt null, 0x0
	s_barrier
	buffer_gl0_inv
	v_cmpx_lt_i32_e32 9, v83
	s_cbranch_execz .LBB66_165
; %bb.164:
	v_mul_f64 v[52:53], v[0:1], v[52:53]
	ds_read2_b64 v[84:87], v80 offset0:10 offset1:11
	ds_read2_b64 v[88:91], v80 offset0:12 offset1:13
	;; [unrolled: 1-line block ×12, first 2 shown]
	s_waitcnt lgkmcnt(11)
	v_fma_f64 v[50:51], -v[52:53], v[84:85], v[50:51]
	v_fma_f64 v[48:49], -v[52:53], v[86:87], v[48:49]
	s_waitcnt lgkmcnt(10)
	v_fma_f64 v[46:47], -v[52:53], v[88:89], v[46:47]
	v_fma_f64 v[44:45], -v[52:53], v[90:91], v[44:45]
	;; [unrolled: 3-line block ×12, first 2 shown]
.LBB66_165:
	s_or_b32 exec_lo, exec_lo, s0
	v_lshl_add_u32 v0, v83, 3, v80
	s_barrier
	buffer_gl0_inv
	v_mov_b32_e32 v74, 10
	ds_write_b64 v0, v[50:51]
	s_waitcnt lgkmcnt(0)
	s_barrier
	buffer_gl0_inv
	ds_read_b64 v[0:1], v80 offset:80
	s_cmp_lt_i32 s7, 12
	s_cbranch_scc1 .LBB66_168
; %bb.166:
	v_add3_u32 v75, v81, 0, 0x58
	v_mov_b32_e32 v74, 10
	s_mov_b32 s0, 11
.LBB66_167:                             ; =>This Inner Loop Header: Depth=1
	ds_read_b64 v[84:85], v75
	v_add_nc_u32_e32 v75, 8, v75
	s_waitcnt lgkmcnt(0)
	v_cmp_lt_f64_e64 vcc_lo, |v[0:1]|, |v[84:85]|
	v_cndmask_b32_e32 v1, v1, v85, vcc_lo
	v_cndmask_b32_e32 v0, v0, v84, vcc_lo
	v_cndmask_b32_e64 v74, v74, s0, vcc_lo
	s_add_i32 s0, s0, 1
	s_cmp_lg_u32 s7, s0
	s_cbranch_scc1 .LBB66_167
.LBB66_168:
	s_mov_b32 s0, exec_lo
	s_waitcnt lgkmcnt(0)
	v_cmpx_eq_f64_e32 0, v[0:1]
	s_xor_b32 s0, exec_lo, s0
; %bb.169:
	v_cmp_ne_u32_e32 vcc_lo, 0, v82
	v_cndmask_b32_e32 v82, 11, v82, vcc_lo
; %bb.170:
	s_andn2_saveexec_b32 s0, s0
	s_cbranch_execz .LBB66_172
; %bb.171:
	v_div_scale_f64 v[75:76], null, v[0:1], v[0:1], 1.0
	v_rcp_f64_e32 v[84:85], v[75:76]
	v_fma_f64 v[86:87], -v[75:76], v[84:85], 1.0
	v_fma_f64 v[84:85], v[84:85], v[86:87], v[84:85]
	v_fma_f64 v[86:87], -v[75:76], v[84:85], 1.0
	v_fma_f64 v[84:85], v[84:85], v[86:87], v[84:85]
	v_div_scale_f64 v[86:87], vcc_lo, 1.0, v[0:1], 1.0
	v_mul_f64 v[88:89], v[86:87], v[84:85]
	v_fma_f64 v[75:76], -v[75:76], v[88:89], v[86:87]
	v_div_fmas_f64 v[75:76], v[75:76], v[84:85], v[88:89]
	v_div_fixup_f64 v[0:1], v[75:76], v[0:1], 1.0
.LBB66_172:
	s_or_b32 exec_lo, exec_lo, s0
	s_mov_b32 s0, exec_lo
	v_cmpx_ne_u32_e64 v83, v74
	s_xor_b32 s0, exec_lo, s0
	s_cbranch_execz .LBB66_178
; %bb.173:
	s_mov_b32 s1, exec_lo
	v_cmpx_eq_u32_e32 10, v83
	s_cbranch_execz .LBB66_177
; %bb.174:
	v_cmp_ne_u32_e32 vcc_lo, 10, v74
	s_xor_b32 s2, s6, -1
	s_and_b32 s3, s2, vcc_lo
	s_and_saveexec_b32 s2, s3
	s_cbranch_execz .LBB66_176
; %bb.175:
	v_ashrrev_i32_e32 v75, 31, v74
	v_lshlrev_b64 v[75:76], 2, v[74:75]
	v_add_co_u32 v75, vcc_lo, v4, v75
	v_add_co_ci_u32_e64 v76, null, v5, v76, vcc_lo
	s_clause 0x1
	global_load_dword v77, v[75:76], off
	global_load_dword v83, v[4:5], off offset:40
	s_waitcnt vmcnt(1)
	global_store_dword v[4:5], v77, off offset:40
	s_waitcnt vmcnt(0)
	global_store_dword v[75:76], v83, off
.LBB66_176:
	s_or_b32 exec_lo, exec_lo, s2
	v_mov_b32_e32 v77, v74
	v_mov_b32_e32 v83, v74
.LBB66_177:
	s_or_b32 exec_lo, exec_lo, s1
.LBB66_178:
	s_andn2_saveexec_b32 s0, s0
	s_cbranch_execz .LBB66_180
; %bb.179:
	v_mov_b32_e32 v83, 10
	ds_write2_b64 v80, v[48:49], v[46:47] offset0:11 offset1:12
	ds_write2_b64 v80, v[44:45], v[42:43] offset0:13 offset1:14
	;; [unrolled: 1-line block ×11, first 2 shown]
	ds_write_b64 v80, v[72:73] offset:264
.LBB66_180:
	s_or_b32 exec_lo, exec_lo, s0
	s_mov_b32 s0, exec_lo
	s_waitcnt lgkmcnt(0)
	s_waitcnt_vscnt null, 0x0
	s_barrier
	buffer_gl0_inv
	v_cmpx_lt_i32_e32 10, v83
	s_cbranch_execz .LBB66_182
; %bb.181:
	v_mul_f64 v[50:51], v[0:1], v[50:51]
	ds_read2_b64 v[84:87], v80 offset0:11 offset1:12
	ds_read2_b64 v[88:91], v80 offset0:13 offset1:14
	;; [unrolled: 1-line block ×11, first 2 shown]
	ds_read_b64 v[0:1], v80 offset:264
	s_waitcnt lgkmcnt(11)
	v_fma_f64 v[48:49], -v[50:51], v[84:85], v[48:49]
	v_fma_f64 v[46:47], -v[50:51], v[86:87], v[46:47]
	s_waitcnt lgkmcnt(10)
	v_fma_f64 v[44:45], -v[50:51], v[88:89], v[44:45]
	v_fma_f64 v[42:43], -v[50:51], v[90:91], v[42:43]
	;; [unrolled: 3-line block ×11, first 2 shown]
	s_waitcnt lgkmcnt(0)
	v_fma_f64 v[72:73], -v[50:51], v[0:1], v[72:73]
.LBB66_182:
	s_or_b32 exec_lo, exec_lo, s0
	v_lshl_add_u32 v0, v83, 3, v80
	s_barrier
	buffer_gl0_inv
	v_mov_b32_e32 v74, 11
	ds_write_b64 v0, v[48:49]
	s_waitcnt lgkmcnt(0)
	s_barrier
	buffer_gl0_inv
	ds_read_b64 v[0:1], v80 offset:88
	s_cmp_lt_i32 s7, 13
	s_cbranch_scc1 .LBB66_185
; %bb.183:
	v_add3_u32 v75, v81, 0, 0x60
	v_mov_b32_e32 v74, 11
	s_mov_b32 s0, 12
.LBB66_184:                             ; =>This Inner Loop Header: Depth=1
	ds_read_b64 v[84:85], v75
	v_add_nc_u32_e32 v75, 8, v75
	s_waitcnt lgkmcnt(0)
	v_cmp_lt_f64_e64 vcc_lo, |v[0:1]|, |v[84:85]|
	v_cndmask_b32_e32 v1, v1, v85, vcc_lo
	v_cndmask_b32_e32 v0, v0, v84, vcc_lo
	v_cndmask_b32_e64 v74, v74, s0, vcc_lo
	s_add_i32 s0, s0, 1
	s_cmp_lg_u32 s7, s0
	s_cbranch_scc1 .LBB66_184
.LBB66_185:
	s_mov_b32 s0, exec_lo
	s_waitcnt lgkmcnt(0)
	v_cmpx_eq_f64_e32 0, v[0:1]
	s_xor_b32 s0, exec_lo, s0
; %bb.186:
	v_cmp_ne_u32_e32 vcc_lo, 0, v82
	v_cndmask_b32_e32 v82, 12, v82, vcc_lo
; %bb.187:
	s_andn2_saveexec_b32 s0, s0
	s_cbranch_execz .LBB66_189
; %bb.188:
	v_div_scale_f64 v[75:76], null, v[0:1], v[0:1], 1.0
	v_rcp_f64_e32 v[84:85], v[75:76]
	v_fma_f64 v[86:87], -v[75:76], v[84:85], 1.0
	v_fma_f64 v[84:85], v[84:85], v[86:87], v[84:85]
	v_fma_f64 v[86:87], -v[75:76], v[84:85], 1.0
	v_fma_f64 v[84:85], v[84:85], v[86:87], v[84:85]
	v_div_scale_f64 v[86:87], vcc_lo, 1.0, v[0:1], 1.0
	v_mul_f64 v[88:89], v[86:87], v[84:85]
	v_fma_f64 v[75:76], -v[75:76], v[88:89], v[86:87]
	v_div_fmas_f64 v[75:76], v[75:76], v[84:85], v[88:89]
	v_div_fixup_f64 v[0:1], v[75:76], v[0:1], 1.0
.LBB66_189:
	s_or_b32 exec_lo, exec_lo, s0
	s_mov_b32 s0, exec_lo
	v_cmpx_ne_u32_e64 v83, v74
	s_xor_b32 s0, exec_lo, s0
	s_cbranch_execz .LBB66_195
; %bb.190:
	s_mov_b32 s1, exec_lo
	v_cmpx_eq_u32_e32 11, v83
	s_cbranch_execz .LBB66_194
; %bb.191:
	v_cmp_ne_u32_e32 vcc_lo, 11, v74
	s_xor_b32 s2, s6, -1
	s_and_b32 s3, s2, vcc_lo
	s_and_saveexec_b32 s2, s3
	s_cbranch_execz .LBB66_193
; %bb.192:
	v_ashrrev_i32_e32 v75, 31, v74
	v_lshlrev_b64 v[75:76], 2, v[74:75]
	v_add_co_u32 v75, vcc_lo, v4, v75
	v_add_co_ci_u32_e64 v76, null, v5, v76, vcc_lo
	s_clause 0x1
	global_load_dword v77, v[75:76], off
	global_load_dword v83, v[4:5], off offset:44
	s_waitcnt vmcnt(1)
	global_store_dword v[4:5], v77, off offset:44
	s_waitcnt vmcnt(0)
	global_store_dword v[75:76], v83, off
.LBB66_193:
	s_or_b32 exec_lo, exec_lo, s2
	v_mov_b32_e32 v77, v74
	v_mov_b32_e32 v83, v74
.LBB66_194:
	s_or_b32 exec_lo, exec_lo, s1
.LBB66_195:
	s_andn2_saveexec_b32 s0, s0
	s_cbranch_execz .LBB66_197
; %bb.196:
	v_mov_b32_e32 v74, v46
	v_mov_b32_e32 v75, v47
	;; [unrolled: 1-line block ×8, first 2 shown]
	ds_write2_b64 v80, v[74:75], v[83:84] offset0:12 offset1:13
	ds_write2_b64 v80, v[85:86], v[87:88] offset0:14 offset1:15
	v_mov_b32_e32 v74, v40
	v_mov_b32_e32 v75, v41
	;; [unrolled: 1-line block ×20, first 2 shown]
	ds_write2_b64 v80, v[74:75], v[83:84] offset0:16 offset1:17
	ds_write2_b64 v80, v[85:86], v[87:88] offset0:18 offset1:19
	;; [unrolled: 1-line block ×5, first 2 shown]
	v_mov_b32_e32 v74, v20
	v_mov_b32_e32 v75, v21
	;; [unrolled: 1-line block ×15, first 2 shown]
	ds_write2_b64 v80, v[74:75], v[84:85] offset0:26 offset1:27
	ds_write2_b64 v80, v[86:87], v[88:89] offset0:28 offset1:29
	;; [unrolled: 1-line block ×4, first 2 shown]
.LBB66_197:
	s_or_b32 exec_lo, exec_lo, s0
	s_mov_b32 s0, exec_lo
	s_waitcnt lgkmcnt(0)
	s_waitcnt_vscnt null, 0x0
	s_barrier
	buffer_gl0_inv
	v_cmpx_lt_i32_e32 11, v83
	s_cbranch_execz .LBB66_199
; %bb.198:
	v_mul_f64 v[48:49], v[0:1], v[48:49]
	ds_read2_b64 v[84:87], v80 offset0:12 offset1:13
	ds_read2_b64 v[88:91], v80 offset0:14 offset1:15
	;; [unrolled: 1-line block ×11, first 2 shown]
	s_waitcnt lgkmcnt(10)
	v_fma_f64 v[46:47], -v[48:49], v[84:85], v[46:47]
	v_fma_f64 v[44:45], -v[48:49], v[86:87], v[44:45]
	s_waitcnt lgkmcnt(9)
	v_fma_f64 v[42:43], -v[48:49], v[88:89], v[42:43]
	v_fma_f64 v[38:39], -v[48:49], v[90:91], v[38:39]
	;; [unrolled: 3-line block ×11, first 2 shown]
.LBB66_199:
	s_or_b32 exec_lo, exec_lo, s0
	v_lshl_add_u32 v0, v83, 3, v80
	s_barrier
	buffer_gl0_inv
	v_mov_b32_e32 v74, 12
	ds_write_b64 v0, v[46:47]
	s_waitcnt lgkmcnt(0)
	s_barrier
	buffer_gl0_inv
	ds_read_b64 v[0:1], v80 offset:96
	s_cmp_lt_i32 s7, 14
	s_cbranch_scc1 .LBB66_202
; %bb.200:
	v_add3_u32 v75, v81, 0, 0x68
	v_mov_b32_e32 v74, 12
	s_mov_b32 s0, 13
.LBB66_201:                             ; =>This Inner Loop Header: Depth=1
	ds_read_b64 v[84:85], v75
	v_add_nc_u32_e32 v75, 8, v75
	s_waitcnt lgkmcnt(0)
	v_cmp_lt_f64_e64 vcc_lo, |v[0:1]|, |v[84:85]|
	v_cndmask_b32_e32 v1, v1, v85, vcc_lo
	v_cndmask_b32_e32 v0, v0, v84, vcc_lo
	v_cndmask_b32_e64 v74, v74, s0, vcc_lo
	s_add_i32 s0, s0, 1
	s_cmp_lg_u32 s7, s0
	s_cbranch_scc1 .LBB66_201
.LBB66_202:
	s_mov_b32 s0, exec_lo
	s_waitcnt lgkmcnt(0)
	v_cmpx_eq_f64_e32 0, v[0:1]
	s_xor_b32 s0, exec_lo, s0
; %bb.203:
	v_cmp_ne_u32_e32 vcc_lo, 0, v82
	v_cndmask_b32_e32 v82, 13, v82, vcc_lo
; %bb.204:
	s_andn2_saveexec_b32 s0, s0
	s_cbranch_execz .LBB66_206
; %bb.205:
	v_div_scale_f64 v[75:76], null, v[0:1], v[0:1], 1.0
	v_rcp_f64_e32 v[84:85], v[75:76]
	v_fma_f64 v[86:87], -v[75:76], v[84:85], 1.0
	v_fma_f64 v[84:85], v[84:85], v[86:87], v[84:85]
	v_fma_f64 v[86:87], -v[75:76], v[84:85], 1.0
	v_fma_f64 v[84:85], v[84:85], v[86:87], v[84:85]
	v_div_scale_f64 v[86:87], vcc_lo, 1.0, v[0:1], 1.0
	v_mul_f64 v[88:89], v[86:87], v[84:85]
	v_fma_f64 v[75:76], -v[75:76], v[88:89], v[86:87]
	v_div_fmas_f64 v[75:76], v[75:76], v[84:85], v[88:89]
	v_div_fixup_f64 v[0:1], v[75:76], v[0:1], 1.0
.LBB66_206:
	s_or_b32 exec_lo, exec_lo, s0
	s_mov_b32 s0, exec_lo
	v_cmpx_ne_u32_e64 v83, v74
	s_xor_b32 s0, exec_lo, s0
	s_cbranch_execz .LBB66_212
; %bb.207:
	s_mov_b32 s1, exec_lo
	v_cmpx_eq_u32_e32 12, v83
	s_cbranch_execz .LBB66_211
; %bb.208:
	v_cmp_ne_u32_e32 vcc_lo, 12, v74
	s_xor_b32 s2, s6, -1
	s_and_b32 s3, s2, vcc_lo
	s_and_saveexec_b32 s2, s3
	s_cbranch_execz .LBB66_210
; %bb.209:
	v_ashrrev_i32_e32 v75, 31, v74
	v_lshlrev_b64 v[75:76], 2, v[74:75]
	v_add_co_u32 v75, vcc_lo, v4, v75
	v_add_co_ci_u32_e64 v76, null, v5, v76, vcc_lo
	s_clause 0x1
	global_load_dword v77, v[75:76], off
	global_load_dword v83, v[4:5], off offset:48
	s_waitcnt vmcnt(1)
	global_store_dword v[4:5], v77, off offset:48
	s_waitcnt vmcnt(0)
	global_store_dword v[75:76], v83, off
.LBB66_210:
	s_or_b32 exec_lo, exec_lo, s2
	v_mov_b32_e32 v77, v74
	v_mov_b32_e32 v83, v74
.LBB66_211:
	s_or_b32 exec_lo, exec_lo, s1
.LBB66_212:
	s_andn2_saveexec_b32 s0, s0
	s_cbranch_execz .LBB66_214
; %bb.213:
	v_mov_b32_e32 v83, 12
	ds_write2_b64 v80, v[44:45], v[42:43] offset0:13 offset1:14
	ds_write2_b64 v80, v[38:39], v[40:41] offset0:15 offset1:16
	;; [unrolled: 1-line block ×10, first 2 shown]
	ds_write_b64 v80, v[72:73] offset:264
.LBB66_214:
	s_or_b32 exec_lo, exec_lo, s0
	s_mov_b32 s0, exec_lo
	s_waitcnt lgkmcnt(0)
	s_waitcnt_vscnt null, 0x0
	s_barrier
	buffer_gl0_inv
	v_cmpx_lt_i32_e32 12, v83
	s_cbranch_execz .LBB66_216
; %bb.215:
	v_mul_f64 v[46:47], v[0:1], v[46:47]
	ds_read2_b64 v[84:87], v80 offset0:13 offset1:14
	ds_read2_b64 v[88:91], v80 offset0:15 offset1:16
	;; [unrolled: 1-line block ×10, first 2 shown]
	ds_read_b64 v[0:1], v80 offset:264
	s_waitcnt lgkmcnt(10)
	v_fma_f64 v[44:45], -v[46:47], v[84:85], v[44:45]
	v_fma_f64 v[42:43], -v[46:47], v[86:87], v[42:43]
	s_waitcnt lgkmcnt(9)
	v_fma_f64 v[38:39], -v[46:47], v[88:89], v[38:39]
	v_fma_f64 v[40:41], -v[46:47], v[90:91], v[40:41]
	;; [unrolled: 3-line block ×10, first 2 shown]
	s_waitcnt lgkmcnt(0)
	v_fma_f64 v[72:73], -v[46:47], v[0:1], v[72:73]
.LBB66_216:
	s_or_b32 exec_lo, exec_lo, s0
	v_lshl_add_u32 v0, v83, 3, v80
	s_barrier
	buffer_gl0_inv
	v_mov_b32_e32 v74, 13
	ds_write_b64 v0, v[44:45]
	s_waitcnt lgkmcnt(0)
	s_barrier
	buffer_gl0_inv
	ds_read_b64 v[0:1], v80 offset:104
	s_cmp_lt_i32 s7, 15
	s_cbranch_scc1 .LBB66_219
; %bb.217:
	v_add3_u32 v75, v81, 0, 0x70
	v_mov_b32_e32 v74, 13
	s_mov_b32 s0, 14
.LBB66_218:                             ; =>This Inner Loop Header: Depth=1
	ds_read_b64 v[84:85], v75
	v_add_nc_u32_e32 v75, 8, v75
	s_waitcnt lgkmcnt(0)
	v_cmp_lt_f64_e64 vcc_lo, |v[0:1]|, |v[84:85]|
	v_cndmask_b32_e32 v1, v1, v85, vcc_lo
	v_cndmask_b32_e32 v0, v0, v84, vcc_lo
	v_cndmask_b32_e64 v74, v74, s0, vcc_lo
	s_add_i32 s0, s0, 1
	s_cmp_lg_u32 s7, s0
	s_cbranch_scc1 .LBB66_218
.LBB66_219:
	s_mov_b32 s0, exec_lo
	s_waitcnt lgkmcnt(0)
	v_cmpx_eq_f64_e32 0, v[0:1]
	s_xor_b32 s0, exec_lo, s0
; %bb.220:
	v_cmp_ne_u32_e32 vcc_lo, 0, v82
	v_cndmask_b32_e32 v82, 14, v82, vcc_lo
; %bb.221:
	s_andn2_saveexec_b32 s0, s0
	s_cbranch_execz .LBB66_223
; %bb.222:
	v_div_scale_f64 v[75:76], null, v[0:1], v[0:1], 1.0
	v_rcp_f64_e32 v[84:85], v[75:76]
	v_fma_f64 v[86:87], -v[75:76], v[84:85], 1.0
	v_fma_f64 v[84:85], v[84:85], v[86:87], v[84:85]
	v_fma_f64 v[86:87], -v[75:76], v[84:85], 1.0
	v_fma_f64 v[84:85], v[84:85], v[86:87], v[84:85]
	v_div_scale_f64 v[86:87], vcc_lo, 1.0, v[0:1], 1.0
	v_mul_f64 v[88:89], v[86:87], v[84:85]
	v_fma_f64 v[75:76], -v[75:76], v[88:89], v[86:87]
	v_div_fmas_f64 v[75:76], v[75:76], v[84:85], v[88:89]
	v_div_fixup_f64 v[0:1], v[75:76], v[0:1], 1.0
.LBB66_223:
	s_or_b32 exec_lo, exec_lo, s0
	s_mov_b32 s0, exec_lo
	v_cmpx_ne_u32_e64 v83, v74
	s_xor_b32 s0, exec_lo, s0
	s_cbranch_execz .LBB66_229
; %bb.224:
	s_mov_b32 s1, exec_lo
	v_cmpx_eq_u32_e32 13, v83
	s_cbranch_execz .LBB66_228
; %bb.225:
	v_cmp_ne_u32_e32 vcc_lo, 13, v74
	s_xor_b32 s2, s6, -1
	s_and_b32 s3, s2, vcc_lo
	s_and_saveexec_b32 s2, s3
	s_cbranch_execz .LBB66_227
; %bb.226:
	v_ashrrev_i32_e32 v75, 31, v74
	v_lshlrev_b64 v[75:76], 2, v[74:75]
	v_add_co_u32 v75, vcc_lo, v4, v75
	v_add_co_ci_u32_e64 v76, null, v5, v76, vcc_lo
	s_clause 0x1
	global_load_dword v77, v[75:76], off
	global_load_dword v83, v[4:5], off offset:52
	s_waitcnt vmcnt(1)
	global_store_dword v[4:5], v77, off offset:52
	s_waitcnt vmcnt(0)
	global_store_dword v[75:76], v83, off
.LBB66_227:
	s_or_b32 exec_lo, exec_lo, s2
	v_mov_b32_e32 v77, v74
	v_mov_b32_e32 v83, v74
.LBB66_228:
	s_or_b32 exec_lo, exec_lo, s1
.LBB66_229:
	s_andn2_saveexec_b32 s0, s0
	s_cbranch_execz .LBB66_231
; %bb.230:
	v_mov_b32_e32 v74, v42
	v_mov_b32_e32 v75, v43
	;; [unrolled: 1-line block ×8, first 2 shown]
	ds_write2_b64 v80, v[74:75], v[83:84] offset0:14 offset1:15
	v_mov_b32_e32 v74, v34
	v_mov_b32_e32 v75, v35
	;; [unrolled: 1-line block ×16, first 2 shown]
	ds_write2_b64 v80, v[85:86], v[74:75] offset0:16 offset1:17
	ds_write2_b64 v80, v[83:84], v[87:88] offset0:18 offset1:19
	;; [unrolled: 1-line block ×5, first 2 shown]
	v_mov_b32_e32 v74, v20
	v_mov_b32_e32 v75, v21
	;; [unrolled: 1-line block ×15, first 2 shown]
	ds_write2_b64 v80, v[74:75], v[84:85] offset0:26 offset1:27
	ds_write2_b64 v80, v[86:87], v[88:89] offset0:28 offset1:29
	;; [unrolled: 1-line block ×4, first 2 shown]
.LBB66_231:
	s_or_b32 exec_lo, exec_lo, s0
	s_mov_b32 s0, exec_lo
	s_waitcnt lgkmcnt(0)
	s_waitcnt_vscnt null, 0x0
	s_barrier
	buffer_gl0_inv
	v_cmpx_lt_i32_e32 13, v83
	s_cbranch_execz .LBB66_233
; %bb.232:
	v_mul_f64 v[44:45], v[0:1], v[44:45]
	ds_read2_b64 v[84:87], v80 offset0:14 offset1:15
	ds_read2_b64 v[88:91], v80 offset0:16 offset1:17
	;; [unrolled: 1-line block ×10, first 2 shown]
	s_waitcnt lgkmcnt(9)
	v_fma_f64 v[42:43], -v[44:45], v[84:85], v[42:43]
	v_fma_f64 v[38:39], -v[44:45], v[86:87], v[38:39]
	s_waitcnt lgkmcnt(8)
	v_fma_f64 v[40:41], -v[44:45], v[88:89], v[40:41]
	v_fma_f64 v[34:35], -v[44:45], v[90:91], v[34:35]
	;; [unrolled: 3-line block ×10, first 2 shown]
.LBB66_233:
	s_or_b32 exec_lo, exec_lo, s0
	v_lshl_add_u32 v0, v83, 3, v80
	s_barrier
	buffer_gl0_inv
	v_mov_b32_e32 v74, 14
	ds_write_b64 v0, v[42:43]
	s_waitcnt lgkmcnt(0)
	s_barrier
	buffer_gl0_inv
	ds_read_b64 v[0:1], v80 offset:112
	s_cmp_lt_i32 s7, 16
	s_cbranch_scc1 .LBB66_236
; %bb.234:
	v_add3_u32 v75, v81, 0, 0x78
	v_mov_b32_e32 v74, 14
	s_mov_b32 s0, 15
.LBB66_235:                             ; =>This Inner Loop Header: Depth=1
	ds_read_b64 v[84:85], v75
	v_add_nc_u32_e32 v75, 8, v75
	s_waitcnt lgkmcnt(0)
	v_cmp_lt_f64_e64 vcc_lo, |v[0:1]|, |v[84:85]|
	v_cndmask_b32_e32 v1, v1, v85, vcc_lo
	v_cndmask_b32_e32 v0, v0, v84, vcc_lo
	v_cndmask_b32_e64 v74, v74, s0, vcc_lo
	s_add_i32 s0, s0, 1
	s_cmp_lg_u32 s7, s0
	s_cbranch_scc1 .LBB66_235
.LBB66_236:
	s_mov_b32 s0, exec_lo
	s_waitcnt lgkmcnt(0)
	v_cmpx_eq_f64_e32 0, v[0:1]
	s_xor_b32 s0, exec_lo, s0
; %bb.237:
	v_cmp_ne_u32_e32 vcc_lo, 0, v82
	v_cndmask_b32_e32 v82, 15, v82, vcc_lo
; %bb.238:
	s_andn2_saveexec_b32 s0, s0
	s_cbranch_execz .LBB66_240
; %bb.239:
	v_div_scale_f64 v[75:76], null, v[0:1], v[0:1], 1.0
	v_rcp_f64_e32 v[84:85], v[75:76]
	v_fma_f64 v[86:87], -v[75:76], v[84:85], 1.0
	v_fma_f64 v[84:85], v[84:85], v[86:87], v[84:85]
	v_fma_f64 v[86:87], -v[75:76], v[84:85], 1.0
	v_fma_f64 v[84:85], v[84:85], v[86:87], v[84:85]
	v_div_scale_f64 v[86:87], vcc_lo, 1.0, v[0:1], 1.0
	v_mul_f64 v[88:89], v[86:87], v[84:85]
	v_fma_f64 v[75:76], -v[75:76], v[88:89], v[86:87]
	v_div_fmas_f64 v[75:76], v[75:76], v[84:85], v[88:89]
	v_div_fixup_f64 v[0:1], v[75:76], v[0:1], 1.0
.LBB66_240:
	s_or_b32 exec_lo, exec_lo, s0
	s_mov_b32 s0, exec_lo
	v_cmpx_ne_u32_e64 v83, v74
	s_xor_b32 s0, exec_lo, s0
	s_cbranch_execz .LBB66_246
; %bb.241:
	s_mov_b32 s1, exec_lo
	v_cmpx_eq_u32_e32 14, v83
	s_cbranch_execz .LBB66_245
; %bb.242:
	v_cmp_ne_u32_e32 vcc_lo, 14, v74
	s_xor_b32 s2, s6, -1
	s_and_b32 s3, s2, vcc_lo
	s_and_saveexec_b32 s2, s3
	s_cbranch_execz .LBB66_244
; %bb.243:
	v_ashrrev_i32_e32 v75, 31, v74
	v_lshlrev_b64 v[75:76], 2, v[74:75]
	v_add_co_u32 v75, vcc_lo, v4, v75
	v_add_co_ci_u32_e64 v76, null, v5, v76, vcc_lo
	s_clause 0x1
	global_load_dword v77, v[75:76], off
	global_load_dword v83, v[4:5], off offset:56
	s_waitcnt vmcnt(1)
	global_store_dword v[4:5], v77, off offset:56
	s_waitcnt vmcnt(0)
	global_store_dword v[75:76], v83, off
.LBB66_244:
	s_or_b32 exec_lo, exec_lo, s2
	v_mov_b32_e32 v77, v74
	v_mov_b32_e32 v83, v74
.LBB66_245:
	s_or_b32 exec_lo, exec_lo, s1
.LBB66_246:
	s_andn2_saveexec_b32 s0, s0
	s_cbranch_execz .LBB66_248
; %bb.247:
	v_mov_b32_e32 v83, 14
	ds_write2_b64 v80, v[38:39], v[40:41] offset0:15 offset1:16
	ds_write2_b64 v80, v[34:35], v[36:37] offset0:17 offset1:18
	;; [unrolled: 1-line block ×9, first 2 shown]
	ds_write_b64 v80, v[72:73] offset:264
.LBB66_248:
	s_or_b32 exec_lo, exec_lo, s0
	s_mov_b32 s0, exec_lo
	s_waitcnt lgkmcnt(0)
	s_waitcnt_vscnt null, 0x0
	s_barrier
	buffer_gl0_inv
	v_cmpx_lt_i32_e32 14, v83
	s_cbranch_execz .LBB66_250
; %bb.249:
	v_mul_f64 v[42:43], v[0:1], v[42:43]
	ds_read2_b64 v[84:87], v80 offset0:15 offset1:16
	ds_read2_b64 v[88:91], v80 offset0:17 offset1:18
	;; [unrolled: 1-line block ×9, first 2 shown]
	ds_read_b64 v[0:1], v80 offset:264
	s_waitcnt lgkmcnt(9)
	v_fma_f64 v[38:39], -v[42:43], v[84:85], v[38:39]
	v_fma_f64 v[40:41], -v[42:43], v[86:87], v[40:41]
	s_waitcnt lgkmcnt(8)
	v_fma_f64 v[34:35], -v[42:43], v[88:89], v[34:35]
	v_fma_f64 v[36:37], -v[42:43], v[90:91], v[36:37]
	;; [unrolled: 3-line block ×9, first 2 shown]
	s_waitcnt lgkmcnt(0)
	v_fma_f64 v[72:73], -v[42:43], v[0:1], v[72:73]
.LBB66_250:
	s_or_b32 exec_lo, exec_lo, s0
	v_lshl_add_u32 v0, v83, 3, v80
	s_barrier
	buffer_gl0_inv
	v_mov_b32_e32 v74, 15
	ds_write_b64 v0, v[38:39]
	s_waitcnt lgkmcnt(0)
	s_barrier
	buffer_gl0_inv
	ds_read_b64 v[0:1], v80 offset:120
	s_cmp_lt_i32 s7, 17
	s_cbranch_scc1 .LBB66_253
; %bb.251:
	v_add3_u32 v75, v81, 0, 0x80
	v_mov_b32_e32 v74, 15
	s_mov_b32 s0, 16
.LBB66_252:                             ; =>This Inner Loop Header: Depth=1
	ds_read_b64 v[84:85], v75
	v_add_nc_u32_e32 v75, 8, v75
	s_waitcnt lgkmcnt(0)
	v_cmp_lt_f64_e64 vcc_lo, |v[0:1]|, |v[84:85]|
	v_cndmask_b32_e32 v1, v1, v85, vcc_lo
	v_cndmask_b32_e32 v0, v0, v84, vcc_lo
	v_cndmask_b32_e64 v74, v74, s0, vcc_lo
	s_add_i32 s0, s0, 1
	s_cmp_lg_u32 s7, s0
	s_cbranch_scc1 .LBB66_252
.LBB66_253:
	s_mov_b32 s0, exec_lo
	s_waitcnt lgkmcnt(0)
	v_cmpx_eq_f64_e32 0, v[0:1]
	s_xor_b32 s0, exec_lo, s0
; %bb.254:
	v_cmp_ne_u32_e32 vcc_lo, 0, v82
	v_cndmask_b32_e32 v82, 16, v82, vcc_lo
; %bb.255:
	s_andn2_saveexec_b32 s0, s0
	s_cbranch_execz .LBB66_257
; %bb.256:
	v_div_scale_f64 v[75:76], null, v[0:1], v[0:1], 1.0
	v_rcp_f64_e32 v[84:85], v[75:76]
	v_fma_f64 v[86:87], -v[75:76], v[84:85], 1.0
	v_fma_f64 v[84:85], v[84:85], v[86:87], v[84:85]
	v_fma_f64 v[86:87], -v[75:76], v[84:85], 1.0
	v_fma_f64 v[84:85], v[84:85], v[86:87], v[84:85]
	v_div_scale_f64 v[86:87], vcc_lo, 1.0, v[0:1], 1.0
	v_mul_f64 v[88:89], v[86:87], v[84:85]
	v_fma_f64 v[75:76], -v[75:76], v[88:89], v[86:87]
	v_div_fmas_f64 v[75:76], v[75:76], v[84:85], v[88:89]
	v_div_fixup_f64 v[0:1], v[75:76], v[0:1], 1.0
.LBB66_257:
	s_or_b32 exec_lo, exec_lo, s0
	s_mov_b32 s0, exec_lo
	v_cmpx_ne_u32_e64 v83, v74
	s_xor_b32 s0, exec_lo, s0
	s_cbranch_execz .LBB66_263
; %bb.258:
	s_mov_b32 s1, exec_lo
	v_cmpx_eq_u32_e32 15, v83
	s_cbranch_execz .LBB66_262
; %bb.259:
	v_cmp_ne_u32_e32 vcc_lo, 15, v74
	s_xor_b32 s2, s6, -1
	s_and_b32 s3, s2, vcc_lo
	s_and_saveexec_b32 s2, s3
	s_cbranch_execz .LBB66_261
; %bb.260:
	v_ashrrev_i32_e32 v75, 31, v74
	v_lshlrev_b64 v[75:76], 2, v[74:75]
	v_add_co_u32 v75, vcc_lo, v4, v75
	v_add_co_ci_u32_e64 v76, null, v5, v76, vcc_lo
	s_clause 0x1
	global_load_dword v77, v[75:76], off
	global_load_dword v83, v[4:5], off offset:60
	s_waitcnt vmcnt(1)
	global_store_dword v[4:5], v77, off offset:60
	s_waitcnt vmcnt(0)
	global_store_dword v[75:76], v83, off
.LBB66_261:
	s_or_b32 exec_lo, exec_lo, s2
	v_mov_b32_e32 v77, v74
	v_mov_b32_e32 v83, v74
.LBB66_262:
	s_or_b32 exec_lo, exec_lo, s1
.LBB66_263:
	s_andn2_saveexec_b32 s0, s0
	s_cbranch_execz .LBB66_265
; %bb.264:
	v_mov_b32_e32 v74, v40
	v_mov_b32_e32 v75, v41
	;; [unrolled: 1-line block ×20, first 2 shown]
	ds_write2_b64 v80, v[74:75], v[83:84] offset0:16 offset1:17
	ds_write2_b64 v80, v[85:86], v[87:88] offset0:18 offset1:19
	;; [unrolled: 1-line block ×5, first 2 shown]
	v_mov_b32_e32 v74, v20
	v_mov_b32_e32 v75, v21
	;; [unrolled: 1-line block ×15, first 2 shown]
	ds_write2_b64 v80, v[74:75], v[84:85] offset0:26 offset1:27
	ds_write2_b64 v80, v[86:87], v[88:89] offset0:28 offset1:29
	;; [unrolled: 1-line block ×4, first 2 shown]
.LBB66_265:
	s_or_b32 exec_lo, exec_lo, s0
	s_mov_b32 s0, exec_lo
	s_waitcnt lgkmcnt(0)
	s_waitcnt_vscnt null, 0x0
	s_barrier
	buffer_gl0_inv
	v_cmpx_lt_i32_e32 15, v83
	s_cbranch_execz .LBB66_267
; %bb.266:
	v_mul_f64 v[38:39], v[0:1], v[38:39]
	ds_read2_b64 v[84:87], v80 offset0:16 offset1:17
	ds_read2_b64 v[88:91], v80 offset0:18 offset1:19
	;; [unrolled: 1-line block ×9, first 2 shown]
	s_waitcnt lgkmcnt(8)
	v_fma_f64 v[40:41], -v[38:39], v[84:85], v[40:41]
	v_fma_f64 v[34:35], -v[38:39], v[86:87], v[34:35]
	s_waitcnt lgkmcnt(7)
	v_fma_f64 v[36:37], -v[38:39], v[88:89], v[36:37]
	v_fma_f64 v[32:33], -v[38:39], v[90:91], v[32:33]
	;; [unrolled: 3-line block ×9, first 2 shown]
.LBB66_267:
	s_or_b32 exec_lo, exec_lo, s0
	v_lshl_add_u32 v0, v83, 3, v80
	s_barrier
	buffer_gl0_inv
	v_mov_b32_e32 v74, 16
	ds_write_b64 v0, v[40:41]
	s_waitcnt lgkmcnt(0)
	s_barrier
	buffer_gl0_inv
	ds_read_b64 v[0:1], v80 offset:128
	s_cmp_lt_i32 s7, 18
	s_cbranch_scc1 .LBB66_270
; %bb.268:
	v_add3_u32 v75, v81, 0, 0x88
	v_mov_b32_e32 v74, 16
	s_mov_b32 s0, 17
.LBB66_269:                             ; =>This Inner Loop Header: Depth=1
	ds_read_b64 v[84:85], v75
	v_add_nc_u32_e32 v75, 8, v75
	s_waitcnt lgkmcnt(0)
	v_cmp_lt_f64_e64 vcc_lo, |v[0:1]|, |v[84:85]|
	v_cndmask_b32_e32 v1, v1, v85, vcc_lo
	v_cndmask_b32_e32 v0, v0, v84, vcc_lo
	v_cndmask_b32_e64 v74, v74, s0, vcc_lo
	s_add_i32 s0, s0, 1
	s_cmp_lg_u32 s7, s0
	s_cbranch_scc1 .LBB66_269
.LBB66_270:
	s_mov_b32 s0, exec_lo
	s_waitcnt lgkmcnt(0)
	v_cmpx_eq_f64_e32 0, v[0:1]
	s_xor_b32 s0, exec_lo, s0
; %bb.271:
	v_cmp_ne_u32_e32 vcc_lo, 0, v82
	v_cndmask_b32_e32 v82, 17, v82, vcc_lo
; %bb.272:
	s_andn2_saveexec_b32 s0, s0
	s_cbranch_execz .LBB66_274
; %bb.273:
	v_div_scale_f64 v[75:76], null, v[0:1], v[0:1], 1.0
	v_rcp_f64_e32 v[84:85], v[75:76]
	v_fma_f64 v[86:87], -v[75:76], v[84:85], 1.0
	v_fma_f64 v[84:85], v[84:85], v[86:87], v[84:85]
	v_fma_f64 v[86:87], -v[75:76], v[84:85], 1.0
	v_fma_f64 v[84:85], v[84:85], v[86:87], v[84:85]
	v_div_scale_f64 v[86:87], vcc_lo, 1.0, v[0:1], 1.0
	v_mul_f64 v[88:89], v[86:87], v[84:85]
	v_fma_f64 v[75:76], -v[75:76], v[88:89], v[86:87]
	v_div_fmas_f64 v[75:76], v[75:76], v[84:85], v[88:89]
	v_div_fixup_f64 v[0:1], v[75:76], v[0:1], 1.0
.LBB66_274:
	s_or_b32 exec_lo, exec_lo, s0
	s_mov_b32 s0, exec_lo
	v_cmpx_ne_u32_e64 v83, v74
	s_xor_b32 s0, exec_lo, s0
	s_cbranch_execz .LBB66_280
; %bb.275:
	s_mov_b32 s1, exec_lo
	v_cmpx_eq_u32_e32 16, v83
	s_cbranch_execz .LBB66_279
; %bb.276:
	v_cmp_ne_u32_e32 vcc_lo, 16, v74
	s_xor_b32 s2, s6, -1
	s_and_b32 s3, s2, vcc_lo
	s_and_saveexec_b32 s2, s3
	s_cbranch_execz .LBB66_278
; %bb.277:
	v_ashrrev_i32_e32 v75, 31, v74
	v_lshlrev_b64 v[75:76], 2, v[74:75]
	v_add_co_u32 v75, vcc_lo, v4, v75
	v_add_co_ci_u32_e64 v76, null, v5, v76, vcc_lo
	s_clause 0x1
	global_load_dword v77, v[75:76], off
	global_load_dword v83, v[4:5], off offset:64
	s_waitcnt vmcnt(1)
	global_store_dword v[4:5], v77, off offset:64
	s_waitcnt vmcnt(0)
	global_store_dword v[75:76], v83, off
.LBB66_278:
	s_or_b32 exec_lo, exec_lo, s2
	v_mov_b32_e32 v77, v74
	v_mov_b32_e32 v83, v74
.LBB66_279:
	s_or_b32 exec_lo, exec_lo, s1
.LBB66_280:
	s_andn2_saveexec_b32 s0, s0
	s_cbranch_execz .LBB66_282
; %bb.281:
	v_mov_b32_e32 v83, 16
	ds_write2_b64 v80, v[34:35], v[36:37] offset0:17 offset1:18
	ds_write2_b64 v80, v[32:33], v[30:31] offset0:19 offset1:20
	;; [unrolled: 1-line block ×8, first 2 shown]
	ds_write_b64 v80, v[72:73] offset:264
.LBB66_282:
	s_or_b32 exec_lo, exec_lo, s0
	s_mov_b32 s0, exec_lo
	s_waitcnt lgkmcnt(0)
	s_waitcnt_vscnt null, 0x0
	s_barrier
	buffer_gl0_inv
	v_cmpx_lt_i32_e32 16, v83
	s_cbranch_execz .LBB66_284
; %bb.283:
	v_mul_f64 v[40:41], v[0:1], v[40:41]
	ds_read2_b64 v[84:87], v80 offset0:17 offset1:18
	ds_read2_b64 v[88:91], v80 offset0:19 offset1:20
	;; [unrolled: 1-line block ×8, first 2 shown]
	ds_read_b64 v[0:1], v80 offset:264
	s_waitcnt lgkmcnt(8)
	v_fma_f64 v[34:35], -v[40:41], v[84:85], v[34:35]
	v_fma_f64 v[36:37], -v[40:41], v[86:87], v[36:37]
	s_waitcnt lgkmcnt(7)
	v_fma_f64 v[32:33], -v[40:41], v[88:89], v[32:33]
	v_fma_f64 v[30:31], -v[40:41], v[90:91], v[30:31]
	;; [unrolled: 3-line block ×8, first 2 shown]
	s_waitcnt lgkmcnt(0)
	v_fma_f64 v[72:73], -v[40:41], v[0:1], v[72:73]
.LBB66_284:
	s_or_b32 exec_lo, exec_lo, s0
	v_lshl_add_u32 v0, v83, 3, v80
	s_barrier
	buffer_gl0_inv
	v_mov_b32_e32 v74, 17
	ds_write_b64 v0, v[34:35]
	s_waitcnt lgkmcnt(0)
	s_barrier
	buffer_gl0_inv
	ds_read_b64 v[0:1], v80 offset:136
	s_cmp_lt_i32 s7, 19
	s_cbranch_scc1 .LBB66_287
; %bb.285:
	v_add3_u32 v75, v81, 0, 0x90
	v_mov_b32_e32 v74, 17
	s_mov_b32 s0, 18
.LBB66_286:                             ; =>This Inner Loop Header: Depth=1
	ds_read_b64 v[84:85], v75
	v_add_nc_u32_e32 v75, 8, v75
	s_waitcnt lgkmcnt(0)
	v_cmp_lt_f64_e64 vcc_lo, |v[0:1]|, |v[84:85]|
	v_cndmask_b32_e32 v1, v1, v85, vcc_lo
	v_cndmask_b32_e32 v0, v0, v84, vcc_lo
	v_cndmask_b32_e64 v74, v74, s0, vcc_lo
	s_add_i32 s0, s0, 1
	s_cmp_lg_u32 s7, s0
	s_cbranch_scc1 .LBB66_286
.LBB66_287:
	s_mov_b32 s0, exec_lo
	s_waitcnt lgkmcnt(0)
	v_cmpx_eq_f64_e32 0, v[0:1]
	s_xor_b32 s0, exec_lo, s0
; %bb.288:
	v_cmp_ne_u32_e32 vcc_lo, 0, v82
	v_cndmask_b32_e32 v82, 18, v82, vcc_lo
; %bb.289:
	s_andn2_saveexec_b32 s0, s0
	s_cbranch_execz .LBB66_291
; %bb.290:
	v_div_scale_f64 v[75:76], null, v[0:1], v[0:1], 1.0
	v_rcp_f64_e32 v[84:85], v[75:76]
	v_fma_f64 v[86:87], -v[75:76], v[84:85], 1.0
	v_fma_f64 v[84:85], v[84:85], v[86:87], v[84:85]
	v_fma_f64 v[86:87], -v[75:76], v[84:85], 1.0
	v_fma_f64 v[84:85], v[84:85], v[86:87], v[84:85]
	v_div_scale_f64 v[86:87], vcc_lo, 1.0, v[0:1], 1.0
	v_mul_f64 v[88:89], v[86:87], v[84:85]
	v_fma_f64 v[75:76], -v[75:76], v[88:89], v[86:87]
	v_div_fmas_f64 v[75:76], v[75:76], v[84:85], v[88:89]
	v_div_fixup_f64 v[0:1], v[75:76], v[0:1], 1.0
.LBB66_291:
	s_or_b32 exec_lo, exec_lo, s0
	s_mov_b32 s0, exec_lo
	v_cmpx_ne_u32_e64 v83, v74
	s_xor_b32 s0, exec_lo, s0
	s_cbranch_execz .LBB66_297
; %bb.292:
	s_mov_b32 s1, exec_lo
	v_cmpx_eq_u32_e32 17, v83
	s_cbranch_execz .LBB66_296
; %bb.293:
	v_cmp_ne_u32_e32 vcc_lo, 17, v74
	s_xor_b32 s2, s6, -1
	s_and_b32 s3, s2, vcc_lo
	s_and_saveexec_b32 s2, s3
	s_cbranch_execz .LBB66_295
; %bb.294:
	v_ashrrev_i32_e32 v75, 31, v74
	v_lshlrev_b64 v[75:76], 2, v[74:75]
	v_add_co_u32 v75, vcc_lo, v4, v75
	v_add_co_ci_u32_e64 v76, null, v5, v76, vcc_lo
	s_clause 0x1
	global_load_dword v77, v[75:76], off
	global_load_dword v83, v[4:5], off offset:68
	s_waitcnt vmcnt(1)
	global_store_dword v[4:5], v77, off offset:68
	s_waitcnt vmcnt(0)
	global_store_dword v[75:76], v83, off
.LBB66_295:
	s_or_b32 exec_lo, exec_lo, s2
	v_mov_b32_e32 v77, v74
	v_mov_b32_e32 v83, v74
.LBB66_296:
	s_or_b32 exec_lo, exec_lo, s1
.LBB66_297:
	s_andn2_saveexec_b32 s0, s0
	s_cbranch_execz .LBB66_299
; %bb.298:
	v_mov_b32_e32 v74, v36
	v_mov_b32_e32 v75, v37
	v_mov_b32_e32 v83, v32
	v_mov_b32_e32 v84, v33
	v_mov_b32_e32 v85, v30
	v_mov_b32_e32 v86, v31
	v_mov_b32_e32 v87, v28
	v_mov_b32_e32 v88, v29
	v_mov_b32_e32 v89, v26
	v_mov_b32_e32 v90, v27
	v_mov_b32_e32 v91, v24
	v_mov_b32_e32 v92, v25
	v_mov_b32_e32 v93, v22
	v_mov_b32_e32 v94, v23
	v_mov_b32_e32 v95, v18
	v_mov_b32_e32 v96, v19
	ds_write2_b64 v80, v[74:75], v[83:84] offset0:18 offset1:19
	ds_write2_b64 v80, v[85:86], v[87:88] offset0:20 offset1:21
	;; [unrolled: 1-line block ×4, first 2 shown]
	v_mov_b32_e32 v74, v20
	v_mov_b32_e32 v75, v21
	;; [unrolled: 1-line block ×15, first 2 shown]
	ds_write2_b64 v80, v[74:75], v[84:85] offset0:26 offset1:27
	ds_write2_b64 v80, v[86:87], v[88:89] offset0:28 offset1:29
	;; [unrolled: 1-line block ×4, first 2 shown]
.LBB66_299:
	s_or_b32 exec_lo, exec_lo, s0
	s_mov_b32 s0, exec_lo
	s_waitcnt lgkmcnt(0)
	s_waitcnt_vscnt null, 0x0
	s_barrier
	buffer_gl0_inv
	v_cmpx_lt_i32_e32 17, v83
	s_cbranch_execz .LBB66_301
; %bb.300:
	v_mul_f64 v[34:35], v[0:1], v[34:35]
	ds_read2_b64 v[84:87], v80 offset0:18 offset1:19
	ds_read2_b64 v[88:91], v80 offset0:20 offset1:21
	;; [unrolled: 1-line block ×8, first 2 shown]
	s_waitcnt lgkmcnt(7)
	v_fma_f64 v[36:37], -v[34:35], v[84:85], v[36:37]
	v_fma_f64 v[32:33], -v[34:35], v[86:87], v[32:33]
	s_waitcnt lgkmcnt(6)
	v_fma_f64 v[30:31], -v[34:35], v[88:89], v[30:31]
	v_fma_f64 v[28:29], -v[34:35], v[90:91], v[28:29]
	;; [unrolled: 3-line block ×8, first 2 shown]
.LBB66_301:
	s_or_b32 exec_lo, exec_lo, s0
	v_lshl_add_u32 v0, v83, 3, v80
	s_barrier
	buffer_gl0_inv
	v_mov_b32_e32 v74, 18
	ds_write_b64 v0, v[36:37]
	s_waitcnt lgkmcnt(0)
	s_barrier
	buffer_gl0_inv
	ds_read_b64 v[0:1], v80 offset:144
	s_cmp_lt_i32 s7, 20
	s_cbranch_scc1 .LBB66_304
; %bb.302:
	v_add3_u32 v75, v81, 0, 0x98
	v_mov_b32_e32 v74, 18
	s_mov_b32 s0, 19
.LBB66_303:                             ; =>This Inner Loop Header: Depth=1
	ds_read_b64 v[84:85], v75
	v_add_nc_u32_e32 v75, 8, v75
	s_waitcnt lgkmcnt(0)
	v_cmp_lt_f64_e64 vcc_lo, |v[0:1]|, |v[84:85]|
	v_cndmask_b32_e32 v1, v1, v85, vcc_lo
	v_cndmask_b32_e32 v0, v0, v84, vcc_lo
	v_cndmask_b32_e64 v74, v74, s0, vcc_lo
	s_add_i32 s0, s0, 1
	s_cmp_lg_u32 s7, s0
	s_cbranch_scc1 .LBB66_303
.LBB66_304:
	s_mov_b32 s0, exec_lo
	s_waitcnt lgkmcnt(0)
	v_cmpx_eq_f64_e32 0, v[0:1]
	s_xor_b32 s0, exec_lo, s0
; %bb.305:
	v_cmp_ne_u32_e32 vcc_lo, 0, v82
	v_cndmask_b32_e32 v82, 19, v82, vcc_lo
; %bb.306:
	s_andn2_saveexec_b32 s0, s0
	s_cbranch_execz .LBB66_308
; %bb.307:
	v_div_scale_f64 v[75:76], null, v[0:1], v[0:1], 1.0
	v_rcp_f64_e32 v[84:85], v[75:76]
	v_fma_f64 v[86:87], -v[75:76], v[84:85], 1.0
	v_fma_f64 v[84:85], v[84:85], v[86:87], v[84:85]
	v_fma_f64 v[86:87], -v[75:76], v[84:85], 1.0
	v_fma_f64 v[84:85], v[84:85], v[86:87], v[84:85]
	v_div_scale_f64 v[86:87], vcc_lo, 1.0, v[0:1], 1.0
	v_mul_f64 v[88:89], v[86:87], v[84:85]
	v_fma_f64 v[75:76], -v[75:76], v[88:89], v[86:87]
	v_div_fmas_f64 v[75:76], v[75:76], v[84:85], v[88:89]
	v_div_fixup_f64 v[0:1], v[75:76], v[0:1], 1.0
.LBB66_308:
	s_or_b32 exec_lo, exec_lo, s0
	s_mov_b32 s0, exec_lo
	v_cmpx_ne_u32_e64 v83, v74
	s_xor_b32 s0, exec_lo, s0
	s_cbranch_execz .LBB66_314
; %bb.309:
	s_mov_b32 s1, exec_lo
	v_cmpx_eq_u32_e32 18, v83
	s_cbranch_execz .LBB66_313
; %bb.310:
	v_cmp_ne_u32_e32 vcc_lo, 18, v74
	s_xor_b32 s2, s6, -1
	s_and_b32 s3, s2, vcc_lo
	s_and_saveexec_b32 s2, s3
	s_cbranch_execz .LBB66_312
; %bb.311:
	v_ashrrev_i32_e32 v75, 31, v74
	v_lshlrev_b64 v[75:76], 2, v[74:75]
	v_add_co_u32 v75, vcc_lo, v4, v75
	v_add_co_ci_u32_e64 v76, null, v5, v76, vcc_lo
	s_clause 0x1
	global_load_dword v77, v[75:76], off
	global_load_dword v83, v[4:5], off offset:72
	s_waitcnt vmcnt(1)
	global_store_dword v[4:5], v77, off offset:72
	s_waitcnt vmcnt(0)
	global_store_dword v[75:76], v83, off
.LBB66_312:
	s_or_b32 exec_lo, exec_lo, s2
	v_mov_b32_e32 v77, v74
	v_mov_b32_e32 v83, v74
.LBB66_313:
	s_or_b32 exec_lo, exec_lo, s1
.LBB66_314:
	s_andn2_saveexec_b32 s0, s0
	s_cbranch_execz .LBB66_316
; %bb.315:
	v_mov_b32_e32 v83, 18
	ds_write2_b64 v80, v[32:33], v[30:31] offset0:19 offset1:20
	ds_write2_b64 v80, v[28:29], v[26:27] offset0:21 offset1:22
	;; [unrolled: 1-line block ×7, first 2 shown]
	ds_write_b64 v80, v[72:73] offset:264
.LBB66_316:
	s_or_b32 exec_lo, exec_lo, s0
	s_mov_b32 s0, exec_lo
	s_waitcnt lgkmcnt(0)
	s_waitcnt_vscnt null, 0x0
	s_barrier
	buffer_gl0_inv
	v_cmpx_lt_i32_e32 18, v83
	s_cbranch_execz .LBB66_318
; %bb.317:
	v_mul_f64 v[36:37], v[0:1], v[36:37]
	ds_read2_b64 v[84:87], v80 offset0:19 offset1:20
	ds_read2_b64 v[88:91], v80 offset0:21 offset1:22
	;; [unrolled: 1-line block ×7, first 2 shown]
	ds_read_b64 v[0:1], v80 offset:264
	s_waitcnt lgkmcnt(7)
	v_fma_f64 v[32:33], -v[36:37], v[84:85], v[32:33]
	v_fma_f64 v[30:31], -v[36:37], v[86:87], v[30:31]
	s_waitcnt lgkmcnt(6)
	v_fma_f64 v[28:29], -v[36:37], v[88:89], v[28:29]
	v_fma_f64 v[26:27], -v[36:37], v[90:91], v[26:27]
	;; [unrolled: 3-line block ×7, first 2 shown]
	s_waitcnt lgkmcnt(0)
	v_fma_f64 v[72:73], -v[36:37], v[0:1], v[72:73]
.LBB66_318:
	s_or_b32 exec_lo, exec_lo, s0
	v_lshl_add_u32 v0, v83, 3, v80
	s_barrier
	buffer_gl0_inv
	v_mov_b32_e32 v74, 19
	ds_write_b64 v0, v[32:33]
	s_waitcnt lgkmcnt(0)
	s_barrier
	buffer_gl0_inv
	ds_read_b64 v[0:1], v80 offset:152
	s_cmp_lt_i32 s7, 21
	s_cbranch_scc1 .LBB66_321
; %bb.319:
	v_add3_u32 v75, v81, 0, 0xa0
	v_mov_b32_e32 v74, 19
	s_mov_b32 s0, 20
.LBB66_320:                             ; =>This Inner Loop Header: Depth=1
	ds_read_b64 v[84:85], v75
	v_add_nc_u32_e32 v75, 8, v75
	s_waitcnt lgkmcnt(0)
	v_cmp_lt_f64_e64 vcc_lo, |v[0:1]|, |v[84:85]|
	v_cndmask_b32_e32 v1, v1, v85, vcc_lo
	v_cndmask_b32_e32 v0, v0, v84, vcc_lo
	v_cndmask_b32_e64 v74, v74, s0, vcc_lo
	s_add_i32 s0, s0, 1
	s_cmp_lg_u32 s7, s0
	s_cbranch_scc1 .LBB66_320
.LBB66_321:
	s_mov_b32 s0, exec_lo
	s_waitcnt lgkmcnt(0)
	v_cmpx_eq_f64_e32 0, v[0:1]
	s_xor_b32 s0, exec_lo, s0
; %bb.322:
	v_cmp_ne_u32_e32 vcc_lo, 0, v82
	v_cndmask_b32_e32 v82, 20, v82, vcc_lo
; %bb.323:
	s_andn2_saveexec_b32 s0, s0
	s_cbranch_execz .LBB66_325
; %bb.324:
	v_div_scale_f64 v[75:76], null, v[0:1], v[0:1], 1.0
	v_rcp_f64_e32 v[84:85], v[75:76]
	v_fma_f64 v[86:87], -v[75:76], v[84:85], 1.0
	v_fma_f64 v[84:85], v[84:85], v[86:87], v[84:85]
	v_fma_f64 v[86:87], -v[75:76], v[84:85], 1.0
	v_fma_f64 v[84:85], v[84:85], v[86:87], v[84:85]
	v_div_scale_f64 v[86:87], vcc_lo, 1.0, v[0:1], 1.0
	v_mul_f64 v[88:89], v[86:87], v[84:85]
	v_fma_f64 v[75:76], -v[75:76], v[88:89], v[86:87]
	v_div_fmas_f64 v[75:76], v[75:76], v[84:85], v[88:89]
	v_div_fixup_f64 v[0:1], v[75:76], v[0:1], 1.0
.LBB66_325:
	s_or_b32 exec_lo, exec_lo, s0
	s_mov_b32 s0, exec_lo
	v_cmpx_ne_u32_e64 v83, v74
	s_xor_b32 s0, exec_lo, s0
	s_cbranch_execz .LBB66_331
; %bb.326:
	s_mov_b32 s1, exec_lo
	v_cmpx_eq_u32_e32 19, v83
	s_cbranch_execz .LBB66_330
; %bb.327:
	v_cmp_ne_u32_e32 vcc_lo, 19, v74
	s_xor_b32 s2, s6, -1
	s_and_b32 s3, s2, vcc_lo
	s_and_saveexec_b32 s2, s3
	s_cbranch_execz .LBB66_329
; %bb.328:
	v_ashrrev_i32_e32 v75, 31, v74
	v_lshlrev_b64 v[75:76], 2, v[74:75]
	v_add_co_u32 v75, vcc_lo, v4, v75
	v_add_co_ci_u32_e64 v76, null, v5, v76, vcc_lo
	s_clause 0x1
	global_load_dword v77, v[75:76], off
	global_load_dword v83, v[4:5], off offset:76
	s_waitcnt vmcnt(1)
	global_store_dword v[4:5], v77, off offset:76
	s_waitcnt vmcnt(0)
	global_store_dword v[75:76], v83, off
.LBB66_329:
	s_or_b32 exec_lo, exec_lo, s2
	v_mov_b32_e32 v77, v74
	v_mov_b32_e32 v83, v74
.LBB66_330:
	s_or_b32 exec_lo, exec_lo, s1
.LBB66_331:
	s_andn2_saveexec_b32 s0, s0
	s_cbranch_execz .LBB66_333
; %bb.332:
	v_mov_b32_e32 v74, v30
	v_mov_b32_e32 v75, v31
	;; [unrolled: 1-line block ×12, first 2 shown]
	ds_write2_b64 v80, v[74:75], v[83:84] offset0:20 offset1:21
	ds_write2_b64 v80, v[85:86], v[87:88] offset0:22 offset1:23
	;; [unrolled: 1-line block ×3, first 2 shown]
	v_mov_b32_e32 v74, v20
	v_mov_b32_e32 v75, v21
	;; [unrolled: 1-line block ×15, first 2 shown]
	ds_write2_b64 v80, v[74:75], v[84:85] offset0:26 offset1:27
	ds_write2_b64 v80, v[86:87], v[88:89] offset0:28 offset1:29
	;; [unrolled: 1-line block ×4, first 2 shown]
.LBB66_333:
	s_or_b32 exec_lo, exec_lo, s0
	s_mov_b32 s0, exec_lo
	s_waitcnt lgkmcnt(0)
	s_waitcnt_vscnt null, 0x0
	s_barrier
	buffer_gl0_inv
	v_cmpx_lt_i32_e32 19, v83
	s_cbranch_execz .LBB66_335
; %bb.334:
	v_mul_f64 v[32:33], v[0:1], v[32:33]
	ds_read2_b64 v[84:87], v80 offset0:20 offset1:21
	ds_read2_b64 v[88:91], v80 offset0:22 offset1:23
	;; [unrolled: 1-line block ×7, first 2 shown]
	s_waitcnt lgkmcnt(6)
	v_fma_f64 v[30:31], -v[32:33], v[84:85], v[30:31]
	v_fma_f64 v[28:29], -v[32:33], v[86:87], v[28:29]
	s_waitcnt lgkmcnt(5)
	v_fma_f64 v[26:27], -v[32:33], v[88:89], v[26:27]
	v_fma_f64 v[24:25], -v[32:33], v[90:91], v[24:25]
	s_waitcnt lgkmcnt(4)
	v_fma_f64 v[22:23], -v[32:33], v[92:93], v[22:23]
	v_fma_f64 v[18:19], -v[32:33], v[94:95], v[18:19]
	s_waitcnt lgkmcnt(3)
	v_fma_f64 v[20:21], -v[32:33], v[96:97], v[20:21]
	v_fma_f64 v[16:17], -v[32:33], v[98:99], v[16:17]
	s_waitcnt lgkmcnt(2)
	v_fma_f64 v[14:15], -v[32:33], v[100:101], v[14:15]
	v_fma_f64 v[8:9], -v[32:33], v[102:103], v[8:9]
	s_waitcnt lgkmcnt(1)
	v_fma_f64 v[12:13], -v[32:33], v[104:105], v[12:13]
	v_fma_f64 v[6:7], -v[32:33], v[106:107], v[6:7]
	s_waitcnt lgkmcnt(0)
	v_fma_f64 v[10:11], -v[32:33], v[108:109], v[10:11]
	v_fma_f64 v[72:73], -v[32:33], v[110:111], v[72:73]
.LBB66_335:
	s_or_b32 exec_lo, exec_lo, s0
	v_lshl_add_u32 v0, v83, 3, v80
	s_barrier
	buffer_gl0_inv
	v_mov_b32_e32 v74, 20
	ds_write_b64 v0, v[30:31]
	s_waitcnt lgkmcnt(0)
	s_barrier
	buffer_gl0_inv
	ds_read_b64 v[0:1], v80 offset:160
	s_cmp_lt_i32 s7, 22
	s_cbranch_scc1 .LBB66_338
; %bb.336:
	v_add3_u32 v75, v81, 0, 0xa8
	v_mov_b32_e32 v74, 20
	s_mov_b32 s0, 21
.LBB66_337:                             ; =>This Inner Loop Header: Depth=1
	ds_read_b64 v[84:85], v75
	v_add_nc_u32_e32 v75, 8, v75
	s_waitcnt lgkmcnt(0)
	v_cmp_lt_f64_e64 vcc_lo, |v[0:1]|, |v[84:85]|
	v_cndmask_b32_e32 v1, v1, v85, vcc_lo
	v_cndmask_b32_e32 v0, v0, v84, vcc_lo
	v_cndmask_b32_e64 v74, v74, s0, vcc_lo
	s_add_i32 s0, s0, 1
	s_cmp_lg_u32 s7, s0
	s_cbranch_scc1 .LBB66_337
.LBB66_338:
	s_mov_b32 s0, exec_lo
	s_waitcnt lgkmcnt(0)
	v_cmpx_eq_f64_e32 0, v[0:1]
	s_xor_b32 s0, exec_lo, s0
; %bb.339:
	v_cmp_ne_u32_e32 vcc_lo, 0, v82
	v_cndmask_b32_e32 v82, 21, v82, vcc_lo
; %bb.340:
	s_andn2_saveexec_b32 s0, s0
	s_cbranch_execz .LBB66_342
; %bb.341:
	v_div_scale_f64 v[75:76], null, v[0:1], v[0:1], 1.0
	v_rcp_f64_e32 v[84:85], v[75:76]
	v_fma_f64 v[86:87], -v[75:76], v[84:85], 1.0
	v_fma_f64 v[84:85], v[84:85], v[86:87], v[84:85]
	v_fma_f64 v[86:87], -v[75:76], v[84:85], 1.0
	v_fma_f64 v[84:85], v[84:85], v[86:87], v[84:85]
	v_div_scale_f64 v[86:87], vcc_lo, 1.0, v[0:1], 1.0
	v_mul_f64 v[88:89], v[86:87], v[84:85]
	v_fma_f64 v[75:76], -v[75:76], v[88:89], v[86:87]
	v_div_fmas_f64 v[75:76], v[75:76], v[84:85], v[88:89]
	v_div_fixup_f64 v[0:1], v[75:76], v[0:1], 1.0
.LBB66_342:
	s_or_b32 exec_lo, exec_lo, s0
	s_mov_b32 s0, exec_lo
	v_cmpx_ne_u32_e64 v83, v74
	s_xor_b32 s0, exec_lo, s0
	s_cbranch_execz .LBB66_348
; %bb.343:
	s_mov_b32 s1, exec_lo
	v_cmpx_eq_u32_e32 20, v83
	s_cbranch_execz .LBB66_347
; %bb.344:
	v_cmp_ne_u32_e32 vcc_lo, 20, v74
	s_xor_b32 s2, s6, -1
	s_and_b32 s3, s2, vcc_lo
	s_and_saveexec_b32 s2, s3
	s_cbranch_execz .LBB66_346
; %bb.345:
	v_ashrrev_i32_e32 v75, 31, v74
	v_lshlrev_b64 v[75:76], 2, v[74:75]
	v_add_co_u32 v75, vcc_lo, v4, v75
	v_add_co_ci_u32_e64 v76, null, v5, v76, vcc_lo
	s_clause 0x1
	global_load_dword v77, v[75:76], off
	global_load_dword v83, v[4:5], off offset:80
	s_waitcnt vmcnt(1)
	global_store_dword v[4:5], v77, off offset:80
	s_waitcnt vmcnt(0)
	global_store_dword v[75:76], v83, off
.LBB66_346:
	s_or_b32 exec_lo, exec_lo, s2
	v_mov_b32_e32 v77, v74
	v_mov_b32_e32 v83, v74
.LBB66_347:
	s_or_b32 exec_lo, exec_lo, s1
.LBB66_348:
	s_andn2_saveexec_b32 s0, s0
	s_cbranch_execz .LBB66_350
; %bb.349:
	v_mov_b32_e32 v83, 20
	ds_write2_b64 v80, v[28:29], v[26:27] offset0:21 offset1:22
	ds_write2_b64 v80, v[24:25], v[22:23] offset0:23 offset1:24
	;; [unrolled: 1-line block ×6, first 2 shown]
	ds_write_b64 v80, v[72:73] offset:264
.LBB66_350:
	s_or_b32 exec_lo, exec_lo, s0
	s_mov_b32 s0, exec_lo
	s_waitcnt lgkmcnt(0)
	s_waitcnt_vscnt null, 0x0
	s_barrier
	buffer_gl0_inv
	v_cmpx_lt_i32_e32 20, v83
	s_cbranch_execz .LBB66_352
; %bb.351:
	v_mul_f64 v[30:31], v[0:1], v[30:31]
	ds_read2_b64 v[84:87], v80 offset0:21 offset1:22
	ds_read2_b64 v[88:91], v80 offset0:23 offset1:24
	ds_read2_b64 v[92:95], v80 offset0:25 offset1:26
	ds_read2_b64 v[96:99], v80 offset0:27 offset1:28
	ds_read2_b64 v[100:103], v80 offset0:29 offset1:30
	ds_read2_b64 v[104:107], v80 offset0:31 offset1:32
	ds_read_b64 v[0:1], v80 offset:264
	s_waitcnt lgkmcnt(6)
	v_fma_f64 v[28:29], -v[30:31], v[84:85], v[28:29]
	v_fma_f64 v[26:27], -v[30:31], v[86:87], v[26:27]
	s_waitcnt lgkmcnt(5)
	v_fma_f64 v[24:25], -v[30:31], v[88:89], v[24:25]
	v_fma_f64 v[22:23], -v[30:31], v[90:91], v[22:23]
	;; [unrolled: 3-line block ×6, first 2 shown]
	s_waitcnt lgkmcnt(0)
	v_fma_f64 v[72:73], -v[30:31], v[0:1], v[72:73]
.LBB66_352:
	s_or_b32 exec_lo, exec_lo, s0
	v_lshl_add_u32 v0, v83, 3, v80
	s_barrier
	buffer_gl0_inv
	v_mov_b32_e32 v74, 21
	ds_write_b64 v0, v[28:29]
	s_waitcnt lgkmcnt(0)
	s_barrier
	buffer_gl0_inv
	ds_read_b64 v[0:1], v80 offset:168
	s_cmp_lt_i32 s7, 23
	s_cbranch_scc1 .LBB66_355
; %bb.353:
	v_add3_u32 v75, v81, 0, 0xb0
	v_mov_b32_e32 v74, 21
	s_mov_b32 s0, 22
.LBB66_354:                             ; =>This Inner Loop Header: Depth=1
	ds_read_b64 v[84:85], v75
	v_add_nc_u32_e32 v75, 8, v75
	s_waitcnt lgkmcnt(0)
	v_cmp_lt_f64_e64 vcc_lo, |v[0:1]|, |v[84:85]|
	v_cndmask_b32_e32 v1, v1, v85, vcc_lo
	v_cndmask_b32_e32 v0, v0, v84, vcc_lo
	v_cndmask_b32_e64 v74, v74, s0, vcc_lo
	s_add_i32 s0, s0, 1
	s_cmp_lg_u32 s7, s0
	s_cbranch_scc1 .LBB66_354
.LBB66_355:
	s_mov_b32 s0, exec_lo
	s_waitcnt lgkmcnt(0)
	v_cmpx_eq_f64_e32 0, v[0:1]
	s_xor_b32 s0, exec_lo, s0
; %bb.356:
	v_cmp_ne_u32_e32 vcc_lo, 0, v82
	v_cndmask_b32_e32 v82, 22, v82, vcc_lo
; %bb.357:
	s_andn2_saveexec_b32 s0, s0
	s_cbranch_execz .LBB66_359
; %bb.358:
	v_div_scale_f64 v[75:76], null, v[0:1], v[0:1], 1.0
	v_rcp_f64_e32 v[84:85], v[75:76]
	v_fma_f64 v[86:87], -v[75:76], v[84:85], 1.0
	v_fma_f64 v[84:85], v[84:85], v[86:87], v[84:85]
	v_fma_f64 v[86:87], -v[75:76], v[84:85], 1.0
	v_fma_f64 v[84:85], v[84:85], v[86:87], v[84:85]
	v_div_scale_f64 v[86:87], vcc_lo, 1.0, v[0:1], 1.0
	v_mul_f64 v[88:89], v[86:87], v[84:85]
	v_fma_f64 v[75:76], -v[75:76], v[88:89], v[86:87]
	v_div_fmas_f64 v[75:76], v[75:76], v[84:85], v[88:89]
	v_div_fixup_f64 v[0:1], v[75:76], v[0:1], 1.0
.LBB66_359:
	s_or_b32 exec_lo, exec_lo, s0
	s_mov_b32 s0, exec_lo
	v_cmpx_ne_u32_e64 v83, v74
	s_xor_b32 s0, exec_lo, s0
	s_cbranch_execz .LBB66_365
; %bb.360:
	s_mov_b32 s1, exec_lo
	v_cmpx_eq_u32_e32 21, v83
	s_cbranch_execz .LBB66_364
; %bb.361:
	v_cmp_ne_u32_e32 vcc_lo, 21, v74
	s_xor_b32 s2, s6, -1
	s_and_b32 s3, s2, vcc_lo
	s_and_saveexec_b32 s2, s3
	s_cbranch_execz .LBB66_363
; %bb.362:
	v_ashrrev_i32_e32 v75, 31, v74
	v_lshlrev_b64 v[75:76], 2, v[74:75]
	v_add_co_u32 v75, vcc_lo, v4, v75
	v_add_co_ci_u32_e64 v76, null, v5, v76, vcc_lo
	s_clause 0x1
	global_load_dword v77, v[75:76], off
	global_load_dword v83, v[4:5], off offset:84
	s_waitcnt vmcnt(1)
	global_store_dword v[4:5], v77, off offset:84
	s_waitcnt vmcnt(0)
	global_store_dword v[75:76], v83, off
.LBB66_363:
	s_or_b32 exec_lo, exec_lo, s2
	v_mov_b32_e32 v77, v74
	v_mov_b32_e32 v83, v74
.LBB66_364:
	s_or_b32 exec_lo, exec_lo, s1
.LBB66_365:
	s_andn2_saveexec_b32 s0, s0
	s_cbranch_execz .LBB66_367
; %bb.366:
	v_mov_b32_e32 v74, v26
	v_mov_b32_e32 v75, v27
	;; [unrolled: 1-line block ×8, first 2 shown]
	ds_write2_b64 v80, v[74:75], v[83:84] offset0:22 offset1:23
	ds_write2_b64 v80, v[85:86], v[87:88] offset0:24 offset1:25
	v_mov_b32_e32 v74, v20
	v_mov_b32_e32 v75, v21
	;; [unrolled: 1-line block ×15, first 2 shown]
	ds_write2_b64 v80, v[74:75], v[84:85] offset0:26 offset1:27
	ds_write2_b64 v80, v[86:87], v[88:89] offset0:28 offset1:29
	;; [unrolled: 1-line block ×4, first 2 shown]
.LBB66_367:
	s_or_b32 exec_lo, exec_lo, s0
	s_mov_b32 s0, exec_lo
	s_waitcnt lgkmcnt(0)
	s_waitcnt_vscnt null, 0x0
	s_barrier
	buffer_gl0_inv
	v_cmpx_lt_i32_e32 21, v83
	s_cbranch_execz .LBB66_369
; %bb.368:
	v_mul_f64 v[28:29], v[0:1], v[28:29]
	ds_read2_b64 v[84:87], v80 offset0:22 offset1:23
	ds_read2_b64 v[88:91], v80 offset0:24 offset1:25
	;; [unrolled: 1-line block ×6, first 2 shown]
	s_waitcnt lgkmcnt(5)
	v_fma_f64 v[26:27], -v[28:29], v[84:85], v[26:27]
	v_fma_f64 v[24:25], -v[28:29], v[86:87], v[24:25]
	s_waitcnt lgkmcnt(4)
	v_fma_f64 v[22:23], -v[28:29], v[88:89], v[22:23]
	v_fma_f64 v[18:19], -v[28:29], v[90:91], v[18:19]
	;; [unrolled: 3-line block ×6, first 2 shown]
.LBB66_369:
	s_or_b32 exec_lo, exec_lo, s0
	v_lshl_add_u32 v0, v83, 3, v80
	s_barrier
	buffer_gl0_inv
	v_mov_b32_e32 v74, 22
	ds_write_b64 v0, v[26:27]
	s_waitcnt lgkmcnt(0)
	s_barrier
	buffer_gl0_inv
	ds_read_b64 v[0:1], v80 offset:176
	s_cmp_lt_i32 s7, 24
	s_cbranch_scc1 .LBB66_372
; %bb.370:
	v_add3_u32 v75, v81, 0, 0xb8
	v_mov_b32_e32 v74, 22
	s_mov_b32 s0, 23
.LBB66_371:                             ; =>This Inner Loop Header: Depth=1
	ds_read_b64 v[84:85], v75
	v_add_nc_u32_e32 v75, 8, v75
	s_waitcnt lgkmcnt(0)
	v_cmp_lt_f64_e64 vcc_lo, |v[0:1]|, |v[84:85]|
	v_cndmask_b32_e32 v1, v1, v85, vcc_lo
	v_cndmask_b32_e32 v0, v0, v84, vcc_lo
	v_cndmask_b32_e64 v74, v74, s0, vcc_lo
	s_add_i32 s0, s0, 1
	s_cmp_lg_u32 s7, s0
	s_cbranch_scc1 .LBB66_371
.LBB66_372:
	s_mov_b32 s0, exec_lo
	s_waitcnt lgkmcnt(0)
	v_cmpx_eq_f64_e32 0, v[0:1]
	s_xor_b32 s0, exec_lo, s0
; %bb.373:
	v_cmp_ne_u32_e32 vcc_lo, 0, v82
	v_cndmask_b32_e32 v82, 23, v82, vcc_lo
; %bb.374:
	s_andn2_saveexec_b32 s0, s0
	s_cbranch_execz .LBB66_376
; %bb.375:
	v_div_scale_f64 v[75:76], null, v[0:1], v[0:1], 1.0
	v_rcp_f64_e32 v[84:85], v[75:76]
	v_fma_f64 v[86:87], -v[75:76], v[84:85], 1.0
	v_fma_f64 v[84:85], v[84:85], v[86:87], v[84:85]
	v_fma_f64 v[86:87], -v[75:76], v[84:85], 1.0
	v_fma_f64 v[84:85], v[84:85], v[86:87], v[84:85]
	v_div_scale_f64 v[86:87], vcc_lo, 1.0, v[0:1], 1.0
	v_mul_f64 v[88:89], v[86:87], v[84:85]
	v_fma_f64 v[75:76], -v[75:76], v[88:89], v[86:87]
	v_div_fmas_f64 v[75:76], v[75:76], v[84:85], v[88:89]
	v_div_fixup_f64 v[0:1], v[75:76], v[0:1], 1.0
.LBB66_376:
	s_or_b32 exec_lo, exec_lo, s0
	s_mov_b32 s0, exec_lo
	v_cmpx_ne_u32_e64 v83, v74
	s_xor_b32 s0, exec_lo, s0
	s_cbranch_execz .LBB66_382
; %bb.377:
	s_mov_b32 s1, exec_lo
	v_cmpx_eq_u32_e32 22, v83
	s_cbranch_execz .LBB66_381
; %bb.378:
	v_cmp_ne_u32_e32 vcc_lo, 22, v74
	s_xor_b32 s2, s6, -1
	s_and_b32 s3, s2, vcc_lo
	s_and_saveexec_b32 s2, s3
	s_cbranch_execz .LBB66_380
; %bb.379:
	v_ashrrev_i32_e32 v75, 31, v74
	v_lshlrev_b64 v[75:76], 2, v[74:75]
	v_add_co_u32 v75, vcc_lo, v4, v75
	v_add_co_ci_u32_e64 v76, null, v5, v76, vcc_lo
	s_clause 0x1
	global_load_dword v77, v[75:76], off
	global_load_dword v83, v[4:5], off offset:88
	s_waitcnt vmcnt(1)
	global_store_dword v[4:5], v77, off offset:88
	s_waitcnt vmcnt(0)
	global_store_dword v[75:76], v83, off
.LBB66_380:
	s_or_b32 exec_lo, exec_lo, s2
	v_mov_b32_e32 v77, v74
	v_mov_b32_e32 v83, v74
.LBB66_381:
	s_or_b32 exec_lo, exec_lo, s1
.LBB66_382:
	s_andn2_saveexec_b32 s0, s0
	s_cbranch_execz .LBB66_384
; %bb.383:
	v_mov_b32_e32 v83, 22
	ds_write2_b64 v80, v[24:25], v[22:23] offset0:23 offset1:24
	ds_write2_b64 v80, v[18:19], v[20:21] offset0:25 offset1:26
	;; [unrolled: 1-line block ×5, first 2 shown]
	ds_write_b64 v80, v[72:73] offset:264
.LBB66_384:
	s_or_b32 exec_lo, exec_lo, s0
	s_mov_b32 s0, exec_lo
	s_waitcnt lgkmcnt(0)
	s_waitcnt_vscnt null, 0x0
	s_barrier
	buffer_gl0_inv
	v_cmpx_lt_i32_e32 22, v83
	s_cbranch_execz .LBB66_386
; %bb.385:
	v_mul_f64 v[26:27], v[0:1], v[26:27]
	ds_read2_b64 v[84:87], v80 offset0:23 offset1:24
	ds_read2_b64 v[88:91], v80 offset0:25 offset1:26
	;; [unrolled: 1-line block ×5, first 2 shown]
	ds_read_b64 v[0:1], v80 offset:264
	s_waitcnt lgkmcnt(5)
	v_fma_f64 v[24:25], -v[26:27], v[84:85], v[24:25]
	v_fma_f64 v[22:23], -v[26:27], v[86:87], v[22:23]
	s_waitcnt lgkmcnt(4)
	v_fma_f64 v[18:19], -v[26:27], v[88:89], v[18:19]
	v_fma_f64 v[20:21], -v[26:27], v[90:91], v[20:21]
	s_waitcnt lgkmcnt(3)
	v_fma_f64 v[16:17], -v[26:27], v[92:93], v[16:17]
	v_fma_f64 v[14:15], -v[26:27], v[94:95], v[14:15]
	s_waitcnt lgkmcnt(2)
	v_fma_f64 v[8:9], -v[26:27], v[96:97], v[8:9]
	v_fma_f64 v[12:13], -v[26:27], v[98:99], v[12:13]
	s_waitcnt lgkmcnt(1)
	v_fma_f64 v[6:7], -v[26:27], v[100:101], v[6:7]
	v_fma_f64 v[10:11], -v[26:27], v[102:103], v[10:11]
	s_waitcnt lgkmcnt(0)
	v_fma_f64 v[72:73], -v[26:27], v[0:1], v[72:73]
.LBB66_386:
	s_or_b32 exec_lo, exec_lo, s0
	v_lshl_add_u32 v0, v83, 3, v80
	s_barrier
	buffer_gl0_inv
	v_mov_b32_e32 v74, 23
	ds_write_b64 v0, v[24:25]
	s_waitcnt lgkmcnt(0)
	s_barrier
	buffer_gl0_inv
	ds_read_b64 v[0:1], v80 offset:184
	s_cmp_lt_i32 s7, 25
	s_cbranch_scc1 .LBB66_389
; %bb.387:
	v_add3_u32 v75, v81, 0, 0xc0
	v_mov_b32_e32 v74, 23
	s_mov_b32 s0, 24
.LBB66_388:                             ; =>This Inner Loop Header: Depth=1
	ds_read_b64 v[84:85], v75
	v_add_nc_u32_e32 v75, 8, v75
	s_waitcnt lgkmcnt(0)
	v_cmp_lt_f64_e64 vcc_lo, |v[0:1]|, |v[84:85]|
	v_cndmask_b32_e32 v1, v1, v85, vcc_lo
	v_cndmask_b32_e32 v0, v0, v84, vcc_lo
	v_cndmask_b32_e64 v74, v74, s0, vcc_lo
	s_add_i32 s0, s0, 1
	s_cmp_lg_u32 s7, s0
	s_cbranch_scc1 .LBB66_388
.LBB66_389:
	s_mov_b32 s0, exec_lo
	s_waitcnt lgkmcnt(0)
	v_cmpx_eq_f64_e32 0, v[0:1]
	s_xor_b32 s0, exec_lo, s0
; %bb.390:
	v_cmp_ne_u32_e32 vcc_lo, 0, v82
	v_cndmask_b32_e32 v82, 24, v82, vcc_lo
; %bb.391:
	s_andn2_saveexec_b32 s0, s0
	s_cbranch_execz .LBB66_393
; %bb.392:
	v_div_scale_f64 v[75:76], null, v[0:1], v[0:1], 1.0
	v_rcp_f64_e32 v[84:85], v[75:76]
	v_fma_f64 v[86:87], -v[75:76], v[84:85], 1.0
	v_fma_f64 v[84:85], v[84:85], v[86:87], v[84:85]
	v_fma_f64 v[86:87], -v[75:76], v[84:85], 1.0
	v_fma_f64 v[84:85], v[84:85], v[86:87], v[84:85]
	v_div_scale_f64 v[86:87], vcc_lo, 1.0, v[0:1], 1.0
	v_mul_f64 v[88:89], v[86:87], v[84:85]
	v_fma_f64 v[75:76], -v[75:76], v[88:89], v[86:87]
	v_div_fmas_f64 v[75:76], v[75:76], v[84:85], v[88:89]
	v_div_fixup_f64 v[0:1], v[75:76], v[0:1], 1.0
.LBB66_393:
	s_or_b32 exec_lo, exec_lo, s0
	s_mov_b32 s0, exec_lo
	v_cmpx_ne_u32_e64 v83, v74
	s_xor_b32 s0, exec_lo, s0
	s_cbranch_execz .LBB66_399
; %bb.394:
	s_mov_b32 s1, exec_lo
	v_cmpx_eq_u32_e32 23, v83
	s_cbranch_execz .LBB66_398
; %bb.395:
	v_cmp_ne_u32_e32 vcc_lo, 23, v74
	s_xor_b32 s2, s6, -1
	s_and_b32 s3, s2, vcc_lo
	s_and_saveexec_b32 s2, s3
	s_cbranch_execz .LBB66_397
; %bb.396:
	v_ashrrev_i32_e32 v75, 31, v74
	v_lshlrev_b64 v[75:76], 2, v[74:75]
	v_add_co_u32 v75, vcc_lo, v4, v75
	v_add_co_ci_u32_e64 v76, null, v5, v76, vcc_lo
	s_clause 0x1
	global_load_dword v77, v[75:76], off
	global_load_dword v83, v[4:5], off offset:92
	s_waitcnt vmcnt(1)
	global_store_dword v[4:5], v77, off offset:92
	s_waitcnt vmcnt(0)
	global_store_dword v[75:76], v83, off
.LBB66_397:
	s_or_b32 exec_lo, exec_lo, s2
	v_mov_b32_e32 v77, v74
	v_mov_b32_e32 v83, v74
.LBB66_398:
	s_or_b32 exec_lo, exec_lo, s1
.LBB66_399:
	s_andn2_saveexec_b32 s0, s0
	s_cbranch_execz .LBB66_401
; %bb.400:
	v_mov_b32_e32 v74, v22
	v_mov_b32_e32 v75, v23
	v_mov_b32_e32 v83, v18
	v_mov_b32_e32 v84, v19
	v_mov_b32_e32 v85, v20
	v_mov_b32_e32 v86, v21
	v_mov_b32_e32 v87, v14
	v_mov_b32_e32 v88, v15
	ds_write2_b64 v80, v[74:75], v[83:84] offset0:24 offset1:25
	v_mov_b32_e32 v74, v16
	v_mov_b32_e32 v75, v17
	;; [unrolled: 1-line block ×11, first 2 shown]
	ds_write2_b64 v80, v[85:86], v[74:75] offset0:26 offset1:27
	ds_write2_b64 v80, v[87:88], v[89:90] offset0:28 offset1:29
	;; [unrolled: 1-line block ×4, first 2 shown]
.LBB66_401:
	s_or_b32 exec_lo, exec_lo, s0
	s_mov_b32 s0, exec_lo
	s_waitcnt lgkmcnt(0)
	s_waitcnt_vscnt null, 0x0
	s_barrier
	buffer_gl0_inv
	v_cmpx_lt_i32_e32 23, v83
	s_cbranch_execz .LBB66_403
; %bb.402:
	v_mul_f64 v[24:25], v[0:1], v[24:25]
	ds_read2_b64 v[84:87], v80 offset0:24 offset1:25
	ds_read2_b64 v[88:91], v80 offset0:26 offset1:27
	;; [unrolled: 1-line block ×5, first 2 shown]
	s_waitcnt lgkmcnt(4)
	v_fma_f64 v[22:23], -v[24:25], v[84:85], v[22:23]
	v_fma_f64 v[18:19], -v[24:25], v[86:87], v[18:19]
	s_waitcnt lgkmcnt(3)
	v_fma_f64 v[20:21], -v[24:25], v[88:89], v[20:21]
	v_fma_f64 v[16:17], -v[24:25], v[90:91], v[16:17]
	;; [unrolled: 3-line block ×5, first 2 shown]
.LBB66_403:
	s_or_b32 exec_lo, exec_lo, s0
	v_lshl_add_u32 v0, v83, 3, v80
	s_barrier
	buffer_gl0_inv
	v_mov_b32_e32 v74, 24
	ds_write_b64 v0, v[22:23]
	s_waitcnt lgkmcnt(0)
	s_barrier
	buffer_gl0_inv
	ds_read_b64 v[0:1], v80 offset:192
	s_cmp_lt_i32 s7, 26
	s_cbranch_scc1 .LBB66_406
; %bb.404:
	v_add3_u32 v75, v81, 0, 0xc8
	v_mov_b32_e32 v74, 24
	s_mov_b32 s0, 25
.LBB66_405:                             ; =>This Inner Loop Header: Depth=1
	ds_read_b64 v[84:85], v75
	v_add_nc_u32_e32 v75, 8, v75
	s_waitcnt lgkmcnt(0)
	v_cmp_lt_f64_e64 vcc_lo, |v[0:1]|, |v[84:85]|
	v_cndmask_b32_e32 v1, v1, v85, vcc_lo
	v_cndmask_b32_e32 v0, v0, v84, vcc_lo
	v_cndmask_b32_e64 v74, v74, s0, vcc_lo
	s_add_i32 s0, s0, 1
	s_cmp_lg_u32 s7, s0
	s_cbranch_scc1 .LBB66_405
.LBB66_406:
	s_mov_b32 s0, exec_lo
	s_waitcnt lgkmcnt(0)
	v_cmpx_eq_f64_e32 0, v[0:1]
	s_xor_b32 s0, exec_lo, s0
; %bb.407:
	v_cmp_ne_u32_e32 vcc_lo, 0, v82
	v_cndmask_b32_e32 v82, 25, v82, vcc_lo
; %bb.408:
	s_andn2_saveexec_b32 s0, s0
	s_cbranch_execz .LBB66_410
; %bb.409:
	v_div_scale_f64 v[75:76], null, v[0:1], v[0:1], 1.0
	v_rcp_f64_e32 v[84:85], v[75:76]
	v_fma_f64 v[86:87], -v[75:76], v[84:85], 1.0
	v_fma_f64 v[84:85], v[84:85], v[86:87], v[84:85]
	v_fma_f64 v[86:87], -v[75:76], v[84:85], 1.0
	v_fma_f64 v[84:85], v[84:85], v[86:87], v[84:85]
	v_div_scale_f64 v[86:87], vcc_lo, 1.0, v[0:1], 1.0
	v_mul_f64 v[88:89], v[86:87], v[84:85]
	v_fma_f64 v[75:76], -v[75:76], v[88:89], v[86:87]
	v_div_fmas_f64 v[75:76], v[75:76], v[84:85], v[88:89]
	v_div_fixup_f64 v[0:1], v[75:76], v[0:1], 1.0
.LBB66_410:
	s_or_b32 exec_lo, exec_lo, s0
	s_mov_b32 s0, exec_lo
	v_cmpx_ne_u32_e64 v83, v74
	s_xor_b32 s0, exec_lo, s0
	s_cbranch_execz .LBB66_416
; %bb.411:
	s_mov_b32 s1, exec_lo
	v_cmpx_eq_u32_e32 24, v83
	s_cbranch_execz .LBB66_415
; %bb.412:
	v_cmp_ne_u32_e32 vcc_lo, 24, v74
	s_xor_b32 s2, s6, -1
	s_and_b32 s3, s2, vcc_lo
	s_and_saveexec_b32 s2, s3
	s_cbranch_execz .LBB66_414
; %bb.413:
	v_ashrrev_i32_e32 v75, 31, v74
	v_lshlrev_b64 v[75:76], 2, v[74:75]
	v_add_co_u32 v75, vcc_lo, v4, v75
	v_add_co_ci_u32_e64 v76, null, v5, v76, vcc_lo
	s_clause 0x1
	global_load_dword v77, v[75:76], off
	global_load_dword v83, v[4:5], off offset:96
	s_waitcnt vmcnt(1)
	global_store_dword v[4:5], v77, off offset:96
	s_waitcnt vmcnt(0)
	global_store_dword v[75:76], v83, off
.LBB66_414:
	s_or_b32 exec_lo, exec_lo, s2
	v_mov_b32_e32 v77, v74
	v_mov_b32_e32 v83, v74
.LBB66_415:
	s_or_b32 exec_lo, exec_lo, s1
.LBB66_416:
	s_andn2_saveexec_b32 s0, s0
	s_cbranch_execz .LBB66_418
; %bb.417:
	v_mov_b32_e32 v83, 24
	ds_write2_b64 v80, v[18:19], v[20:21] offset0:25 offset1:26
	ds_write2_b64 v80, v[16:17], v[14:15] offset0:27 offset1:28
	;; [unrolled: 1-line block ×4, first 2 shown]
	ds_write_b64 v80, v[72:73] offset:264
.LBB66_418:
	s_or_b32 exec_lo, exec_lo, s0
	s_mov_b32 s0, exec_lo
	s_waitcnt lgkmcnt(0)
	s_waitcnt_vscnt null, 0x0
	s_barrier
	buffer_gl0_inv
	v_cmpx_lt_i32_e32 24, v83
	s_cbranch_execz .LBB66_420
; %bb.419:
	v_mul_f64 v[22:23], v[0:1], v[22:23]
	ds_read2_b64 v[84:87], v80 offset0:25 offset1:26
	ds_read2_b64 v[88:91], v80 offset0:27 offset1:28
	;; [unrolled: 1-line block ×4, first 2 shown]
	ds_read_b64 v[0:1], v80 offset:264
	s_waitcnt lgkmcnt(4)
	v_fma_f64 v[18:19], -v[22:23], v[84:85], v[18:19]
	v_fma_f64 v[20:21], -v[22:23], v[86:87], v[20:21]
	s_waitcnt lgkmcnt(3)
	v_fma_f64 v[16:17], -v[22:23], v[88:89], v[16:17]
	v_fma_f64 v[14:15], -v[22:23], v[90:91], v[14:15]
	;; [unrolled: 3-line block ×4, first 2 shown]
	s_waitcnt lgkmcnt(0)
	v_fma_f64 v[72:73], -v[22:23], v[0:1], v[72:73]
.LBB66_420:
	s_or_b32 exec_lo, exec_lo, s0
	v_lshl_add_u32 v0, v83, 3, v80
	s_barrier
	buffer_gl0_inv
	v_mov_b32_e32 v74, 25
	ds_write_b64 v0, v[18:19]
	s_waitcnt lgkmcnt(0)
	s_barrier
	buffer_gl0_inv
	ds_read_b64 v[0:1], v80 offset:200
	s_cmp_lt_i32 s7, 27
	s_cbranch_scc1 .LBB66_423
; %bb.421:
	v_add3_u32 v75, v81, 0, 0xd0
	v_mov_b32_e32 v74, 25
	s_mov_b32 s0, 26
.LBB66_422:                             ; =>This Inner Loop Header: Depth=1
	ds_read_b64 v[84:85], v75
	v_add_nc_u32_e32 v75, 8, v75
	s_waitcnt lgkmcnt(0)
	v_cmp_lt_f64_e64 vcc_lo, |v[0:1]|, |v[84:85]|
	v_cndmask_b32_e32 v1, v1, v85, vcc_lo
	v_cndmask_b32_e32 v0, v0, v84, vcc_lo
	v_cndmask_b32_e64 v74, v74, s0, vcc_lo
	s_add_i32 s0, s0, 1
	s_cmp_lg_u32 s7, s0
	s_cbranch_scc1 .LBB66_422
.LBB66_423:
	s_mov_b32 s0, exec_lo
	s_waitcnt lgkmcnt(0)
	v_cmpx_eq_f64_e32 0, v[0:1]
	s_xor_b32 s0, exec_lo, s0
; %bb.424:
	v_cmp_ne_u32_e32 vcc_lo, 0, v82
	v_cndmask_b32_e32 v82, 26, v82, vcc_lo
; %bb.425:
	s_andn2_saveexec_b32 s0, s0
	s_cbranch_execz .LBB66_427
; %bb.426:
	v_div_scale_f64 v[75:76], null, v[0:1], v[0:1], 1.0
	v_rcp_f64_e32 v[84:85], v[75:76]
	v_fma_f64 v[86:87], -v[75:76], v[84:85], 1.0
	v_fma_f64 v[84:85], v[84:85], v[86:87], v[84:85]
	v_fma_f64 v[86:87], -v[75:76], v[84:85], 1.0
	v_fma_f64 v[84:85], v[84:85], v[86:87], v[84:85]
	v_div_scale_f64 v[86:87], vcc_lo, 1.0, v[0:1], 1.0
	v_mul_f64 v[88:89], v[86:87], v[84:85]
	v_fma_f64 v[75:76], -v[75:76], v[88:89], v[86:87]
	v_div_fmas_f64 v[75:76], v[75:76], v[84:85], v[88:89]
	v_div_fixup_f64 v[0:1], v[75:76], v[0:1], 1.0
.LBB66_427:
	s_or_b32 exec_lo, exec_lo, s0
	s_mov_b32 s0, exec_lo
	v_cmpx_ne_u32_e64 v83, v74
	s_xor_b32 s0, exec_lo, s0
	s_cbranch_execz .LBB66_433
; %bb.428:
	s_mov_b32 s1, exec_lo
	v_cmpx_eq_u32_e32 25, v83
	s_cbranch_execz .LBB66_432
; %bb.429:
	v_cmp_ne_u32_e32 vcc_lo, 25, v74
	s_xor_b32 s2, s6, -1
	s_and_b32 s3, s2, vcc_lo
	s_and_saveexec_b32 s2, s3
	s_cbranch_execz .LBB66_431
; %bb.430:
	v_ashrrev_i32_e32 v75, 31, v74
	v_lshlrev_b64 v[75:76], 2, v[74:75]
	v_add_co_u32 v75, vcc_lo, v4, v75
	v_add_co_ci_u32_e64 v76, null, v5, v76, vcc_lo
	s_clause 0x1
	global_load_dword v77, v[75:76], off
	global_load_dword v83, v[4:5], off offset:100
	s_waitcnt vmcnt(1)
	global_store_dword v[4:5], v77, off offset:100
	s_waitcnt vmcnt(0)
	global_store_dword v[75:76], v83, off
.LBB66_431:
	s_or_b32 exec_lo, exec_lo, s2
	v_mov_b32_e32 v77, v74
	v_mov_b32_e32 v83, v74
.LBB66_432:
	s_or_b32 exec_lo, exec_lo, s1
.LBB66_433:
	s_andn2_saveexec_b32 s0, s0
	s_cbranch_execz .LBB66_435
; %bb.434:
	v_mov_b32_e32 v74, v20
	v_mov_b32_e32 v75, v21
	;; [unrolled: 1-line block ×15, first 2 shown]
	ds_write2_b64 v80, v[74:75], v[84:85] offset0:26 offset1:27
	ds_write2_b64 v80, v[86:87], v[88:89] offset0:28 offset1:29
	ds_write2_b64 v80, v[90:91], v[92:93] offset0:30 offset1:31
	ds_write2_b64 v80, v[94:95], v[72:73] offset0:32 offset1:33
.LBB66_435:
	s_or_b32 exec_lo, exec_lo, s0
	s_mov_b32 s0, exec_lo
	s_waitcnt lgkmcnt(0)
	s_waitcnt_vscnt null, 0x0
	s_barrier
	buffer_gl0_inv
	v_cmpx_lt_i32_e32 25, v83
	s_cbranch_execz .LBB66_437
; %bb.436:
	v_mul_f64 v[18:19], v[0:1], v[18:19]
	ds_read2_b64 v[84:87], v80 offset0:26 offset1:27
	ds_read2_b64 v[88:91], v80 offset0:28 offset1:29
	;; [unrolled: 1-line block ×4, first 2 shown]
	s_waitcnt lgkmcnt(3)
	v_fma_f64 v[20:21], -v[18:19], v[84:85], v[20:21]
	v_fma_f64 v[16:17], -v[18:19], v[86:87], v[16:17]
	s_waitcnt lgkmcnt(2)
	v_fma_f64 v[14:15], -v[18:19], v[88:89], v[14:15]
	v_fma_f64 v[8:9], -v[18:19], v[90:91], v[8:9]
	;; [unrolled: 3-line block ×4, first 2 shown]
.LBB66_437:
	s_or_b32 exec_lo, exec_lo, s0
	v_lshl_add_u32 v0, v83, 3, v80
	s_barrier
	buffer_gl0_inv
	v_mov_b32_e32 v74, 26
	ds_write_b64 v0, v[20:21]
	s_waitcnt lgkmcnt(0)
	s_barrier
	buffer_gl0_inv
	ds_read_b64 v[0:1], v80 offset:208
	s_cmp_lt_i32 s7, 28
	s_cbranch_scc1 .LBB66_440
; %bb.438:
	v_add3_u32 v75, v81, 0, 0xd8
	v_mov_b32_e32 v74, 26
	s_mov_b32 s0, 27
.LBB66_439:                             ; =>This Inner Loop Header: Depth=1
	ds_read_b64 v[84:85], v75
	v_add_nc_u32_e32 v75, 8, v75
	s_waitcnt lgkmcnt(0)
	v_cmp_lt_f64_e64 vcc_lo, |v[0:1]|, |v[84:85]|
	v_cndmask_b32_e32 v1, v1, v85, vcc_lo
	v_cndmask_b32_e32 v0, v0, v84, vcc_lo
	v_cndmask_b32_e64 v74, v74, s0, vcc_lo
	s_add_i32 s0, s0, 1
	s_cmp_lg_u32 s7, s0
	s_cbranch_scc1 .LBB66_439
.LBB66_440:
	s_mov_b32 s0, exec_lo
	s_waitcnt lgkmcnt(0)
	v_cmpx_eq_f64_e32 0, v[0:1]
	s_xor_b32 s0, exec_lo, s0
; %bb.441:
	v_cmp_ne_u32_e32 vcc_lo, 0, v82
	v_cndmask_b32_e32 v82, 27, v82, vcc_lo
; %bb.442:
	s_andn2_saveexec_b32 s0, s0
	s_cbranch_execz .LBB66_444
; %bb.443:
	v_div_scale_f64 v[75:76], null, v[0:1], v[0:1], 1.0
	v_rcp_f64_e32 v[84:85], v[75:76]
	v_fma_f64 v[86:87], -v[75:76], v[84:85], 1.0
	v_fma_f64 v[84:85], v[84:85], v[86:87], v[84:85]
	v_fma_f64 v[86:87], -v[75:76], v[84:85], 1.0
	v_fma_f64 v[84:85], v[84:85], v[86:87], v[84:85]
	v_div_scale_f64 v[86:87], vcc_lo, 1.0, v[0:1], 1.0
	v_mul_f64 v[88:89], v[86:87], v[84:85]
	v_fma_f64 v[75:76], -v[75:76], v[88:89], v[86:87]
	v_div_fmas_f64 v[75:76], v[75:76], v[84:85], v[88:89]
	v_div_fixup_f64 v[0:1], v[75:76], v[0:1], 1.0
.LBB66_444:
	s_or_b32 exec_lo, exec_lo, s0
	s_mov_b32 s0, exec_lo
	v_cmpx_ne_u32_e64 v83, v74
	s_xor_b32 s0, exec_lo, s0
	s_cbranch_execz .LBB66_450
; %bb.445:
	s_mov_b32 s1, exec_lo
	v_cmpx_eq_u32_e32 26, v83
	s_cbranch_execz .LBB66_449
; %bb.446:
	v_cmp_ne_u32_e32 vcc_lo, 26, v74
	s_xor_b32 s2, s6, -1
	s_and_b32 s3, s2, vcc_lo
	s_and_saveexec_b32 s2, s3
	s_cbranch_execz .LBB66_448
; %bb.447:
	v_ashrrev_i32_e32 v75, 31, v74
	v_lshlrev_b64 v[75:76], 2, v[74:75]
	v_add_co_u32 v75, vcc_lo, v4, v75
	v_add_co_ci_u32_e64 v76, null, v5, v76, vcc_lo
	s_clause 0x1
	global_load_dword v77, v[75:76], off
	global_load_dword v83, v[4:5], off offset:104
	s_waitcnt vmcnt(1)
	global_store_dword v[4:5], v77, off offset:104
	s_waitcnt vmcnt(0)
	global_store_dword v[75:76], v83, off
.LBB66_448:
	s_or_b32 exec_lo, exec_lo, s2
	v_mov_b32_e32 v77, v74
	v_mov_b32_e32 v83, v74
.LBB66_449:
	s_or_b32 exec_lo, exec_lo, s1
.LBB66_450:
	s_andn2_saveexec_b32 s0, s0
	s_cbranch_execz .LBB66_452
; %bb.451:
	v_mov_b32_e32 v83, 26
	ds_write2_b64 v80, v[16:17], v[14:15] offset0:27 offset1:28
	ds_write2_b64 v80, v[8:9], v[12:13] offset0:29 offset1:30
	;; [unrolled: 1-line block ×3, first 2 shown]
	ds_write_b64 v80, v[72:73] offset:264
.LBB66_452:
	s_or_b32 exec_lo, exec_lo, s0
	s_mov_b32 s0, exec_lo
	s_waitcnt lgkmcnt(0)
	s_waitcnt_vscnt null, 0x0
	s_barrier
	buffer_gl0_inv
	v_cmpx_lt_i32_e32 26, v83
	s_cbranch_execz .LBB66_454
; %bb.453:
	v_mul_f64 v[20:21], v[0:1], v[20:21]
	ds_read2_b64 v[84:87], v80 offset0:27 offset1:28
	ds_read2_b64 v[88:91], v80 offset0:29 offset1:30
	;; [unrolled: 1-line block ×3, first 2 shown]
	ds_read_b64 v[0:1], v80 offset:264
	s_waitcnt lgkmcnt(3)
	v_fma_f64 v[16:17], -v[20:21], v[84:85], v[16:17]
	v_fma_f64 v[14:15], -v[20:21], v[86:87], v[14:15]
	s_waitcnt lgkmcnt(2)
	v_fma_f64 v[8:9], -v[20:21], v[88:89], v[8:9]
	v_fma_f64 v[12:13], -v[20:21], v[90:91], v[12:13]
	;; [unrolled: 3-line block ×3, first 2 shown]
	s_waitcnt lgkmcnt(0)
	v_fma_f64 v[72:73], -v[20:21], v[0:1], v[72:73]
.LBB66_454:
	s_or_b32 exec_lo, exec_lo, s0
	v_lshl_add_u32 v0, v83, 3, v80
	s_barrier
	buffer_gl0_inv
	v_mov_b32_e32 v74, 27
	ds_write_b64 v0, v[16:17]
	s_waitcnt lgkmcnt(0)
	s_barrier
	buffer_gl0_inv
	ds_read_b64 v[0:1], v80 offset:216
	s_cmp_lt_i32 s7, 29
	s_cbranch_scc1 .LBB66_457
; %bb.455:
	v_add3_u32 v75, v81, 0, 0xe0
	v_mov_b32_e32 v74, 27
	s_mov_b32 s0, 28
.LBB66_456:                             ; =>This Inner Loop Header: Depth=1
	ds_read_b64 v[84:85], v75
	v_add_nc_u32_e32 v75, 8, v75
	s_waitcnt lgkmcnt(0)
	v_cmp_lt_f64_e64 vcc_lo, |v[0:1]|, |v[84:85]|
	v_cndmask_b32_e32 v1, v1, v85, vcc_lo
	v_cndmask_b32_e32 v0, v0, v84, vcc_lo
	v_cndmask_b32_e64 v74, v74, s0, vcc_lo
	s_add_i32 s0, s0, 1
	s_cmp_lg_u32 s7, s0
	s_cbranch_scc1 .LBB66_456
.LBB66_457:
	s_mov_b32 s0, exec_lo
	s_waitcnt lgkmcnt(0)
	v_cmpx_eq_f64_e32 0, v[0:1]
	s_xor_b32 s0, exec_lo, s0
; %bb.458:
	v_cmp_ne_u32_e32 vcc_lo, 0, v82
	v_cndmask_b32_e32 v82, 28, v82, vcc_lo
; %bb.459:
	s_andn2_saveexec_b32 s0, s0
	s_cbranch_execz .LBB66_461
; %bb.460:
	v_div_scale_f64 v[75:76], null, v[0:1], v[0:1], 1.0
	v_rcp_f64_e32 v[84:85], v[75:76]
	v_fma_f64 v[86:87], -v[75:76], v[84:85], 1.0
	v_fma_f64 v[84:85], v[84:85], v[86:87], v[84:85]
	v_fma_f64 v[86:87], -v[75:76], v[84:85], 1.0
	v_fma_f64 v[84:85], v[84:85], v[86:87], v[84:85]
	v_div_scale_f64 v[86:87], vcc_lo, 1.0, v[0:1], 1.0
	v_mul_f64 v[88:89], v[86:87], v[84:85]
	v_fma_f64 v[75:76], -v[75:76], v[88:89], v[86:87]
	v_div_fmas_f64 v[75:76], v[75:76], v[84:85], v[88:89]
	v_div_fixup_f64 v[0:1], v[75:76], v[0:1], 1.0
.LBB66_461:
	s_or_b32 exec_lo, exec_lo, s0
	s_mov_b32 s0, exec_lo
	v_cmpx_ne_u32_e64 v83, v74
	s_xor_b32 s0, exec_lo, s0
	s_cbranch_execz .LBB66_467
; %bb.462:
	s_mov_b32 s1, exec_lo
	v_cmpx_eq_u32_e32 27, v83
	s_cbranch_execz .LBB66_466
; %bb.463:
	v_cmp_ne_u32_e32 vcc_lo, 27, v74
	s_xor_b32 s2, s6, -1
	s_and_b32 s3, s2, vcc_lo
	s_and_saveexec_b32 s2, s3
	s_cbranch_execz .LBB66_465
; %bb.464:
	v_ashrrev_i32_e32 v75, 31, v74
	v_lshlrev_b64 v[75:76], 2, v[74:75]
	v_add_co_u32 v75, vcc_lo, v4, v75
	v_add_co_ci_u32_e64 v76, null, v5, v76, vcc_lo
	s_clause 0x1
	global_load_dword v77, v[75:76], off
	global_load_dword v83, v[4:5], off offset:108
	s_waitcnt vmcnt(1)
	global_store_dword v[4:5], v77, off offset:108
	s_waitcnt vmcnt(0)
	global_store_dword v[75:76], v83, off
.LBB66_465:
	s_or_b32 exec_lo, exec_lo, s2
	v_mov_b32_e32 v77, v74
	v_mov_b32_e32 v83, v74
.LBB66_466:
	s_or_b32 exec_lo, exec_lo, s1
.LBB66_467:
	s_andn2_saveexec_b32 s0, s0
	s_cbranch_execz .LBB66_469
; %bb.468:
	v_mov_b32_e32 v74, v14
	v_mov_b32_e32 v75, v15
	;; [unrolled: 1-line block ×11, first 2 shown]
	ds_write2_b64 v80, v[74:75], v[84:85] offset0:28 offset1:29
	ds_write2_b64 v80, v[86:87], v[88:89] offset0:30 offset1:31
	;; [unrolled: 1-line block ×3, first 2 shown]
.LBB66_469:
	s_or_b32 exec_lo, exec_lo, s0
	s_mov_b32 s0, exec_lo
	s_waitcnt lgkmcnt(0)
	s_waitcnt_vscnt null, 0x0
	s_barrier
	buffer_gl0_inv
	v_cmpx_lt_i32_e32 27, v83
	s_cbranch_execz .LBB66_471
; %bb.470:
	v_mul_f64 v[16:17], v[0:1], v[16:17]
	ds_read2_b64 v[84:87], v80 offset0:28 offset1:29
	ds_read2_b64 v[88:91], v80 offset0:30 offset1:31
	;; [unrolled: 1-line block ×3, first 2 shown]
	s_waitcnt lgkmcnt(2)
	v_fma_f64 v[14:15], -v[16:17], v[84:85], v[14:15]
	v_fma_f64 v[8:9], -v[16:17], v[86:87], v[8:9]
	s_waitcnt lgkmcnt(1)
	v_fma_f64 v[12:13], -v[16:17], v[88:89], v[12:13]
	v_fma_f64 v[6:7], -v[16:17], v[90:91], v[6:7]
	;; [unrolled: 3-line block ×3, first 2 shown]
.LBB66_471:
	s_or_b32 exec_lo, exec_lo, s0
	v_lshl_add_u32 v0, v83, 3, v80
	s_barrier
	buffer_gl0_inv
	v_mov_b32_e32 v74, 28
	ds_write_b64 v0, v[14:15]
	s_waitcnt lgkmcnt(0)
	s_barrier
	buffer_gl0_inv
	ds_read_b64 v[0:1], v80 offset:224
	s_cmp_lt_i32 s7, 30
	s_cbranch_scc1 .LBB66_474
; %bb.472:
	v_add3_u32 v75, v81, 0, 0xe8
	v_mov_b32_e32 v74, 28
	s_mov_b32 s0, 29
.LBB66_473:                             ; =>This Inner Loop Header: Depth=1
	ds_read_b64 v[84:85], v75
	v_add_nc_u32_e32 v75, 8, v75
	s_waitcnt lgkmcnt(0)
	v_cmp_lt_f64_e64 vcc_lo, |v[0:1]|, |v[84:85]|
	v_cndmask_b32_e32 v1, v1, v85, vcc_lo
	v_cndmask_b32_e32 v0, v0, v84, vcc_lo
	v_cndmask_b32_e64 v74, v74, s0, vcc_lo
	s_add_i32 s0, s0, 1
	s_cmp_lg_u32 s7, s0
	s_cbranch_scc1 .LBB66_473
.LBB66_474:
	s_mov_b32 s0, exec_lo
	s_waitcnt lgkmcnt(0)
	v_cmpx_eq_f64_e32 0, v[0:1]
	s_xor_b32 s0, exec_lo, s0
; %bb.475:
	v_cmp_ne_u32_e32 vcc_lo, 0, v82
	v_cndmask_b32_e32 v82, 29, v82, vcc_lo
; %bb.476:
	s_andn2_saveexec_b32 s0, s0
	s_cbranch_execz .LBB66_478
; %bb.477:
	v_div_scale_f64 v[75:76], null, v[0:1], v[0:1], 1.0
	v_rcp_f64_e32 v[84:85], v[75:76]
	v_fma_f64 v[86:87], -v[75:76], v[84:85], 1.0
	v_fma_f64 v[84:85], v[84:85], v[86:87], v[84:85]
	v_fma_f64 v[86:87], -v[75:76], v[84:85], 1.0
	v_fma_f64 v[84:85], v[84:85], v[86:87], v[84:85]
	v_div_scale_f64 v[86:87], vcc_lo, 1.0, v[0:1], 1.0
	v_mul_f64 v[88:89], v[86:87], v[84:85]
	v_fma_f64 v[75:76], -v[75:76], v[88:89], v[86:87]
	v_div_fmas_f64 v[75:76], v[75:76], v[84:85], v[88:89]
	v_div_fixup_f64 v[0:1], v[75:76], v[0:1], 1.0
.LBB66_478:
	s_or_b32 exec_lo, exec_lo, s0
	s_mov_b32 s0, exec_lo
	v_cmpx_ne_u32_e64 v83, v74
	s_xor_b32 s0, exec_lo, s0
	s_cbranch_execz .LBB66_484
; %bb.479:
	s_mov_b32 s1, exec_lo
	v_cmpx_eq_u32_e32 28, v83
	s_cbranch_execz .LBB66_483
; %bb.480:
	v_cmp_ne_u32_e32 vcc_lo, 28, v74
	s_xor_b32 s2, s6, -1
	s_and_b32 s3, s2, vcc_lo
	s_and_saveexec_b32 s2, s3
	s_cbranch_execz .LBB66_482
; %bb.481:
	v_ashrrev_i32_e32 v75, 31, v74
	v_lshlrev_b64 v[75:76], 2, v[74:75]
	v_add_co_u32 v75, vcc_lo, v4, v75
	v_add_co_ci_u32_e64 v76, null, v5, v76, vcc_lo
	s_clause 0x1
	global_load_dword v77, v[75:76], off
	global_load_dword v83, v[4:5], off offset:112
	s_waitcnt vmcnt(1)
	global_store_dword v[4:5], v77, off offset:112
	s_waitcnt vmcnt(0)
	global_store_dword v[75:76], v83, off
.LBB66_482:
	s_or_b32 exec_lo, exec_lo, s2
	v_mov_b32_e32 v77, v74
	v_mov_b32_e32 v83, v74
.LBB66_483:
	s_or_b32 exec_lo, exec_lo, s1
.LBB66_484:
	s_andn2_saveexec_b32 s0, s0
	s_cbranch_execz .LBB66_486
; %bb.485:
	v_mov_b32_e32 v83, 28
	ds_write2_b64 v80, v[8:9], v[12:13] offset0:29 offset1:30
	ds_write2_b64 v80, v[6:7], v[10:11] offset0:31 offset1:32
	ds_write_b64 v80, v[72:73] offset:264
.LBB66_486:
	s_or_b32 exec_lo, exec_lo, s0
	s_mov_b32 s0, exec_lo
	s_waitcnt lgkmcnt(0)
	s_waitcnt_vscnt null, 0x0
	s_barrier
	buffer_gl0_inv
	v_cmpx_lt_i32_e32 28, v83
	s_cbranch_execz .LBB66_488
; %bb.487:
	v_mul_f64 v[14:15], v[0:1], v[14:15]
	ds_read2_b64 v[84:87], v80 offset0:29 offset1:30
	ds_read2_b64 v[88:91], v80 offset0:31 offset1:32
	ds_read_b64 v[0:1], v80 offset:264
	s_waitcnt lgkmcnt(2)
	v_fma_f64 v[8:9], -v[14:15], v[84:85], v[8:9]
	v_fma_f64 v[12:13], -v[14:15], v[86:87], v[12:13]
	s_waitcnt lgkmcnt(1)
	v_fma_f64 v[6:7], -v[14:15], v[88:89], v[6:7]
	v_fma_f64 v[10:11], -v[14:15], v[90:91], v[10:11]
	s_waitcnt lgkmcnt(0)
	v_fma_f64 v[72:73], -v[14:15], v[0:1], v[72:73]
.LBB66_488:
	s_or_b32 exec_lo, exec_lo, s0
	v_lshl_add_u32 v0, v83, 3, v80
	s_barrier
	buffer_gl0_inv
	v_mov_b32_e32 v74, 29
	ds_write_b64 v0, v[8:9]
	s_waitcnt lgkmcnt(0)
	s_barrier
	buffer_gl0_inv
	ds_read_b64 v[0:1], v80 offset:232
	s_cmp_lt_i32 s7, 31
	s_cbranch_scc1 .LBB66_491
; %bb.489:
	v_add3_u32 v75, v81, 0, 0xf0
	v_mov_b32_e32 v74, 29
	s_mov_b32 s0, 30
.LBB66_490:                             ; =>This Inner Loop Header: Depth=1
	ds_read_b64 v[84:85], v75
	v_add_nc_u32_e32 v75, 8, v75
	s_waitcnt lgkmcnt(0)
	v_cmp_lt_f64_e64 vcc_lo, |v[0:1]|, |v[84:85]|
	v_cndmask_b32_e32 v1, v1, v85, vcc_lo
	v_cndmask_b32_e32 v0, v0, v84, vcc_lo
	v_cndmask_b32_e64 v74, v74, s0, vcc_lo
	s_add_i32 s0, s0, 1
	s_cmp_lg_u32 s7, s0
	s_cbranch_scc1 .LBB66_490
.LBB66_491:
	s_mov_b32 s0, exec_lo
	s_waitcnt lgkmcnt(0)
	v_cmpx_eq_f64_e32 0, v[0:1]
	s_xor_b32 s0, exec_lo, s0
; %bb.492:
	v_cmp_ne_u32_e32 vcc_lo, 0, v82
	v_cndmask_b32_e32 v82, 30, v82, vcc_lo
; %bb.493:
	s_andn2_saveexec_b32 s0, s0
	s_cbranch_execz .LBB66_495
; %bb.494:
	v_div_scale_f64 v[75:76], null, v[0:1], v[0:1], 1.0
	v_rcp_f64_e32 v[84:85], v[75:76]
	v_fma_f64 v[86:87], -v[75:76], v[84:85], 1.0
	v_fma_f64 v[84:85], v[84:85], v[86:87], v[84:85]
	v_fma_f64 v[86:87], -v[75:76], v[84:85], 1.0
	v_fma_f64 v[84:85], v[84:85], v[86:87], v[84:85]
	v_div_scale_f64 v[86:87], vcc_lo, 1.0, v[0:1], 1.0
	v_mul_f64 v[88:89], v[86:87], v[84:85]
	v_fma_f64 v[75:76], -v[75:76], v[88:89], v[86:87]
	v_div_fmas_f64 v[75:76], v[75:76], v[84:85], v[88:89]
	v_div_fixup_f64 v[0:1], v[75:76], v[0:1], 1.0
.LBB66_495:
	s_or_b32 exec_lo, exec_lo, s0
	s_mov_b32 s0, exec_lo
	v_cmpx_ne_u32_e64 v83, v74
	s_xor_b32 s0, exec_lo, s0
	s_cbranch_execz .LBB66_501
; %bb.496:
	s_mov_b32 s1, exec_lo
	v_cmpx_eq_u32_e32 29, v83
	s_cbranch_execz .LBB66_500
; %bb.497:
	v_cmp_ne_u32_e32 vcc_lo, 29, v74
	s_xor_b32 s2, s6, -1
	s_and_b32 s3, s2, vcc_lo
	s_and_saveexec_b32 s2, s3
	s_cbranch_execz .LBB66_499
; %bb.498:
	v_ashrrev_i32_e32 v75, 31, v74
	v_lshlrev_b64 v[75:76], 2, v[74:75]
	v_add_co_u32 v75, vcc_lo, v4, v75
	v_add_co_ci_u32_e64 v76, null, v5, v76, vcc_lo
	s_clause 0x1
	global_load_dword v77, v[75:76], off
	global_load_dword v83, v[4:5], off offset:116
	s_waitcnt vmcnt(1)
	global_store_dword v[4:5], v77, off offset:116
	s_waitcnt vmcnt(0)
	global_store_dword v[75:76], v83, off
.LBB66_499:
	s_or_b32 exec_lo, exec_lo, s2
	v_mov_b32_e32 v77, v74
	v_mov_b32_e32 v83, v74
.LBB66_500:
	s_or_b32 exec_lo, exec_lo, s1
.LBB66_501:
	s_andn2_saveexec_b32 s0, s0
	s_cbranch_execz .LBB66_503
; %bb.502:
	v_mov_b32_e32 v74, v12
	v_mov_b32_e32 v75, v13
	v_mov_b32_e32 v84, v6
	v_mov_b32_e32 v85, v7
	v_mov_b32_e32 v83, 29
	v_mov_b32_e32 v86, v10
	v_mov_b32_e32 v87, v11
	ds_write2_b64 v80, v[74:75], v[84:85] offset0:30 offset1:31
	ds_write2_b64 v80, v[86:87], v[72:73] offset0:32 offset1:33
.LBB66_503:
	s_or_b32 exec_lo, exec_lo, s0
	s_mov_b32 s0, exec_lo
	s_waitcnt lgkmcnt(0)
	s_waitcnt_vscnt null, 0x0
	s_barrier
	buffer_gl0_inv
	v_cmpx_lt_i32_e32 29, v83
	s_cbranch_execz .LBB66_505
; %bb.504:
	v_mul_f64 v[8:9], v[0:1], v[8:9]
	ds_read2_b64 v[84:87], v80 offset0:30 offset1:31
	ds_read2_b64 v[88:91], v80 offset0:32 offset1:33
	s_waitcnt lgkmcnt(1)
	v_fma_f64 v[12:13], -v[8:9], v[84:85], v[12:13]
	v_fma_f64 v[6:7], -v[8:9], v[86:87], v[6:7]
	s_waitcnt lgkmcnt(0)
	v_fma_f64 v[10:11], -v[8:9], v[88:89], v[10:11]
	v_fma_f64 v[72:73], -v[8:9], v[90:91], v[72:73]
.LBB66_505:
	s_or_b32 exec_lo, exec_lo, s0
	v_lshl_add_u32 v0, v83, 3, v80
	s_barrier
	buffer_gl0_inv
	v_mov_b32_e32 v74, 30
	ds_write_b64 v0, v[12:13]
	s_waitcnt lgkmcnt(0)
	s_barrier
	buffer_gl0_inv
	ds_read_b64 v[0:1], v80 offset:240
	s_cmp_lt_i32 s7, 32
	s_cbranch_scc1 .LBB66_508
; %bb.506:
	v_add3_u32 v75, v81, 0, 0xf8
	v_mov_b32_e32 v74, 30
	s_mov_b32 s0, 31
.LBB66_507:                             ; =>This Inner Loop Header: Depth=1
	ds_read_b64 v[84:85], v75
	v_add_nc_u32_e32 v75, 8, v75
	s_waitcnt lgkmcnt(0)
	v_cmp_lt_f64_e64 vcc_lo, |v[0:1]|, |v[84:85]|
	v_cndmask_b32_e32 v1, v1, v85, vcc_lo
	v_cndmask_b32_e32 v0, v0, v84, vcc_lo
	v_cndmask_b32_e64 v74, v74, s0, vcc_lo
	s_add_i32 s0, s0, 1
	s_cmp_lg_u32 s7, s0
	s_cbranch_scc1 .LBB66_507
.LBB66_508:
	s_mov_b32 s0, exec_lo
	s_waitcnt lgkmcnt(0)
	v_cmpx_eq_f64_e32 0, v[0:1]
	s_xor_b32 s0, exec_lo, s0
; %bb.509:
	v_cmp_ne_u32_e32 vcc_lo, 0, v82
	v_cndmask_b32_e32 v82, 31, v82, vcc_lo
; %bb.510:
	s_andn2_saveexec_b32 s0, s0
	s_cbranch_execz .LBB66_512
; %bb.511:
	v_div_scale_f64 v[75:76], null, v[0:1], v[0:1], 1.0
	v_rcp_f64_e32 v[84:85], v[75:76]
	v_fma_f64 v[86:87], -v[75:76], v[84:85], 1.0
	v_fma_f64 v[84:85], v[84:85], v[86:87], v[84:85]
	v_fma_f64 v[86:87], -v[75:76], v[84:85], 1.0
	v_fma_f64 v[84:85], v[84:85], v[86:87], v[84:85]
	v_div_scale_f64 v[86:87], vcc_lo, 1.0, v[0:1], 1.0
	v_mul_f64 v[88:89], v[86:87], v[84:85]
	v_fma_f64 v[75:76], -v[75:76], v[88:89], v[86:87]
	v_div_fmas_f64 v[75:76], v[75:76], v[84:85], v[88:89]
	v_div_fixup_f64 v[0:1], v[75:76], v[0:1], 1.0
.LBB66_512:
	s_or_b32 exec_lo, exec_lo, s0
	s_mov_b32 s0, exec_lo
	v_cmpx_ne_u32_e64 v83, v74
	s_xor_b32 s0, exec_lo, s0
	s_cbranch_execz .LBB66_518
; %bb.513:
	s_mov_b32 s1, exec_lo
	v_cmpx_eq_u32_e32 30, v83
	s_cbranch_execz .LBB66_517
; %bb.514:
	v_cmp_ne_u32_e32 vcc_lo, 30, v74
	s_xor_b32 s2, s6, -1
	s_and_b32 s3, s2, vcc_lo
	s_and_saveexec_b32 s2, s3
	s_cbranch_execz .LBB66_516
; %bb.515:
	v_ashrrev_i32_e32 v75, 31, v74
	v_lshlrev_b64 v[75:76], 2, v[74:75]
	v_add_co_u32 v75, vcc_lo, v4, v75
	v_add_co_ci_u32_e64 v76, null, v5, v76, vcc_lo
	s_clause 0x1
	global_load_dword v77, v[75:76], off
	global_load_dword v83, v[4:5], off offset:120
	s_waitcnt vmcnt(1)
	global_store_dword v[4:5], v77, off offset:120
	s_waitcnt vmcnt(0)
	global_store_dword v[75:76], v83, off
.LBB66_516:
	s_or_b32 exec_lo, exec_lo, s2
	v_mov_b32_e32 v77, v74
	v_mov_b32_e32 v83, v74
.LBB66_517:
	s_or_b32 exec_lo, exec_lo, s1
.LBB66_518:
	s_andn2_saveexec_b32 s0, s0
	s_cbranch_execz .LBB66_520
; %bb.519:
	v_mov_b32_e32 v83, 30
	ds_write2_b64 v80, v[6:7], v[10:11] offset0:31 offset1:32
	ds_write_b64 v80, v[72:73] offset:264
.LBB66_520:
	s_or_b32 exec_lo, exec_lo, s0
	s_mov_b32 s0, exec_lo
	s_waitcnt lgkmcnt(0)
	s_waitcnt_vscnt null, 0x0
	s_barrier
	buffer_gl0_inv
	v_cmpx_lt_i32_e32 30, v83
	s_cbranch_execz .LBB66_522
; %bb.521:
	v_mul_f64 v[12:13], v[0:1], v[12:13]
	ds_read2_b64 v[84:87], v80 offset0:31 offset1:32
	ds_read_b64 v[0:1], v80 offset:264
	s_waitcnt lgkmcnt(1)
	v_fma_f64 v[6:7], -v[12:13], v[84:85], v[6:7]
	v_fma_f64 v[10:11], -v[12:13], v[86:87], v[10:11]
	s_waitcnt lgkmcnt(0)
	v_fma_f64 v[72:73], -v[12:13], v[0:1], v[72:73]
.LBB66_522:
	s_or_b32 exec_lo, exec_lo, s0
	v_lshl_add_u32 v0, v83, 3, v80
	s_barrier
	buffer_gl0_inv
	v_mov_b32_e32 v74, 31
	ds_write_b64 v0, v[6:7]
	s_waitcnt lgkmcnt(0)
	s_barrier
	buffer_gl0_inv
	ds_read_b64 v[0:1], v80 offset:248
	s_cmp_lt_i32 s7, 33
	s_cbranch_scc1 .LBB66_525
; %bb.523:
	v_add3_u32 v75, v81, 0, 0x100
	v_mov_b32_e32 v74, 31
	s_mov_b32 s0, 32
.LBB66_524:                             ; =>This Inner Loop Header: Depth=1
	ds_read_b64 v[84:85], v75
	v_add_nc_u32_e32 v75, 8, v75
	s_waitcnt lgkmcnt(0)
	v_cmp_lt_f64_e64 vcc_lo, |v[0:1]|, |v[84:85]|
	v_cndmask_b32_e32 v1, v1, v85, vcc_lo
	v_cndmask_b32_e32 v0, v0, v84, vcc_lo
	v_cndmask_b32_e64 v74, v74, s0, vcc_lo
	s_add_i32 s0, s0, 1
	s_cmp_lg_u32 s7, s0
	s_cbranch_scc1 .LBB66_524
.LBB66_525:
	s_mov_b32 s0, exec_lo
	s_waitcnt lgkmcnt(0)
	v_cmpx_eq_f64_e32 0, v[0:1]
	s_xor_b32 s0, exec_lo, s0
; %bb.526:
	v_cmp_ne_u32_e32 vcc_lo, 0, v82
	v_cndmask_b32_e32 v82, 32, v82, vcc_lo
; %bb.527:
	s_andn2_saveexec_b32 s0, s0
	s_cbranch_execz .LBB66_529
; %bb.528:
	v_div_scale_f64 v[75:76], null, v[0:1], v[0:1], 1.0
	v_rcp_f64_e32 v[84:85], v[75:76]
	v_fma_f64 v[86:87], -v[75:76], v[84:85], 1.0
	v_fma_f64 v[84:85], v[84:85], v[86:87], v[84:85]
	v_fma_f64 v[86:87], -v[75:76], v[84:85], 1.0
	v_fma_f64 v[84:85], v[84:85], v[86:87], v[84:85]
	v_div_scale_f64 v[86:87], vcc_lo, 1.0, v[0:1], 1.0
	v_mul_f64 v[88:89], v[86:87], v[84:85]
	v_fma_f64 v[75:76], -v[75:76], v[88:89], v[86:87]
	v_div_fmas_f64 v[75:76], v[75:76], v[84:85], v[88:89]
	v_div_fixup_f64 v[0:1], v[75:76], v[0:1], 1.0
.LBB66_529:
	s_or_b32 exec_lo, exec_lo, s0
	s_mov_b32 s0, exec_lo
	v_cmpx_ne_u32_e64 v83, v74
	s_xor_b32 s0, exec_lo, s0
	s_cbranch_execz .LBB66_535
; %bb.530:
	s_mov_b32 s1, exec_lo
	v_cmpx_eq_u32_e32 31, v83
	s_cbranch_execz .LBB66_534
; %bb.531:
	v_cmp_ne_u32_e32 vcc_lo, 31, v74
	s_xor_b32 s2, s6, -1
	s_and_b32 s3, s2, vcc_lo
	s_and_saveexec_b32 s2, s3
	s_cbranch_execz .LBB66_533
; %bb.532:
	v_ashrrev_i32_e32 v75, 31, v74
	v_lshlrev_b64 v[75:76], 2, v[74:75]
	v_add_co_u32 v75, vcc_lo, v4, v75
	v_add_co_ci_u32_e64 v76, null, v5, v76, vcc_lo
	s_clause 0x1
	global_load_dword v77, v[75:76], off
	global_load_dword v83, v[4:5], off offset:124
	s_waitcnt vmcnt(1)
	global_store_dword v[4:5], v77, off offset:124
	s_waitcnt vmcnt(0)
	global_store_dword v[75:76], v83, off
.LBB66_533:
	s_or_b32 exec_lo, exec_lo, s2
	v_mov_b32_e32 v77, v74
	v_mov_b32_e32 v83, v74
.LBB66_534:
	s_or_b32 exec_lo, exec_lo, s1
.LBB66_535:
	s_andn2_saveexec_b32 s0, s0
	s_cbranch_execz .LBB66_537
; %bb.536:
	v_mov_b32_e32 v74, v10
	v_mov_b32_e32 v75, v11
	;; [unrolled: 1-line block ×3, first 2 shown]
	ds_write2_b64 v80, v[74:75], v[72:73] offset0:32 offset1:33
.LBB66_537:
	s_or_b32 exec_lo, exec_lo, s0
	s_mov_b32 s0, exec_lo
	s_waitcnt lgkmcnt(0)
	s_waitcnt_vscnt null, 0x0
	s_barrier
	buffer_gl0_inv
	v_cmpx_lt_i32_e32 31, v83
	s_cbranch_execz .LBB66_539
; %bb.538:
	v_mul_f64 v[6:7], v[0:1], v[6:7]
	ds_read2_b64 v[84:87], v80 offset0:32 offset1:33
	s_waitcnt lgkmcnt(0)
	v_fma_f64 v[10:11], -v[6:7], v[84:85], v[10:11]
	v_fma_f64 v[72:73], -v[6:7], v[86:87], v[72:73]
.LBB66_539:
	s_or_b32 exec_lo, exec_lo, s0
	v_lshl_add_u32 v0, v83, 3, v80
	s_barrier
	buffer_gl0_inv
	v_mov_b32_e32 v74, 32
	ds_write_b64 v0, v[10:11]
	s_waitcnt lgkmcnt(0)
	s_barrier
	buffer_gl0_inv
	ds_read_b64 v[0:1], v80 offset:256
	s_cmp_lt_i32 s7, 34
	s_cbranch_scc1 .LBB66_542
; %bb.540:
	v_add3_u32 v75, v81, 0, 0x108
	v_mov_b32_e32 v74, 32
	s_mov_b32 s0, 33
.LBB66_541:                             ; =>This Inner Loop Header: Depth=1
	ds_read_b64 v[84:85], v75
	v_add_nc_u32_e32 v75, 8, v75
	s_waitcnt lgkmcnt(0)
	v_cmp_lt_f64_e64 vcc_lo, |v[0:1]|, |v[84:85]|
	v_cndmask_b32_e32 v1, v1, v85, vcc_lo
	v_cndmask_b32_e32 v0, v0, v84, vcc_lo
	v_cndmask_b32_e64 v74, v74, s0, vcc_lo
	s_add_i32 s0, s0, 1
	s_cmp_lg_u32 s7, s0
	s_cbranch_scc1 .LBB66_541
.LBB66_542:
	s_mov_b32 s0, exec_lo
	s_waitcnt lgkmcnt(0)
	v_cmpx_eq_f64_e32 0, v[0:1]
	s_xor_b32 s0, exec_lo, s0
; %bb.543:
	v_cmp_ne_u32_e32 vcc_lo, 0, v82
	v_cndmask_b32_e32 v82, 33, v82, vcc_lo
; %bb.544:
	s_andn2_saveexec_b32 s0, s0
	s_cbranch_execz .LBB66_546
; %bb.545:
	v_div_scale_f64 v[75:76], null, v[0:1], v[0:1], 1.0
	v_rcp_f64_e32 v[84:85], v[75:76]
	v_fma_f64 v[86:87], -v[75:76], v[84:85], 1.0
	v_fma_f64 v[84:85], v[84:85], v[86:87], v[84:85]
	v_fma_f64 v[86:87], -v[75:76], v[84:85], 1.0
	v_fma_f64 v[84:85], v[84:85], v[86:87], v[84:85]
	v_div_scale_f64 v[86:87], vcc_lo, 1.0, v[0:1], 1.0
	v_mul_f64 v[88:89], v[86:87], v[84:85]
	v_fma_f64 v[75:76], -v[75:76], v[88:89], v[86:87]
	v_div_fmas_f64 v[75:76], v[75:76], v[84:85], v[88:89]
	v_div_fixup_f64 v[0:1], v[75:76], v[0:1], 1.0
.LBB66_546:
	s_or_b32 exec_lo, exec_lo, s0
	s_mov_b32 s0, exec_lo
	v_cmpx_ne_u32_e64 v83, v74
	s_xor_b32 s0, exec_lo, s0
	s_cbranch_execz .LBB66_552
; %bb.547:
	s_mov_b32 s1, exec_lo
	v_cmpx_eq_u32_e32 32, v83
	s_cbranch_execz .LBB66_551
; %bb.548:
	v_cmp_ne_u32_e32 vcc_lo, 32, v74
	s_xor_b32 s2, s6, -1
	s_and_b32 s3, s2, vcc_lo
	s_and_saveexec_b32 s2, s3
	s_cbranch_execz .LBB66_550
; %bb.549:
	v_ashrrev_i32_e32 v75, 31, v74
	v_lshlrev_b64 v[75:76], 2, v[74:75]
	v_add_co_u32 v75, vcc_lo, v4, v75
	v_add_co_ci_u32_e64 v76, null, v5, v76, vcc_lo
	s_clause 0x1
	global_load_dword v77, v[75:76], off
	global_load_dword v83, v[4:5], off offset:128
	s_waitcnt vmcnt(1)
	global_store_dword v[4:5], v77, off offset:128
	s_waitcnt vmcnt(0)
	global_store_dword v[75:76], v83, off
.LBB66_550:
	s_or_b32 exec_lo, exec_lo, s2
	v_mov_b32_e32 v77, v74
	v_mov_b32_e32 v83, v74
.LBB66_551:
	s_or_b32 exec_lo, exec_lo, s1
.LBB66_552:
	s_andn2_saveexec_b32 s0, s0
; %bb.553:
	v_mov_b32_e32 v83, 32
	ds_write_b64 v80, v[72:73] offset:264
; %bb.554:
	s_or_b32 exec_lo, exec_lo, s0
	s_mov_b32 s0, exec_lo
	s_waitcnt lgkmcnt(0)
	s_waitcnt_vscnt null, 0x0
	s_barrier
	buffer_gl0_inv
	v_cmpx_lt_i32_e32 32, v83
	s_cbranch_execz .LBB66_556
; %bb.555:
	v_mul_f64 v[10:11], v[0:1], v[10:11]
	ds_read_b64 v[0:1], v80 offset:264
	s_waitcnt lgkmcnt(0)
	v_fma_f64 v[72:73], -v[10:11], v[0:1], v[72:73]
.LBB66_556:
	s_or_b32 exec_lo, exec_lo, s0
	v_lshl_add_u32 v0, v83, 3, v80
	s_barrier
	buffer_gl0_inv
	v_mov_b32_e32 v74, 33
	ds_write_b64 v0, v[72:73]
	s_waitcnt lgkmcnt(0)
	s_barrier
	buffer_gl0_inv
	ds_read_b64 v[0:1], v80 offset:264
	s_cmp_lt_i32 s7, 35
	s_cbranch_scc1 .LBB66_559
; %bb.557:
	v_add3_u32 v75, v81, 0, 0x110
	v_mov_b32_e32 v74, 33
	s_mov_b32 s0, 34
.LBB66_558:                             ; =>This Inner Loop Header: Depth=1
	ds_read_b64 v[80:81], v75
	v_add_nc_u32_e32 v75, 8, v75
	s_waitcnt lgkmcnt(0)
	v_cmp_lt_f64_e64 vcc_lo, |v[0:1]|, |v[80:81]|
	v_cndmask_b32_e32 v1, v1, v81, vcc_lo
	v_cndmask_b32_e32 v0, v0, v80, vcc_lo
	v_cndmask_b32_e64 v74, v74, s0, vcc_lo
	s_add_i32 s0, s0, 1
	s_cmp_lg_u32 s7, s0
	s_cbranch_scc1 .LBB66_558
.LBB66_559:
	s_mov_b32 s0, exec_lo
	s_waitcnt lgkmcnt(0)
	v_cmpx_eq_f64_e32 0, v[0:1]
	s_xor_b32 s0, exec_lo, s0
; %bb.560:
	v_cmp_ne_u32_e32 vcc_lo, 0, v82
	v_cndmask_b32_e32 v82, 34, v82, vcc_lo
; %bb.561:
	s_andn2_saveexec_b32 s0, s0
	s_cbranch_execz .LBB66_563
; %bb.562:
	v_div_scale_f64 v[75:76], null, v[0:1], v[0:1], 1.0
	v_rcp_f64_e32 v[80:81], v[75:76]
	v_fma_f64 v[84:85], -v[75:76], v[80:81], 1.0
	v_fma_f64 v[80:81], v[80:81], v[84:85], v[80:81]
	v_fma_f64 v[84:85], -v[75:76], v[80:81], 1.0
	v_fma_f64 v[80:81], v[80:81], v[84:85], v[80:81]
	v_div_scale_f64 v[84:85], vcc_lo, 1.0, v[0:1], 1.0
	v_mul_f64 v[86:87], v[84:85], v[80:81]
	v_fma_f64 v[75:76], -v[75:76], v[86:87], v[84:85]
	v_div_fmas_f64 v[75:76], v[75:76], v[80:81], v[86:87]
	v_div_fixup_f64 v[0:1], v[75:76], v[0:1], 1.0
.LBB66_563:
	s_or_b32 exec_lo, exec_lo, s0
	v_mov_b32_e32 v75, 33
	s_mov_b32 s0, exec_lo
	v_cmpx_ne_u32_e64 v83, v74
	s_cbranch_execz .LBB66_569
; %bb.564:
	s_mov_b32 s1, exec_lo
	v_cmpx_eq_u32_e32 33, v83
	s_cbranch_execz .LBB66_568
; %bb.565:
	v_cmp_ne_u32_e32 vcc_lo, 33, v74
	s_xor_b32 s2, s6, -1
	s_and_b32 s3, s2, vcc_lo
	s_and_saveexec_b32 s2, s3
	s_cbranch_execz .LBB66_567
; %bb.566:
	v_ashrrev_i32_e32 v75, 31, v74
	v_lshlrev_b64 v[75:76], 2, v[74:75]
	v_add_co_u32 v75, vcc_lo, v4, v75
	v_add_co_ci_u32_e64 v76, null, v5, v76, vcc_lo
	s_clause 0x1
	global_load_dword v77, v[75:76], off
	global_load_dword v80, v[4:5], off offset:132
	s_waitcnt vmcnt(1)
	global_store_dword v[4:5], v77, off offset:132
	s_waitcnt vmcnt(0)
	global_store_dword v[75:76], v80, off
.LBB66_567:
	s_or_b32 exec_lo, exec_lo, s2
	v_mov_b32_e32 v77, v74
	v_mov_b32_e32 v83, v74
.LBB66_568:
	s_or_b32 exec_lo, exec_lo, s1
	v_mov_b32_e32 v75, v83
.LBB66_569:
	s_or_b32 exec_lo, exec_lo, s0
	s_load_dwordx8 s[0:7], s[4:5], 0x28
	v_ashrrev_i32_e32 v76, 31, v75
	s_mov_b32 s9, exec_lo
	s_waitcnt lgkmcnt(0)
	s_waitcnt_vscnt null, 0x0
	s_barrier
	buffer_gl0_inv
	s_barrier
	buffer_gl0_inv
	v_cmpx_gt_i32_e32 34, v75
	s_cbranch_execz .LBB66_571
; %bb.570:
	v_mul_lo_u32 v74, s5, v2
	v_mul_lo_u32 v80, s4, v3
	v_mad_u64_u32 v[4:5], null, s4, v2, 0
	s_lshl_b64 s[2:3], s[2:3], 2
	v_add3_u32 v5, v5, v80, v74
	v_lshlrev_b64 v[4:5], 2, v[4:5]
	v_add_co_u32 v74, vcc_lo, s0, v4
	v_add_co_ci_u32_e64 v80, null, s1, v5, vcc_lo
	v_lshlrev_b64 v[4:5], 2, v[75:76]
	v_add_co_u32 v74, vcc_lo, v74, s2
	v_add_co_ci_u32_e64 v80, null, s3, v80, vcc_lo
	v_add_co_u32 v4, vcc_lo, v74, v4
	v_add_co_ci_u32_e64 v5, null, v80, v5, vcc_lo
	v_add3_u32 v74, v77, s13, 1
	global_store_dword v[4:5], v74, off
.LBB66_571:
	s_or_b32 exec_lo, exec_lo, s9
	s_mov_b32 s1, exec_lo
	v_cmpx_eq_u32_e32 0, v75
	s_cbranch_execz .LBB66_574
; %bb.572:
	v_lshlrev_b64 v[2:3], 2, v[2:3]
	v_cmp_ne_u32_e64 s0, 0, v82
	v_add_co_u32 v2, vcc_lo, s6, v2
	v_add_co_ci_u32_e64 v3, null, s7, v3, vcc_lo
	global_load_dword v4, v[2:3], off
	s_waitcnt vmcnt(0)
	v_cmp_eq_u32_e32 vcc_lo, 0, v4
	s_and_b32 s0, vcc_lo, s0
	s_and_b32 exec_lo, exec_lo, s0
	s_cbranch_execz .LBB66_574
; %bb.573:
	v_add_nc_u32_e32 v4, s13, v82
	global_store_dword v[2:3], v4, off
.LBB66_574:
	s_or_b32 exec_lo, exec_lo, s1
	v_lshlrev_b64 v[4:5], 3, v[75:76]
	v_mul_f64 v[0:1], v[0:1], v[72:73]
	v_add3_u32 v2, s8, s8, v75
	v_cmp_lt_i32_e32 vcc_lo, 33, v75
	v_add_co_u32 v4, s0, v78, v4
	v_add_nc_u32_e32 v74, s8, v2
	v_add_co_ci_u32_e64 v5, null, v79, v5, s0
	v_add_co_u32 v76, s0, v4, s10
	v_ashrrev_i32_e32 v3, 31, v2
	v_add_co_ci_u32_e64 v77, null, s11, v5, s0
	v_add_nc_u32_e32 v80, s8, v74
	v_ashrrev_i32_e32 v75, 31, v74
	v_lshlrev_b64 v[2:3], 3, v[2:3]
	flat_store_dwordx2 v[4:5], v[70:71]
	flat_store_dwordx2 v[76:77], v[68:69]
	v_add_nc_u32_e32 v68, s8, v80
	v_lshlrev_b64 v[4:5], 3, v[74:75]
	v_cndmask_b32_e32 v1, v73, v1, vcc_lo
	v_cndmask_b32_e32 v0, v72, v0, vcc_lo
	v_add_co_u32 v2, vcc_lo, v78, v2
	v_add_nc_u32_e32 v70, s8, v68
	v_ashrrev_i32_e32 v81, 31, v80
	v_add_co_ci_u32_e64 v3, null, v79, v3, vcc_lo
	v_add_co_u32 v4, vcc_lo, v78, v4
	v_ashrrev_i32_e32 v69, 31, v68
	v_add_co_ci_u32_e64 v5, null, v79, v5, vcc_lo
	v_ashrrev_i32_e32 v71, 31, v70
	v_lshlrev_b64 v[72:73], 3, v[80:81]
	flat_store_dwordx2 v[2:3], v[66:67]
	flat_store_dwordx2 v[4:5], v[64:65]
	v_lshlrev_b64 v[2:3], 3, v[68:69]
	v_add_nc_u32_e32 v66, s8, v70
	v_lshlrev_b64 v[64:65], 3, v[70:71]
	v_add_co_u32 v4, vcc_lo, v78, v72
	v_add_co_ci_u32_e64 v5, null, v79, v73, vcc_lo
	v_add_co_u32 v2, vcc_lo, v78, v2
	v_add_co_ci_u32_e64 v3, null, v79, v3, vcc_lo
	v_add_co_u32 v64, vcc_lo, v78, v64
	v_add_nc_u32_e32 v68, s8, v66
	v_add_co_ci_u32_e64 v65, null, v79, v65, vcc_lo
	v_ashrrev_i32_e32 v67, 31, v66
	flat_store_dwordx2 v[4:5], v[62:63]
	flat_store_dwordx2 v[2:3], v[58:59]
	flat_store_dwordx2 v[64:65], v[60:61]
	v_add_nc_u32_e32 v58, s8, v68
	v_ashrrev_i32_e32 v69, 31, v68
	v_lshlrev_b64 v[4:5], 3, v[66:67]
	v_add_nc_u32_e32 v60, s8, v58
	v_lshlrev_b64 v[2:3], 3, v[68:69]
	v_ashrrev_i32_e32 v59, 31, v58
	v_add_co_u32 v4, vcc_lo, v78, v4
	v_add_nc_u32_e32 v62, s8, v60
	v_add_co_ci_u32_e64 v5, null, v79, v5, vcc_lo
	v_add_co_u32 v2, vcc_lo, v78, v2
	v_ashrrev_i32_e32 v61, 31, v60
	v_add_co_ci_u32_e64 v3, null, v79, v3, vcc_lo
	v_ashrrev_i32_e32 v63, 31, v62
	v_lshlrev_b64 v[58:59], 3, v[58:59]
	flat_store_dwordx2 v[4:5], v[54:55]
	flat_store_dwordx2 v[2:3], v[56:57]
	v_lshlrev_b64 v[2:3], 3, v[60:61]
	v_add_nc_u32_e32 v56, s8, v62
	v_lshlrev_b64 v[54:55], 3, v[62:63]
	v_add_co_u32 v4, vcc_lo, v78, v58
	v_add_co_ci_u32_e64 v5, null, v79, v59, vcc_lo
	v_add_co_u32 v2, vcc_lo, v78, v2
	v_add_co_ci_u32_e64 v3, null, v79, v3, vcc_lo
	v_add_co_u32 v54, vcc_lo, v78, v54
	v_add_nc_u32_e32 v58, s8, v56
	v_add_co_ci_u32_e64 v55, null, v79, v55, vcc_lo
	v_ashrrev_i32_e32 v57, 31, v56
	flat_store_dwordx2 v[4:5], v[52:53]
	flat_store_dwordx2 v[2:3], v[50:51]
	flat_store_dwordx2 v[54:55], v[48:49]
	v_add_nc_u32_e32 v48, s8, v58
	v_ashrrev_i32_e32 v59, 31, v58
	v_lshlrev_b64 v[4:5], 3, v[56:57]
	v_add_nc_u32_e32 v50, s8, v48
	v_lshlrev_b64 v[2:3], 3, v[58:59]
	v_ashrrev_i32_e32 v49, 31, v48
	v_add_co_u32 v4, vcc_lo, v78, v4
	v_add_nc_u32_e32 v52, s8, v50
	;; [unrolled: 30-line block ×4, first 2 shown]
	v_add_co_ci_u32_e64 v5, null, v79, v5, vcc_lo
	v_add_co_u32 v2, vcc_lo, v78, v2
	v_ashrrev_i32_e32 v31, 31, v30
	v_add_co_ci_u32_e64 v3, null, v79, v3, vcc_lo
	v_ashrrev_i32_e32 v33, 31, v32
	v_lshlrev_b64 v[28:29], 3, v[28:29]
	flat_store_dwordx2 v[4:5], v[26:27]
	flat_store_dwordx2 v[2:3], v[24:25]
	v_lshlrev_b64 v[2:3], 3, v[30:31]
	v_add_nc_u32_e32 v26, s8, v32
	v_lshlrev_b64 v[24:25], 3, v[32:33]
	v_add_co_u32 v4, vcc_lo, v78, v28
	v_add_co_ci_u32_e64 v5, null, v79, v29, vcc_lo
	v_add_co_u32 v2, vcc_lo, v78, v2
	v_add_nc_u32_e32 v28, s8, v26
	v_add_co_ci_u32_e64 v3, null, v79, v3, vcc_lo
	v_add_co_u32 v24, vcc_lo, v78, v24
	v_ashrrev_i32_e32 v27, 31, v26
	v_add_co_ci_u32_e64 v25, null, v79, v25, vcc_lo
	v_ashrrev_i32_e32 v29, 31, v28
	flat_store_dwordx2 v[4:5], v[22:23]
	v_lshlrev_b64 v[4:5], 3, v[26:27]
	flat_store_dwordx2 v[2:3], v[18:19]
	flat_store_dwordx2 v[24:25], v[20:21]
	v_add_nc_u32_e32 v18, s8, v28
	v_lshlrev_b64 v[2:3], 3, v[28:29]
	v_add_co_u32 v4, vcc_lo, v78, v4
	v_add_nc_u32_e32 v20, s8, v18
	v_add_co_ci_u32_e64 v5, null, v79, v5, vcc_lo
	v_add_co_u32 v2, vcc_lo, v78, v2
	v_add_co_ci_u32_e64 v3, null, v79, v3, vcc_lo
	v_add_nc_u32_e32 v22, s8, v20
	v_ashrrev_i32_e32 v19, 31, v18
	flat_store_dwordx2 v[4:5], v[16:17]
	flat_store_dwordx2 v[2:3], v[14:15]
	v_ashrrev_i32_e32 v21, 31, v20
	v_add_nc_u32_e32 v14, s8, v22
	v_lshlrev_b64 v[4:5], 3, v[18:19]
	v_ashrrev_i32_e32 v23, 31, v22
	v_lshlrev_b64 v[2:3], 3, v[20:21]
	v_add_nc_u32_e32 v18, s8, v14
	v_ashrrev_i32_e32 v15, 31, v14
	v_lshlrev_b64 v[16:17], 3, v[22:23]
	v_add_co_u32 v4, vcc_lo, v78, v4
	v_ashrrev_i32_e32 v19, 31, v18
	v_lshlrev_b64 v[14:15], 3, v[14:15]
	v_add_co_ci_u32_e64 v5, null, v79, v5, vcc_lo
	v_add_co_u32 v2, vcc_lo, v78, v2
	v_lshlrev_b64 v[18:19], 3, v[18:19]
	v_add_co_ci_u32_e64 v3, null, v79, v3, vcc_lo
	v_add_co_u32 v16, vcc_lo, v78, v16
	v_add_co_ci_u32_e64 v17, null, v79, v17, vcc_lo
	v_add_co_u32 v14, vcc_lo, v78, v14
	;; [unrolled: 2-line block ×3, first 2 shown]
	v_add_co_ci_u32_e64 v19, null, v79, v19, vcc_lo
	flat_store_dwordx2 v[4:5], v[8:9]
	flat_store_dwordx2 v[2:3], v[12:13]
	;; [unrolled: 1-line block ×5, first 2 shown]
.LBB66_575:
	s_endpgm
	.section	.rodata,"a",@progbits
	.p2align	6, 0x0
	.amdhsa_kernel _ZN9rocsolver6v33100L18getf2_small_kernelILi34EdiiPKPdEEvT1_T3_lS5_lPS5_llPT2_S5_S5_S7_l
		.amdhsa_group_segment_fixed_size 0
		.amdhsa_private_segment_fixed_size 0
		.amdhsa_kernarg_size 352
		.amdhsa_user_sgpr_count 6
		.amdhsa_user_sgpr_private_segment_buffer 1
		.amdhsa_user_sgpr_dispatch_ptr 0
		.amdhsa_user_sgpr_queue_ptr 0
		.amdhsa_user_sgpr_kernarg_segment_ptr 1
		.amdhsa_user_sgpr_dispatch_id 0
		.amdhsa_user_sgpr_flat_scratch_init 0
		.amdhsa_user_sgpr_private_segment_size 0
		.amdhsa_wavefront_size32 1
		.amdhsa_uses_dynamic_stack 0
		.amdhsa_system_sgpr_private_segment_wavefront_offset 0
		.amdhsa_system_sgpr_workgroup_id_x 1
		.amdhsa_system_sgpr_workgroup_id_y 1
		.amdhsa_system_sgpr_workgroup_id_z 0
		.amdhsa_system_sgpr_workgroup_info 0
		.amdhsa_system_vgpr_workitem_id 1
		.amdhsa_next_free_vgpr 148
		.amdhsa_next_free_sgpr 14
		.amdhsa_reserve_vcc 1
		.amdhsa_reserve_flat_scratch 1
		.amdhsa_float_round_mode_32 0
		.amdhsa_float_round_mode_16_64 0
		.amdhsa_float_denorm_mode_32 3
		.amdhsa_float_denorm_mode_16_64 3
		.amdhsa_dx10_clamp 1
		.amdhsa_ieee_mode 1
		.amdhsa_fp16_overflow 0
		.amdhsa_workgroup_processor_mode 1
		.amdhsa_memory_ordered 1
		.amdhsa_forward_progress 1
		.amdhsa_shared_vgpr_count 0
		.amdhsa_exception_fp_ieee_invalid_op 0
		.amdhsa_exception_fp_denorm_src 0
		.amdhsa_exception_fp_ieee_div_zero 0
		.amdhsa_exception_fp_ieee_overflow 0
		.amdhsa_exception_fp_ieee_underflow 0
		.amdhsa_exception_fp_ieee_inexact 0
		.amdhsa_exception_int_div_zero 0
	.end_amdhsa_kernel
	.section	.text._ZN9rocsolver6v33100L18getf2_small_kernelILi34EdiiPKPdEEvT1_T3_lS5_lPS5_llPT2_S5_S5_S7_l,"axG",@progbits,_ZN9rocsolver6v33100L18getf2_small_kernelILi34EdiiPKPdEEvT1_T3_lS5_lPS5_llPT2_S5_S5_S7_l,comdat
.Lfunc_end66:
	.size	_ZN9rocsolver6v33100L18getf2_small_kernelILi34EdiiPKPdEEvT1_T3_lS5_lPS5_llPT2_S5_S5_S7_l, .Lfunc_end66-_ZN9rocsolver6v33100L18getf2_small_kernelILi34EdiiPKPdEEvT1_T3_lS5_lPS5_llPT2_S5_S5_S7_l
                                        ; -- End function
	.set _ZN9rocsolver6v33100L18getf2_small_kernelILi34EdiiPKPdEEvT1_T3_lS5_lPS5_llPT2_S5_S5_S7_l.num_vgpr, 148
	.set _ZN9rocsolver6v33100L18getf2_small_kernelILi34EdiiPKPdEEvT1_T3_lS5_lPS5_llPT2_S5_S5_S7_l.num_agpr, 0
	.set _ZN9rocsolver6v33100L18getf2_small_kernelILi34EdiiPKPdEEvT1_T3_lS5_lPS5_llPT2_S5_S5_S7_l.numbered_sgpr, 14
	.set _ZN9rocsolver6v33100L18getf2_small_kernelILi34EdiiPKPdEEvT1_T3_lS5_lPS5_llPT2_S5_S5_S7_l.num_named_barrier, 0
	.set _ZN9rocsolver6v33100L18getf2_small_kernelILi34EdiiPKPdEEvT1_T3_lS5_lPS5_llPT2_S5_S5_S7_l.private_seg_size, 0
	.set _ZN9rocsolver6v33100L18getf2_small_kernelILi34EdiiPKPdEEvT1_T3_lS5_lPS5_llPT2_S5_S5_S7_l.uses_vcc, 1
	.set _ZN9rocsolver6v33100L18getf2_small_kernelILi34EdiiPKPdEEvT1_T3_lS5_lPS5_llPT2_S5_S5_S7_l.uses_flat_scratch, 1
	.set _ZN9rocsolver6v33100L18getf2_small_kernelILi34EdiiPKPdEEvT1_T3_lS5_lPS5_llPT2_S5_S5_S7_l.has_dyn_sized_stack, 0
	.set _ZN9rocsolver6v33100L18getf2_small_kernelILi34EdiiPKPdEEvT1_T3_lS5_lPS5_llPT2_S5_S5_S7_l.has_recursion, 0
	.set _ZN9rocsolver6v33100L18getf2_small_kernelILi34EdiiPKPdEEvT1_T3_lS5_lPS5_llPT2_S5_S5_S7_l.has_indirect_call, 0
	.section	.AMDGPU.csdata,"",@progbits
; Kernel info:
; codeLenInByte = 30968
; TotalNumSgprs: 16
; NumVgprs: 148
; ScratchSize: 0
; MemoryBound: 0
; FloatMode: 240
; IeeeMode: 1
; LDSByteSize: 0 bytes/workgroup (compile time only)
; SGPRBlocks: 0
; VGPRBlocks: 18
; NumSGPRsForWavesPerEU: 16
; NumVGPRsForWavesPerEU: 148
; Occupancy: 6
; WaveLimiterHint : 1
; COMPUTE_PGM_RSRC2:SCRATCH_EN: 0
; COMPUTE_PGM_RSRC2:USER_SGPR: 6
; COMPUTE_PGM_RSRC2:TRAP_HANDLER: 0
; COMPUTE_PGM_RSRC2:TGID_X_EN: 1
; COMPUTE_PGM_RSRC2:TGID_Y_EN: 1
; COMPUTE_PGM_RSRC2:TGID_Z_EN: 0
; COMPUTE_PGM_RSRC2:TIDIG_COMP_CNT: 1
	.section	.text._ZN9rocsolver6v33100L23getf2_npvt_small_kernelILi34EdiiPKPdEEvT1_T3_lS5_lPT2_S5_S5_,"axG",@progbits,_ZN9rocsolver6v33100L23getf2_npvt_small_kernelILi34EdiiPKPdEEvT1_T3_lS5_lPT2_S5_S5_,comdat
	.globl	_ZN9rocsolver6v33100L23getf2_npvt_small_kernelILi34EdiiPKPdEEvT1_T3_lS5_lPT2_S5_S5_ ; -- Begin function _ZN9rocsolver6v33100L23getf2_npvt_small_kernelILi34EdiiPKPdEEvT1_T3_lS5_lPT2_S5_S5_
	.p2align	8
	.type	_ZN9rocsolver6v33100L23getf2_npvt_small_kernelILi34EdiiPKPdEEvT1_T3_lS5_lPT2_S5_S5_,@function
_ZN9rocsolver6v33100L23getf2_npvt_small_kernelILi34EdiiPKPdEEvT1_T3_lS5_lPT2_S5_S5_: ; @_ZN9rocsolver6v33100L23getf2_npvt_small_kernelILi34EdiiPKPdEEvT1_T3_lS5_lPT2_S5_S5_
; %bb.0:
	s_clause 0x1
	s_load_dword s0, s[4:5], 0x44
	s_load_dwordx2 s[8:9], s[4:5], 0x30
	s_waitcnt lgkmcnt(0)
	s_lshr_b32 s10, s0, 16
	s_mov_b32 s0, exec_lo
	v_mad_u64_u32 v[2:3], null, s7, s10, v[1:2]
	v_cmpx_gt_i32_e64 s8, v2
	s_cbranch_execz .LBB67_173
; %bb.1:
	s_clause 0x1
	s_load_dwordx4 s[0:3], s[4:5], 0x8
	s_load_dword s6, s[4:5], 0x18
	v_ashrrev_i32_e32 v3, 31, v2
	v_lshlrev_b32_e32 v72, 3, v0
	v_lshlrev_b32_e32 v140, 3, v1
	s_mulk_i32 s10, 0x110
	v_mad_u32_u24 v206, 0x110, v1, 0
	v_lshlrev_b64 v[4:5], 3, v[2:3]
	v_add3_u32 v1, 0, s10, v140
	s_waitcnt lgkmcnt(0)
	v_add_co_u32 v4, vcc_lo, s0, v4
	v_add_co_ci_u32_e64 v5, null, s1, v5, vcc_lo
	v_add3_u32 v6, s6, s6, v0
	s_lshl_b64 s[2:3], s[2:3], 3
	s_ashr_i32 s7, s6, 31
	global_load_dwordx2 v[4:5], v[4:5], off
	s_lshl_b64 s[0:1], s[6:7], 3
	v_add_nc_u32_e32 v8, s6, v6
	v_ashrrev_i32_e32 v7, 31, v6
	v_add_nc_u32_e32 v10, s6, v8
	v_ashrrev_i32_e32 v9, 31, v8
	v_lshlrev_b64 v[6:7], 3, v[6:7]
	v_add_nc_u32_e32 v12, s6, v10
	v_ashrrev_i32_e32 v11, 31, v10
	v_lshlrev_b64 v[8:9], 3, v[8:9]
	;; [unrolled: 3-line block ×29, first 2 shown]
	v_ashrrev_i32_e32 v67, 31, v66
	v_add_nc_u32_e32 v68, s6, v66
	v_lshlrev_b64 v[64:65], 3, v[64:65]
	v_lshlrev_b64 v[66:67], 3, v[66:67]
	v_ashrrev_i32_e32 v69, 31, v68
	v_lshlrev_b64 v[70:71], 3, v[68:69]
	s_waitcnt vmcnt(0)
	v_add_co_u32 v73, vcc_lo, v4, s2
	v_add_co_ci_u32_e64 v74, null, s3, v5, vcc_lo
	v_add_co_u32 v4, vcc_lo, v73, v6
	v_add_co_ci_u32_e64 v5, null, v74, v7, vcc_lo
	;; [unrolled: 2-line block ×35, first 2 shown]
	s_clause 0x21
	flat_load_dwordx2 v[124:125], v[8:9]
	flat_load_dwordx2 v[108:109], v[10:11]
	;; [unrolled: 1-line block ×34, first 2 shown]
	v_cmp_ne_u32_e64 s1, 0, v0
	v_cmp_eq_u32_e64 s0, 0, v0
	s_and_saveexec_b32 s2, s0
	s_cbranch_execz .LBB67_4
; %bb.2:
	s_waitcnt vmcnt(5) lgkmcnt(5)
	ds_write_b64 v1, v[132:133]
	s_waitcnt vmcnt(3) lgkmcnt(4)
	ds_write2_b64 v206, v[136:137], v[138:139] offset0:1 offset1:2
	s_waitcnt vmcnt(2) lgkmcnt(4)
	ds_write2_b64 v206, v[134:135], v[124:125] offset0:3 offset1:4
	ds_write2_b64 v206, v[108:109], v[122:123] offset0:5 offset1:6
	ds_write2_b64 v206, v[106:107], v[120:121] offset0:7 offset1:8
	ds_write2_b64 v206, v[104:105], v[118:119] offset0:9 offset1:10
	ds_write2_b64 v206, v[102:103], v[116:117] offset0:11 offset1:12
	ds_write2_b64 v206, v[100:101], v[114:115] offset0:13 offset1:14
	ds_write2_b64 v206, v[98:99], v[112:113] offset0:15 offset1:16
	ds_write2_b64 v206, v[96:97], v[110:111] offset0:17 offset1:18
	ds_write2_b64 v206, v[82:83], v[94:95] offset0:19 offset1:20
	ds_write2_b64 v206, v[80:81], v[92:93] offset0:21 offset1:22
	ds_write2_b64 v206, v[78:79], v[90:91] offset0:23 offset1:24
	ds_write2_b64 v206, v[76:77], v[88:89] offset0:25 offset1:26
	ds_write2_b64 v206, v[74:75], v[86:87] offset0:27 offset1:28
	ds_write2_b64 v206, v[72:73], v[84:85] offset0:29 offset1:30
	s_waitcnt vmcnt(1) lgkmcnt(17)
	ds_write2_b64 v206, v[70:71], v[128:129] offset0:31 offset1:32
	s_waitcnt vmcnt(0) lgkmcnt(17)
	ds_write_b64 v206, v[130:131] offset:264
	ds_read_b64 v[140:141], v1
	s_waitcnt lgkmcnt(0)
	v_cmp_neq_f64_e32 vcc_lo, 0, v[140:141]
	s_and_b32 exec_lo, exec_lo, vcc_lo
	s_cbranch_execz .LBB67_4
; %bb.3:
	v_div_scale_f64 v[142:143], null, v[140:141], v[140:141], 1.0
	v_rcp_f64_e32 v[144:145], v[142:143]
	v_fma_f64 v[146:147], -v[142:143], v[144:145], 1.0
	v_fma_f64 v[144:145], v[144:145], v[146:147], v[144:145]
	v_fma_f64 v[146:147], -v[142:143], v[144:145], 1.0
	v_fma_f64 v[144:145], v[144:145], v[146:147], v[144:145]
	v_div_scale_f64 v[146:147], vcc_lo, 1.0, v[140:141], 1.0
	v_mul_f64 v[148:149], v[146:147], v[144:145]
	v_fma_f64 v[142:143], -v[142:143], v[148:149], v[146:147]
	v_div_fmas_f64 v[142:143], v[142:143], v[144:145], v[148:149]
	v_div_fixup_f64 v[140:141], v[142:143], v[140:141], 1.0
	ds_write_b64 v1, v[140:141]
.LBB67_4:
	s_or_b32 exec_lo, exec_lo, s2
	s_waitcnt vmcnt(0) lgkmcnt(0)
	s_barrier
	buffer_gl0_inv
	ds_read_b64 v[140:141], v1
	s_and_saveexec_b32 s2, s1
	s_cbranch_execz .LBB67_6
; %bb.5:
	s_waitcnt lgkmcnt(0)
	v_mul_f64 v[132:133], v[140:141], v[132:133]
	ds_read2_b64 v[142:145], v206 offset0:1 offset1:2
	ds_read2_b64 v[146:149], v206 offset0:3 offset1:4
	;; [unrolled: 1-line block ×13, first 2 shown]
	s_waitcnt lgkmcnt(12)
	v_fma_f64 v[136:137], -v[132:133], v[142:143], v[136:137]
	v_fma_f64 v[138:139], -v[132:133], v[144:145], v[138:139]
	s_waitcnt lgkmcnt(11)
	v_fma_f64 v[134:135], -v[132:133], v[146:147], v[134:135]
	v_fma_f64 v[124:125], -v[132:133], v[148:149], v[124:125]
	;; [unrolled: 3-line block ×3, first 2 shown]
	s_waitcnt lgkmcnt(9)
	v_fma_f64 v[106:107], -v[132:133], v[154:155], v[106:107]
	ds_read2_b64 v[142:145], v206 offset0:27 offset1:28
	ds_read2_b64 v[146:149], v206 offset0:29 offset1:30
	;; [unrolled: 1-line block ×3, first 2 shown]
	ds_read_b64 v[154:155], v206 offset:264
	v_fma_f64 v[120:121], -v[132:133], v[156:157], v[120:121]
	s_waitcnt lgkmcnt(12)
	v_fma_f64 v[104:105], -v[132:133], v[158:159], v[104:105]
	v_fma_f64 v[118:119], -v[132:133], v[160:161], v[118:119]
	s_waitcnt lgkmcnt(11)
	v_fma_f64 v[102:103], -v[132:133], v[162:163], v[102:103]
	;; [unrolled: 3-line block ×13, first 2 shown]
.LBB67_6:
	s_or_b32 exec_lo, exec_lo, s2
	s_mov_b32 s1, exec_lo
	s_waitcnt lgkmcnt(0)
	s_barrier
	buffer_gl0_inv
	v_cmpx_eq_u32_e32 1, v0
	s_cbranch_execz .LBB67_9
; %bb.7:
	v_mov_b32_e32 v142, v138
	v_mov_b32_e32 v143, v139
	;; [unrolled: 1-line block ×4, first 2 shown]
	ds_write_b64 v1, v[136:137]
	ds_write2_b64 v206, v[142:143], v[144:145] offset0:2 offset1:3
	v_mov_b32_e32 v142, v124
	v_mov_b32_e32 v143, v125
	;; [unrolled: 1-line block ×20, first 2 shown]
	ds_write2_b64 v206, v[142:143], v[144:145] offset0:4 offset1:5
	ds_write2_b64 v206, v[146:147], v[148:149] offset0:6 offset1:7
	;; [unrolled: 1-line block ×5, first 2 shown]
	v_mov_b32_e32 v142, v114
	v_mov_b32_e32 v143, v115
	;; [unrolled: 1-line block ×20, first 2 shown]
	ds_write2_b64 v206, v[142:143], v[144:145] offset0:14 offset1:15
	ds_write2_b64 v206, v[146:147], v[148:149] offset0:16 offset1:17
	ds_write2_b64 v206, v[150:151], v[152:153] offset0:18 offset1:19
	ds_write2_b64 v206, v[154:155], v[156:157] offset0:20 offset1:21
	ds_write2_b64 v206, v[158:159], v[160:161] offset0:22 offset1:23
	v_mov_b32_e32 v142, v90
	v_mov_b32_e32 v143, v91
	;; [unrolled: 1-line block ×18, first 2 shown]
	ds_write2_b64 v206, v[142:143], v[144:145] offset0:24 offset1:25
	ds_write2_b64 v206, v[146:147], v[148:149] offset0:26 offset1:27
	;; [unrolled: 1-line block ×5, first 2 shown]
	ds_read_b64 v[142:143], v1
	s_waitcnt lgkmcnt(0)
	v_cmp_neq_f64_e32 vcc_lo, 0, v[142:143]
	s_and_b32 exec_lo, exec_lo, vcc_lo
	s_cbranch_execz .LBB67_9
; %bb.8:
	v_div_scale_f64 v[144:145], null, v[142:143], v[142:143], 1.0
	v_rcp_f64_e32 v[146:147], v[144:145]
	v_fma_f64 v[148:149], -v[144:145], v[146:147], 1.0
	v_fma_f64 v[146:147], v[146:147], v[148:149], v[146:147]
	v_fma_f64 v[148:149], -v[144:145], v[146:147], 1.0
	v_fma_f64 v[146:147], v[146:147], v[148:149], v[146:147]
	v_div_scale_f64 v[148:149], vcc_lo, 1.0, v[142:143], 1.0
	v_mul_f64 v[150:151], v[148:149], v[146:147]
	v_fma_f64 v[144:145], -v[144:145], v[150:151], v[148:149]
	v_div_fmas_f64 v[144:145], v[144:145], v[146:147], v[150:151]
	v_div_fixup_f64 v[142:143], v[144:145], v[142:143], 1.0
	ds_write_b64 v1, v[142:143]
.LBB67_9:
	s_or_b32 exec_lo, exec_lo, s1
	s_waitcnt lgkmcnt(0)
	s_barrier
	buffer_gl0_inv
	ds_read_b64 v[142:143], v1
	s_mov_b32 s1, exec_lo
	v_cmpx_lt_u32_e32 1, v0
	s_cbranch_execz .LBB67_11
; %bb.10:
	s_waitcnt lgkmcnt(0)
	v_mul_f64 v[136:137], v[142:143], v[136:137]
	ds_read2_b64 v[144:147], v206 offset0:2 offset1:3
	ds_read2_b64 v[148:151], v206 offset0:4 offset1:5
	;; [unrolled: 1-line block ×13, first 2 shown]
	s_waitcnt lgkmcnt(12)
	v_fma_f64 v[138:139], -v[136:137], v[144:145], v[138:139]
	v_fma_f64 v[134:135], -v[136:137], v[146:147], v[134:135]
	s_waitcnt lgkmcnt(11)
	v_fma_f64 v[124:125], -v[136:137], v[148:149], v[124:125]
	v_fma_f64 v[108:109], -v[136:137], v[150:151], v[108:109]
	;; [unrolled: 3-line block ×3, first 2 shown]
	ds_read2_b64 v[144:147], v206 offset0:28 offset1:29
	ds_read2_b64 v[148:151], v206 offset0:30 offset1:31
	;; [unrolled: 1-line block ×3, first 2 shown]
	s_waitcnt lgkmcnt(12)
	v_fma_f64 v[120:121], -v[136:137], v[156:157], v[120:121]
	v_fma_f64 v[104:105], -v[136:137], v[158:159], v[104:105]
	s_waitcnt lgkmcnt(11)
	v_fma_f64 v[118:119], -v[136:137], v[160:161], v[118:119]
	v_fma_f64 v[102:103], -v[136:137], v[162:163], v[102:103]
	;; [unrolled: 3-line block ×13, first 2 shown]
.LBB67_11:
	s_or_b32 exec_lo, exec_lo, s1
	s_mov_b32 s1, exec_lo
	s_waitcnt lgkmcnt(0)
	s_barrier
	buffer_gl0_inv
	v_cmpx_eq_u32_e32 2, v0
	s_cbranch_execz .LBB67_14
; %bb.12:
	ds_write_b64 v1, v[138:139]
	ds_write2_b64 v206, v[134:135], v[124:125] offset0:3 offset1:4
	ds_write2_b64 v206, v[108:109], v[122:123] offset0:5 offset1:6
	;; [unrolled: 1-line block ×15, first 2 shown]
	ds_write_b64 v206, v[130:131] offset:264
	ds_read_b64 v[144:145], v1
	s_waitcnt lgkmcnt(0)
	v_cmp_neq_f64_e32 vcc_lo, 0, v[144:145]
	s_and_b32 exec_lo, exec_lo, vcc_lo
	s_cbranch_execz .LBB67_14
; %bb.13:
	v_div_scale_f64 v[146:147], null, v[144:145], v[144:145], 1.0
	v_rcp_f64_e32 v[148:149], v[146:147]
	v_fma_f64 v[150:151], -v[146:147], v[148:149], 1.0
	v_fma_f64 v[148:149], v[148:149], v[150:151], v[148:149]
	v_fma_f64 v[150:151], -v[146:147], v[148:149], 1.0
	v_fma_f64 v[148:149], v[148:149], v[150:151], v[148:149]
	v_div_scale_f64 v[150:151], vcc_lo, 1.0, v[144:145], 1.0
	v_mul_f64 v[152:153], v[150:151], v[148:149]
	v_fma_f64 v[146:147], -v[146:147], v[152:153], v[150:151]
	v_div_fmas_f64 v[146:147], v[146:147], v[148:149], v[152:153]
	v_div_fixup_f64 v[144:145], v[146:147], v[144:145], 1.0
	ds_write_b64 v1, v[144:145]
.LBB67_14:
	s_or_b32 exec_lo, exec_lo, s1
	s_waitcnt lgkmcnt(0)
	s_barrier
	buffer_gl0_inv
	ds_read_b64 v[144:145], v1
	s_mov_b32 s1, exec_lo
	v_cmpx_lt_u32_e32 2, v0
	s_cbranch_execz .LBB67_16
; %bb.15:
	s_waitcnt lgkmcnt(0)
	v_mul_f64 v[138:139], v[144:145], v[138:139]
	ds_read2_b64 v[146:149], v206 offset0:3 offset1:4
	ds_read2_b64 v[150:153], v206 offset0:5 offset1:6
	;; [unrolled: 1-line block ×13, first 2 shown]
	s_waitcnt lgkmcnt(12)
	v_fma_f64 v[134:135], -v[138:139], v[146:147], v[134:135]
	v_fma_f64 v[124:125], -v[138:139], v[148:149], v[124:125]
	s_waitcnt lgkmcnt(11)
	v_fma_f64 v[108:109], -v[138:139], v[150:151], v[108:109]
	v_fma_f64 v[122:123], -v[138:139], v[152:153], v[122:123]
	s_waitcnt lgkmcnt(10)
	v_fma_f64 v[106:107], -v[138:139], v[154:155], v[106:107]
	ds_read2_b64 v[146:149], v206 offset0:29 offset1:30
	ds_read2_b64 v[150:153], v206 offset0:31 offset1:32
	ds_read_b64 v[154:155], v206 offset:264
	v_fma_f64 v[120:121], -v[138:139], v[156:157], v[120:121]
	s_waitcnt lgkmcnt(12)
	v_fma_f64 v[104:105], -v[138:139], v[158:159], v[104:105]
	v_fma_f64 v[118:119], -v[138:139], v[160:161], v[118:119]
	s_waitcnt lgkmcnt(11)
	v_fma_f64 v[102:103], -v[138:139], v[162:163], v[102:103]
	;; [unrolled: 3-line block ×13, first 2 shown]
.LBB67_16:
	s_or_b32 exec_lo, exec_lo, s1
	s_mov_b32 s1, exec_lo
	s_waitcnt lgkmcnt(0)
	s_barrier
	buffer_gl0_inv
	v_cmpx_eq_u32_e32 3, v0
	s_cbranch_execz .LBB67_19
; %bb.17:
	v_mov_b32_e32 v146, v124
	v_mov_b32_e32 v147, v125
	;; [unrolled: 1-line block ×20, first 2 shown]
	ds_write_b64 v1, v[134:135]
	ds_write2_b64 v206, v[146:147], v[148:149] offset0:4 offset1:5
	ds_write2_b64 v206, v[150:151], v[152:153] offset0:6 offset1:7
	ds_write2_b64 v206, v[154:155], v[156:157] offset0:8 offset1:9
	ds_write2_b64 v206, v[158:159], v[160:161] offset0:10 offset1:11
	ds_write2_b64 v206, v[162:163], v[164:165] offset0:12 offset1:13
	v_mov_b32_e32 v146, v114
	v_mov_b32_e32 v147, v115
	;; [unrolled: 1-line block ×20, first 2 shown]
	ds_write2_b64 v206, v[146:147], v[148:149] offset0:14 offset1:15
	ds_write2_b64 v206, v[150:151], v[152:153] offset0:16 offset1:17
	;; [unrolled: 1-line block ×5, first 2 shown]
	v_mov_b32_e32 v146, v90
	v_mov_b32_e32 v147, v91
	;; [unrolled: 1-line block ×18, first 2 shown]
	ds_write2_b64 v206, v[146:147], v[148:149] offset0:24 offset1:25
	ds_write2_b64 v206, v[150:151], v[152:153] offset0:26 offset1:27
	;; [unrolled: 1-line block ×5, first 2 shown]
	ds_read_b64 v[146:147], v1
	s_waitcnt lgkmcnt(0)
	v_cmp_neq_f64_e32 vcc_lo, 0, v[146:147]
	s_and_b32 exec_lo, exec_lo, vcc_lo
	s_cbranch_execz .LBB67_19
; %bb.18:
	v_div_scale_f64 v[148:149], null, v[146:147], v[146:147], 1.0
	v_rcp_f64_e32 v[150:151], v[148:149]
	v_fma_f64 v[152:153], -v[148:149], v[150:151], 1.0
	v_fma_f64 v[150:151], v[150:151], v[152:153], v[150:151]
	v_fma_f64 v[152:153], -v[148:149], v[150:151], 1.0
	v_fma_f64 v[150:151], v[150:151], v[152:153], v[150:151]
	v_div_scale_f64 v[152:153], vcc_lo, 1.0, v[146:147], 1.0
	v_mul_f64 v[154:155], v[152:153], v[150:151]
	v_fma_f64 v[148:149], -v[148:149], v[154:155], v[152:153]
	v_div_fmas_f64 v[148:149], v[148:149], v[150:151], v[154:155]
	v_div_fixup_f64 v[146:147], v[148:149], v[146:147], 1.0
	ds_write_b64 v1, v[146:147]
.LBB67_19:
	s_or_b32 exec_lo, exec_lo, s1
	s_waitcnt lgkmcnt(0)
	s_barrier
	buffer_gl0_inv
	ds_read_b64 v[146:147], v1
	s_mov_b32 s1, exec_lo
	v_cmpx_lt_u32_e32 3, v0
	s_cbranch_execz .LBB67_21
; %bb.20:
	s_waitcnt lgkmcnt(0)
	v_mul_f64 v[134:135], v[146:147], v[134:135]
	ds_read2_b64 v[148:151], v206 offset0:4 offset1:5
	ds_read2_b64 v[152:155], v206 offset0:6 offset1:7
	;; [unrolled: 1-line block ×14, first 2 shown]
	s_waitcnt lgkmcnt(13)
	v_fma_f64 v[124:125], -v[134:135], v[148:149], v[124:125]
	v_fma_f64 v[108:109], -v[134:135], v[150:151], v[108:109]
	ds_read2_b64 v[148:151], v206 offset0:32 offset1:33
	s_waitcnt lgkmcnt(13)
	v_fma_f64 v[122:123], -v[134:135], v[152:153], v[122:123]
	v_fma_f64 v[106:107], -v[134:135], v[154:155], v[106:107]
	s_waitcnt lgkmcnt(12)
	v_fma_f64 v[120:121], -v[134:135], v[156:157], v[120:121]
	v_fma_f64 v[104:105], -v[134:135], v[158:159], v[104:105]
	;; [unrolled: 3-line block ×14, first 2 shown]
.LBB67_21:
	s_or_b32 exec_lo, exec_lo, s1
	s_mov_b32 s1, exec_lo
	s_waitcnt lgkmcnt(0)
	s_barrier
	buffer_gl0_inv
	v_cmpx_eq_u32_e32 4, v0
	s_cbranch_execz .LBB67_24
; %bb.22:
	ds_write_b64 v1, v[124:125]
	ds_write2_b64 v206, v[108:109], v[122:123] offset0:5 offset1:6
	ds_write2_b64 v206, v[106:107], v[120:121] offset0:7 offset1:8
	;; [unrolled: 1-line block ×14, first 2 shown]
	ds_write_b64 v206, v[130:131] offset:264
	ds_read_b64 v[148:149], v1
	s_waitcnt lgkmcnt(0)
	v_cmp_neq_f64_e32 vcc_lo, 0, v[148:149]
	s_and_b32 exec_lo, exec_lo, vcc_lo
	s_cbranch_execz .LBB67_24
; %bb.23:
	v_div_scale_f64 v[150:151], null, v[148:149], v[148:149], 1.0
	v_rcp_f64_e32 v[152:153], v[150:151]
	v_fma_f64 v[154:155], -v[150:151], v[152:153], 1.0
	v_fma_f64 v[152:153], v[152:153], v[154:155], v[152:153]
	v_fma_f64 v[154:155], -v[150:151], v[152:153], 1.0
	v_fma_f64 v[152:153], v[152:153], v[154:155], v[152:153]
	v_div_scale_f64 v[154:155], vcc_lo, 1.0, v[148:149], 1.0
	v_mul_f64 v[156:157], v[154:155], v[152:153]
	v_fma_f64 v[150:151], -v[150:151], v[156:157], v[154:155]
	v_div_fmas_f64 v[150:151], v[150:151], v[152:153], v[156:157]
	v_div_fixup_f64 v[148:149], v[150:151], v[148:149], 1.0
	ds_write_b64 v1, v[148:149]
.LBB67_24:
	s_or_b32 exec_lo, exec_lo, s1
	s_waitcnt lgkmcnt(0)
	s_barrier
	buffer_gl0_inv
	ds_read_b64 v[148:149], v1
	s_mov_b32 s1, exec_lo
	v_cmpx_lt_u32_e32 4, v0
	s_cbranch_execz .LBB67_26
; %bb.25:
	s_waitcnt lgkmcnt(0)
	v_mul_f64 v[124:125], v[148:149], v[124:125]
	ds_read2_b64 v[150:153], v206 offset0:5 offset1:6
	ds_read2_b64 v[154:157], v206 offset0:7 offset1:8
	;; [unrolled: 1-line block ×14, first 2 shown]
	s_waitcnt lgkmcnt(13)
	v_fma_f64 v[108:109], -v[124:125], v[150:151], v[108:109]
	ds_read_b64 v[150:151], v206 offset:264
	v_fma_f64 v[122:123], -v[124:125], v[152:153], v[122:123]
	s_waitcnt lgkmcnt(13)
	v_fma_f64 v[106:107], -v[124:125], v[154:155], v[106:107]
	v_fma_f64 v[120:121], -v[124:125], v[156:157], v[120:121]
	s_waitcnt lgkmcnt(12)
	v_fma_f64 v[104:105], -v[124:125], v[158:159], v[104:105]
	;; [unrolled: 3-line block ×14, first 2 shown]
.LBB67_26:
	s_or_b32 exec_lo, exec_lo, s1
	s_mov_b32 s1, exec_lo
	s_waitcnt lgkmcnt(0)
	s_barrier
	buffer_gl0_inv
	v_cmpx_eq_u32_e32 5, v0
	s_cbranch_execz .LBB67_29
; %bb.27:
	v_mov_b32_e32 v150, v122
	v_mov_b32_e32 v151, v123
	;; [unrolled: 1-line block ×16, first 2 shown]
	ds_write_b64 v1, v[108:109]
	ds_write2_b64 v206, v[150:151], v[152:153] offset0:6 offset1:7
	ds_write2_b64 v206, v[154:155], v[156:157] offset0:8 offset1:9
	;; [unrolled: 1-line block ×4, first 2 shown]
	v_mov_b32_e32 v150, v114
	v_mov_b32_e32 v151, v115
	;; [unrolled: 1-line block ×20, first 2 shown]
	ds_write2_b64 v206, v[150:151], v[152:153] offset0:14 offset1:15
	ds_write2_b64 v206, v[154:155], v[156:157] offset0:16 offset1:17
	;; [unrolled: 1-line block ×5, first 2 shown]
	v_mov_b32_e32 v150, v90
	v_mov_b32_e32 v151, v91
	;; [unrolled: 1-line block ×18, first 2 shown]
	ds_write2_b64 v206, v[150:151], v[152:153] offset0:24 offset1:25
	ds_write2_b64 v206, v[154:155], v[156:157] offset0:26 offset1:27
	;; [unrolled: 1-line block ×5, first 2 shown]
	ds_read_b64 v[150:151], v1
	s_waitcnt lgkmcnt(0)
	v_cmp_neq_f64_e32 vcc_lo, 0, v[150:151]
	s_and_b32 exec_lo, exec_lo, vcc_lo
	s_cbranch_execz .LBB67_29
; %bb.28:
	v_div_scale_f64 v[152:153], null, v[150:151], v[150:151], 1.0
	v_rcp_f64_e32 v[154:155], v[152:153]
	v_fma_f64 v[156:157], -v[152:153], v[154:155], 1.0
	v_fma_f64 v[154:155], v[154:155], v[156:157], v[154:155]
	v_fma_f64 v[156:157], -v[152:153], v[154:155], 1.0
	v_fma_f64 v[154:155], v[154:155], v[156:157], v[154:155]
	v_div_scale_f64 v[156:157], vcc_lo, 1.0, v[150:151], 1.0
	v_mul_f64 v[158:159], v[156:157], v[154:155]
	v_fma_f64 v[152:153], -v[152:153], v[158:159], v[156:157]
	v_div_fmas_f64 v[152:153], v[152:153], v[154:155], v[158:159]
	v_div_fixup_f64 v[150:151], v[152:153], v[150:151], 1.0
	ds_write_b64 v1, v[150:151]
.LBB67_29:
	s_or_b32 exec_lo, exec_lo, s1
	s_waitcnt lgkmcnt(0)
	s_barrier
	buffer_gl0_inv
	ds_read_b64 v[150:151], v1
	s_mov_b32 s1, exec_lo
	v_cmpx_lt_u32_e32 5, v0
	s_cbranch_execz .LBB67_31
; %bb.30:
	s_waitcnt lgkmcnt(0)
	v_mul_f64 v[108:109], v[150:151], v[108:109]
	ds_read2_b64 v[152:155], v206 offset0:6 offset1:7
	ds_read2_b64 v[156:159], v206 offset0:8 offset1:9
	ds_read2_b64 v[160:163], v206 offset0:10 offset1:11
	ds_read2_b64 v[164:167], v206 offset0:12 offset1:13
	ds_read2_b64 v[168:171], v206 offset0:14 offset1:15
	ds_read2_b64 v[172:175], v206 offset0:16 offset1:17
	ds_read2_b64 v[176:179], v206 offset0:18 offset1:19
	ds_read2_b64 v[180:183], v206 offset0:20 offset1:21
	ds_read2_b64 v[184:187], v206 offset0:22 offset1:23
	ds_read2_b64 v[188:191], v206 offset0:24 offset1:25
	ds_read2_b64 v[192:195], v206 offset0:26 offset1:27
	ds_read2_b64 v[196:199], v206 offset0:28 offset1:29
	ds_read2_b64 v[200:203], v206 offset0:30 offset1:31
	ds_read2_b64 v[207:210], v206 offset0:32 offset1:33
	s_waitcnt lgkmcnt(13)
	v_fma_f64 v[122:123], -v[108:109], v[152:153], v[122:123]
	v_fma_f64 v[106:107], -v[108:109], v[154:155], v[106:107]
	s_waitcnt lgkmcnt(12)
	v_fma_f64 v[120:121], -v[108:109], v[156:157], v[120:121]
	v_fma_f64 v[104:105], -v[108:109], v[158:159], v[104:105]
	;; [unrolled: 3-line block ×14, first 2 shown]
.LBB67_31:
	s_or_b32 exec_lo, exec_lo, s1
	s_mov_b32 s1, exec_lo
	s_waitcnt lgkmcnt(0)
	s_barrier
	buffer_gl0_inv
	v_cmpx_eq_u32_e32 6, v0
	s_cbranch_execz .LBB67_34
; %bb.32:
	ds_write_b64 v1, v[122:123]
	ds_write2_b64 v206, v[106:107], v[120:121] offset0:7 offset1:8
	ds_write2_b64 v206, v[104:105], v[118:119] offset0:9 offset1:10
	;; [unrolled: 1-line block ×13, first 2 shown]
	ds_write_b64 v206, v[130:131] offset:264
	ds_read_b64 v[152:153], v1
	s_waitcnt lgkmcnt(0)
	v_cmp_neq_f64_e32 vcc_lo, 0, v[152:153]
	s_and_b32 exec_lo, exec_lo, vcc_lo
	s_cbranch_execz .LBB67_34
; %bb.33:
	v_div_scale_f64 v[154:155], null, v[152:153], v[152:153], 1.0
	v_rcp_f64_e32 v[156:157], v[154:155]
	v_fma_f64 v[158:159], -v[154:155], v[156:157], 1.0
	v_fma_f64 v[156:157], v[156:157], v[158:159], v[156:157]
	v_fma_f64 v[158:159], -v[154:155], v[156:157], 1.0
	v_fma_f64 v[156:157], v[156:157], v[158:159], v[156:157]
	v_div_scale_f64 v[158:159], vcc_lo, 1.0, v[152:153], 1.0
	v_mul_f64 v[160:161], v[158:159], v[156:157]
	v_fma_f64 v[154:155], -v[154:155], v[160:161], v[158:159]
	v_div_fmas_f64 v[154:155], v[154:155], v[156:157], v[160:161]
	v_div_fixup_f64 v[152:153], v[154:155], v[152:153], 1.0
	ds_write_b64 v1, v[152:153]
.LBB67_34:
	s_or_b32 exec_lo, exec_lo, s1
	s_waitcnt lgkmcnt(0)
	s_barrier
	buffer_gl0_inv
	ds_read_b64 v[152:153], v1
	s_mov_b32 s1, exec_lo
	v_cmpx_lt_u32_e32 6, v0
	s_cbranch_execz .LBB67_36
; %bb.35:
	s_waitcnt lgkmcnt(0)
	v_mul_f64 v[122:123], v[152:153], v[122:123]
	ds_read2_b64 v[154:157], v206 offset0:7 offset1:8
	ds_read2_b64 v[158:161], v206 offset0:9 offset1:10
	;; [unrolled: 1-line block ×13, first 2 shown]
	ds_read_b64 v[207:208], v206 offset:264
	s_waitcnt lgkmcnt(13)
	v_fma_f64 v[106:107], -v[122:123], v[154:155], v[106:107]
	v_fma_f64 v[120:121], -v[122:123], v[156:157], v[120:121]
	s_waitcnt lgkmcnt(12)
	v_fma_f64 v[104:105], -v[122:123], v[158:159], v[104:105]
	v_fma_f64 v[118:119], -v[122:123], v[160:161], v[118:119]
	;; [unrolled: 3-line block ×13, first 2 shown]
	s_waitcnt lgkmcnt(0)
	v_fma_f64 v[130:131], -v[122:123], v[207:208], v[130:131]
.LBB67_36:
	s_or_b32 exec_lo, exec_lo, s1
	s_mov_b32 s1, exec_lo
	s_waitcnt lgkmcnt(0)
	s_barrier
	buffer_gl0_inv
	v_cmpx_eq_u32_e32 7, v0
	s_cbranch_execz .LBB67_39
; %bb.37:
	v_mov_b32_e32 v154, v120
	v_mov_b32_e32 v155, v121
	;; [unrolled: 1-line block ×12, first 2 shown]
	ds_write_b64 v1, v[106:107]
	ds_write2_b64 v206, v[154:155], v[156:157] offset0:8 offset1:9
	ds_write2_b64 v206, v[158:159], v[160:161] offset0:10 offset1:11
	;; [unrolled: 1-line block ×3, first 2 shown]
	v_mov_b32_e32 v154, v114
	v_mov_b32_e32 v155, v115
	;; [unrolled: 1-line block ×20, first 2 shown]
	ds_write2_b64 v206, v[154:155], v[156:157] offset0:14 offset1:15
	ds_write2_b64 v206, v[158:159], v[160:161] offset0:16 offset1:17
	;; [unrolled: 1-line block ×5, first 2 shown]
	v_mov_b32_e32 v154, v90
	v_mov_b32_e32 v155, v91
	;; [unrolled: 1-line block ×18, first 2 shown]
	ds_write2_b64 v206, v[154:155], v[156:157] offset0:24 offset1:25
	ds_write2_b64 v206, v[158:159], v[160:161] offset0:26 offset1:27
	;; [unrolled: 1-line block ×5, first 2 shown]
	ds_read_b64 v[154:155], v1
	s_waitcnt lgkmcnt(0)
	v_cmp_neq_f64_e32 vcc_lo, 0, v[154:155]
	s_and_b32 exec_lo, exec_lo, vcc_lo
	s_cbranch_execz .LBB67_39
; %bb.38:
	v_div_scale_f64 v[156:157], null, v[154:155], v[154:155], 1.0
	v_rcp_f64_e32 v[158:159], v[156:157]
	v_fma_f64 v[160:161], -v[156:157], v[158:159], 1.0
	v_fma_f64 v[158:159], v[158:159], v[160:161], v[158:159]
	v_fma_f64 v[160:161], -v[156:157], v[158:159], 1.0
	v_fma_f64 v[158:159], v[158:159], v[160:161], v[158:159]
	v_div_scale_f64 v[160:161], vcc_lo, 1.0, v[154:155], 1.0
	v_mul_f64 v[162:163], v[160:161], v[158:159]
	v_fma_f64 v[156:157], -v[156:157], v[162:163], v[160:161]
	v_div_fmas_f64 v[156:157], v[156:157], v[158:159], v[162:163]
	v_div_fixup_f64 v[154:155], v[156:157], v[154:155], 1.0
	ds_write_b64 v1, v[154:155]
.LBB67_39:
	s_or_b32 exec_lo, exec_lo, s1
	s_waitcnt lgkmcnt(0)
	s_barrier
	buffer_gl0_inv
	ds_read_b64 v[154:155], v1
	s_mov_b32 s1, exec_lo
	v_cmpx_lt_u32_e32 7, v0
	s_cbranch_execz .LBB67_41
; %bb.40:
	s_waitcnt lgkmcnt(0)
	v_mul_f64 v[106:107], v[154:155], v[106:107]
	ds_read2_b64 v[156:159], v206 offset0:8 offset1:9
	ds_read2_b64 v[160:163], v206 offset0:10 offset1:11
	;; [unrolled: 1-line block ×13, first 2 shown]
	s_waitcnt lgkmcnt(12)
	v_fma_f64 v[120:121], -v[106:107], v[156:157], v[120:121]
	v_fma_f64 v[104:105], -v[106:107], v[158:159], v[104:105]
	s_waitcnt lgkmcnt(11)
	v_fma_f64 v[118:119], -v[106:107], v[160:161], v[118:119]
	v_fma_f64 v[102:103], -v[106:107], v[162:163], v[102:103]
	;; [unrolled: 3-line block ×13, first 2 shown]
.LBB67_41:
	s_or_b32 exec_lo, exec_lo, s1
	s_mov_b32 s1, exec_lo
	s_waitcnt lgkmcnt(0)
	s_barrier
	buffer_gl0_inv
	v_cmpx_eq_u32_e32 8, v0
	s_cbranch_execz .LBB67_44
; %bb.42:
	ds_write_b64 v1, v[120:121]
	ds_write2_b64 v206, v[104:105], v[118:119] offset0:9 offset1:10
	ds_write2_b64 v206, v[102:103], v[116:117] offset0:11 offset1:12
	ds_write2_b64 v206, v[100:101], v[114:115] offset0:13 offset1:14
	ds_write2_b64 v206, v[98:99], v[112:113] offset0:15 offset1:16
	ds_write2_b64 v206, v[96:97], v[110:111] offset0:17 offset1:18
	ds_write2_b64 v206, v[82:83], v[94:95] offset0:19 offset1:20
	ds_write2_b64 v206, v[80:81], v[92:93] offset0:21 offset1:22
	ds_write2_b64 v206, v[78:79], v[90:91] offset0:23 offset1:24
	ds_write2_b64 v206, v[76:77], v[88:89] offset0:25 offset1:26
	ds_write2_b64 v206, v[74:75], v[86:87] offset0:27 offset1:28
	ds_write2_b64 v206, v[72:73], v[84:85] offset0:29 offset1:30
	ds_write2_b64 v206, v[70:71], v[128:129] offset0:31 offset1:32
	ds_write_b64 v206, v[130:131] offset:264
	ds_read_b64 v[156:157], v1
	s_waitcnt lgkmcnt(0)
	v_cmp_neq_f64_e32 vcc_lo, 0, v[156:157]
	s_and_b32 exec_lo, exec_lo, vcc_lo
	s_cbranch_execz .LBB67_44
; %bb.43:
	v_div_scale_f64 v[158:159], null, v[156:157], v[156:157], 1.0
	v_rcp_f64_e32 v[160:161], v[158:159]
	v_fma_f64 v[162:163], -v[158:159], v[160:161], 1.0
	v_fma_f64 v[160:161], v[160:161], v[162:163], v[160:161]
	v_fma_f64 v[162:163], -v[158:159], v[160:161], 1.0
	v_fma_f64 v[160:161], v[160:161], v[162:163], v[160:161]
	v_div_scale_f64 v[162:163], vcc_lo, 1.0, v[156:157], 1.0
	v_mul_f64 v[164:165], v[162:163], v[160:161]
	v_fma_f64 v[158:159], -v[158:159], v[164:165], v[162:163]
	v_div_fmas_f64 v[158:159], v[158:159], v[160:161], v[164:165]
	v_div_fixup_f64 v[156:157], v[158:159], v[156:157], 1.0
	ds_write_b64 v1, v[156:157]
.LBB67_44:
	s_or_b32 exec_lo, exec_lo, s1
	s_waitcnt lgkmcnt(0)
	s_barrier
	buffer_gl0_inv
	ds_read_b64 v[156:157], v1
	s_mov_b32 s1, exec_lo
	v_cmpx_lt_u32_e32 8, v0
	s_cbranch_execz .LBB67_46
; %bb.45:
	s_waitcnt lgkmcnt(0)
	v_mul_f64 v[120:121], v[156:157], v[120:121]
	ds_read2_b64 v[158:161], v206 offset0:9 offset1:10
	ds_read2_b64 v[162:165], v206 offset0:11 offset1:12
	;; [unrolled: 1-line block ×12, first 2 shown]
	ds_read_b64 v[207:208], v206 offset:264
	s_waitcnt lgkmcnt(12)
	v_fma_f64 v[104:105], -v[120:121], v[158:159], v[104:105]
	v_fma_f64 v[118:119], -v[120:121], v[160:161], v[118:119]
	s_waitcnt lgkmcnt(11)
	v_fma_f64 v[102:103], -v[120:121], v[162:163], v[102:103]
	v_fma_f64 v[116:117], -v[120:121], v[164:165], v[116:117]
	;; [unrolled: 3-line block ×12, first 2 shown]
	s_waitcnt lgkmcnt(0)
	v_fma_f64 v[130:131], -v[120:121], v[207:208], v[130:131]
.LBB67_46:
	s_or_b32 exec_lo, exec_lo, s1
	s_mov_b32 s1, exec_lo
	s_waitcnt lgkmcnt(0)
	s_barrier
	buffer_gl0_inv
	v_cmpx_eq_u32_e32 9, v0
	s_cbranch_execz .LBB67_49
; %bb.47:
	v_mov_b32_e32 v158, v118
	v_mov_b32_e32 v159, v119
	;; [unrolled: 1-line block ×8, first 2 shown]
	ds_write_b64 v1, v[104:105]
	ds_write2_b64 v206, v[158:159], v[160:161] offset0:10 offset1:11
	ds_write2_b64 v206, v[162:163], v[164:165] offset0:12 offset1:13
	v_mov_b32_e32 v158, v114
	v_mov_b32_e32 v159, v115
	;; [unrolled: 1-line block ×20, first 2 shown]
	ds_write2_b64 v206, v[158:159], v[160:161] offset0:14 offset1:15
	ds_write2_b64 v206, v[162:163], v[164:165] offset0:16 offset1:17
	ds_write2_b64 v206, v[166:167], v[168:169] offset0:18 offset1:19
	ds_write2_b64 v206, v[170:171], v[172:173] offset0:20 offset1:21
	ds_write2_b64 v206, v[174:175], v[176:177] offset0:22 offset1:23
	v_mov_b32_e32 v158, v90
	v_mov_b32_e32 v159, v91
	;; [unrolled: 1-line block ×18, first 2 shown]
	ds_write2_b64 v206, v[158:159], v[160:161] offset0:24 offset1:25
	ds_write2_b64 v206, v[162:163], v[164:165] offset0:26 offset1:27
	;; [unrolled: 1-line block ×5, first 2 shown]
	ds_read_b64 v[158:159], v1
	s_waitcnt lgkmcnt(0)
	v_cmp_neq_f64_e32 vcc_lo, 0, v[158:159]
	s_and_b32 exec_lo, exec_lo, vcc_lo
	s_cbranch_execz .LBB67_49
; %bb.48:
	v_div_scale_f64 v[160:161], null, v[158:159], v[158:159], 1.0
	v_rcp_f64_e32 v[162:163], v[160:161]
	v_fma_f64 v[164:165], -v[160:161], v[162:163], 1.0
	v_fma_f64 v[162:163], v[162:163], v[164:165], v[162:163]
	v_fma_f64 v[164:165], -v[160:161], v[162:163], 1.0
	v_fma_f64 v[162:163], v[162:163], v[164:165], v[162:163]
	v_div_scale_f64 v[164:165], vcc_lo, 1.0, v[158:159], 1.0
	v_mul_f64 v[166:167], v[164:165], v[162:163]
	v_fma_f64 v[160:161], -v[160:161], v[166:167], v[164:165]
	v_div_fmas_f64 v[160:161], v[160:161], v[162:163], v[166:167]
	v_div_fixup_f64 v[158:159], v[160:161], v[158:159], 1.0
	ds_write_b64 v1, v[158:159]
.LBB67_49:
	s_or_b32 exec_lo, exec_lo, s1
	s_waitcnt lgkmcnt(0)
	s_barrier
	buffer_gl0_inv
	ds_read_b64 v[158:159], v1
	s_mov_b32 s1, exec_lo
	v_cmpx_lt_u32_e32 9, v0
	s_cbranch_execz .LBB67_51
; %bb.50:
	s_waitcnt lgkmcnt(0)
	v_mul_f64 v[104:105], v[158:159], v[104:105]
	ds_read2_b64 v[160:163], v206 offset0:10 offset1:11
	ds_read2_b64 v[164:167], v206 offset0:12 offset1:13
	;; [unrolled: 1-line block ×12, first 2 shown]
	s_waitcnt lgkmcnt(11)
	v_fma_f64 v[118:119], -v[104:105], v[160:161], v[118:119]
	v_fma_f64 v[102:103], -v[104:105], v[162:163], v[102:103]
	s_waitcnt lgkmcnt(10)
	v_fma_f64 v[116:117], -v[104:105], v[164:165], v[116:117]
	v_fma_f64 v[100:101], -v[104:105], v[166:167], v[100:101]
	s_waitcnt lgkmcnt(9)
	v_fma_f64 v[114:115], -v[104:105], v[168:169], v[114:115]
	v_fma_f64 v[98:99], -v[104:105], v[170:171], v[98:99]
	s_waitcnt lgkmcnt(8)
	v_fma_f64 v[112:113], -v[104:105], v[172:173], v[112:113]
	v_fma_f64 v[96:97], -v[104:105], v[174:175], v[96:97]
	s_waitcnt lgkmcnt(7)
	v_fma_f64 v[110:111], -v[104:105], v[176:177], v[110:111]
	v_fma_f64 v[82:83], -v[104:105], v[178:179], v[82:83]
	s_waitcnt lgkmcnt(6)
	v_fma_f64 v[94:95], -v[104:105], v[180:181], v[94:95]
	v_fma_f64 v[80:81], -v[104:105], v[182:183], v[80:81]
	s_waitcnt lgkmcnt(5)
	v_fma_f64 v[92:93], -v[104:105], v[184:185], v[92:93]
	v_fma_f64 v[78:79], -v[104:105], v[186:187], v[78:79]
	s_waitcnt lgkmcnt(4)
	v_fma_f64 v[90:91], -v[104:105], v[188:189], v[90:91]
	v_fma_f64 v[76:77], -v[104:105], v[190:191], v[76:77]
	s_waitcnt lgkmcnt(3)
	v_fma_f64 v[88:89], -v[104:105], v[192:193], v[88:89]
	v_fma_f64 v[74:75], -v[104:105], v[194:195], v[74:75]
	s_waitcnt lgkmcnt(2)
	v_fma_f64 v[86:87], -v[104:105], v[196:197], v[86:87]
	v_fma_f64 v[72:73], -v[104:105], v[198:199], v[72:73]
	s_waitcnt lgkmcnt(1)
	v_fma_f64 v[84:85], -v[104:105], v[200:201], v[84:85]
	v_fma_f64 v[70:71], -v[104:105], v[202:203], v[70:71]
	s_waitcnt lgkmcnt(0)
	v_fma_f64 v[128:129], -v[104:105], v[207:208], v[128:129]
	v_fma_f64 v[130:131], -v[104:105], v[209:210], v[130:131]
.LBB67_51:
	s_or_b32 exec_lo, exec_lo, s1
	s_mov_b32 s1, exec_lo
	s_waitcnt lgkmcnt(0)
	s_barrier
	buffer_gl0_inv
	v_cmpx_eq_u32_e32 10, v0
	s_cbranch_execz .LBB67_54
; %bb.52:
	ds_write_b64 v1, v[118:119]
	ds_write2_b64 v206, v[102:103], v[116:117] offset0:11 offset1:12
	ds_write2_b64 v206, v[100:101], v[114:115] offset0:13 offset1:14
	;; [unrolled: 1-line block ×11, first 2 shown]
	ds_write_b64 v206, v[130:131] offset:264
	ds_read_b64 v[160:161], v1
	s_waitcnt lgkmcnt(0)
	v_cmp_neq_f64_e32 vcc_lo, 0, v[160:161]
	s_and_b32 exec_lo, exec_lo, vcc_lo
	s_cbranch_execz .LBB67_54
; %bb.53:
	v_div_scale_f64 v[162:163], null, v[160:161], v[160:161], 1.0
	v_rcp_f64_e32 v[164:165], v[162:163]
	v_fma_f64 v[166:167], -v[162:163], v[164:165], 1.0
	v_fma_f64 v[164:165], v[164:165], v[166:167], v[164:165]
	v_fma_f64 v[166:167], -v[162:163], v[164:165], 1.0
	v_fma_f64 v[164:165], v[164:165], v[166:167], v[164:165]
	v_div_scale_f64 v[166:167], vcc_lo, 1.0, v[160:161], 1.0
	v_mul_f64 v[168:169], v[166:167], v[164:165]
	v_fma_f64 v[162:163], -v[162:163], v[168:169], v[166:167]
	v_div_fmas_f64 v[162:163], v[162:163], v[164:165], v[168:169]
	v_div_fixup_f64 v[160:161], v[162:163], v[160:161], 1.0
	ds_write_b64 v1, v[160:161]
.LBB67_54:
	s_or_b32 exec_lo, exec_lo, s1
	s_waitcnt lgkmcnt(0)
	s_barrier
	buffer_gl0_inv
	ds_read_b64 v[160:161], v1
	s_mov_b32 s1, exec_lo
	v_cmpx_lt_u32_e32 10, v0
	s_cbranch_execz .LBB67_56
; %bb.55:
	s_waitcnt lgkmcnt(0)
	v_mul_f64 v[118:119], v[160:161], v[118:119]
	ds_read2_b64 v[162:165], v206 offset0:11 offset1:12
	ds_read2_b64 v[166:169], v206 offset0:13 offset1:14
	;; [unrolled: 1-line block ×11, first 2 shown]
	ds_read_b64 v[207:208], v206 offset:264
	s_waitcnt lgkmcnt(11)
	v_fma_f64 v[102:103], -v[118:119], v[162:163], v[102:103]
	v_fma_f64 v[116:117], -v[118:119], v[164:165], v[116:117]
	s_waitcnt lgkmcnt(10)
	v_fma_f64 v[100:101], -v[118:119], v[166:167], v[100:101]
	v_fma_f64 v[114:115], -v[118:119], v[168:169], v[114:115]
	;; [unrolled: 3-line block ×11, first 2 shown]
	s_waitcnt lgkmcnt(0)
	v_fma_f64 v[130:131], -v[118:119], v[207:208], v[130:131]
.LBB67_56:
	s_or_b32 exec_lo, exec_lo, s1
	s_mov_b32 s1, exec_lo
	s_waitcnt lgkmcnt(0)
	s_barrier
	buffer_gl0_inv
	v_cmpx_eq_u32_e32 11, v0
	s_cbranch_execz .LBB67_59
; %bb.57:
	v_mov_b32_e32 v162, v116
	v_mov_b32_e32 v163, v117
	;; [unrolled: 1-line block ×4, first 2 shown]
	ds_write_b64 v1, v[102:103]
	ds_write2_b64 v206, v[162:163], v[164:165] offset0:12 offset1:13
	v_mov_b32_e32 v162, v114
	v_mov_b32_e32 v163, v115
	;; [unrolled: 1-line block ×20, first 2 shown]
	ds_write2_b64 v206, v[162:163], v[164:165] offset0:14 offset1:15
	ds_write2_b64 v206, v[166:167], v[168:169] offset0:16 offset1:17
	;; [unrolled: 1-line block ×5, first 2 shown]
	v_mov_b32_e32 v162, v90
	v_mov_b32_e32 v163, v91
	;; [unrolled: 1-line block ×18, first 2 shown]
	ds_write2_b64 v206, v[162:163], v[164:165] offset0:24 offset1:25
	ds_write2_b64 v206, v[166:167], v[168:169] offset0:26 offset1:27
	;; [unrolled: 1-line block ×5, first 2 shown]
	ds_read_b64 v[162:163], v1
	s_waitcnt lgkmcnt(0)
	v_cmp_neq_f64_e32 vcc_lo, 0, v[162:163]
	s_and_b32 exec_lo, exec_lo, vcc_lo
	s_cbranch_execz .LBB67_59
; %bb.58:
	v_div_scale_f64 v[164:165], null, v[162:163], v[162:163], 1.0
	v_rcp_f64_e32 v[166:167], v[164:165]
	v_fma_f64 v[168:169], -v[164:165], v[166:167], 1.0
	v_fma_f64 v[166:167], v[166:167], v[168:169], v[166:167]
	v_fma_f64 v[168:169], -v[164:165], v[166:167], 1.0
	v_fma_f64 v[166:167], v[166:167], v[168:169], v[166:167]
	v_div_scale_f64 v[168:169], vcc_lo, 1.0, v[162:163], 1.0
	v_mul_f64 v[170:171], v[168:169], v[166:167]
	v_fma_f64 v[164:165], -v[164:165], v[170:171], v[168:169]
	v_div_fmas_f64 v[164:165], v[164:165], v[166:167], v[170:171]
	v_div_fixup_f64 v[162:163], v[164:165], v[162:163], 1.0
	ds_write_b64 v1, v[162:163]
.LBB67_59:
	s_or_b32 exec_lo, exec_lo, s1
	s_waitcnt lgkmcnt(0)
	s_barrier
	buffer_gl0_inv
	ds_read_b64 v[162:163], v1
	s_mov_b32 s1, exec_lo
	v_cmpx_lt_u32_e32 11, v0
	s_cbranch_execz .LBB67_61
; %bb.60:
	s_waitcnt lgkmcnt(0)
	v_mul_f64 v[102:103], v[162:163], v[102:103]
	ds_read2_b64 v[164:167], v206 offset0:12 offset1:13
	ds_read2_b64 v[168:171], v206 offset0:14 offset1:15
	;; [unrolled: 1-line block ×11, first 2 shown]
	s_waitcnt lgkmcnt(10)
	v_fma_f64 v[116:117], -v[102:103], v[164:165], v[116:117]
	v_fma_f64 v[100:101], -v[102:103], v[166:167], v[100:101]
	s_waitcnt lgkmcnt(9)
	v_fma_f64 v[114:115], -v[102:103], v[168:169], v[114:115]
	v_fma_f64 v[98:99], -v[102:103], v[170:171], v[98:99]
	s_waitcnt lgkmcnt(8)
	v_fma_f64 v[112:113], -v[102:103], v[172:173], v[112:113]
	v_fma_f64 v[96:97], -v[102:103], v[174:175], v[96:97]
	s_waitcnt lgkmcnt(7)
	v_fma_f64 v[110:111], -v[102:103], v[176:177], v[110:111]
	v_fma_f64 v[82:83], -v[102:103], v[178:179], v[82:83]
	s_waitcnt lgkmcnt(6)
	v_fma_f64 v[94:95], -v[102:103], v[180:181], v[94:95]
	v_fma_f64 v[80:81], -v[102:103], v[182:183], v[80:81]
	s_waitcnt lgkmcnt(5)
	v_fma_f64 v[92:93], -v[102:103], v[184:185], v[92:93]
	v_fma_f64 v[78:79], -v[102:103], v[186:187], v[78:79]
	s_waitcnt lgkmcnt(4)
	v_fma_f64 v[90:91], -v[102:103], v[188:189], v[90:91]
	v_fma_f64 v[76:77], -v[102:103], v[190:191], v[76:77]
	s_waitcnt lgkmcnt(3)
	v_fma_f64 v[88:89], -v[102:103], v[192:193], v[88:89]
	v_fma_f64 v[74:75], -v[102:103], v[194:195], v[74:75]
	s_waitcnt lgkmcnt(2)
	v_fma_f64 v[86:87], -v[102:103], v[196:197], v[86:87]
	v_fma_f64 v[72:73], -v[102:103], v[198:199], v[72:73]
	s_waitcnt lgkmcnt(1)
	v_fma_f64 v[84:85], -v[102:103], v[200:201], v[84:85]
	v_fma_f64 v[70:71], -v[102:103], v[202:203], v[70:71]
	s_waitcnt lgkmcnt(0)
	v_fma_f64 v[128:129], -v[102:103], v[207:208], v[128:129]
	v_fma_f64 v[130:131], -v[102:103], v[209:210], v[130:131]
.LBB67_61:
	s_or_b32 exec_lo, exec_lo, s1
	s_mov_b32 s1, exec_lo
	s_waitcnt lgkmcnt(0)
	s_barrier
	buffer_gl0_inv
	v_cmpx_eq_u32_e32 12, v0
	s_cbranch_execz .LBB67_64
; %bb.62:
	ds_write_b64 v1, v[116:117]
	ds_write2_b64 v206, v[100:101], v[114:115] offset0:13 offset1:14
	ds_write2_b64 v206, v[98:99], v[112:113] offset0:15 offset1:16
	;; [unrolled: 1-line block ×10, first 2 shown]
	ds_write_b64 v206, v[130:131] offset:264
	ds_read_b64 v[164:165], v1
	s_waitcnt lgkmcnt(0)
	v_cmp_neq_f64_e32 vcc_lo, 0, v[164:165]
	s_and_b32 exec_lo, exec_lo, vcc_lo
	s_cbranch_execz .LBB67_64
; %bb.63:
	v_div_scale_f64 v[166:167], null, v[164:165], v[164:165], 1.0
	v_rcp_f64_e32 v[168:169], v[166:167]
	v_fma_f64 v[170:171], -v[166:167], v[168:169], 1.0
	v_fma_f64 v[168:169], v[168:169], v[170:171], v[168:169]
	v_fma_f64 v[170:171], -v[166:167], v[168:169], 1.0
	v_fma_f64 v[168:169], v[168:169], v[170:171], v[168:169]
	v_div_scale_f64 v[170:171], vcc_lo, 1.0, v[164:165], 1.0
	v_mul_f64 v[172:173], v[170:171], v[168:169]
	v_fma_f64 v[166:167], -v[166:167], v[172:173], v[170:171]
	v_div_fmas_f64 v[166:167], v[166:167], v[168:169], v[172:173]
	v_div_fixup_f64 v[164:165], v[166:167], v[164:165], 1.0
	ds_write_b64 v1, v[164:165]
.LBB67_64:
	s_or_b32 exec_lo, exec_lo, s1
	s_waitcnt lgkmcnt(0)
	s_barrier
	buffer_gl0_inv
	ds_read_b64 v[164:165], v1
	s_mov_b32 s1, exec_lo
	v_cmpx_lt_u32_e32 12, v0
	s_cbranch_execz .LBB67_66
; %bb.65:
	s_waitcnt lgkmcnt(0)
	v_mul_f64 v[116:117], v[164:165], v[116:117]
	ds_read2_b64 v[166:169], v206 offset0:13 offset1:14
	ds_read2_b64 v[170:173], v206 offset0:15 offset1:16
	;; [unrolled: 1-line block ×10, first 2 shown]
	ds_read_b64 v[207:208], v206 offset:264
	s_waitcnt lgkmcnt(10)
	v_fma_f64 v[100:101], -v[116:117], v[166:167], v[100:101]
	v_fma_f64 v[114:115], -v[116:117], v[168:169], v[114:115]
	s_waitcnt lgkmcnt(9)
	v_fma_f64 v[98:99], -v[116:117], v[170:171], v[98:99]
	v_fma_f64 v[112:113], -v[116:117], v[172:173], v[112:113]
	;; [unrolled: 3-line block ×10, first 2 shown]
	s_waitcnt lgkmcnt(0)
	v_fma_f64 v[130:131], -v[116:117], v[207:208], v[130:131]
.LBB67_66:
	s_or_b32 exec_lo, exec_lo, s1
	s_mov_b32 s1, exec_lo
	s_waitcnt lgkmcnt(0)
	s_barrier
	buffer_gl0_inv
	v_cmpx_eq_u32_e32 13, v0
	s_cbranch_execz .LBB67_69
; %bb.67:
	v_mov_b32_e32 v166, v114
	v_mov_b32_e32 v167, v115
	;; [unrolled: 1-line block ×20, first 2 shown]
	ds_write_b64 v1, v[100:101]
	ds_write2_b64 v206, v[166:167], v[168:169] offset0:14 offset1:15
	ds_write2_b64 v206, v[170:171], v[172:173] offset0:16 offset1:17
	ds_write2_b64 v206, v[174:175], v[176:177] offset0:18 offset1:19
	ds_write2_b64 v206, v[178:179], v[180:181] offset0:20 offset1:21
	ds_write2_b64 v206, v[182:183], v[184:185] offset0:22 offset1:23
	v_mov_b32_e32 v166, v90
	v_mov_b32_e32 v167, v91
	;; [unrolled: 1-line block ×18, first 2 shown]
	ds_write2_b64 v206, v[166:167], v[168:169] offset0:24 offset1:25
	ds_write2_b64 v206, v[170:171], v[172:173] offset0:26 offset1:27
	;; [unrolled: 1-line block ×5, first 2 shown]
	ds_read_b64 v[166:167], v1
	s_waitcnt lgkmcnt(0)
	v_cmp_neq_f64_e32 vcc_lo, 0, v[166:167]
	s_and_b32 exec_lo, exec_lo, vcc_lo
	s_cbranch_execz .LBB67_69
; %bb.68:
	v_div_scale_f64 v[168:169], null, v[166:167], v[166:167], 1.0
	v_rcp_f64_e32 v[170:171], v[168:169]
	v_fma_f64 v[172:173], -v[168:169], v[170:171], 1.0
	v_fma_f64 v[170:171], v[170:171], v[172:173], v[170:171]
	v_fma_f64 v[172:173], -v[168:169], v[170:171], 1.0
	v_fma_f64 v[170:171], v[170:171], v[172:173], v[170:171]
	v_div_scale_f64 v[172:173], vcc_lo, 1.0, v[166:167], 1.0
	v_mul_f64 v[174:175], v[172:173], v[170:171]
	v_fma_f64 v[168:169], -v[168:169], v[174:175], v[172:173]
	v_div_fmas_f64 v[168:169], v[168:169], v[170:171], v[174:175]
	v_div_fixup_f64 v[166:167], v[168:169], v[166:167], 1.0
	ds_write_b64 v1, v[166:167]
.LBB67_69:
	s_or_b32 exec_lo, exec_lo, s1
	s_waitcnt lgkmcnt(0)
	s_barrier
	buffer_gl0_inv
	ds_read_b64 v[166:167], v1
	s_mov_b32 s1, exec_lo
	v_cmpx_lt_u32_e32 13, v0
	s_cbranch_execz .LBB67_71
; %bb.70:
	s_waitcnt lgkmcnt(0)
	v_mul_f64 v[100:101], v[166:167], v[100:101]
	ds_read2_b64 v[168:171], v206 offset0:14 offset1:15
	ds_read2_b64 v[172:175], v206 offset0:16 offset1:17
	ds_read2_b64 v[176:179], v206 offset0:18 offset1:19
	ds_read2_b64 v[180:183], v206 offset0:20 offset1:21
	ds_read2_b64 v[184:187], v206 offset0:22 offset1:23
	ds_read2_b64 v[188:191], v206 offset0:24 offset1:25
	ds_read2_b64 v[192:195], v206 offset0:26 offset1:27
	ds_read2_b64 v[196:199], v206 offset0:28 offset1:29
	ds_read2_b64 v[200:203], v206 offset0:30 offset1:31
	ds_read2_b64 v[207:210], v206 offset0:32 offset1:33
	s_waitcnt lgkmcnt(9)
	v_fma_f64 v[114:115], -v[100:101], v[168:169], v[114:115]
	v_fma_f64 v[98:99], -v[100:101], v[170:171], v[98:99]
	s_waitcnt lgkmcnt(8)
	v_fma_f64 v[112:113], -v[100:101], v[172:173], v[112:113]
	v_fma_f64 v[96:97], -v[100:101], v[174:175], v[96:97]
	;; [unrolled: 3-line block ×10, first 2 shown]
.LBB67_71:
	s_or_b32 exec_lo, exec_lo, s1
	s_mov_b32 s1, exec_lo
	s_waitcnt lgkmcnt(0)
	s_barrier
	buffer_gl0_inv
	v_cmpx_eq_u32_e32 14, v0
	s_cbranch_execz .LBB67_74
; %bb.72:
	ds_write_b64 v1, v[114:115]
	ds_write2_b64 v206, v[98:99], v[112:113] offset0:15 offset1:16
	ds_write2_b64 v206, v[96:97], v[110:111] offset0:17 offset1:18
	;; [unrolled: 1-line block ×9, first 2 shown]
	ds_write_b64 v206, v[130:131] offset:264
	ds_read_b64 v[168:169], v1
	s_waitcnt lgkmcnt(0)
	v_cmp_neq_f64_e32 vcc_lo, 0, v[168:169]
	s_and_b32 exec_lo, exec_lo, vcc_lo
	s_cbranch_execz .LBB67_74
; %bb.73:
	v_div_scale_f64 v[170:171], null, v[168:169], v[168:169], 1.0
	v_rcp_f64_e32 v[172:173], v[170:171]
	v_fma_f64 v[174:175], -v[170:171], v[172:173], 1.0
	v_fma_f64 v[172:173], v[172:173], v[174:175], v[172:173]
	v_fma_f64 v[174:175], -v[170:171], v[172:173], 1.0
	v_fma_f64 v[172:173], v[172:173], v[174:175], v[172:173]
	v_div_scale_f64 v[174:175], vcc_lo, 1.0, v[168:169], 1.0
	v_mul_f64 v[176:177], v[174:175], v[172:173]
	v_fma_f64 v[170:171], -v[170:171], v[176:177], v[174:175]
	v_div_fmas_f64 v[170:171], v[170:171], v[172:173], v[176:177]
	v_div_fixup_f64 v[168:169], v[170:171], v[168:169], 1.0
	ds_write_b64 v1, v[168:169]
.LBB67_74:
	s_or_b32 exec_lo, exec_lo, s1
	s_waitcnt lgkmcnt(0)
	s_barrier
	buffer_gl0_inv
	ds_read_b64 v[168:169], v1
	s_mov_b32 s1, exec_lo
	v_cmpx_lt_u32_e32 14, v0
	s_cbranch_execz .LBB67_76
; %bb.75:
	s_waitcnt lgkmcnt(0)
	v_mul_f64 v[114:115], v[168:169], v[114:115]
	ds_read2_b64 v[170:173], v206 offset0:15 offset1:16
	ds_read2_b64 v[174:177], v206 offset0:17 offset1:18
	;; [unrolled: 1-line block ×9, first 2 shown]
	ds_read_b64 v[207:208], v206 offset:264
	s_waitcnt lgkmcnt(9)
	v_fma_f64 v[98:99], -v[114:115], v[170:171], v[98:99]
	v_fma_f64 v[112:113], -v[114:115], v[172:173], v[112:113]
	s_waitcnt lgkmcnt(8)
	v_fma_f64 v[96:97], -v[114:115], v[174:175], v[96:97]
	v_fma_f64 v[110:111], -v[114:115], v[176:177], v[110:111]
	;; [unrolled: 3-line block ×9, first 2 shown]
	s_waitcnt lgkmcnt(0)
	v_fma_f64 v[130:131], -v[114:115], v[207:208], v[130:131]
.LBB67_76:
	s_or_b32 exec_lo, exec_lo, s1
	s_mov_b32 s1, exec_lo
	s_waitcnt lgkmcnt(0)
	s_barrier
	buffer_gl0_inv
	v_cmpx_eq_u32_e32 15, v0
	s_cbranch_execz .LBB67_79
; %bb.77:
	v_mov_b32_e32 v170, v112
	v_mov_b32_e32 v171, v113
	;; [unrolled: 1-line block ×16, first 2 shown]
	ds_write_b64 v1, v[98:99]
	ds_write2_b64 v206, v[170:171], v[172:173] offset0:16 offset1:17
	ds_write2_b64 v206, v[174:175], v[176:177] offset0:18 offset1:19
	;; [unrolled: 1-line block ×4, first 2 shown]
	v_mov_b32_e32 v170, v90
	v_mov_b32_e32 v171, v91
	;; [unrolled: 1-line block ×18, first 2 shown]
	ds_write2_b64 v206, v[170:171], v[172:173] offset0:24 offset1:25
	ds_write2_b64 v206, v[174:175], v[176:177] offset0:26 offset1:27
	ds_write2_b64 v206, v[178:179], v[180:181] offset0:28 offset1:29
	ds_write2_b64 v206, v[182:183], v[184:185] offset0:30 offset1:31
	ds_write2_b64 v206, v[186:187], v[130:131] offset0:32 offset1:33
	ds_read_b64 v[170:171], v1
	s_waitcnt lgkmcnt(0)
	v_cmp_neq_f64_e32 vcc_lo, 0, v[170:171]
	s_and_b32 exec_lo, exec_lo, vcc_lo
	s_cbranch_execz .LBB67_79
; %bb.78:
	v_div_scale_f64 v[172:173], null, v[170:171], v[170:171], 1.0
	v_rcp_f64_e32 v[174:175], v[172:173]
	v_fma_f64 v[176:177], -v[172:173], v[174:175], 1.0
	v_fma_f64 v[174:175], v[174:175], v[176:177], v[174:175]
	v_fma_f64 v[176:177], -v[172:173], v[174:175], 1.0
	v_fma_f64 v[174:175], v[174:175], v[176:177], v[174:175]
	v_div_scale_f64 v[176:177], vcc_lo, 1.0, v[170:171], 1.0
	v_mul_f64 v[178:179], v[176:177], v[174:175]
	v_fma_f64 v[172:173], -v[172:173], v[178:179], v[176:177]
	v_div_fmas_f64 v[172:173], v[172:173], v[174:175], v[178:179]
	v_div_fixup_f64 v[170:171], v[172:173], v[170:171], 1.0
	ds_write_b64 v1, v[170:171]
.LBB67_79:
	s_or_b32 exec_lo, exec_lo, s1
	s_waitcnt lgkmcnt(0)
	s_barrier
	buffer_gl0_inv
	ds_read_b64 v[170:171], v1
	s_mov_b32 s1, exec_lo
	v_cmpx_lt_u32_e32 15, v0
	s_cbranch_execz .LBB67_81
; %bb.80:
	s_waitcnt lgkmcnt(0)
	v_mul_f64 v[98:99], v[170:171], v[98:99]
	ds_read2_b64 v[172:175], v206 offset0:16 offset1:17
	ds_read2_b64 v[176:179], v206 offset0:18 offset1:19
	;; [unrolled: 1-line block ×9, first 2 shown]
	s_waitcnt lgkmcnt(8)
	v_fma_f64 v[112:113], -v[98:99], v[172:173], v[112:113]
	v_fma_f64 v[96:97], -v[98:99], v[174:175], v[96:97]
	s_waitcnt lgkmcnt(7)
	v_fma_f64 v[110:111], -v[98:99], v[176:177], v[110:111]
	v_fma_f64 v[82:83], -v[98:99], v[178:179], v[82:83]
	;; [unrolled: 3-line block ×9, first 2 shown]
.LBB67_81:
	s_or_b32 exec_lo, exec_lo, s1
	s_mov_b32 s1, exec_lo
	s_waitcnt lgkmcnt(0)
	s_barrier
	buffer_gl0_inv
	v_cmpx_eq_u32_e32 16, v0
	s_cbranch_execz .LBB67_84
; %bb.82:
	ds_write_b64 v1, v[112:113]
	ds_write2_b64 v206, v[96:97], v[110:111] offset0:17 offset1:18
	ds_write2_b64 v206, v[82:83], v[94:95] offset0:19 offset1:20
	;; [unrolled: 1-line block ×8, first 2 shown]
	ds_write_b64 v206, v[130:131] offset:264
	ds_read_b64 v[172:173], v1
	s_waitcnt lgkmcnt(0)
	v_cmp_neq_f64_e32 vcc_lo, 0, v[172:173]
	s_and_b32 exec_lo, exec_lo, vcc_lo
	s_cbranch_execz .LBB67_84
; %bb.83:
	v_div_scale_f64 v[174:175], null, v[172:173], v[172:173], 1.0
	v_rcp_f64_e32 v[176:177], v[174:175]
	v_fma_f64 v[178:179], -v[174:175], v[176:177], 1.0
	v_fma_f64 v[176:177], v[176:177], v[178:179], v[176:177]
	v_fma_f64 v[178:179], -v[174:175], v[176:177], 1.0
	v_fma_f64 v[176:177], v[176:177], v[178:179], v[176:177]
	v_div_scale_f64 v[178:179], vcc_lo, 1.0, v[172:173], 1.0
	v_mul_f64 v[180:181], v[178:179], v[176:177]
	v_fma_f64 v[174:175], -v[174:175], v[180:181], v[178:179]
	v_div_fmas_f64 v[174:175], v[174:175], v[176:177], v[180:181]
	v_div_fixup_f64 v[172:173], v[174:175], v[172:173], 1.0
	ds_write_b64 v1, v[172:173]
.LBB67_84:
	s_or_b32 exec_lo, exec_lo, s1
	s_waitcnt lgkmcnt(0)
	s_barrier
	buffer_gl0_inv
	ds_read_b64 v[172:173], v1
	s_mov_b32 s1, exec_lo
	v_cmpx_lt_u32_e32 16, v0
	s_cbranch_execz .LBB67_86
; %bb.85:
	s_waitcnt lgkmcnt(0)
	v_mul_f64 v[112:113], v[172:173], v[112:113]
	ds_read2_b64 v[174:177], v206 offset0:17 offset1:18
	ds_read2_b64 v[178:181], v206 offset0:19 offset1:20
	;; [unrolled: 1-line block ×8, first 2 shown]
	ds_read_b64 v[207:208], v206 offset:264
	s_waitcnt lgkmcnt(8)
	v_fma_f64 v[96:97], -v[112:113], v[174:175], v[96:97]
	v_fma_f64 v[110:111], -v[112:113], v[176:177], v[110:111]
	s_waitcnt lgkmcnt(7)
	v_fma_f64 v[82:83], -v[112:113], v[178:179], v[82:83]
	v_fma_f64 v[94:95], -v[112:113], v[180:181], v[94:95]
	;; [unrolled: 3-line block ×8, first 2 shown]
	s_waitcnt lgkmcnt(0)
	v_fma_f64 v[130:131], -v[112:113], v[207:208], v[130:131]
.LBB67_86:
	s_or_b32 exec_lo, exec_lo, s1
	s_mov_b32 s1, exec_lo
	s_waitcnt lgkmcnt(0)
	s_barrier
	buffer_gl0_inv
	v_cmpx_eq_u32_e32 17, v0
	s_cbranch_execz .LBB67_89
; %bb.87:
	v_mov_b32_e32 v174, v110
	v_mov_b32_e32 v175, v111
	;; [unrolled: 1-line block ×12, first 2 shown]
	ds_write_b64 v1, v[96:97]
	ds_write2_b64 v206, v[174:175], v[176:177] offset0:18 offset1:19
	ds_write2_b64 v206, v[178:179], v[180:181] offset0:20 offset1:21
	;; [unrolled: 1-line block ×3, first 2 shown]
	v_mov_b32_e32 v174, v90
	v_mov_b32_e32 v175, v91
	;; [unrolled: 1-line block ×18, first 2 shown]
	ds_write2_b64 v206, v[174:175], v[176:177] offset0:24 offset1:25
	ds_write2_b64 v206, v[178:179], v[180:181] offset0:26 offset1:27
	;; [unrolled: 1-line block ×5, first 2 shown]
	ds_read_b64 v[174:175], v1
	s_waitcnt lgkmcnt(0)
	v_cmp_neq_f64_e32 vcc_lo, 0, v[174:175]
	s_and_b32 exec_lo, exec_lo, vcc_lo
	s_cbranch_execz .LBB67_89
; %bb.88:
	v_div_scale_f64 v[176:177], null, v[174:175], v[174:175], 1.0
	v_rcp_f64_e32 v[178:179], v[176:177]
	v_fma_f64 v[180:181], -v[176:177], v[178:179], 1.0
	v_fma_f64 v[178:179], v[178:179], v[180:181], v[178:179]
	v_fma_f64 v[180:181], -v[176:177], v[178:179], 1.0
	v_fma_f64 v[178:179], v[178:179], v[180:181], v[178:179]
	v_div_scale_f64 v[180:181], vcc_lo, 1.0, v[174:175], 1.0
	v_mul_f64 v[182:183], v[180:181], v[178:179]
	v_fma_f64 v[176:177], -v[176:177], v[182:183], v[180:181]
	v_div_fmas_f64 v[176:177], v[176:177], v[178:179], v[182:183]
	v_div_fixup_f64 v[174:175], v[176:177], v[174:175], 1.0
	ds_write_b64 v1, v[174:175]
.LBB67_89:
	s_or_b32 exec_lo, exec_lo, s1
	s_waitcnt lgkmcnt(0)
	s_barrier
	buffer_gl0_inv
	ds_read_b64 v[174:175], v1
	s_mov_b32 s1, exec_lo
	v_cmpx_lt_u32_e32 17, v0
	s_cbranch_execz .LBB67_91
; %bb.90:
	s_waitcnt lgkmcnt(0)
	v_mul_f64 v[96:97], v[174:175], v[96:97]
	ds_read2_b64 v[176:179], v206 offset0:18 offset1:19
	ds_read2_b64 v[180:183], v206 offset0:20 offset1:21
	;; [unrolled: 1-line block ×8, first 2 shown]
	s_waitcnt lgkmcnt(7)
	v_fma_f64 v[110:111], -v[96:97], v[176:177], v[110:111]
	v_fma_f64 v[82:83], -v[96:97], v[178:179], v[82:83]
	s_waitcnt lgkmcnt(6)
	v_fma_f64 v[94:95], -v[96:97], v[180:181], v[94:95]
	v_fma_f64 v[80:81], -v[96:97], v[182:183], v[80:81]
	;; [unrolled: 3-line block ×8, first 2 shown]
.LBB67_91:
	s_or_b32 exec_lo, exec_lo, s1
	s_mov_b32 s1, exec_lo
	s_waitcnt lgkmcnt(0)
	s_barrier
	buffer_gl0_inv
	v_cmpx_eq_u32_e32 18, v0
	s_cbranch_execz .LBB67_94
; %bb.92:
	ds_write_b64 v1, v[110:111]
	ds_write2_b64 v206, v[82:83], v[94:95] offset0:19 offset1:20
	ds_write2_b64 v206, v[80:81], v[92:93] offset0:21 offset1:22
	;; [unrolled: 1-line block ×7, first 2 shown]
	ds_write_b64 v206, v[130:131] offset:264
	ds_read_b64 v[176:177], v1
	s_waitcnt lgkmcnt(0)
	v_cmp_neq_f64_e32 vcc_lo, 0, v[176:177]
	s_and_b32 exec_lo, exec_lo, vcc_lo
	s_cbranch_execz .LBB67_94
; %bb.93:
	v_div_scale_f64 v[178:179], null, v[176:177], v[176:177], 1.0
	v_rcp_f64_e32 v[180:181], v[178:179]
	v_fma_f64 v[182:183], -v[178:179], v[180:181], 1.0
	v_fma_f64 v[180:181], v[180:181], v[182:183], v[180:181]
	v_fma_f64 v[182:183], -v[178:179], v[180:181], 1.0
	v_fma_f64 v[180:181], v[180:181], v[182:183], v[180:181]
	v_div_scale_f64 v[182:183], vcc_lo, 1.0, v[176:177], 1.0
	v_mul_f64 v[184:185], v[182:183], v[180:181]
	v_fma_f64 v[178:179], -v[178:179], v[184:185], v[182:183]
	v_div_fmas_f64 v[178:179], v[178:179], v[180:181], v[184:185]
	v_div_fixup_f64 v[176:177], v[178:179], v[176:177], 1.0
	ds_write_b64 v1, v[176:177]
.LBB67_94:
	s_or_b32 exec_lo, exec_lo, s1
	s_waitcnt lgkmcnt(0)
	s_barrier
	buffer_gl0_inv
	ds_read_b64 v[176:177], v1
	s_mov_b32 s1, exec_lo
	v_cmpx_lt_u32_e32 18, v0
	s_cbranch_execz .LBB67_96
; %bb.95:
	s_waitcnt lgkmcnt(0)
	v_mul_f64 v[110:111], v[176:177], v[110:111]
	ds_read2_b64 v[178:181], v206 offset0:19 offset1:20
	ds_read2_b64 v[182:185], v206 offset0:21 offset1:22
	;; [unrolled: 1-line block ×7, first 2 shown]
	ds_read_b64 v[207:208], v206 offset:264
	s_waitcnt lgkmcnt(7)
	v_fma_f64 v[82:83], -v[110:111], v[178:179], v[82:83]
	v_fma_f64 v[94:95], -v[110:111], v[180:181], v[94:95]
	s_waitcnt lgkmcnt(6)
	v_fma_f64 v[80:81], -v[110:111], v[182:183], v[80:81]
	v_fma_f64 v[92:93], -v[110:111], v[184:185], v[92:93]
	;; [unrolled: 3-line block ×7, first 2 shown]
	s_waitcnt lgkmcnt(0)
	v_fma_f64 v[130:131], -v[110:111], v[207:208], v[130:131]
.LBB67_96:
	s_or_b32 exec_lo, exec_lo, s1
	s_mov_b32 s1, exec_lo
	s_waitcnt lgkmcnt(0)
	s_barrier
	buffer_gl0_inv
	v_cmpx_eq_u32_e32 19, v0
	s_cbranch_execz .LBB67_99
; %bb.97:
	v_mov_b32_e32 v178, v94
	v_mov_b32_e32 v179, v95
	;; [unrolled: 1-line block ×8, first 2 shown]
	ds_write_b64 v1, v[82:83]
	ds_write2_b64 v206, v[178:179], v[180:181] offset0:20 offset1:21
	ds_write2_b64 v206, v[182:183], v[184:185] offset0:22 offset1:23
	v_mov_b32_e32 v178, v90
	v_mov_b32_e32 v179, v91
	;; [unrolled: 1-line block ×18, first 2 shown]
	ds_write2_b64 v206, v[178:179], v[180:181] offset0:24 offset1:25
	ds_write2_b64 v206, v[182:183], v[184:185] offset0:26 offset1:27
	;; [unrolled: 1-line block ×5, first 2 shown]
	ds_read_b64 v[178:179], v1
	s_waitcnt lgkmcnt(0)
	v_cmp_neq_f64_e32 vcc_lo, 0, v[178:179]
	s_and_b32 exec_lo, exec_lo, vcc_lo
	s_cbranch_execz .LBB67_99
; %bb.98:
	v_div_scale_f64 v[180:181], null, v[178:179], v[178:179], 1.0
	v_rcp_f64_e32 v[182:183], v[180:181]
	v_fma_f64 v[184:185], -v[180:181], v[182:183], 1.0
	v_fma_f64 v[182:183], v[182:183], v[184:185], v[182:183]
	v_fma_f64 v[184:185], -v[180:181], v[182:183], 1.0
	v_fma_f64 v[182:183], v[182:183], v[184:185], v[182:183]
	v_div_scale_f64 v[184:185], vcc_lo, 1.0, v[178:179], 1.0
	v_mul_f64 v[186:187], v[184:185], v[182:183]
	v_fma_f64 v[180:181], -v[180:181], v[186:187], v[184:185]
	v_div_fmas_f64 v[180:181], v[180:181], v[182:183], v[186:187]
	v_div_fixup_f64 v[178:179], v[180:181], v[178:179], 1.0
	ds_write_b64 v1, v[178:179]
.LBB67_99:
	s_or_b32 exec_lo, exec_lo, s1
	s_waitcnt lgkmcnt(0)
	s_barrier
	buffer_gl0_inv
	ds_read_b64 v[178:179], v1
	s_mov_b32 s1, exec_lo
	v_cmpx_lt_u32_e32 19, v0
	s_cbranch_execz .LBB67_101
; %bb.100:
	s_waitcnt lgkmcnt(0)
	v_mul_f64 v[82:83], v[178:179], v[82:83]
	ds_read2_b64 v[180:183], v206 offset0:20 offset1:21
	ds_read2_b64 v[184:187], v206 offset0:22 offset1:23
	ds_read2_b64 v[188:191], v206 offset0:24 offset1:25
	ds_read2_b64 v[192:195], v206 offset0:26 offset1:27
	ds_read2_b64 v[196:199], v206 offset0:28 offset1:29
	ds_read2_b64 v[200:203], v206 offset0:30 offset1:31
	ds_read2_b64 v[207:210], v206 offset0:32 offset1:33
	s_waitcnt lgkmcnt(6)
	v_fma_f64 v[94:95], -v[82:83], v[180:181], v[94:95]
	v_fma_f64 v[80:81], -v[82:83], v[182:183], v[80:81]
	s_waitcnt lgkmcnt(5)
	v_fma_f64 v[92:93], -v[82:83], v[184:185], v[92:93]
	v_fma_f64 v[78:79], -v[82:83], v[186:187], v[78:79]
	s_waitcnt lgkmcnt(4)
	v_fma_f64 v[90:91], -v[82:83], v[188:189], v[90:91]
	v_fma_f64 v[76:77], -v[82:83], v[190:191], v[76:77]
	s_waitcnt lgkmcnt(3)
	v_fma_f64 v[88:89], -v[82:83], v[192:193], v[88:89]
	v_fma_f64 v[74:75], -v[82:83], v[194:195], v[74:75]
	s_waitcnt lgkmcnt(2)
	v_fma_f64 v[86:87], -v[82:83], v[196:197], v[86:87]
	v_fma_f64 v[72:73], -v[82:83], v[198:199], v[72:73]
	s_waitcnt lgkmcnt(1)
	v_fma_f64 v[84:85], -v[82:83], v[200:201], v[84:85]
	v_fma_f64 v[70:71], -v[82:83], v[202:203], v[70:71]
	s_waitcnt lgkmcnt(0)
	v_fma_f64 v[128:129], -v[82:83], v[207:208], v[128:129]
	v_fma_f64 v[130:131], -v[82:83], v[209:210], v[130:131]
.LBB67_101:
	s_or_b32 exec_lo, exec_lo, s1
	s_mov_b32 s1, exec_lo
	s_waitcnt lgkmcnt(0)
	s_barrier
	buffer_gl0_inv
	v_cmpx_eq_u32_e32 20, v0
	s_cbranch_execz .LBB67_104
; %bb.102:
	ds_write_b64 v1, v[94:95]
	ds_write2_b64 v206, v[80:81], v[92:93] offset0:21 offset1:22
	ds_write2_b64 v206, v[78:79], v[90:91] offset0:23 offset1:24
	;; [unrolled: 1-line block ×6, first 2 shown]
	ds_write_b64 v206, v[130:131] offset:264
	ds_read_b64 v[180:181], v1
	s_waitcnt lgkmcnt(0)
	v_cmp_neq_f64_e32 vcc_lo, 0, v[180:181]
	s_and_b32 exec_lo, exec_lo, vcc_lo
	s_cbranch_execz .LBB67_104
; %bb.103:
	v_div_scale_f64 v[182:183], null, v[180:181], v[180:181], 1.0
	v_rcp_f64_e32 v[184:185], v[182:183]
	v_fma_f64 v[186:187], -v[182:183], v[184:185], 1.0
	v_fma_f64 v[184:185], v[184:185], v[186:187], v[184:185]
	v_fma_f64 v[186:187], -v[182:183], v[184:185], 1.0
	v_fma_f64 v[184:185], v[184:185], v[186:187], v[184:185]
	v_div_scale_f64 v[186:187], vcc_lo, 1.0, v[180:181], 1.0
	v_mul_f64 v[188:189], v[186:187], v[184:185]
	v_fma_f64 v[182:183], -v[182:183], v[188:189], v[186:187]
	v_div_fmas_f64 v[182:183], v[182:183], v[184:185], v[188:189]
	v_div_fixup_f64 v[180:181], v[182:183], v[180:181], 1.0
	ds_write_b64 v1, v[180:181]
.LBB67_104:
	s_or_b32 exec_lo, exec_lo, s1
	s_waitcnt lgkmcnt(0)
	s_barrier
	buffer_gl0_inv
	ds_read_b64 v[180:181], v1
	s_mov_b32 s1, exec_lo
	v_cmpx_lt_u32_e32 20, v0
	s_cbranch_execz .LBB67_106
; %bb.105:
	s_waitcnt lgkmcnt(0)
	v_mul_f64 v[94:95], v[180:181], v[94:95]
	ds_read2_b64 v[182:185], v206 offset0:21 offset1:22
	ds_read2_b64 v[186:189], v206 offset0:23 offset1:24
	;; [unrolled: 1-line block ×6, first 2 shown]
	ds_read_b64 v[207:208], v206 offset:264
	s_waitcnt lgkmcnt(6)
	v_fma_f64 v[80:81], -v[94:95], v[182:183], v[80:81]
	v_fma_f64 v[92:93], -v[94:95], v[184:185], v[92:93]
	s_waitcnt lgkmcnt(5)
	v_fma_f64 v[78:79], -v[94:95], v[186:187], v[78:79]
	v_fma_f64 v[90:91], -v[94:95], v[188:189], v[90:91]
	;; [unrolled: 3-line block ×6, first 2 shown]
	s_waitcnt lgkmcnt(0)
	v_fma_f64 v[130:131], -v[94:95], v[207:208], v[130:131]
.LBB67_106:
	s_or_b32 exec_lo, exec_lo, s1
	s_mov_b32 s1, exec_lo
	s_waitcnt lgkmcnt(0)
	s_barrier
	buffer_gl0_inv
	v_cmpx_eq_u32_e32 21, v0
	s_cbranch_execz .LBB67_109
; %bb.107:
	v_mov_b32_e32 v182, v92
	v_mov_b32_e32 v183, v93
	;; [unrolled: 1-line block ×4, first 2 shown]
	ds_write_b64 v1, v[80:81]
	ds_write2_b64 v206, v[182:183], v[184:185] offset0:22 offset1:23
	v_mov_b32_e32 v182, v90
	v_mov_b32_e32 v183, v91
	;; [unrolled: 1-line block ×18, first 2 shown]
	ds_write2_b64 v206, v[182:183], v[184:185] offset0:24 offset1:25
	ds_write2_b64 v206, v[186:187], v[188:189] offset0:26 offset1:27
	;; [unrolled: 1-line block ×5, first 2 shown]
	ds_read_b64 v[182:183], v1
	s_waitcnt lgkmcnt(0)
	v_cmp_neq_f64_e32 vcc_lo, 0, v[182:183]
	s_and_b32 exec_lo, exec_lo, vcc_lo
	s_cbranch_execz .LBB67_109
; %bb.108:
	v_div_scale_f64 v[184:185], null, v[182:183], v[182:183], 1.0
	v_rcp_f64_e32 v[186:187], v[184:185]
	v_fma_f64 v[188:189], -v[184:185], v[186:187], 1.0
	v_fma_f64 v[186:187], v[186:187], v[188:189], v[186:187]
	v_fma_f64 v[188:189], -v[184:185], v[186:187], 1.0
	v_fma_f64 v[186:187], v[186:187], v[188:189], v[186:187]
	v_div_scale_f64 v[188:189], vcc_lo, 1.0, v[182:183], 1.0
	v_mul_f64 v[190:191], v[188:189], v[186:187]
	v_fma_f64 v[184:185], -v[184:185], v[190:191], v[188:189]
	v_div_fmas_f64 v[184:185], v[184:185], v[186:187], v[190:191]
	v_div_fixup_f64 v[182:183], v[184:185], v[182:183], 1.0
	ds_write_b64 v1, v[182:183]
.LBB67_109:
	s_or_b32 exec_lo, exec_lo, s1
	s_waitcnt lgkmcnt(0)
	s_barrier
	buffer_gl0_inv
	ds_read_b64 v[182:183], v1
	s_mov_b32 s1, exec_lo
	v_cmpx_lt_u32_e32 21, v0
	s_cbranch_execz .LBB67_111
; %bb.110:
	s_waitcnt lgkmcnt(0)
	v_mul_f64 v[80:81], v[182:183], v[80:81]
	ds_read2_b64 v[184:187], v206 offset0:22 offset1:23
	ds_read2_b64 v[188:191], v206 offset0:24 offset1:25
	;; [unrolled: 1-line block ×6, first 2 shown]
	s_waitcnt lgkmcnt(5)
	v_fma_f64 v[92:93], -v[80:81], v[184:185], v[92:93]
	v_fma_f64 v[78:79], -v[80:81], v[186:187], v[78:79]
	s_waitcnt lgkmcnt(4)
	v_fma_f64 v[90:91], -v[80:81], v[188:189], v[90:91]
	v_fma_f64 v[76:77], -v[80:81], v[190:191], v[76:77]
	;; [unrolled: 3-line block ×6, first 2 shown]
.LBB67_111:
	s_or_b32 exec_lo, exec_lo, s1
	s_mov_b32 s1, exec_lo
	s_waitcnt lgkmcnt(0)
	s_barrier
	buffer_gl0_inv
	v_cmpx_eq_u32_e32 22, v0
	s_cbranch_execz .LBB67_114
; %bb.112:
	ds_write_b64 v1, v[92:93]
	ds_write2_b64 v206, v[78:79], v[90:91] offset0:23 offset1:24
	ds_write2_b64 v206, v[76:77], v[88:89] offset0:25 offset1:26
	;; [unrolled: 1-line block ×5, first 2 shown]
	ds_write_b64 v206, v[130:131] offset:264
	ds_read_b64 v[184:185], v1
	s_waitcnt lgkmcnt(0)
	v_cmp_neq_f64_e32 vcc_lo, 0, v[184:185]
	s_and_b32 exec_lo, exec_lo, vcc_lo
	s_cbranch_execz .LBB67_114
; %bb.113:
	v_div_scale_f64 v[186:187], null, v[184:185], v[184:185], 1.0
	v_rcp_f64_e32 v[188:189], v[186:187]
	v_fma_f64 v[190:191], -v[186:187], v[188:189], 1.0
	v_fma_f64 v[188:189], v[188:189], v[190:191], v[188:189]
	v_fma_f64 v[190:191], -v[186:187], v[188:189], 1.0
	v_fma_f64 v[188:189], v[188:189], v[190:191], v[188:189]
	v_div_scale_f64 v[190:191], vcc_lo, 1.0, v[184:185], 1.0
	v_mul_f64 v[192:193], v[190:191], v[188:189]
	v_fma_f64 v[186:187], -v[186:187], v[192:193], v[190:191]
	v_div_fmas_f64 v[186:187], v[186:187], v[188:189], v[192:193]
	v_div_fixup_f64 v[184:185], v[186:187], v[184:185], 1.0
	ds_write_b64 v1, v[184:185]
.LBB67_114:
	s_or_b32 exec_lo, exec_lo, s1
	s_waitcnt lgkmcnt(0)
	s_barrier
	buffer_gl0_inv
	ds_read_b64 v[184:185], v1
	s_mov_b32 s1, exec_lo
	v_cmpx_lt_u32_e32 22, v0
	s_cbranch_execz .LBB67_116
; %bb.115:
	s_waitcnt lgkmcnt(0)
	v_mul_f64 v[92:93], v[184:185], v[92:93]
	ds_read2_b64 v[186:189], v206 offset0:23 offset1:24
	ds_read2_b64 v[190:193], v206 offset0:25 offset1:26
	ds_read2_b64 v[194:197], v206 offset0:27 offset1:28
	ds_read2_b64 v[198:201], v206 offset0:29 offset1:30
	ds_read2_b64 v[202:205], v206 offset0:31 offset1:32
	ds_read_b64 v[207:208], v206 offset:264
	s_waitcnt lgkmcnt(5)
	v_fma_f64 v[78:79], -v[92:93], v[186:187], v[78:79]
	v_fma_f64 v[90:91], -v[92:93], v[188:189], v[90:91]
	s_waitcnt lgkmcnt(4)
	v_fma_f64 v[76:77], -v[92:93], v[190:191], v[76:77]
	v_fma_f64 v[88:89], -v[92:93], v[192:193], v[88:89]
	;; [unrolled: 3-line block ×5, first 2 shown]
	s_waitcnt lgkmcnt(0)
	v_fma_f64 v[130:131], -v[92:93], v[207:208], v[130:131]
.LBB67_116:
	s_or_b32 exec_lo, exec_lo, s1
	s_mov_b32 s1, exec_lo
	s_waitcnt lgkmcnt(0)
	s_barrier
	buffer_gl0_inv
	v_cmpx_eq_u32_e32 23, v0
	s_cbranch_execz .LBB67_119
; %bb.117:
	v_mov_b32_e32 v186, v90
	v_mov_b32_e32 v187, v91
	;; [unrolled: 1-line block ×18, first 2 shown]
	ds_write_b64 v1, v[78:79]
	ds_write2_b64 v206, v[186:187], v[188:189] offset0:24 offset1:25
	ds_write2_b64 v206, v[190:191], v[192:193] offset0:26 offset1:27
	;; [unrolled: 1-line block ×5, first 2 shown]
	ds_read_b64 v[186:187], v1
	s_waitcnt lgkmcnt(0)
	v_cmp_neq_f64_e32 vcc_lo, 0, v[186:187]
	s_and_b32 exec_lo, exec_lo, vcc_lo
	s_cbranch_execz .LBB67_119
; %bb.118:
	v_div_scale_f64 v[188:189], null, v[186:187], v[186:187], 1.0
	v_rcp_f64_e32 v[190:191], v[188:189]
	v_fma_f64 v[192:193], -v[188:189], v[190:191], 1.0
	v_fma_f64 v[190:191], v[190:191], v[192:193], v[190:191]
	v_fma_f64 v[192:193], -v[188:189], v[190:191], 1.0
	v_fma_f64 v[190:191], v[190:191], v[192:193], v[190:191]
	v_div_scale_f64 v[192:193], vcc_lo, 1.0, v[186:187], 1.0
	v_mul_f64 v[194:195], v[192:193], v[190:191]
	v_fma_f64 v[188:189], -v[188:189], v[194:195], v[192:193]
	v_div_fmas_f64 v[188:189], v[188:189], v[190:191], v[194:195]
	v_div_fixup_f64 v[186:187], v[188:189], v[186:187], 1.0
	ds_write_b64 v1, v[186:187]
.LBB67_119:
	s_or_b32 exec_lo, exec_lo, s1
	s_waitcnt lgkmcnt(0)
	s_barrier
	buffer_gl0_inv
	ds_read_b64 v[186:187], v1
	s_mov_b32 s1, exec_lo
	v_cmpx_lt_u32_e32 23, v0
	s_cbranch_execz .LBB67_121
; %bb.120:
	s_waitcnt lgkmcnt(0)
	v_mul_f64 v[78:79], v[186:187], v[78:79]
	ds_read2_b64 v[188:191], v206 offset0:24 offset1:25
	ds_read2_b64 v[192:195], v206 offset0:26 offset1:27
	ds_read2_b64 v[196:199], v206 offset0:28 offset1:29
	ds_read2_b64 v[200:203], v206 offset0:30 offset1:31
	ds_read2_b64 v[207:210], v206 offset0:32 offset1:33
	s_waitcnt lgkmcnt(4)
	v_fma_f64 v[90:91], -v[78:79], v[188:189], v[90:91]
	v_fma_f64 v[76:77], -v[78:79], v[190:191], v[76:77]
	s_waitcnt lgkmcnt(3)
	v_fma_f64 v[88:89], -v[78:79], v[192:193], v[88:89]
	v_fma_f64 v[74:75], -v[78:79], v[194:195], v[74:75]
	;; [unrolled: 3-line block ×5, first 2 shown]
.LBB67_121:
	s_or_b32 exec_lo, exec_lo, s1
	s_mov_b32 s1, exec_lo
	s_waitcnt lgkmcnt(0)
	s_barrier
	buffer_gl0_inv
	v_cmpx_eq_u32_e32 24, v0
	s_cbranch_execz .LBB67_124
; %bb.122:
	ds_write_b64 v1, v[90:91]
	ds_write2_b64 v206, v[76:77], v[88:89] offset0:25 offset1:26
	ds_write2_b64 v206, v[74:75], v[86:87] offset0:27 offset1:28
	;; [unrolled: 1-line block ×4, first 2 shown]
	ds_write_b64 v206, v[130:131] offset:264
	ds_read_b64 v[188:189], v1
	s_waitcnt lgkmcnt(0)
	v_cmp_neq_f64_e32 vcc_lo, 0, v[188:189]
	s_and_b32 exec_lo, exec_lo, vcc_lo
	s_cbranch_execz .LBB67_124
; %bb.123:
	v_div_scale_f64 v[190:191], null, v[188:189], v[188:189], 1.0
	v_rcp_f64_e32 v[192:193], v[190:191]
	v_fma_f64 v[194:195], -v[190:191], v[192:193], 1.0
	v_fma_f64 v[192:193], v[192:193], v[194:195], v[192:193]
	v_fma_f64 v[194:195], -v[190:191], v[192:193], 1.0
	v_fma_f64 v[192:193], v[192:193], v[194:195], v[192:193]
	v_div_scale_f64 v[194:195], vcc_lo, 1.0, v[188:189], 1.0
	v_mul_f64 v[196:197], v[194:195], v[192:193]
	v_fma_f64 v[190:191], -v[190:191], v[196:197], v[194:195]
	v_div_fmas_f64 v[190:191], v[190:191], v[192:193], v[196:197]
	v_div_fixup_f64 v[188:189], v[190:191], v[188:189], 1.0
	ds_write_b64 v1, v[188:189]
.LBB67_124:
	s_or_b32 exec_lo, exec_lo, s1
	s_waitcnt lgkmcnt(0)
	s_barrier
	buffer_gl0_inv
	ds_read_b64 v[188:189], v1
	s_mov_b32 s1, exec_lo
	v_cmpx_lt_u32_e32 24, v0
	s_cbranch_execz .LBB67_126
; %bb.125:
	s_waitcnt lgkmcnt(0)
	v_mul_f64 v[90:91], v[188:189], v[90:91]
	ds_read2_b64 v[190:193], v206 offset0:25 offset1:26
	ds_read2_b64 v[194:197], v206 offset0:27 offset1:28
	;; [unrolled: 1-line block ×4, first 2 shown]
	ds_read_b64 v[207:208], v206 offset:264
	s_waitcnt lgkmcnt(4)
	v_fma_f64 v[76:77], -v[90:91], v[190:191], v[76:77]
	v_fma_f64 v[88:89], -v[90:91], v[192:193], v[88:89]
	s_waitcnt lgkmcnt(3)
	v_fma_f64 v[74:75], -v[90:91], v[194:195], v[74:75]
	v_fma_f64 v[86:87], -v[90:91], v[196:197], v[86:87]
	;; [unrolled: 3-line block ×4, first 2 shown]
	s_waitcnt lgkmcnt(0)
	v_fma_f64 v[130:131], -v[90:91], v[207:208], v[130:131]
.LBB67_126:
	s_or_b32 exec_lo, exec_lo, s1
	s_mov_b32 s1, exec_lo
	s_waitcnt lgkmcnt(0)
	s_barrier
	buffer_gl0_inv
	v_cmpx_eq_u32_e32 25, v0
	s_cbranch_execz .LBB67_129
; %bb.127:
	v_mov_b32_e32 v190, v88
	v_mov_b32_e32 v191, v89
	;; [unrolled: 1-line block ×14, first 2 shown]
	ds_write_b64 v1, v[76:77]
	ds_write2_b64 v206, v[190:191], v[192:193] offset0:26 offset1:27
	ds_write2_b64 v206, v[194:195], v[196:197] offset0:28 offset1:29
	;; [unrolled: 1-line block ×4, first 2 shown]
	ds_read_b64 v[190:191], v1
	s_waitcnt lgkmcnt(0)
	v_cmp_neq_f64_e32 vcc_lo, 0, v[190:191]
	s_and_b32 exec_lo, exec_lo, vcc_lo
	s_cbranch_execz .LBB67_129
; %bb.128:
	v_div_scale_f64 v[192:193], null, v[190:191], v[190:191], 1.0
	v_rcp_f64_e32 v[194:195], v[192:193]
	v_fma_f64 v[196:197], -v[192:193], v[194:195], 1.0
	v_fma_f64 v[194:195], v[194:195], v[196:197], v[194:195]
	v_fma_f64 v[196:197], -v[192:193], v[194:195], 1.0
	v_fma_f64 v[194:195], v[194:195], v[196:197], v[194:195]
	v_div_scale_f64 v[196:197], vcc_lo, 1.0, v[190:191], 1.0
	v_mul_f64 v[198:199], v[196:197], v[194:195]
	v_fma_f64 v[192:193], -v[192:193], v[198:199], v[196:197]
	v_div_fmas_f64 v[192:193], v[192:193], v[194:195], v[198:199]
	v_div_fixup_f64 v[190:191], v[192:193], v[190:191], 1.0
	ds_write_b64 v1, v[190:191]
.LBB67_129:
	s_or_b32 exec_lo, exec_lo, s1
	s_waitcnt lgkmcnt(0)
	s_barrier
	buffer_gl0_inv
	ds_read_b64 v[190:191], v1
	s_mov_b32 s1, exec_lo
	v_cmpx_lt_u32_e32 25, v0
	s_cbranch_execz .LBB67_131
; %bb.130:
	s_waitcnt lgkmcnt(0)
	v_mul_f64 v[76:77], v[190:191], v[76:77]
	ds_read2_b64 v[192:195], v206 offset0:26 offset1:27
	ds_read2_b64 v[196:199], v206 offset0:28 offset1:29
	;; [unrolled: 1-line block ×4, first 2 shown]
	s_waitcnt lgkmcnt(3)
	v_fma_f64 v[88:89], -v[76:77], v[192:193], v[88:89]
	v_fma_f64 v[74:75], -v[76:77], v[194:195], v[74:75]
	s_waitcnt lgkmcnt(2)
	v_fma_f64 v[86:87], -v[76:77], v[196:197], v[86:87]
	v_fma_f64 v[72:73], -v[76:77], v[198:199], v[72:73]
	s_waitcnt lgkmcnt(1)
	v_fma_f64 v[84:85], -v[76:77], v[200:201], v[84:85]
	v_fma_f64 v[70:71], -v[76:77], v[202:203], v[70:71]
	s_waitcnt lgkmcnt(0)
	v_fma_f64 v[128:129], -v[76:77], v[207:208], v[128:129]
	v_fma_f64 v[130:131], -v[76:77], v[209:210], v[130:131]
.LBB67_131:
	s_or_b32 exec_lo, exec_lo, s1
	s_mov_b32 s1, exec_lo
	s_waitcnt lgkmcnt(0)
	s_barrier
	buffer_gl0_inv
	v_cmpx_eq_u32_e32 26, v0
	s_cbranch_execz .LBB67_134
; %bb.132:
	ds_write_b64 v1, v[88:89]
	ds_write2_b64 v206, v[74:75], v[86:87] offset0:27 offset1:28
	ds_write2_b64 v206, v[72:73], v[84:85] offset0:29 offset1:30
	;; [unrolled: 1-line block ×3, first 2 shown]
	ds_write_b64 v206, v[130:131] offset:264
	ds_read_b64 v[192:193], v1
	s_waitcnt lgkmcnt(0)
	v_cmp_neq_f64_e32 vcc_lo, 0, v[192:193]
	s_and_b32 exec_lo, exec_lo, vcc_lo
	s_cbranch_execz .LBB67_134
; %bb.133:
	v_div_scale_f64 v[194:195], null, v[192:193], v[192:193], 1.0
	v_rcp_f64_e32 v[196:197], v[194:195]
	v_fma_f64 v[198:199], -v[194:195], v[196:197], 1.0
	v_fma_f64 v[196:197], v[196:197], v[198:199], v[196:197]
	v_fma_f64 v[198:199], -v[194:195], v[196:197], 1.0
	v_fma_f64 v[196:197], v[196:197], v[198:199], v[196:197]
	v_div_scale_f64 v[198:199], vcc_lo, 1.0, v[192:193], 1.0
	v_mul_f64 v[200:201], v[198:199], v[196:197]
	v_fma_f64 v[194:195], -v[194:195], v[200:201], v[198:199]
	v_div_fmas_f64 v[194:195], v[194:195], v[196:197], v[200:201]
	v_div_fixup_f64 v[192:193], v[194:195], v[192:193], 1.0
	ds_write_b64 v1, v[192:193]
.LBB67_134:
	s_or_b32 exec_lo, exec_lo, s1
	s_waitcnt lgkmcnt(0)
	s_barrier
	buffer_gl0_inv
	ds_read_b64 v[192:193], v1
	s_mov_b32 s1, exec_lo
	v_cmpx_lt_u32_e32 26, v0
	s_cbranch_execz .LBB67_136
; %bb.135:
	s_waitcnt lgkmcnt(0)
	v_mul_f64 v[88:89], v[192:193], v[88:89]
	ds_read2_b64 v[194:197], v206 offset0:27 offset1:28
	ds_read2_b64 v[198:201], v206 offset0:29 offset1:30
	ds_read2_b64 v[202:205], v206 offset0:31 offset1:32
	ds_read_b64 v[207:208], v206 offset:264
	s_waitcnt lgkmcnt(3)
	v_fma_f64 v[74:75], -v[88:89], v[194:195], v[74:75]
	v_fma_f64 v[86:87], -v[88:89], v[196:197], v[86:87]
	s_waitcnt lgkmcnt(2)
	v_fma_f64 v[72:73], -v[88:89], v[198:199], v[72:73]
	v_fma_f64 v[84:85], -v[88:89], v[200:201], v[84:85]
	;; [unrolled: 3-line block ×3, first 2 shown]
	s_waitcnt lgkmcnt(0)
	v_fma_f64 v[130:131], -v[88:89], v[207:208], v[130:131]
.LBB67_136:
	s_or_b32 exec_lo, exec_lo, s1
	s_mov_b32 s1, exec_lo
	s_waitcnt lgkmcnt(0)
	s_barrier
	buffer_gl0_inv
	v_cmpx_eq_u32_e32 27, v0
	s_cbranch_execz .LBB67_139
; %bb.137:
	v_mov_b32_e32 v194, v86
	v_mov_b32_e32 v195, v87
	;; [unrolled: 1-line block ×10, first 2 shown]
	ds_write_b64 v1, v[74:75]
	ds_write2_b64 v206, v[194:195], v[196:197] offset0:28 offset1:29
	ds_write2_b64 v206, v[198:199], v[200:201] offset0:30 offset1:31
	;; [unrolled: 1-line block ×3, first 2 shown]
	ds_read_b64 v[194:195], v1
	s_waitcnt lgkmcnt(0)
	v_cmp_neq_f64_e32 vcc_lo, 0, v[194:195]
	s_and_b32 exec_lo, exec_lo, vcc_lo
	s_cbranch_execz .LBB67_139
; %bb.138:
	v_div_scale_f64 v[196:197], null, v[194:195], v[194:195], 1.0
	v_rcp_f64_e32 v[198:199], v[196:197]
	v_fma_f64 v[200:201], -v[196:197], v[198:199], 1.0
	v_fma_f64 v[198:199], v[198:199], v[200:201], v[198:199]
	v_fma_f64 v[200:201], -v[196:197], v[198:199], 1.0
	v_fma_f64 v[198:199], v[198:199], v[200:201], v[198:199]
	v_div_scale_f64 v[200:201], vcc_lo, 1.0, v[194:195], 1.0
	v_mul_f64 v[202:203], v[200:201], v[198:199]
	v_fma_f64 v[196:197], -v[196:197], v[202:203], v[200:201]
	v_div_fmas_f64 v[196:197], v[196:197], v[198:199], v[202:203]
	v_div_fixup_f64 v[194:195], v[196:197], v[194:195], 1.0
	ds_write_b64 v1, v[194:195]
.LBB67_139:
	s_or_b32 exec_lo, exec_lo, s1
	s_waitcnt lgkmcnt(0)
	s_barrier
	buffer_gl0_inv
	ds_read_b64 v[194:195], v1
	s_mov_b32 s1, exec_lo
	v_cmpx_lt_u32_e32 27, v0
	s_cbranch_execz .LBB67_141
; %bb.140:
	s_waitcnt lgkmcnt(0)
	v_mul_f64 v[74:75], v[194:195], v[74:75]
	ds_read2_b64 v[196:199], v206 offset0:28 offset1:29
	ds_read2_b64 v[200:203], v206 offset0:30 offset1:31
	;; [unrolled: 1-line block ×3, first 2 shown]
	s_waitcnt lgkmcnt(2)
	v_fma_f64 v[86:87], -v[74:75], v[196:197], v[86:87]
	v_fma_f64 v[72:73], -v[74:75], v[198:199], v[72:73]
	s_waitcnt lgkmcnt(1)
	v_fma_f64 v[84:85], -v[74:75], v[200:201], v[84:85]
	v_fma_f64 v[70:71], -v[74:75], v[202:203], v[70:71]
	;; [unrolled: 3-line block ×3, first 2 shown]
.LBB67_141:
	s_or_b32 exec_lo, exec_lo, s1
	s_mov_b32 s1, exec_lo
	s_waitcnt lgkmcnt(0)
	s_barrier
	buffer_gl0_inv
	v_cmpx_eq_u32_e32 28, v0
	s_cbranch_execz .LBB67_144
; %bb.142:
	ds_write_b64 v1, v[86:87]
	ds_write2_b64 v206, v[72:73], v[84:85] offset0:29 offset1:30
	ds_write2_b64 v206, v[70:71], v[128:129] offset0:31 offset1:32
	ds_write_b64 v206, v[130:131] offset:264
	ds_read_b64 v[196:197], v1
	s_waitcnt lgkmcnt(0)
	v_cmp_neq_f64_e32 vcc_lo, 0, v[196:197]
	s_and_b32 exec_lo, exec_lo, vcc_lo
	s_cbranch_execz .LBB67_144
; %bb.143:
	v_div_scale_f64 v[198:199], null, v[196:197], v[196:197], 1.0
	v_rcp_f64_e32 v[200:201], v[198:199]
	v_fma_f64 v[202:203], -v[198:199], v[200:201], 1.0
	v_fma_f64 v[200:201], v[200:201], v[202:203], v[200:201]
	v_fma_f64 v[202:203], -v[198:199], v[200:201], 1.0
	v_fma_f64 v[200:201], v[200:201], v[202:203], v[200:201]
	v_div_scale_f64 v[202:203], vcc_lo, 1.0, v[196:197], 1.0
	v_mul_f64 v[204:205], v[202:203], v[200:201]
	v_fma_f64 v[198:199], -v[198:199], v[204:205], v[202:203]
	v_div_fmas_f64 v[198:199], v[198:199], v[200:201], v[204:205]
	v_div_fixup_f64 v[196:197], v[198:199], v[196:197], 1.0
	ds_write_b64 v1, v[196:197]
.LBB67_144:
	s_or_b32 exec_lo, exec_lo, s1
	s_waitcnt lgkmcnt(0)
	s_barrier
	buffer_gl0_inv
	ds_read_b64 v[196:197], v1
	s_mov_b32 s1, exec_lo
	v_cmpx_lt_u32_e32 28, v0
	s_cbranch_execz .LBB67_146
; %bb.145:
	s_waitcnt lgkmcnt(0)
	v_mul_f64 v[86:87], v[196:197], v[86:87]
	ds_read2_b64 v[198:201], v206 offset0:29 offset1:30
	ds_read2_b64 v[202:205], v206 offset0:31 offset1:32
	ds_read_b64 v[207:208], v206 offset:264
	s_waitcnt lgkmcnt(2)
	v_fma_f64 v[72:73], -v[86:87], v[198:199], v[72:73]
	v_fma_f64 v[84:85], -v[86:87], v[200:201], v[84:85]
	s_waitcnt lgkmcnt(1)
	v_fma_f64 v[70:71], -v[86:87], v[202:203], v[70:71]
	v_fma_f64 v[128:129], -v[86:87], v[204:205], v[128:129]
	s_waitcnt lgkmcnt(0)
	v_fma_f64 v[130:131], -v[86:87], v[207:208], v[130:131]
.LBB67_146:
	s_or_b32 exec_lo, exec_lo, s1
	s_mov_b32 s1, exec_lo
	s_waitcnt lgkmcnt(0)
	s_barrier
	buffer_gl0_inv
	v_cmpx_eq_u32_e32 29, v0
	s_cbranch_execz .LBB67_149
; %bb.147:
	v_mov_b32_e32 v198, v84
	v_mov_b32_e32 v199, v85
	;; [unrolled: 1-line block ×6, first 2 shown]
	ds_write_b64 v1, v[72:73]
	ds_write2_b64 v206, v[198:199], v[200:201] offset0:30 offset1:31
	ds_write2_b64 v206, v[202:203], v[130:131] offset0:32 offset1:33
	ds_read_b64 v[198:199], v1
	s_waitcnt lgkmcnt(0)
	v_cmp_neq_f64_e32 vcc_lo, 0, v[198:199]
	s_and_b32 exec_lo, exec_lo, vcc_lo
	s_cbranch_execz .LBB67_149
; %bb.148:
	v_div_scale_f64 v[200:201], null, v[198:199], v[198:199], 1.0
	v_rcp_f64_e32 v[202:203], v[200:201]
	v_fma_f64 v[204:205], -v[200:201], v[202:203], 1.0
	v_fma_f64 v[202:203], v[202:203], v[204:205], v[202:203]
	v_fma_f64 v[204:205], -v[200:201], v[202:203], 1.0
	v_fma_f64 v[202:203], v[202:203], v[204:205], v[202:203]
	v_div_scale_f64 v[204:205], vcc_lo, 1.0, v[198:199], 1.0
	v_mul_f64 v[207:208], v[204:205], v[202:203]
	v_fma_f64 v[200:201], -v[200:201], v[207:208], v[204:205]
	v_div_fmas_f64 v[200:201], v[200:201], v[202:203], v[207:208]
	v_div_fixup_f64 v[198:199], v[200:201], v[198:199], 1.0
	ds_write_b64 v1, v[198:199]
.LBB67_149:
	s_or_b32 exec_lo, exec_lo, s1
	s_waitcnt lgkmcnt(0)
	s_barrier
	buffer_gl0_inv
	ds_read_b64 v[198:199], v1
	s_mov_b32 s1, exec_lo
	v_cmpx_lt_u32_e32 29, v0
	s_cbranch_execz .LBB67_151
; %bb.150:
	s_waitcnt lgkmcnt(0)
	v_mul_f64 v[72:73], v[198:199], v[72:73]
	ds_read2_b64 v[200:203], v206 offset0:30 offset1:31
	ds_read2_b64 v[207:210], v206 offset0:32 offset1:33
	s_waitcnt lgkmcnt(1)
	v_fma_f64 v[84:85], -v[72:73], v[200:201], v[84:85]
	v_fma_f64 v[70:71], -v[72:73], v[202:203], v[70:71]
	s_waitcnt lgkmcnt(0)
	v_fma_f64 v[128:129], -v[72:73], v[207:208], v[128:129]
	v_fma_f64 v[130:131], -v[72:73], v[209:210], v[130:131]
.LBB67_151:
	s_or_b32 exec_lo, exec_lo, s1
	s_mov_b32 s1, exec_lo
	s_waitcnt lgkmcnt(0)
	s_barrier
	buffer_gl0_inv
	v_cmpx_eq_u32_e32 30, v0
	s_cbranch_execz .LBB67_154
; %bb.152:
	ds_write_b64 v1, v[84:85]
	ds_write2_b64 v206, v[70:71], v[128:129] offset0:31 offset1:32
	ds_write_b64 v206, v[130:131] offset:264
	ds_read_b64 v[200:201], v1
	s_waitcnt lgkmcnt(0)
	v_cmp_neq_f64_e32 vcc_lo, 0, v[200:201]
	s_and_b32 exec_lo, exec_lo, vcc_lo
	s_cbranch_execz .LBB67_154
; %bb.153:
	v_div_scale_f64 v[202:203], null, v[200:201], v[200:201], 1.0
	v_rcp_f64_e32 v[204:205], v[202:203]
	v_fma_f64 v[207:208], -v[202:203], v[204:205], 1.0
	v_fma_f64 v[204:205], v[204:205], v[207:208], v[204:205]
	v_fma_f64 v[207:208], -v[202:203], v[204:205], 1.0
	v_fma_f64 v[204:205], v[204:205], v[207:208], v[204:205]
	v_div_scale_f64 v[207:208], vcc_lo, 1.0, v[200:201], 1.0
	v_mul_f64 v[209:210], v[207:208], v[204:205]
	v_fma_f64 v[202:203], -v[202:203], v[209:210], v[207:208]
	v_div_fmas_f64 v[202:203], v[202:203], v[204:205], v[209:210]
	v_div_fixup_f64 v[200:201], v[202:203], v[200:201], 1.0
	ds_write_b64 v1, v[200:201]
.LBB67_154:
	s_or_b32 exec_lo, exec_lo, s1
	s_waitcnt lgkmcnt(0)
	s_barrier
	buffer_gl0_inv
	ds_read_b64 v[200:201], v1
	s_mov_b32 s1, exec_lo
	v_cmpx_lt_u32_e32 30, v0
	s_cbranch_execz .LBB67_156
; %bb.155:
	s_waitcnt lgkmcnt(0)
	v_mul_f64 v[84:85], v[200:201], v[84:85]
	ds_read2_b64 v[202:205], v206 offset0:31 offset1:32
	ds_read_b64 v[207:208], v206 offset:264
	s_waitcnt lgkmcnt(1)
	v_fma_f64 v[70:71], -v[84:85], v[202:203], v[70:71]
	v_fma_f64 v[128:129], -v[84:85], v[204:205], v[128:129]
	s_waitcnt lgkmcnt(0)
	v_fma_f64 v[130:131], -v[84:85], v[207:208], v[130:131]
.LBB67_156:
	s_or_b32 exec_lo, exec_lo, s1
	s_mov_b32 s1, exec_lo
	s_waitcnt lgkmcnt(0)
	s_barrier
	buffer_gl0_inv
	v_cmpx_eq_u32_e32 31, v0
	s_cbranch_execz .LBB67_159
; %bb.157:
	v_mov_b32_e32 v202, v128
	v_mov_b32_e32 v203, v129
	ds_write_b64 v1, v[70:71]
	ds_write2_b64 v206, v[202:203], v[130:131] offset0:32 offset1:33
	ds_read_b64 v[202:203], v1
	s_waitcnt lgkmcnt(0)
	v_cmp_neq_f64_e32 vcc_lo, 0, v[202:203]
	s_and_b32 exec_lo, exec_lo, vcc_lo
	s_cbranch_execz .LBB67_159
; %bb.158:
	v_div_scale_f64 v[204:205], null, v[202:203], v[202:203], 1.0
	v_rcp_f64_e32 v[207:208], v[204:205]
	v_fma_f64 v[209:210], -v[204:205], v[207:208], 1.0
	v_fma_f64 v[207:208], v[207:208], v[209:210], v[207:208]
	v_fma_f64 v[209:210], -v[204:205], v[207:208], 1.0
	v_fma_f64 v[207:208], v[207:208], v[209:210], v[207:208]
	v_div_scale_f64 v[209:210], vcc_lo, 1.0, v[202:203], 1.0
	v_mul_f64 v[211:212], v[209:210], v[207:208]
	v_fma_f64 v[204:205], -v[204:205], v[211:212], v[209:210]
	v_div_fmas_f64 v[204:205], v[204:205], v[207:208], v[211:212]
	v_div_fixup_f64 v[202:203], v[204:205], v[202:203], 1.0
	ds_write_b64 v1, v[202:203]
.LBB67_159:
	s_or_b32 exec_lo, exec_lo, s1
	s_waitcnt lgkmcnt(0)
	s_barrier
	buffer_gl0_inv
	ds_read_b64 v[202:203], v1
	s_mov_b32 s1, exec_lo
	v_cmpx_lt_u32_e32 31, v0
	s_cbranch_execz .LBB67_161
; %bb.160:
	s_waitcnt lgkmcnt(0)
	v_mul_f64 v[70:71], v[202:203], v[70:71]
	ds_read2_b64 v[207:210], v206 offset0:32 offset1:33
	s_waitcnt lgkmcnt(0)
	v_fma_f64 v[128:129], -v[70:71], v[207:208], v[128:129]
	v_fma_f64 v[130:131], -v[70:71], v[209:210], v[130:131]
.LBB67_161:
	s_or_b32 exec_lo, exec_lo, s1
	s_mov_b32 s1, exec_lo
	s_waitcnt lgkmcnt(0)
	s_barrier
	buffer_gl0_inv
	v_cmpx_eq_u32_e32 32, v0
	s_cbranch_execz .LBB67_164
; %bb.162:
	ds_write_b64 v1, v[128:129]
	ds_write_b64 v206, v[130:131] offset:264
	ds_read_b64 v[204:205], v1
	s_waitcnt lgkmcnt(0)
	v_cmp_neq_f64_e32 vcc_lo, 0, v[204:205]
	s_and_b32 exec_lo, exec_lo, vcc_lo
	s_cbranch_execz .LBB67_164
; %bb.163:
	v_div_scale_f64 v[207:208], null, v[204:205], v[204:205], 1.0
	v_rcp_f64_e32 v[209:210], v[207:208]
	v_fma_f64 v[211:212], -v[207:208], v[209:210], 1.0
	v_fma_f64 v[209:210], v[209:210], v[211:212], v[209:210]
	v_fma_f64 v[211:212], -v[207:208], v[209:210], 1.0
	v_fma_f64 v[209:210], v[209:210], v[211:212], v[209:210]
	v_div_scale_f64 v[211:212], vcc_lo, 1.0, v[204:205], 1.0
	v_mul_f64 v[213:214], v[211:212], v[209:210]
	v_fma_f64 v[207:208], -v[207:208], v[213:214], v[211:212]
	v_div_fmas_f64 v[207:208], v[207:208], v[209:210], v[213:214]
	v_div_fixup_f64 v[204:205], v[207:208], v[204:205], 1.0
	ds_write_b64 v1, v[204:205]
.LBB67_164:
	s_or_b32 exec_lo, exec_lo, s1
	s_waitcnt lgkmcnt(0)
	s_barrier
	buffer_gl0_inv
	ds_read_b64 v[204:205], v1
	s_mov_b32 s1, exec_lo
	v_cmpx_lt_u32_e32 32, v0
	s_cbranch_execz .LBB67_166
; %bb.165:
	s_waitcnt lgkmcnt(0)
	v_mul_f64 v[128:129], v[204:205], v[128:129]
	ds_read_b64 v[206:207], v206 offset:264
	s_waitcnt lgkmcnt(0)
	v_fma_f64 v[130:131], -v[128:129], v[206:207], v[130:131]
.LBB67_166:
	s_or_b32 exec_lo, exec_lo, s1
	s_mov_b32 s1, exec_lo
	s_waitcnt lgkmcnt(0)
	s_barrier
	buffer_gl0_inv
	v_cmpx_eq_u32_e32 33, v0
	s_cbranch_execz .LBB67_169
; %bb.167:
	v_cmp_neq_f64_e32 vcc_lo, 0, v[130:131]
	ds_write_b64 v1, v[130:131]
	s_and_b32 exec_lo, exec_lo, vcc_lo
	s_cbranch_execz .LBB67_169
; %bb.168:
	v_div_scale_f64 v[206:207], null, v[130:131], v[130:131], 1.0
	v_rcp_f64_e32 v[208:209], v[206:207]
	v_fma_f64 v[210:211], -v[206:207], v[208:209], 1.0
	v_fma_f64 v[208:209], v[208:209], v[210:211], v[208:209]
	v_fma_f64 v[210:211], -v[206:207], v[208:209], 1.0
	v_fma_f64 v[208:209], v[208:209], v[210:211], v[208:209]
	v_div_scale_f64 v[210:211], vcc_lo, 1.0, v[130:131], 1.0
	v_mul_f64 v[212:213], v[210:211], v[208:209]
	v_fma_f64 v[206:207], -v[206:207], v[212:213], v[210:211]
	v_div_fmas_f64 v[206:207], v[206:207], v[208:209], v[212:213]
	v_div_fixup_f64 v[206:207], v[206:207], v[130:131], 1.0
	ds_write_b64 v1, v[206:207]
.LBB67_169:
	s_or_b32 exec_lo, exec_lo, s1
	s_waitcnt lgkmcnt(0)
	s_barrier
	buffer_gl0_inv
	ds_read_b64 v[206:207], v1
	s_waitcnt lgkmcnt(0)
	s_barrier
	buffer_gl0_inv
	s_and_saveexec_b32 s6, s0
	s_cbranch_execz .LBB67_172
; %bb.170:
	v_cmp_eq_f64_e32 vcc_lo, 0, v[140:141]
	v_cmp_neq_f64_e64 s0, 0, v[142:143]
	v_cmp_eq_f64_e64 s1, 0, v[144:145]
	v_cmp_eq_f64_e64 s2, 0, v[146:147]
	s_load_dwordx2 s[4:5], s[4:5], 0x28
	v_cndmask_b32_e64 v1, 0, 1, vcc_lo
	s_or_b32 vcc_lo, s0, vcc_lo
	v_cmp_eq_f64_e64 s0, 0, v[148:149]
	v_cndmask_b32_e32 v1, 2, v1, vcc_lo
	v_cmp_eq_u32_e32 vcc_lo, 0, v1
	s_and_b32 s1, s1, vcc_lo
	v_cndmask_b32_e64 v1, v1, 3, s1
	v_cmp_eq_f64_e64 s1, 0, v[150:151]
	v_cmp_eq_u32_e32 vcc_lo, 0, v1
	s_and_b32 s2, s2, vcc_lo
	v_cmp_eq_f64_e32 vcc_lo, 0, v[152:153]
	v_cndmask_b32_e64 v140, v1, 4, s2
	v_lshlrev_b64 v[1:2], 2, v[2:3]
	v_cmp_eq_u32_e64 s2, 0, v140
	s_waitcnt lgkmcnt(0)
	v_add_co_u32 v1, s3, s4, v1
	v_add_co_ci_u32_e64 v2, null, s5, v2, s3
	s_and_b32 s0, s0, s2
	v_cmp_eq_f64_e64 s2, 0, v[154:155]
	v_cndmask_b32_e64 v3, v140, 5, s0
	global_load_dword v140, v[1:2], off
	v_cmp_eq_u32_e64 s0, 0, v3
	s_and_b32 s0, s1, s0
	v_cmp_eq_f64_e64 s1, 0, v[156:157]
	v_cndmask_b32_e64 v3, v3, 6, s0
	v_cmp_eq_u32_e64 s0, 0, v3
	s_and_b32 s0, vcc_lo, s0
	v_cndmask_b32_e64 v3, v3, 7, s0
	v_cmp_eq_f64_e64 s0, 0, v[158:159]
	v_cmp_eq_u32_e32 vcc_lo, 0, v3
	s_and_b32 s2, s2, vcc_lo
	v_cndmask_b32_e64 v3, v3, 8, s2
	v_cmp_eq_f64_e64 s2, 0, v[160:161]
	v_cmp_eq_u32_e32 vcc_lo, 0, v3
	s_and_b32 s1, s1, vcc_lo
	;; [unrolled: 4-line block ×25, first 2 shown]
	v_cndmask_b32_e64 v3, v3, 32, s2
	v_cmp_eq_u32_e32 vcc_lo, 0, v3
	s_and_b32 s1, s1, vcc_lo
	v_cndmask_b32_e64 v3, v3, 33, s1
	v_cmp_eq_u32_e32 vcc_lo, 0, v3
	s_and_b32 s0, s0, vcc_lo
	s_waitcnt vmcnt(0)
	v_cmp_eq_u32_e32 vcc_lo, 0, v140
	v_cndmask_b32_e64 v3, v3, 34, s0
	v_cmp_ne_u32_e64 s0, 0, v3
	s_and_b32 s0, vcc_lo, s0
	s_and_b32 exec_lo, exec_lo, s0
	s_cbranch_execz .LBB67_172
; %bb.171:
	v_add_nc_u32_e32 v3, s9, v3
	global_store_dword v[1:2], v3, off
.LBB67_172:
	s_or_b32 exec_lo, exec_lo, s6
	v_mul_f64 v[1:2], v[206:207], v[130:131]
	v_cmp_lt_u32_e32 vcc_lo, 33, v0
	flat_store_dwordx2 v[68:69], v[132:133]
	flat_store_dwordx2 v[126:127], v[136:137]
	;; [unrolled: 1-line block ×19, first 2 shown]
	v_cndmask_b32_e32 v2, v131, v2, vcc_lo
	v_cndmask_b32_e32 v1, v130, v1, vcc_lo
	flat_store_dwordx2 v[36:37], v[82:83]
	flat_store_dwordx2 v[40:41], v[94:95]
	;; [unrolled: 1-line block ×15, first 2 shown]
.LBB67_173:
	s_endpgm
	.section	.rodata,"a",@progbits
	.p2align	6, 0x0
	.amdhsa_kernel _ZN9rocsolver6v33100L23getf2_npvt_small_kernelILi34EdiiPKPdEEvT1_T3_lS5_lPT2_S5_S5_
		.amdhsa_group_segment_fixed_size 0
		.amdhsa_private_segment_fixed_size 0
		.amdhsa_kernarg_size 312
		.amdhsa_user_sgpr_count 6
		.amdhsa_user_sgpr_private_segment_buffer 1
		.amdhsa_user_sgpr_dispatch_ptr 0
		.amdhsa_user_sgpr_queue_ptr 0
		.amdhsa_user_sgpr_kernarg_segment_ptr 1
		.amdhsa_user_sgpr_dispatch_id 0
		.amdhsa_user_sgpr_flat_scratch_init 0
		.amdhsa_user_sgpr_private_segment_size 0
		.amdhsa_wavefront_size32 1
		.amdhsa_uses_dynamic_stack 0
		.amdhsa_system_sgpr_private_segment_wavefront_offset 0
		.amdhsa_system_sgpr_workgroup_id_x 1
		.amdhsa_system_sgpr_workgroup_id_y 1
		.amdhsa_system_sgpr_workgroup_id_z 0
		.amdhsa_system_sgpr_workgroup_info 0
		.amdhsa_system_vgpr_workitem_id 1
		.amdhsa_next_free_vgpr 215
		.amdhsa_next_free_sgpr 11
		.amdhsa_reserve_vcc 1
		.amdhsa_reserve_flat_scratch 1
		.amdhsa_float_round_mode_32 0
		.amdhsa_float_round_mode_16_64 0
		.amdhsa_float_denorm_mode_32 3
		.amdhsa_float_denorm_mode_16_64 3
		.amdhsa_dx10_clamp 1
		.amdhsa_ieee_mode 1
		.amdhsa_fp16_overflow 0
		.amdhsa_workgroup_processor_mode 1
		.amdhsa_memory_ordered 1
		.amdhsa_forward_progress 1
		.amdhsa_shared_vgpr_count 0
		.amdhsa_exception_fp_ieee_invalid_op 0
		.amdhsa_exception_fp_denorm_src 0
		.amdhsa_exception_fp_ieee_div_zero 0
		.amdhsa_exception_fp_ieee_overflow 0
		.amdhsa_exception_fp_ieee_underflow 0
		.amdhsa_exception_fp_ieee_inexact 0
		.amdhsa_exception_int_div_zero 0
	.end_amdhsa_kernel
	.section	.text._ZN9rocsolver6v33100L23getf2_npvt_small_kernelILi34EdiiPKPdEEvT1_T3_lS5_lPT2_S5_S5_,"axG",@progbits,_ZN9rocsolver6v33100L23getf2_npvt_small_kernelILi34EdiiPKPdEEvT1_T3_lS5_lPT2_S5_S5_,comdat
.Lfunc_end67:
	.size	_ZN9rocsolver6v33100L23getf2_npvt_small_kernelILi34EdiiPKPdEEvT1_T3_lS5_lPT2_S5_S5_, .Lfunc_end67-_ZN9rocsolver6v33100L23getf2_npvt_small_kernelILi34EdiiPKPdEEvT1_T3_lS5_lPT2_S5_S5_
                                        ; -- End function
	.set _ZN9rocsolver6v33100L23getf2_npvt_small_kernelILi34EdiiPKPdEEvT1_T3_lS5_lPT2_S5_S5_.num_vgpr, 215
	.set _ZN9rocsolver6v33100L23getf2_npvt_small_kernelILi34EdiiPKPdEEvT1_T3_lS5_lPT2_S5_S5_.num_agpr, 0
	.set _ZN9rocsolver6v33100L23getf2_npvt_small_kernelILi34EdiiPKPdEEvT1_T3_lS5_lPT2_S5_S5_.numbered_sgpr, 11
	.set _ZN9rocsolver6v33100L23getf2_npvt_small_kernelILi34EdiiPKPdEEvT1_T3_lS5_lPT2_S5_S5_.num_named_barrier, 0
	.set _ZN9rocsolver6v33100L23getf2_npvt_small_kernelILi34EdiiPKPdEEvT1_T3_lS5_lPT2_S5_S5_.private_seg_size, 0
	.set _ZN9rocsolver6v33100L23getf2_npvt_small_kernelILi34EdiiPKPdEEvT1_T3_lS5_lPT2_S5_S5_.uses_vcc, 1
	.set _ZN9rocsolver6v33100L23getf2_npvt_small_kernelILi34EdiiPKPdEEvT1_T3_lS5_lPT2_S5_S5_.uses_flat_scratch, 1
	.set _ZN9rocsolver6v33100L23getf2_npvt_small_kernelILi34EdiiPKPdEEvT1_T3_lS5_lPT2_S5_S5_.has_dyn_sized_stack, 0
	.set _ZN9rocsolver6v33100L23getf2_npvt_small_kernelILi34EdiiPKPdEEvT1_T3_lS5_lPT2_S5_S5_.has_recursion, 0
	.set _ZN9rocsolver6v33100L23getf2_npvt_small_kernelILi34EdiiPKPdEEvT1_T3_lS5_lPT2_S5_S5_.has_indirect_call, 0
	.section	.AMDGPU.csdata,"",@progbits
; Kernel info:
; codeLenInByte = 22084
; TotalNumSgprs: 13
; NumVgprs: 215
; ScratchSize: 0
; MemoryBound: 0
; FloatMode: 240
; IeeeMode: 1
; LDSByteSize: 0 bytes/workgroup (compile time only)
; SGPRBlocks: 0
; VGPRBlocks: 26
; NumSGPRsForWavesPerEU: 13
; NumVGPRsForWavesPerEU: 215
; Occupancy: 4
; WaveLimiterHint : 1
; COMPUTE_PGM_RSRC2:SCRATCH_EN: 0
; COMPUTE_PGM_RSRC2:USER_SGPR: 6
; COMPUTE_PGM_RSRC2:TRAP_HANDLER: 0
; COMPUTE_PGM_RSRC2:TGID_X_EN: 1
; COMPUTE_PGM_RSRC2:TGID_Y_EN: 1
; COMPUTE_PGM_RSRC2:TGID_Z_EN: 0
; COMPUTE_PGM_RSRC2:TIDIG_COMP_CNT: 1
	.section	.text._ZN9rocsolver6v33100L18getf2_small_kernelILi35EdiiPKPdEEvT1_T3_lS5_lPS5_llPT2_S5_S5_S7_l,"axG",@progbits,_ZN9rocsolver6v33100L18getf2_small_kernelILi35EdiiPKPdEEvT1_T3_lS5_lPS5_llPT2_S5_S5_S7_l,comdat
	.globl	_ZN9rocsolver6v33100L18getf2_small_kernelILi35EdiiPKPdEEvT1_T3_lS5_lPS5_llPT2_S5_S5_S7_l ; -- Begin function _ZN9rocsolver6v33100L18getf2_small_kernelILi35EdiiPKPdEEvT1_T3_lS5_lPS5_llPT2_S5_S5_S7_l
	.p2align	8
	.type	_ZN9rocsolver6v33100L18getf2_small_kernelILi35EdiiPKPdEEvT1_T3_lS5_lPS5_llPT2_S5_S5_S7_l,@function
_ZN9rocsolver6v33100L18getf2_small_kernelILi35EdiiPKPdEEvT1_T3_lS5_lPS5_llPT2_S5_S5_S7_l: ; @_ZN9rocsolver6v33100L18getf2_small_kernelILi35EdiiPKPdEEvT1_T3_lS5_lPS5_llPT2_S5_S5_S7_l
; %bb.0:
	s_clause 0x1
	s_load_dword s0, s[4:5], 0x6c
	s_load_dwordx2 s[12:13], s[4:5], 0x48
	s_waitcnt lgkmcnt(0)
	s_lshr_b32 s0, s0, 16
	v_mad_u64_u32 v[2:3], null, s7, s0, v[1:2]
	s_mov_b32 s0, exec_lo
	v_cmpx_gt_i32_e64 s12, v2
	s_cbranch_execz .LBB68_592
; %bb.1:
	s_clause 0x1
	s_load_dwordx4 s[0:3], s[4:5], 0x8
	s_load_dwordx4 s[8:11], s[4:5], 0x50
	v_ashrrev_i32_e32 v3, 31, v2
	v_lshlrev_b64 v[4:5], 3, v[2:3]
	s_waitcnt lgkmcnt(0)
	v_add_co_u32 v4, vcc_lo, s0, v4
	v_add_co_ci_u32_e64 v5, null, s1, v5, vcc_lo
	s_cmp_eq_u64 s[8:9], 0
	s_cselect_b32 s6, -1, 0
	global_load_dwordx2 v[6:7], v[4:5], off
	v_mov_b32_e32 v4, 0
	v_mov_b32_e32 v5, 0
	s_and_b32 vcc_lo, exec_lo, s6
	s_cbranch_vccnz .LBB68_3
; %bb.2:
	v_mul_lo_u32 v8, s11, v2
	v_mul_lo_u32 v9, s10, v3
	v_mad_u64_u32 v[4:5], null, s10, v2, 0
	v_add3_u32 v5, v5, v9, v8
	v_lshlrev_b64 v[4:5], 2, v[4:5]
	v_add_co_u32 v4, vcc_lo, s8, v4
	v_add_co_ci_u32_e64 v5, null, s9, v5, vcc_lo
.LBB68_3:
	s_clause 0x1
	s_load_dword s8, s[4:5], 0x18
	s_load_dword s7, s[4:5], 0x0
	s_lshl_b64 s[0:1], s[2:3], 3
	v_lshlrev_b32_e32 v110, 3, v0
	s_waitcnt vmcnt(0)
	v_add_co_u32 v80, vcc_lo, v6, s0
	v_add_co_ci_u32_e64 v81, null, s1, v7, vcc_lo
	s_waitcnt lgkmcnt(0)
	v_add3_u32 v8, s8, s8, v0
	s_ashr_i32 s9, s8, 31
	s_max_i32 s0, s7, 35
	s_lshl_b64 s[10:11], s[8:9], 3
	v_mul_lo_u32 v1, s0, v1
	v_add_nc_u32_e32 v10, s8, v8
	v_ashrrev_i32_e32 v9, 31, v8
	s_cmp_lt_i32 s7, 2
	v_ashrrev_i32_e32 v11, 31, v10
	v_add_nc_u32_e32 v12, s8, v10
	v_lshlrev_b64 v[8:9], 3, v[8:9]
	v_lshlrev_b64 v[6:7], 3, v[10:11]
	v_add_nc_u32_e32 v10, s8, v12
	v_ashrrev_i32_e32 v13, 31, v12
	v_add_co_u32 v8, vcc_lo, v80, v8
	v_add_co_ci_u32_e64 v9, null, v81, v9, vcc_lo
	v_add_nc_u32_e32 v14, s8, v10
	v_ashrrev_i32_e32 v11, 31, v10
	v_lshlrev_b64 v[12:13], 3, v[12:13]
	v_add_co_u32 v6, vcc_lo, v80, v6
	v_add_nc_u32_e32 v16, s8, v14
	v_ashrrev_i32_e32 v15, 31, v14
	v_lshlrev_b64 v[10:11], 3, v[10:11]
	v_add_co_ci_u32_e64 v7, null, v81, v7, vcc_lo
	v_add_nc_u32_e32 v18, s8, v16
	v_ashrrev_i32_e32 v17, 31, v16
	v_lshlrev_b64 v[14:15], 3, v[14:15]
	v_add_co_u32 v12, vcc_lo, v80, v12
	v_add_nc_u32_e32 v20, s8, v18
	v_ashrrev_i32_e32 v19, 31, v18
	v_lshlrev_b64 v[16:17], 3, v[16:17]
	v_add_co_ci_u32_e64 v13, null, v81, v13, vcc_lo
	v_add_nc_u32_e32 v22, s8, v20
	v_ashrrev_i32_e32 v21, 31, v20
	v_add_co_u32 v10, vcc_lo, v80, v10
	v_lshlrev_b64 v[18:19], 3, v[18:19]
	v_add_nc_u32_e32 v24, s8, v22
	v_ashrrev_i32_e32 v23, 31, v22
	v_add_co_ci_u32_e64 v11, null, v81, v11, vcc_lo
	v_add_co_u32 v14, vcc_lo, v80, v14
	v_add_nc_u32_e32 v26, s8, v24
	v_ashrrev_i32_e32 v25, 31, v24
	v_lshlrev_b64 v[20:21], 3, v[20:21]
	v_add_co_ci_u32_e64 v15, null, v81, v15, vcc_lo
	v_add_nc_u32_e32 v28, s8, v26
	v_ashrrev_i32_e32 v27, 31, v26
	v_add_co_u32 v16, vcc_lo, v80, v16
	v_lshlrev_b64 v[22:23], 3, v[22:23]
	v_add_nc_u32_e32 v30, s8, v28
	v_ashrrev_i32_e32 v29, 31, v28
	v_add_co_ci_u32_e64 v17, null, v81, v17, vcc_lo
	v_add_co_u32 v18, vcc_lo, v80, v18
	v_add_nc_u32_e32 v32, s8, v30
	v_lshlrev_b64 v[24:25], 3, v[24:25]
	v_ashrrev_i32_e32 v31, 31, v30
	v_add_co_ci_u32_e64 v19, null, v81, v19, vcc_lo
	v_add_nc_u32_e32 v34, s8, v32
	v_add_co_u32 v20, vcc_lo, v80, v20
	v_lshlrev_b64 v[26:27], 3, v[26:27]
	v_ashrrev_i32_e32 v33, 31, v32
	v_add_nc_u32_e32 v36, s8, v34
	v_add_co_ci_u32_e64 v21, null, v81, v21, vcc_lo
	v_add_co_u32 v22, vcc_lo, v80, v22
	v_add_nc_u32_e32 v38, s8, v36
	v_lshlrev_b64 v[28:29], 3, v[28:29]
	v_ashrrev_i32_e32 v35, 31, v34
	v_add_co_ci_u32_e64 v23, null, v81, v23, vcc_lo
	v_add_co_u32 v24, vcc_lo, v80, v24
	v_lshlrev_b64 v[30:31], 3, v[30:31]
	v_ashrrev_i32_e32 v37, 31, v36
	v_add_nc_u32_e32 v40, s8, v38
	v_add_co_ci_u32_e64 v25, null, v81, v25, vcc_lo
	v_add_co_u32 v26, vcc_lo, v80, v26
	v_lshlrev_b64 v[32:33], 3, v[32:33]
	v_ashrrev_i32_e32 v39, 31, v38
	v_add_co_ci_u32_e64 v27, null, v81, v27, vcc_lo
	v_add_co_u32 v28, vcc_lo, v80, v28
	v_lshlrev_b64 v[34:35], 3, v[34:35]
	v_add_co_ci_u32_e64 v29, null, v81, v29, vcc_lo
	v_add_co_u32 v30, vcc_lo, v80, v30
	v_lshlrev_b64 v[36:37], 3, v[36:37]
	v_add_nc_u32_e32 v42, s8, v40
	v_add_co_ci_u32_e64 v31, null, v81, v31, vcc_lo
	v_add_co_u32 v32, vcc_lo, v80, v32
	v_lshlrev_b64 v[38:39], 3, v[38:39]
	v_ashrrev_i32_e32 v41, 31, v40
	v_add_co_ci_u32_e64 v33, null, v81, v33, vcc_lo
	v_add_co_u32 v34, vcc_lo, v80, v34
	v_ashrrev_i32_e32 v43, 31, v42
	v_add_nc_u32_e32 v44, s8, v42
	v_add_co_ci_u32_e64 v35, null, v81, v35, vcc_lo
	v_add_co_u32 v36, vcc_lo, v80, v36
	v_lshlrev_b64 v[40:41], 3, v[40:41]
	v_add_co_ci_u32_e64 v37, null, v81, v37, vcc_lo
	v_add_co_u32 v74, vcc_lo, v80, v38
	v_add_co_ci_u32_e64 v75, null, v81, v39, vcc_lo
	v_lshlrev_b64 v[38:39], 3, v[42:43]
	v_ashrrev_i32_e32 v45, 31, v44
	v_add_nc_u32_e32 v42, s8, v44
	v_add_co_u32 v76, vcc_lo, v80, v40
	v_add_co_ci_u32_e64 v77, null, v81, v41, vcc_lo
	v_lshlrev_b64 v[40:41], 3, v[44:45]
	v_ashrrev_i32_e32 v43, 31, v42
	v_add_nc_u32_e32 v44, s8, v42
	;; [unrolled: 5-line block ×11, first 2 shown]
	v_add_co_u32 v98, vcc_lo, v80, v40
	v_add_co_ci_u32_e64 v99, null, v81, v41, vcc_lo
	v_lshlrev_b64 v[40:41], 3, v[44:45]
	v_add_nc_u32_e32 v44, s8, v42
	v_ashrrev_i32_e32 v43, 31, v42
	v_add_co_u32 v100, vcc_lo, v80, v38
	v_add_co_ci_u32_e64 v101, null, v81, v39, vcc_lo
	v_ashrrev_i32_e32 v45, 31, v44
	v_lshlrev_b64 v[38:39], 3, v[42:43]
	v_add_co_u32 v102, vcc_lo, v80, v40
	v_add_co_ci_u32_e64 v103, null, v81, v41, vcc_lo
	v_lshlrev_b64 v[40:41], 3, v[44:45]
	v_add_nc_u32_e32 v42, s8, v44
	v_add_co_u32 v104, vcc_lo, v80, v38
	v_add_co_ci_u32_e64 v105, null, v81, v39, vcc_lo
	v_ashrrev_i32_e32 v43, 31, v42
	v_add_co_u32 v106, vcc_lo, v80, v40
	v_add_co_ci_u32_e64 v107, null, v81, v41, vcc_lo
	v_add_co_u32 v40, vcc_lo, v80, v110
	v_add_co_ci_u32_e64 v41, null, 0, v81, vcc_lo
	v_lshlrev_b64 v[38:39], 3, v[42:43]
	v_add_co_u32 v42, vcc_lo, v40, s10
	v_add_co_ci_u32_e64 v43, null, s11, v41, vcc_lo
	v_add_co_u32 v108, vcc_lo, v80, v38
	v_add_co_ci_u32_e64 v109, null, v81, v39, vcc_lo
	s_clause 0x22
	flat_load_dwordx2 v[72:73], v[40:41]
	flat_load_dwordx2 v[68:69], v[42:43]
	;; [unrolled: 1-line block ×35, first 2 shown]
	v_lshl_add_u32 v82, v1, 3, 0
	v_lshlrev_b32_e32 v83, 3, v1
	v_mov_b32_e32 v78, 0
	v_add_nc_u32_e32 v76, v82, v110
	s_waitcnt vmcnt(34) lgkmcnt(34)
	ds_write_b64 v76, v[72:73]
	s_waitcnt vmcnt(0) lgkmcnt(0)
	s_barrier
	buffer_gl0_inv
	ds_read_b64 v[76:77], v82
	s_cbranch_scc1 .LBB68_6
; %bb.4:
	v_add3_u32 v1, v83, 0, 8
	v_mov_b32_e32 v78, 0
	s_mov_b32 s0, 1
.LBB68_5:                               ; =>This Inner Loop Header: Depth=1
	ds_read_b64 v[84:85], v1
	v_add_nc_u32_e32 v1, 8, v1
	s_waitcnt lgkmcnt(0)
	v_cmp_lt_f64_e64 vcc_lo, |v[76:77]|, |v[84:85]|
	v_cndmask_b32_e32 v77, v77, v85, vcc_lo
	v_cndmask_b32_e32 v76, v76, v84, vcc_lo
	v_cndmask_b32_e64 v78, v78, s0, vcc_lo
	s_add_i32 s0, s0, 1
	s_cmp_eq_u32 s7, s0
	s_cbranch_scc0 .LBB68_5
.LBB68_6:
	s_mov_b32 s0, exec_lo
                                        ; implicit-def: $vgpr85
	v_cmpx_ne_u32_e64 v0, v78
	s_xor_b32 s0, exec_lo, s0
	s_cbranch_execz .LBB68_12
; %bb.7:
	s_mov_b32 s1, exec_lo
	v_cmpx_eq_u32_e32 0, v0
	s_cbranch_execz .LBB68_11
; %bb.8:
	v_cmp_ne_u32_e32 vcc_lo, 0, v78
	s_xor_b32 s2, s6, -1
	s_and_b32 s3, s2, vcc_lo
	s_and_saveexec_b32 s2, s3
	s_cbranch_execz .LBB68_10
; %bb.9:
	v_ashrrev_i32_e32 v79, 31, v78
	v_lshlrev_b64 v[0:1], 2, v[78:79]
	v_add_co_u32 v0, vcc_lo, v4, v0
	v_add_co_ci_u32_e64 v1, null, v5, v1, vcc_lo
	s_clause 0x1
	global_load_dword v79, v[0:1], off
	global_load_dword v84, v[4:5], off
	s_waitcnt vmcnt(1)
	global_store_dword v[4:5], v79, off
	s_waitcnt vmcnt(0)
	global_store_dword v[0:1], v84, off
.LBB68_10:
	s_or_b32 exec_lo, exec_lo, s2
	v_mov_b32_e32 v0, v78
.LBB68_11:
	s_or_b32 exec_lo, exec_lo, s1
	v_mov_b32_e32 v85, v0
                                        ; implicit-def: $vgpr0
.LBB68_12:
	s_or_saveexec_b32 s0, s0
	v_mov_b32_e32 v79, v85
	s_xor_b32 exec_lo, exec_lo, s0
	s_cbranch_execz .LBB68_14
; %bb.13:
	v_mov_b32_e32 v85, 0
	v_mov_b32_e32 v79, v0
	ds_write2_b64 v82, v[68:69], v[70:71] offset0:1 offset1:2
	ds_write2_b64 v82, v[64:65], v[66:67] offset0:3 offset1:4
	;; [unrolled: 1-line block ×17, first 2 shown]
.LBB68_14:
	s_or_b32 exec_lo, exec_lo, s0
	s_waitcnt lgkmcnt(0)
	v_cmp_eq_f64_e64 s0, 0, v[76:77]
	s_mov_b32 s1, exec_lo
	s_waitcnt_vscnt null, 0x0
	s_barrier
	buffer_gl0_inv
	v_cmpx_lt_i32_e32 0, v85
	s_cbranch_execz .LBB68_16
; %bb.15:
	v_div_scale_f64 v[0:1], null, v[76:77], v[76:77], 1.0
	v_div_scale_f64 v[90:91], vcc_lo, 1.0, v[76:77], 1.0
	v_rcp_f64_e32 v[86:87], v[0:1]
	v_fma_f64 v[88:89], -v[0:1], v[86:87], 1.0
	v_fma_f64 v[86:87], v[86:87], v[88:89], v[86:87]
	v_fma_f64 v[88:89], -v[0:1], v[86:87], 1.0
	v_fma_f64 v[86:87], v[86:87], v[88:89], v[86:87]
	v_mul_f64 v[88:89], v[90:91], v[86:87]
	v_fma_f64 v[0:1], -v[0:1], v[88:89], v[90:91]
	v_div_fmas_f64 v[0:1], v[0:1], v[86:87], v[88:89]
	ds_read2_b64 v[86:89], v82 offset0:1 offset1:2
	ds_read2_b64 v[90:93], v82 offset0:3 offset1:4
	;; [unrolled: 1-line block ×17, first 2 shown]
	v_div_fixup_f64 v[0:1], v[0:1], v[76:77], 1.0
	v_cndmask_b32_e64 v1, v1, v77, s0
	v_cndmask_b32_e64 v0, v0, v76, s0
	v_mul_f64 v[72:73], v[0:1], v[72:73]
	s_waitcnt lgkmcnt(16)
	v_fma_f64 v[68:69], -v[72:73], v[86:87], v[68:69]
	v_fma_f64 v[70:71], -v[72:73], v[88:89], v[70:71]
	s_waitcnt lgkmcnt(15)
	v_fma_f64 v[64:65], -v[72:73], v[90:91], v[64:65]
	v_fma_f64 v[66:67], -v[72:73], v[92:93], v[66:67]
	;; [unrolled: 3-line block ×17, first 2 shown]
.LBB68_16:
	s_or_b32 exec_lo, exec_lo, s1
	v_lshl_add_u32 v0, v85, 3, v82
	s_barrier
	buffer_gl0_inv
	v_mov_b32_e32 v76, 1
	ds_write_b64 v0, v[68:69]
	s_waitcnt lgkmcnt(0)
	s_barrier
	buffer_gl0_inv
	ds_read_b64 v[0:1], v82 offset:8
	s_cmp_lt_i32 s7, 3
	s_cbranch_scc1 .LBB68_19
; %bb.17:
	v_add3_u32 v77, v83, 0, 16
	v_mov_b32_e32 v76, 1
	s_mov_b32 s1, 2
.LBB68_18:                              ; =>This Inner Loop Header: Depth=1
	ds_read_b64 v[86:87], v77
	v_add_nc_u32_e32 v77, 8, v77
	s_waitcnt lgkmcnt(0)
	v_cmp_lt_f64_e64 vcc_lo, |v[0:1]|, |v[86:87]|
	v_cndmask_b32_e32 v1, v1, v87, vcc_lo
	v_cndmask_b32_e32 v0, v0, v86, vcc_lo
	v_cndmask_b32_e64 v76, v76, s1, vcc_lo
	s_add_i32 s1, s1, 1
	s_cmp_lg_u32 s7, s1
	s_cbranch_scc1 .LBB68_18
.LBB68_19:
	s_mov_b32 s1, exec_lo
	v_cmpx_ne_u32_e64 v85, v76
	s_xor_b32 s1, exec_lo, s1
	s_cbranch_execz .LBB68_25
; %bb.20:
	s_mov_b32 s2, exec_lo
	v_cmpx_eq_u32_e32 1, v85
	s_cbranch_execz .LBB68_24
; %bb.21:
	v_cmp_ne_u32_e32 vcc_lo, 1, v76
	s_xor_b32 s3, s6, -1
	s_and_b32 s9, s3, vcc_lo
	s_and_saveexec_b32 s3, s9
	s_cbranch_execz .LBB68_23
; %bb.22:
	v_ashrrev_i32_e32 v77, 31, v76
	v_lshlrev_b64 v[77:78], 2, v[76:77]
	v_add_co_u32 v77, vcc_lo, v4, v77
	v_add_co_ci_u32_e64 v78, null, v5, v78, vcc_lo
	s_clause 0x1
	global_load_dword v79, v[77:78], off
	global_load_dword v84, v[4:5], off offset:4
	s_waitcnt vmcnt(1)
	global_store_dword v[4:5], v79, off offset:4
	s_waitcnt vmcnt(0)
	global_store_dword v[77:78], v84, off
.LBB68_23:
	s_or_b32 exec_lo, exec_lo, s3
	v_mov_b32_e32 v79, v76
	v_mov_b32_e32 v85, v76
.LBB68_24:
	s_or_b32 exec_lo, exec_lo, s2
.LBB68_25:
	s_andn2_saveexec_b32 s1, s1
	s_cbranch_execz .LBB68_27
; %bb.26:
	v_mov_b32_e32 v76, v70
	v_mov_b32_e32 v77, v71
	;; [unrolled: 1-line block ×8, first 2 shown]
	ds_write2_b64 v82, v[76:77], v[84:85] offset0:2 offset1:3
	ds_write2_b64 v82, v[86:87], v[88:89] offset0:4 offset1:5
	v_mov_b32_e32 v76, v60
	v_mov_b32_e32 v77, v61
	;; [unrolled: 1-line block ×20, first 2 shown]
	ds_write2_b64 v82, v[76:77], v[84:85] offset0:6 offset1:7
	ds_write2_b64 v82, v[86:87], v[88:89] offset0:8 offset1:9
	;; [unrolled: 1-line block ×5, first 2 shown]
	v_mov_b32_e32 v76, v40
	v_mov_b32_e32 v77, v41
	;; [unrolled: 1-line block ×20, first 2 shown]
	ds_write2_b64 v82, v[76:77], v[84:85] offset0:16 offset1:17
	ds_write2_b64 v82, v[86:87], v[88:89] offset0:18 offset1:19
	;; [unrolled: 1-line block ×5, first 2 shown]
	v_mov_b32_e32 v76, v20
	v_mov_b32_e32 v77, v21
	;; [unrolled: 1-line block ×8, first 2 shown]
	ds_write2_b64 v82, v[76:77], v[84:85] offset0:26 offset1:27
	v_mov_b32_e32 v85, 1
	v_mov_b32_e32 v90, v12
	;; [unrolled: 1-line block ×9, first 2 shown]
	ds_write2_b64 v82, v[86:87], v[88:89] offset0:28 offset1:29
	ds_write2_b64 v82, v[90:91], v[92:93] offset0:30 offset1:31
	;; [unrolled: 1-line block ×3, first 2 shown]
	ds_write_b64 v82, v[74:75] offset:272
.LBB68_27:
	s_or_b32 exec_lo, exec_lo, s1
	s_waitcnt lgkmcnt(0)
	v_cmp_neq_f64_e64 s1, 0, v[0:1]
	s_mov_b32 s2, exec_lo
	s_waitcnt_vscnt null, 0x0
	s_barrier
	buffer_gl0_inv
	v_cmpx_lt_i32_e32 1, v85
	s_cbranch_execz .LBB68_29
; %bb.28:
	v_div_scale_f64 v[76:77], null, v[0:1], v[0:1], 1.0
	v_div_scale_f64 v[90:91], vcc_lo, 1.0, v[0:1], 1.0
	v_rcp_f64_e32 v[86:87], v[76:77]
	v_fma_f64 v[88:89], -v[76:77], v[86:87], 1.0
	v_fma_f64 v[86:87], v[86:87], v[88:89], v[86:87]
	v_fma_f64 v[88:89], -v[76:77], v[86:87], 1.0
	v_fma_f64 v[86:87], v[86:87], v[88:89], v[86:87]
	v_mul_f64 v[88:89], v[90:91], v[86:87]
	v_fma_f64 v[76:77], -v[76:77], v[88:89], v[90:91]
	v_div_fmas_f64 v[76:77], v[76:77], v[86:87], v[88:89]
	v_div_fixup_f64 v[76:77], v[76:77], v[0:1], 1.0
	v_cndmask_b32_e64 v1, v1, v77, s1
	v_cndmask_b32_e64 v0, v0, v76, s1
	v_mul_f64 v[68:69], v[0:1], v[68:69]
	ds_read2_b64 v[86:89], v82 offset0:2 offset1:3
	ds_read2_b64 v[90:93], v82 offset0:4 offset1:5
	;; [unrolled: 1-line block ×16, first 2 shown]
	ds_read_b64 v[0:1], v82 offset:272
	s_waitcnt lgkmcnt(16)
	v_fma_f64 v[70:71], -v[68:69], v[86:87], v[70:71]
	v_fma_f64 v[64:65], -v[68:69], v[88:89], v[64:65]
	s_waitcnt lgkmcnt(15)
	v_fma_f64 v[66:67], -v[68:69], v[90:91], v[66:67]
	v_fma_f64 v[62:63], -v[68:69], v[92:93], v[62:63]
	;; [unrolled: 3-line block ×16, first 2 shown]
	s_waitcnt lgkmcnt(0)
	v_fma_f64 v[74:75], -v[68:69], v[0:1], v[74:75]
.LBB68_29:
	s_or_b32 exec_lo, exec_lo, s2
	v_lshl_add_u32 v0, v85, 3, v82
	s_barrier
	buffer_gl0_inv
	v_mov_b32_e32 v76, 2
	ds_write_b64 v0, v[70:71]
	s_waitcnt lgkmcnt(0)
	s_barrier
	buffer_gl0_inv
	ds_read_b64 v[0:1], v82 offset:16
	s_cmp_lt_i32 s7, 4
	s_mov_b32 s2, 3
	s_cbranch_scc1 .LBB68_32
; %bb.30:
	v_add3_u32 v77, v83, 0, 24
	v_mov_b32_e32 v76, 2
.LBB68_31:                              ; =>This Inner Loop Header: Depth=1
	ds_read_b64 v[86:87], v77
	v_add_nc_u32_e32 v77, 8, v77
	s_waitcnt lgkmcnt(0)
	v_cmp_lt_f64_e64 vcc_lo, |v[0:1]|, |v[86:87]|
	v_cndmask_b32_e32 v1, v1, v87, vcc_lo
	v_cndmask_b32_e32 v0, v0, v86, vcc_lo
	v_cndmask_b32_e64 v76, v76, s2, vcc_lo
	s_add_i32 s2, s2, 1
	s_cmp_lg_u32 s7, s2
	s_cbranch_scc1 .LBB68_31
.LBB68_32:
	v_cndmask_b32_e64 v77, 2, 1, s0
	v_cndmask_b32_e64 v78, 0, 1, s0
	s_mov_b32 s0, exec_lo
	v_cndmask_b32_e64 v84, v77, v78, s1
	s_waitcnt lgkmcnt(0)
	v_cmpx_eq_f64_e32 0, v[0:1]
	s_xor_b32 s0, exec_lo, s0
; %bb.33:
	v_cmp_ne_u32_e32 vcc_lo, 0, v84
	v_cndmask_b32_e32 v84, 3, v84, vcc_lo
; %bb.34:
	s_andn2_saveexec_b32 s0, s0
	s_cbranch_execz .LBB68_36
; %bb.35:
	v_div_scale_f64 v[77:78], null, v[0:1], v[0:1], 1.0
	v_rcp_f64_e32 v[86:87], v[77:78]
	v_fma_f64 v[88:89], -v[77:78], v[86:87], 1.0
	v_fma_f64 v[86:87], v[86:87], v[88:89], v[86:87]
	v_fma_f64 v[88:89], -v[77:78], v[86:87], 1.0
	v_fma_f64 v[86:87], v[86:87], v[88:89], v[86:87]
	v_div_scale_f64 v[88:89], vcc_lo, 1.0, v[0:1], 1.0
	v_mul_f64 v[90:91], v[88:89], v[86:87]
	v_fma_f64 v[77:78], -v[77:78], v[90:91], v[88:89]
	v_div_fmas_f64 v[77:78], v[77:78], v[86:87], v[90:91]
	v_div_fixup_f64 v[0:1], v[77:78], v[0:1], 1.0
.LBB68_36:
	s_or_b32 exec_lo, exec_lo, s0
	s_mov_b32 s0, exec_lo
	v_cmpx_ne_u32_e64 v85, v76
	s_xor_b32 s0, exec_lo, s0
	s_cbranch_execz .LBB68_42
; %bb.37:
	s_mov_b32 s1, exec_lo
	v_cmpx_eq_u32_e32 2, v85
	s_cbranch_execz .LBB68_41
; %bb.38:
	v_cmp_ne_u32_e32 vcc_lo, 2, v76
	s_xor_b32 s2, s6, -1
	s_and_b32 s3, s2, vcc_lo
	s_and_saveexec_b32 s2, s3
	s_cbranch_execz .LBB68_40
; %bb.39:
	v_ashrrev_i32_e32 v77, 31, v76
	v_lshlrev_b64 v[77:78], 2, v[76:77]
	v_add_co_u32 v77, vcc_lo, v4, v77
	v_add_co_ci_u32_e64 v78, null, v5, v78, vcc_lo
	s_clause 0x1
	global_load_dword v79, v[77:78], off
	global_load_dword v85, v[4:5], off offset:8
	s_waitcnt vmcnt(1)
	global_store_dword v[4:5], v79, off offset:8
	s_waitcnt vmcnt(0)
	global_store_dword v[77:78], v85, off
.LBB68_40:
	s_or_b32 exec_lo, exec_lo, s2
	v_mov_b32_e32 v79, v76
	v_mov_b32_e32 v85, v76
.LBB68_41:
	s_or_b32 exec_lo, exec_lo, s1
.LBB68_42:
	s_andn2_saveexec_b32 s0, s0
	s_cbranch_execz .LBB68_44
; %bb.43:
	v_mov_b32_e32 v85, 2
	ds_write2_b64 v82, v[64:65], v[66:67] offset0:3 offset1:4
	ds_write2_b64 v82, v[62:63], v[60:61] offset0:5 offset1:6
	;; [unrolled: 1-line block ×16, first 2 shown]
.LBB68_44:
	s_or_b32 exec_lo, exec_lo, s0
	s_mov_b32 s0, exec_lo
	s_waitcnt lgkmcnt(0)
	s_waitcnt_vscnt null, 0x0
	s_barrier
	buffer_gl0_inv
	v_cmpx_lt_i32_e32 2, v85
	s_cbranch_execz .LBB68_46
; %bb.45:
	v_mul_f64 v[70:71], v[0:1], v[70:71]
	ds_read2_b64 v[86:89], v82 offset0:3 offset1:4
	ds_read2_b64 v[90:93], v82 offset0:5 offset1:6
	;; [unrolled: 1-line block ×13, first 2 shown]
	s_waitcnt lgkmcnt(12)
	v_fma_f64 v[64:65], -v[70:71], v[86:87], v[64:65]
	v_fma_f64 v[66:67], -v[70:71], v[88:89], v[66:67]
	s_waitcnt lgkmcnt(11)
	v_fma_f64 v[62:63], -v[70:71], v[90:91], v[62:63]
	v_fma_f64 v[60:61], -v[70:71], v[92:93], v[60:61]
	;; [unrolled: 3-line block ×3, first 2 shown]
	ds_read2_b64 v[86:89], v82 offset0:29 offset1:30
	ds_read2_b64 v[90:93], v82 offset0:31 offset1:32
	;; [unrolled: 1-line block ×3, first 2 shown]
	s_waitcnt lgkmcnt(12)
	v_fma_f64 v[54:55], -v[70:71], v[98:99], v[54:55]
	v_fma_f64 v[52:53], -v[70:71], v[100:101], v[52:53]
	s_waitcnt lgkmcnt(11)
	v_fma_f64 v[48:49], -v[70:71], v[102:103], v[48:49]
	v_fma_f64 v[50:51], -v[70:71], v[104:105], v[50:51]
	;; [unrolled: 3-line block ×13, first 2 shown]
.LBB68_46:
	s_or_b32 exec_lo, exec_lo, s0
	v_lshl_add_u32 v0, v85, 3, v82
	s_barrier
	buffer_gl0_inv
	v_mov_b32_e32 v76, 3
	ds_write_b64 v0, v[64:65]
	s_waitcnt lgkmcnt(0)
	s_barrier
	buffer_gl0_inv
	ds_read_b64 v[0:1], v82 offset:24
	s_cmp_lt_i32 s7, 5
	s_cbranch_scc1 .LBB68_49
; %bb.47:
	v_mov_b32_e32 v76, 3
	v_add3_u32 v77, v83, 0, 32
	s_mov_b32 s0, 4
.LBB68_48:                              ; =>This Inner Loop Header: Depth=1
	ds_read_b64 v[86:87], v77
	v_add_nc_u32_e32 v77, 8, v77
	s_waitcnt lgkmcnt(0)
	v_cmp_lt_f64_e64 vcc_lo, |v[0:1]|, |v[86:87]|
	v_cndmask_b32_e32 v1, v1, v87, vcc_lo
	v_cndmask_b32_e32 v0, v0, v86, vcc_lo
	v_cndmask_b32_e64 v76, v76, s0, vcc_lo
	s_add_i32 s0, s0, 1
	s_cmp_lg_u32 s7, s0
	s_cbranch_scc1 .LBB68_48
.LBB68_49:
	s_mov_b32 s0, exec_lo
	s_waitcnt lgkmcnt(0)
	v_cmpx_eq_f64_e32 0, v[0:1]
	s_xor_b32 s0, exec_lo, s0
; %bb.50:
	v_cmp_ne_u32_e32 vcc_lo, 0, v84
	v_cndmask_b32_e32 v84, 4, v84, vcc_lo
; %bb.51:
	s_andn2_saveexec_b32 s0, s0
	s_cbranch_execz .LBB68_53
; %bb.52:
	v_div_scale_f64 v[77:78], null, v[0:1], v[0:1], 1.0
	v_rcp_f64_e32 v[86:87], v[77:78]
	v_fma_f64 v[88:89], -v[77:78], v[86:87], 1.0
	v_fma_f64 v[86:87], v[86:87], v[88:89], v[86:87]
	v_fma_f64 v[88:89], -v[77:78], v[86:87], 1.0
	v_fma_f64 v[86:87], v[86:87], v[88:89], v[86:87]
	v_div_scale_f64 v[88:89], vcc_lo, 1.0, v[0:1], 1.0
	v_mul_f64 v[90:91], v[88:89], v[86:87]
	v_fma_f64 v[77:78], -v[77:78], v[90:91], v[88:89]
	v_div_fmas_f64 v[77:78], v[77:78], v[86:87], v[90:91]
	v_div_fixup_f64 v[0:1], v[77:78], v[0:1], 1.0
.LBB68_53:
	s_or_b32 exec_lo, exec_lo, s0
	s_mov_b32 s0, exec_lo
	v_cmpx_ne_u32_e64 v85, v76
	s_xor_b32 s0, exec_lo, s0
	s_cbranch_execz .LBB68_59
; %bb.54:
	s_mov_b32 s1, exec_lo
	v_cmpx_eq_u32_e32 3, v85
	s_cbranch_execz .LBB68_58
; %bb.55:
	v_cmp_ne_u32_e32 vcc_lo, 3, v76
	s_xor_b32 s2, s6, -1
	s_and_b32 s3, s2, vcc_lo
	s_and_saveexec_b32 s2, s3
	s_cbranch_execz .LBB68_57
; %bb.56:
	v_ashrrev_i32_e32 v77, 31, v76
	v_lshlrev_b64 v[77:78], 2, v[76:77]
	v_add_co_u32 v77, vcc_lo, v4, v77
	v_add_co_ci_u32_e64 v78, null, v5, v78, vcc_lo
	s_clause 0x1
	global_load_dword v79, v[77:78], off
	global_load_dword v85, v[4:5], off offset:12
	s_waitcnt vmcnt(1)
	global_store_dword v[4:5], v79, off offset:12
	s_waitcnt vmcnt(0)
	global_store_dword v[77:78], v85, off
.LBB68_57:
	s_or_b32 exec_lo, exec_lo, s2
	v_mov_b32_e32 v79, v76
	v_mov_b32_e32 v85, v76
.LBB68_58:
	s_or_b32 exec_lo, exec_lo, s1
.LBB68_59:
	s_andn2_saveexec_b32 s0, s0
	s_cbranch_execz .LBB68_61
; %bb.60:
	v_mov_b32_e32 v76, v66
	v_mov_b32_e32 v77, v67
	;; [unrolled: 1-line block ×8, first 2 shown]
	ds_write2_b64 v82, v[76:77], v[85:86] offset0:4 offset1:5
	v_mov_b32_e32 v76, v58
	v_mov_b32_e32 v77, v59
	;; [unrolled: 1-line block ×16, first 2 shown]
	ds_write2_b64 v82, v[87:88], v[76:77] offset0:6 offset1:7
	ds_write2_b64 v82, v[85:86], v[89:90] offset0:8 offset1:9
	;; [unrolled: 1-line block ×5, first 2 shown]
	v_mov_b32_e32 v76, v40
	v_mov_b32_e32 v77, v41
	v_mov_b32_e32 v85, v38
	v_mov_b32_e32 v86, v39
	v_mov_b32_e32 v87, v36
	v_mov_b32_e32 v88, v37
	v_mov_b32_e32 v89, v34
	v_mov_b32_e32 v90, v35
	v_mov_b32_e32 v91, v32
	v_mov_b32_e32 v92, v33
	v_mov_b32_e32 v93, v28
	v_mov_b32_e32 v94, v29
	v_mov_b32_e32 v95, v30
	v_mov_b32_e32 v96, v31
	v_mov_b32_e32 v97, v24
	v_mov_b32_e32 v98, v25
	v_mov_b32_e32 v99, v26
	v_mov_b32_e32 v100, v27
	v_mov_b32_e32 v101, v22
	v_mov_b32_e32 v102, v23
	ds_write2_b64 v82, v[76:77], v[85:86] offset0:16 offset1:17
	ds_write2_b64 v82, v[87:88], v[89:90] offset0:18 offset1:19
	;; [unrolled: 1-line block ×5, first 2 shown]
	v_mov_b32_e32 v76, v20
	v_mov_b32_e32 v77, v21
	;; [unrolled: 1-line block ×8, first 2 shown]
	ds_write2_b64 v82, v[76:77], v[85:86] offset0:26 offset1:27
	v_mov_b32_e32 v85, 3
	v_mov_b32_e32 v91, v12
	;; [unrolled: 1-line block ×9, first 2 shown]
	ds_write2_b64 v82, v[87:88], v[89:90] offset0:28 offset1:29
	ds_write2_b64 v82, v[91:92], v[93:94] offset0:30 offset1:31
	;; [unrolled: 1-line block ×3, first 2 shown]
	ds_write_b64 v82, v[74:75] offset:272
.LBB68_61:
	s_or_b32 exec_lo, exec_lo, s0
	s_mov_b32 s0, exec_lo
	s_waitcnt lgkmcnt(0)
	s_waitcnt_vscnt null, 0x0
	s_barrier
	buffer_gl0_inv
	v_cmpx_lt_i32_e32 3, v85
	s_cbranch_execz .LBB68_63
; %bb.62:
	v_mul_f64 v[64:65], v[0:1], v[64:65]
	ds_read2_b64 v[86:89], v82 offset0:4 offset1:5
	ds_read2_b64 v[90:93], v82 offset0:6 offset1:7
	;; [unrolled: 1-line block ×13, first 2 shown]
	ds_read_b64 v[0:1], v82 offset:272
	s_waitcnt lgkmcnt(13)
	v_fma_f64 v[66:67], -v[64:65], v[86:87], v[66:67]
	v_fma_f64 v[62:63], -v[64:65], v[88:89], v[62:63]
	s_waitcnt lgkmcnt(12)
	v_fma_f64 v[60:61], -v[64:65], v[90:91], v[60:61]
	v_fma_f64 v[58:59], -v[64:65], v[92:93], v[58:59]
	ds_read2_b64 v[86:89], v82 offset0:30 offset1:31
	ds_read2_b64 v[90:93], v82 offset0:32 offset1:33
	s_waitcnt lgkmcnt(13)
	v_fma_f64 v[56:57], -v[64:65], v[94:95], v[56:57]
	v_fma_f64 v[54:55], -v[64:65], v[96:97], v[54:55]
	s_waitcnt lgkmcnt(12)
	v_fma_f64 v[52:53], -v[64:65], v[98:99], v[52:53]
	v_fma_f64 v[48:49], -v[64:65], v[100:101], v[48:49]
	s_waitcnt lgkmcnt(11)
	v_fma_f64 v[50:51], -v[64:65], v[102:103], v[50:51]
	v_fma_f64 v[44:45], -v[64:65], v[104:105], v[44:45]
	s_waitcnt lgkmcnt(10)
	v_fma_f64 v[46:47], -v[64:65], v[106:107], v[46:47]
	v_fma_f64 v[42:43], -v[64:65], v[108:109], v[42:43]
	s_waitcnt lgkmcnt(9)
	v_fma_f64 v[40:41], -v[64:65], v[110:111], v[40:41]
	v_fma_f64 v[38:39], -v[64:65], v[112:113], v[38:39]
	s_waitcnt lgkmcnt(8)
	v_fma_f64 v[36:37], -v[64:65], v[114:115], v[36:37]
	v_fma_f64 v[34:35], -v[64:65], v[116:117], v[34:35]
	s_waitcnt lgkmcnt(7)
	v_fma_f64 v[32:33], -v[64:65], v[118:119], v[32:33]
	v_fma_f64 v[28:29], -v[64:65], v[120:121], v[28:29]
	s_waitcnt lgkmcnt(6)
	v_fma_f64 v[30:31], -v[64:65], v[122:123], v[30:31]
	v_fma_f64 v[24:25], -v[64:65], v[124:125], v[24:25]
	s_waitcnt lgkmcnt(5)
	v_fma_f64 v[26:27], -v[64:65], v[126:127], v[26:27]
	v_fma_f64 v[22:23], -v[64:65], v[128:129], v[22:23]
	s_waitcnt lgkmcnt(4)
	v_fma_f64 v[20:21], -v[64:65], v[130:131], v[20:21]
	v_fma_f64 v[18:19], -v[64:65], v[132:133], v[18:19]
	s_waitcnt lgkmcnt(3)
	v_fma_f64 v[16:17], -v[64:65], v[134:135], v[16:17]
	v_fma_f64 v[14:15], -v[64:65], v[136:137], v[14:15]
	s_waitcnt lgkmcnt(1)
	v_fma_f64 v[12:13], -v[64:65], v[86:87], v[12:13]
	v_fma_f64 v[8:9], -v[64:65], v[88:89], v[8:9]
	s_waitcnt lgkmcnt(0)
	v_fma_f64 v[10:11], -v[64:65], v[90:91], v[10:11]
	v_fma_f64 v[6:7], -v[64:65], v[92:93], v[6:7]
	v_fma_f64 v[74:75], -v[64:65], v[0:1], v[74:75]
.LBB68_63:
	s_or_b32 exec_lo, exec_lo, s0
	v_lshl_add_u32 v0, v85, 3, v82
	s_barrier
	buffer_gl0_inv
	v_mov_b32_e32 v76, 4
	ds_write_b64 v0, v[66:67]
	s_waitcnt lgkmcnt(0)
	s_barrier
	buffer_gl0_inv
	ds_read_b64 v[0:1], v82 offset:32
	s_cmp_lt_i32 s7, 6
	s_cbranch_scc1 .LBB68_66
; %bb.64:
	v_add3_u32 v77, v83, 0, 40
	v_mov_b32_e32 v76, 4
	s_mov_b32 s0, 5
.LBB68_65:                              ; =>This Inner Loop Header: Depth=1
	ds_read_b64 v[86:87], v77
	v_add_nc_u32_e32 v77, 8, v77
	s_waitcnt lgkmcnt(0)
	v_cmp_lt_f64_e64 vcc_lo, |v[0:1]|, |v[86:87]|
	v_cndmask_b32_e32 v1, v1, v87, vcc_lo
	v_cndmask_b32_e32 v0, v0, v86, vcc_lo
	v_cndmask_b32_e64 v76, v76, s0, vcc_lo
	s_add_i32 s0, s0, 1
	s_cmp_lg_u32 s7, s0
	s_cbranch_scc1 .LBB68_65
.LBB68_66:
	s_mov_b32 s0, exec_lo
	s_waitcnt lgkmcnt(0)
	v_cmpx_eq_f64_e32 0, v[0:1]
	s_xor_b32 s0, exec_lo, s0
; %bb.67:
	v_cmp_ne_u32_e32 vcc_lo, 0, v84
	v_cndmask_b32_e32 v84, 5, v84, vcc_lo
; %bb.68:
	s_andn2_saveexec_b32 s0, s0
	s_cbranch_execz .LBB68_70
; %bb.69:
	v_div_scale_f64 v[77:78], null, v[0:1], v[0:1], 1.0
	v_rcp_f64_e32 v[86:87], v[77:78]
	v_fma_f64 v[88:89], -v[77:78], v[86:87], 1.0
	v_fma_f64 v[86:87], v[86:87], v[88:89], v[86:87]
	v_fma_f64 v[88:89], -v[77:78], v[86:87], 1.0
	v_fma_f64 v[86:87], v[86:87], v[88:89], v[86:87]
	v_div_scale_f64 v[88:89], vcc_lo, 1.0, v[0:1], 1.0
	v_mul_f64 v[90:91], v[88:89], v[86:87]
	v_fma_f64 v[77:78], -v[77:78], v[90:91], v[88:89]
	v_div_fmas_f64 v[77:78], v[77:78], v[86:87], v[90:91]
	v_div_fixup_f64 v[0:1], v[77:78], v[0:1], 1.0
.LBB68_70:
	s_or_b32 exec_lo, exec_lo, s0
	s_mov_b32 s0, exec_lo
	v_cmpx_ne_u32_e64 v85, v76
	s_xor_b32 s0, exec_lo, s0
	s_cbranch_execz .LBB68_76
; %bb.71:
	s_mov_b32 s1, exec_lo
	v_cmpx_eq_u32_e32 4, v85
	s_cbranch_execz .LBB68_75
; %bb.72:
	v_cmp_ne_u32_e32 vcc_lo, 4, v76
	s_xor_b32 s2, s6, -1
	s_and_b32 s3, s2, vcc_lo
	s_and_saveexec_b32 s2, s3
	s_cbranch_execz .LBB68_74
; %bb.73:
	v_ashrrev_i32_e32 v77, 31, v76
	v_lshlrev_b64 v[77:78], 2, v[76:77]
	v_add_co_u32 v77, vcc_lo, v4, v77
	v_add_co_ci_u32_e64 v78, null, v5, v78, vcc_lo
	s_clause 0x1
	global_load_dword v79, v[77:78], off
	global_load_dword v85, v[4:5], off offset:16
	s_waitcnt vmcnt(1)
	global_store_dword v[4:5], v79, off offset:16
	s_waitcnt vmcnt(0)
	global_store_dword v[77:78], v85, off
.LBB68_74:
	s_or_b32 exec_lo, exec_lo, s2
	v_mov_b32_e32 v79, v76
	v_mov_b32_e32 v85, v76
.LBB68_75:
	s_or_b32 exec_lo, exec_lo, s1
.LBB68_76:
	s_andn2_saveexec_b32 s0, s0
	s_cbranch_execz .LBB68_78
; %bb.77:
	v_mov_b32_e32 v85, 4
	ds_write2_b64 v82, v[62:63], v[60:61] offset0:5 offset1:6
	ds_write2_b64 v82, v[58:59], v[56:57] offset0:7 offset1:8
	;; [unrolled: 1-line block ×15, first 2 shown]
.LBB68_78:
	s_or_b32 exec_lo, exec_lo, s0
	s_mov_b32 s0, exec_lo
	s_waitcnt lgkmcnt(0)
	s_waitcnt_vscnt null, 0x0
	s_barrier
	buffer_gl0_inv
	v_cmpx_lt_i32_e32 4, v85
	s_cbranch_execz .LBB68_80
; %bb.79:
	v_mul_f64 v[66:67], v[0:1], v[66:67]
	ds_read2_b64 v[86:89], v82 offset0:5 offset1:6
	ds_read2_b64 v[90:93], v82 offset0:7 offset1:8
	;; [unrolled: 1-line block ×14, first 2 shown]
	s_waitcnt lgkmcnt(13)
	v_fma_f64 v[62:63], -v[66:67], v[86:87], v[62:63]
	v_fma_f64 v[60:61], -v[66:67], v[88:89], v[60:61]
	ds_read2_b64 v[86:89], v82 offset0:33 offset1:34
	s_waitcnt lgkmcnt(13)
	v_fma_f64 v[58:59], -v[66:67], v[90:91], v[58:59]
	v_fma_f64 v[56:57], -v[66:67], v[92:93], v[56:57]
	s_waitcnt lgkmcnt(12)
	v_fma_f64 v[54:55], -v[66:67], v[94:95], v[54:55]
	v_fma_f64 v[52:53], -v[66:67], v[96:97], v[52:53]
	;; [unrolled: 3-line block ×14, first 2 shown]
.LBB68_80:
	s_or_b32 exec_lo, exec_lo, s0
	v_lshl_add_u32 v0, v85, 3, v82
	s_barrier
	buffer_gl0_inv
	v_mov_b32_e32 v76, 5
	ds_write_b64 v0, v[62:63]
	s_waitcnt lgkmcnt(0)
	s_barrier
	buffer_gl0_inv
	ds_read_b64 v[0:1], v82 offset:40
	s_cmp_lt_i32 s7, 7
	s_cbranch_scc1 .LBB68_83
; %bb.81:
	v_add3_u32 v77, v83, 0, 48
	v_mov_b32_e32 v76, 5
	s_mov_b32 s0, 6
.LBB68_82:                              ; =>This Inner Loop Header: Depth=1
	ds_read_b64 v[86:87], v77
	v_add_nc_u32_e32 v77, 8, v77
	s_waitcnt lgkmcnt(0)
	v_cmp_lt_f64_e64 vcc_lo, |v[0:1]|, |v[86:87]|
	v_cndmask_b32_e32 v1, v1, v87, vcc_lo
	v_cndmask_b32_e32 v0, v0, v86, vcc_lo
	v_cndmask_b32_e64 v76, v76, s0, vcc_lo
	s_add_i32 s0, s0, 1
	s_cmp_lg_u32 s7, s0
	s_cbranch_scc1 .LBB68_82
.LBB68_83:
	s_mov_b32 s0, exec_lo
	s_waitcnt lgkmcnt(0)
	v_cmpx_eq_f64_e32 0, v[0:1]
	s_xor_b32 s0, exec_lo, s0
; %bb.84:
	v_cmp_ne_u32_e32 vcc_lo, 0, v84
	v_cndmask_b32_e32 v84, 6, v84, vcc_lo
; %bb.85:
	s_andn2_saveexec_b32 s0, s0
	s_cbranch_execz .LBB68_87
; %bb.86:
	v_div_scale_f64 v[77:78], null, v[0:1], v[0:1], 1.0
	v_rcp_f64_e32 v[86:87], v[77:78]
	v_fma_f64 v[88:89], -v[77:78], v[86:87], 1.0
	v_fma_f64 v[86:87], v[86:87], v[88:89], v[86:87]
	v_fma_f64 v[88:89], -v[77:78], v[86:87], 1.0
	v_fma_f64 v[86:87], v[86:87], v[88:89], v[86:87]
	v_div_scale_f64 v[88:89], vcc_lo, 1.0, v[0:1], 1.0
	v_mul_f64 v[90:91], v[88:89], v[86:87]
	v_fma_f64 v[77:78], -v[77:78], v[90:91], v[88:89]
	v_div_fmas_f64 v[77:78], v[77:78], v[86:87], v[90:91]
	v_div_fixup_f64 v[0:1], v[77:78], v[0:1], 1.0
.LBB68_87:
	s_or_b32 exec_lo, exec_lo, s0
	s_mov_b32 s0, exec_lo
	v_cmpx_ne_u32_e64 v85, v76
	s_xor_b32 s0, exec_lo, s0
	s_cbranch_execz .LBB68_93
; %bb.88:
	s_mov_b32 s1, exec_lo
	v_cmpx_eq_u32_e32 5, v85
	s_cbranch_execz .LBB68_92
; %bb.89:
	v_cmp_ne_u32_e32 vcc_lo, 5, v76
	s_xor_b32 s2, s6, -1
	s_and_b32 s3, s2, vcc_lo
	s_and_saveexec_b32 s2, s3
	s_cbranch_execz .LBB68_91
; %bb.90:
	v_ashrrev_i32_e32 v77, 31, v76
	v_lshlrev_b64 v[77:78], 2, v[76:77]
	v_add_co_u32 v77, vcc_lo, v4, v77
	v_add_co_ci_u32_e64 v78, null, v5, v78, vcc_lo
	s_clause 0x1
	global_load_dword v79, v[77:78], off
	global_load_dword v85, v[4:5], off offset:20
	s_waitcnt vmcnt(1)
	global_store_dword v[4:5], v79, off offset:20
	s_waitcnt vmcnt(0)
	global_store_dword v[77:78], v85, off
.LBB68_91:
	s_or_b32 exec_lo, exec_lo, s2
	v_mov_b32_e32 v79, v76
	v_mov_b32_e32 v85, v76
.LBB68_92:
	s_or_b32 exec_lo, exec_lo, s1
.LBB68_93:
	s_andn2_saveexec_b32 s0, s0
	s_cbranch_execz .LBB68_95
; %bb.94:
	v_mov_b32_e32 v76, v60
	v_mov_b32_e32 v77, v61
	;; [unrolled: 1-line block ×20, first 2 shown]
	ds_write2_b64 v82, v[76:77], v[85:86] offset0:6 offset1:7
	ds_write2_b64 v82, v[87:88], v[89:90] offset0:8 offset1:9
	;; [unrolled: 1-line block ×5, first 2 shown]
	v_mov_b32_e32 v76, v40
	v_mov_b32_e32 v77, v41
	;; [unrolled: 1-line block ×20, first 2 shown]
	ds_write2_b64 v82, v[76:77], v[85:86] offset0:16 offset1:17
	ds_write2_b64 v82, v[87:88], v[89:90] offset0:18 offset1:19
	;; [unrolled: 1-line block ×5, first 2 shown]
	v_mov_b32_e32 v76, v20
	v_mov_b32_e32 v77, v21
	;; [unrolled: 1-line block ×8, first 2 shown]
	ds_write2_b64 v82, v[76:77], v[85:86] offset0:26 offset1:27
	v_mov_b32_e32 v85, 5
	v_mov_b32_e32 v91, v12
	;; [unrolled: 1-line block ×9, first 2 shown]
	ds_write2_b64 v82, v[87:88], v[89:90] offset0:28 offset1:29
	ds_write2_b64 v82, v[91:92], v[93:94] offset0:30 offset1:31
	;; [unrolled: 1-line block ×3, first 2 shown]
	ds_write_b64 v82, v[74:75] offset:272
.LBB68_95:
	s_or_b32 exec_lo, exec_lo, s0
	s_mov_b32 s0, exec_lo
	s_waitcnt lgkmcnt(0)
	s_waitcnt_vscnt null, 0x0
	s_barrier
	buffer_gl0_inv
	v_cmpx_lt_i32_e32 5, v85
	s_cbranch_execz .LBB68_97
; %bb.96:
	v_mul_f64 v[62:63], v[0:1], v[62:63]
	ds_read2_b64 v[86:89], v82 offset0:6 offset1:7
	ds_read2_b64 v[90:93], v82 offset0:8 offset1:9
	;; [unrolled: 1-line block ×14, first 2 shown]
	ds_read_b64 v[0:1], v82 offset:272
	s_waitcnt lgkmcnt(14)
	v_fma_f64 v[60:61], -v[62:63], v[86:87], v[60:61]
	v_fma_f64 v[58:59], -v[62:63], v[88:89], v[58:59]
	s_waitcnt lgkmcnt(13)
	v_fma_f64 v[56:57], -v[62:63], v[90:91], v[56:57]
	v_fma_f64 v[54:55], -v[62:63], v[92:93], v[54:55]
	;; [unrolled: 3-line block ×14, first 2 shown]
	s_waitcnt lgkmcnt(0)
	v_fma_f64 v[74:75], -v[62:63], v[0:1], v[74:75]
.LBB68_97:
	s_or_b32 exec_lo, exec_lo, s0
	v_lshl_add_u32 v0, v85, 3, v82
	s_barrier
	buffer_gl0_inv
	v_mov_b32_e32 v76, 6
	ds_write_b64 v0, v[60:61]
	s_waitcnt lgkmcnt(0)
	s_barrier
	buffer_gl0_inv
	ds_read_b64 v[0:1], v82 offset:48
	s_cmp_lt_i32 s7, 8
	s_cbranch_scc1 .LBB68_100
; %bb.98:
	v_add3_u32 v77, v83, 0, 56
	v_mov_b32_e32 v76, 6
	s_mov_b32 s0, 7
.LBB68_99:                              ; =>This Inner Loop Header: Depth=1
	ds_read_b64 v[86:87], v77
	v_add_nc_u32_e32 v77, 8, v77
	s_waitcnt lgkmcnt(0)
	v_cmp_lt_f64_e64 vcc_lo, |v[0:1]|, |v[86:87]|
	v_cndmask_b32_e32 v1, v1, v87, vcc_lo
	v_cndmask_b32_e32 v0, v0, v86, vcc_lo
	v_cndmask_b32_e64 v76, v76, s0, vcc_lo
	s_add_i32 s0, s0, 1
	s_cmp_lg_u32 s7, s0
	s_cbranch_scc1 .LBB68_99
.LBB68_100:
	s_mov_b32 s0, exec_lo
	s_waitcnt lgkmcnt(0)
	v_cmpx_eq_f64_e32 0, v[0:1]
	s_xor_b32 s0, exec_lo, s0
; %bb.101:
	v_cmp_ne_u32_e32 vcc_lo, 0, v84
	v_cndmask_b32_e32 v84, 7, v84, vcc_lo
; %bb.102:
	s_andn2_saveexec_b32 s0, s0
	s_cbranch_execz .LBB68_104
; %bb.103:
	v_div_scale_f64 v[77:78], null, v[0:1], v[0:1], 1.0
	v_rcp_f64_e32 v[86:87], v[77:78]
	v_fma_f64 v[88:89], -v[77:78], v[86:87], 1.0
	v_fma_f64 v[86:87], v[86:87], v[88:89], v[86:87]
	v_fma_f64 v[88:89], -v[77:78], v[86:87], 1.0
	v_fma_f64 v[86:87], v[86:87], v[88:89], v[86:87]
	v_div_scale_f64 v[88:89], vcc_lo, 1.0, v[0:1], 1.0
	v_mul_f64 v[90:91], v[88:89], v[86:87]
	v_fma_f64 v[77:78], -v[77:78], v[90:91], v[88:89]
	v_div_fmas_f64 v[77:78], v[77:78], v[86:87], v[90:91]
	v_div_fixup_f64 v[0:1], v[77:78], v[0:1], 1.0
.LBB68_104:
	s_or_b32 exec_lo, exec_lo, s0
	s_mov_b32 s0, exec_lo
	v_cmpx_ne_u32_e64 v85, v76
	s_xor_b32 s0, exec_lo, s0
	s_cbranch_execz .LBB68_110
; %bb.105:
	s_mov_b32 s1, exec_lo
	v_cmpx_eq_u32_e32 6, v85
	s_cbranch_execz .LBB68_109
; %bb.106:
	v_cmp_ne_u32_e32 vcc_lo, 6, v76
	s_xor_b32 s2, s6, -1
	s_and_b32 s3, s2, vcc_lo
	s_and_saveexec_b32 s2, s3
	s_cbranch_execz .LBB68_108
; %bb.107:
	v_ashrrev_i32_e32 v77, 31, v76
	v_lshlrev_b64 v[77:78], 2, v[76:77]
	v_add_co_u32 v77, vcc_lo, v4, v77
	v_add_co_ci_u32_e64 v78, null, v5, v78, vcc_lo
	s_clause 0x1
	global_load_dword v79, v[77:78], off
	global_load_dword v85, v[4:5], off offset:24
	s_waitcnt vmcnt(1)
	global_store_dword v[4:5], v79, off offset:24
	s_waitcnt vmcnt(0)
	global_store_dword v[77:78], v85, off
.LBB68_108:
	s_or_b32 exec_lo, exec_lo, s2
	v_mov_b32_e32 v79, v76
	v_mov_b32_e32 v85, v76
.LBB68_109:
	s_or_b32 exec_lo, exec_lo, s1
.LBB68_110:
	s_andn2_saveexec_b32 s0, s0
	s_cbranch_execz .LBB68_112
; %bb.111:
	v_mov_b32_e32 v85, 6
	ds_write2_b64 v82, v[58:59], v[56:57] offset0:7 offset1:8
	ds_write2_b64 v82, v[54:55], v[52:53] offset0:9 offset1:10
	;; [unrolled: 1-line block ×14, first 2 shown]
.LBB68_112:
	s_or_b32 exec_lo, exec_lo, s0
	s_mov_b32 s0, exec_lo
	s_waitcnt lgkmcnt(0)
	s_waitcnt_vscnt null, 0x0
	s_barrier
	buffer_gl0_inv
	v_cmpx_lt_i32_e32 6, v85
	s_cbranch_execz .LBB68_114
; %bb.113:
	v_mul_f64 v[60:61], v[0:1], v[60:61]
	ds_read2_b64 v[86:89], v82 offset0:7 offset1:8
	ds_read2_b64 v[90:93], v82 offset0:9 offset1:10
	;; [unrolled: 1-line block ×14, first 2 shown]
	s_waitcnt lgkmcnt(13)
	v_fma_f64 v[58:59], -v[60:61], v[86:87], v[58:59]
	v_fma_f64 v[56:57], -v[60:61], v[88:89], v[56:57]
	s_waitcnt lgkmcnt(12)
	v_fma_f64 v[54:55], -v[60:61], v[90:91], v[54:55]
	v_fma_f64 v[52:53], -v[60:61], v[92:93], v[52:53]
	;; [unrolled: 3-line block ×14, first 2 shown]
.LBB68_114:
	s_or_b32 exec_lo, exec_lo, s0
	v_lshl_add_u32 v0, v85, 3, v82
	s_barrier
	buffer_gl0_inv
	v_mov_b32_e32 v76, 7
	ds_write_b64 v0, v[58:59]
	s_waitcnt lgkmcnt(0)
	s_barrier
	buffer_gl0_inv
	ds_read_b64 v[0:1], v82 offset:56
	s_cmp_lt_i32 s7, 9
	s_cbranch_scc1 .LBB68_117
; %bb.115:
	v_add3_u32 v77, v83, 0, 64
	v_mov_b32_e32 v76, 7
	s_mov_b32 s0, 8
.LBB68_116:                             ; =>This Inner Loop Header: Depth=1
	ds_read_b64 v[86:87], v77
	v_add_nc_u32_e32 v77, 8, v77
	s_waitcnt lgkmcnt(0)
	v_cmp_lt_f64_e64 vcc_lo, |v[0:1]|, |v[86:87]|
	v_cndmask_b32_e32 v1, v1, v87, vcc_lo
	v_cndmask_b32_e32 v0, v0, v86, vcc_lo
	v_cndmask_b32_e64 v76, v76, s0, vcc_lo
	s_add_i32 s0, s0, 1
	s_cmp_lg_u32 s7, s0
	s_cbranch_scc1 .LBB68_116
.LBB68_117:
	s_mov_b32 s0, exec_lo
	s_waitcnt lgkmcnt(0)
	v_cmpx_eq_f64_e32 0, v[0:1]
	s_xor_b32 s0, exec_lo, s0
; %bb.118:
	v_cmp_ne_u32_e32 vcc_lo, 0, v84
	v_cndmask_b32_e32 v84, 8, v84, vcc_lo
; %bb.119:
	s_andn2_saveexec_b32 s0, s0
	s_cbranch_execz .LBB68_121
; %bb.120:
	v_div_scale_f64 v[77:78], null, v[0:1], v[0:1], 1.0
	v_rcp_f64_e32 v[86:87], v[77:78]
	v_fma_f64 v[88:89], -v[77:78], v[86:87], 1.0
	v_fma_f64 v[86:87], v[86:87], v[88:89], v[86:87]
	v_fma_f64 v[88:89], -v[77:78], v[86:87], 1.0
	v_fma_f64 v[86:87], v[86:87], v[88:89], v[86:87]
	v_div_scale_f64 v[88:89], vcc_lo, 1.0, v[0:1], 1.0
	v_mul_f64 v[90:91], v[88:89], v[86:87]
	v_fma_f64 v[77:78], -v[77:78], v[90:91], v[88:89]
	v_div_fmas_f64 v[77:78], v[77:78], v[86:87], v[90:91]
	v_div_fixup_f64 v[0:1], v[77:78], v[0:1], 1.0
.LBB68_121:
	s_or_b32 exec_lo, exec_lo, s0
	s_mov_b32 s0, exec_lo
	v_cmpx_ne_u32_e64 v85, v76
	s_xor_b32 s0, exec_lo, s0
	s_cbranch_execz .LBB68_127
; %bb.122:
	s_mov_b32 s1, exec_lo
	v_cmpx_eq_u32_e32 7, v85
	s_cbranch_execz .LBB68_126
; %bb.123:
	v_cmp_ne_u32_e32 vcc_lo, 7, v76
	s_xor_b32 s2, s6, -1
	s_and_b32 s3, s2, vcc_lo
	s_and_saveexec_b32 s2, s3
	s_cbranch_execz .LBB68_125
; %bb.124:
	v_ashrrev_i32_e32 v77, 31, v76
	v_lshlrev_b64 v[77:78], 2, v[76:77]
	v_add_co_u32 v77, vcc_lo, v4, v77
	v_add_co_ci_u32_e64 v78, null, v5, v78, vcc_lo
	s_clause 0x1
	global_load_dword v79, v[77:78], off
	global_load_dword v85, v[4:5], off offset:28
	s_waitcnt vmcnt(1)
	global_store_dword v[4:5], v79, off offset:28
	s_waitcnt vmcnt(0)
	global_store_dword v[77:78], v85, off
.LBB68_125:
	s_or_b32 exec_lo, exec_lo, s2
	v_mov_b32_e32 v79, v76
	v_mov_b32_e32 v85, v76
.LBB68_126:
	s_or_b32 exec_lo, exec_lo, s1
.LBB68_127:
	s_andn2_saveexec_b32 s0, s0
	s_cbranch_execz .LBB68_129
; %bb.128:
	v_mov_b32_e32 v76, v56
	v_mov_b32_e32 v77, v57
	;; [unrolled: 1-line block ×16, first 2 shown]
	ds_write2_b64 v82, v[76:77], v[85:86] offset0:8 offset1:9
	ds_write2_b64 v82, v[87:88], v[89:90] offset0:10 offset1:11
	;; [unrolled: 1-line block ×4, first 2 shown]
	v_mov_b32_e32 v76, v40
	v_mov_b32_e32 v77, v41
	v_mov_b32_e32 v85, v38
	v_mov_b32_e32 v86, v39
	v_mov_b32_e32 v87, v36
	v_mov_b32_e32 v88, v37
	v_mov_b32_e32 v89, v34
	v_mov_b32_e32 v90, v35
	v_mov_b32_e32 v91, v32
	v_mov_b32_e32 v92, v33
	v_mov_b32_e32 v93, v28
	v_mov_b32_e32 v94, v29
	v_mov_b32_e32 v95, v30
	v_mov_b32_e32 v96, v31
	v_mov_b32_e32 v97, v24
	v_mov_b32_e32 v98, v25
	v_mov_b32_e32 v99, v26
	v_mov_b32_e32 v100, v27
	v_mov_b32_e32 v101, v22
	v_mov_b32_e32 v102, v23
	ds_write2_b64 v82, v[76:77], v[85:86] offset0:16 offset1:17
	ds_write2_b64 v82, v[87:88], v[89:90] offset0:18 offset1:19
	ds_write2_b64 v82, v[91:92], v[93:94] offset0:20 offset1:21
	ds_write2_b64 v82, v[95:96], v[97:98] offset0:22 offset1:23
	ds_write2_b64 v82, v[99:100], v[101:102] offset0:24 offset1:25
	v_mov_b32_e32 v76, v20
	v_mov_b32_e32 v77, v21
	;; [unrolled: 1-line block ×8, first 2 shown]
	ds_write2_b64 v82, v[76:77], v[85:86] offset0:26 offset1:27
	v_mov_b32_e32 v85, 7
	v_mov_b32_e32 v91, v12
	;; [unrolled: 1-line block ×9, first 2 shown]
	ds_write2_b64 v82, v[87:88], v[89:90] offset0:28 offset1:29
	ds_write2_b64 v82, v[91:92], v[93:94] offset0:30 offset1:31
	;; [unrolled: 1-line block ×3, first 2 shown]
	ds_write_b64 v82, v[74:75] offset:272
.LBB68_129:
	s_or_b32 exec_lo, exec_lo, s0
	s_mov_b32 s0, exec_lo
	s_waitcnt lgkmcnt(0)
	s_waitcnt_vscnt null, 0x0
	s_barrier
	buffer_gl0_inv
	v_cmpx_lt_i32_e32 7, v85
	s_cbranch_execz .LBB68_131
; %bb.130:
	v_mul_f64 v[58:59], v[0:1], v[58:59]
	ds_read2_b64 v[86:89], v82 offset0:8 offset1:9
	ds_read2_b64 v[90:93], v82 offset0:10 offset1:11
	;; [unrolled: 1-line block ×13, first 2 shown]
	ds_read_b64 v[0:1], v82 offset:272
	s_waitcnt lgkmcnt(13)
	v_fma_f64 v[56:57], -v[58:59], v[86:87], v[56:57]
	v_fma_f64 v[54:55], -v[58:59], v[88:89], v[54:55]
	s_waitcnt lgkmcnt(12)
	v_fma_f64 v[52:53], -v[58:59], v[90:91], v[52:53]
	v_fma_f64 v[48:49], -v[58:59], v[92:93], v[48:49]
	;; [unrolled: 3-line block ×13, first 2 shown]
	s_waitcnt lgkmcnt(0)
	v_fma_f64 v[74:75], -v[58:59], v[0:1], v[74:75]
.LBB68_131:
	s_or_b32 exec_lo, exec_lo, s0
	v_lshl_add_u32 v0, v85, 3, v82
	s_barrier
	buffer_gl0_inv
	v_mov_b32_e32 v76, 8
	ds_write_b64 v0, v[56:57]
	s_waitcnt lgkmcnt(0)
	s_barrier
	buffer_gl0_inv
	ds_read_b64 v[0:1], v82 offset:64
	s_cmp_lt_i32 s7, 10
	s_cbranch_scc1 .LBB68_134
; %bb.132:
	v_add3_u32 v77, v83, 0, 0x48
	v_mov_b32_e32 v76, 8
	s_mov_b32 s0, 9
.LBB68_133:                             ; =>This Inner Loop Header: Depth=1
	ds_read_b64 v[86:87], v77
	v_add_nc_u32_e32 v77, 8, v77
	s_waitcnt lgkmcnt(0)
	v_cmp_lt_f64_e64 vcc_lo, |v[0:1]|, |v[86:87]|
	v_cndmask_b32_e32 v1, v1, v87, vcc_lo
	v_cndmask_b32_e32 v0, v0, v86, vcc_lo
	v_cndmask_b32_e64 v76, v76, s0, vcc_lo
	s_add_i32 s0, s0, 1
	s_cmp_lg_u32 s7, s0
	s_cbranch_scc1 .LBB68_133
.LBB68_134:
	s_mov_b32 s0, exec_lo
	s_waitcnt lgkmcnt(0)
	v_cmpx_eq_f64_e32 0, v[0:1]
	s_xor_b32 s0, exec_lo, s0
; %bb.135:
	v_cmp_ne_u32_e32 vcc_lo, 0, v84
	v_cndmask_b32_e32 v84, 9, v84, vcc_lo
; %bb.136:
	s_andn2_saveexec_b32 s0, s0
	s_cbranch_execz .LBB68_138
; %bb.137:
	v_div_scale_f64 v[77:78], null, v[0:1], v[0:1], 1.0
	v_rcp_f64_e32 v[86:87], v[77:78]
	v_fma_f64 v[88:89], -v[77:78], v[86:87], 1.0
	v_fma_f64 v[86:87], v[86:87], v[88:89], v[86:87]
	v_fma_f64 v[88:89], -v[77:78], v[86:87], 1.0
	v_fma_f64 v[86:87], v[86:87], v[88:89], v[86:87]
	v_div_scale_f64 v[88:89], vcc_lo, 1.0, v[0:1], 1.0
	v_mul_f64 v[90:91], v[88:89], v[86:87]
	v_fma_f64 v[77:78], -v[77:78], v[90:91], v[88:89]
	v_div_fmas_f64 v[77:78], v[77:78], v[86:87], v[90:91]
	v_div_fixup_f64 v[0:1], v[77:78], v[0:1], 1.0
.LBB68_138:
	s_or_b32 exec_lo, exec_lo, s0
	s_mov_b32 s0, exec_lo
	v_cmpx_ne_u32_e64 v85, v76
	s_xor_b32 s0, exec_lo, s0
	s_cbranch_execz .LBB68_144
; %bb.139:
	s_mov_b32 s1, exec_lo
	v_cmpx_eq_u32_e32 8, v85
	s_cbranch_execz .LBB68_143
; %bb.140:
	v_cmp_ne_u32_e32 vcc_lo, 8, v76
	s_xor_b32 s2, s6, -1
	s_and_b32 s3, s2, vcc_lo
	s_and_saveexec_b32 s2, s3
	s_cbranch_execz .LBB68_142
; %bb.141:
	v_ashrrev_i32_e32 v77, 31, v76
	v_lshlrev_b64 v[77:78], 2, v[76:77]
	v_add_co_u32 v77, vcc_lo, v4, v77
	v_add_co_ci_u32_e64 v78, null, v5, v78, vcc_lo
	s_clause 0x1
	global_load_dword v79, v[77:78], off
	global_load_dword v85, v[4:5], off offset:32
	s_waitcnt vmcnt(1)
	global_store_dword v[4:5], v79, off offset:32
	s_waitcnt vmcnt(0)
	global_store_dword v[77:78], v85, off
.LBB68_142:
	s_or_b32 exec_lo, exec_lo, s2
	v_mov_b32_e32 v79, v76
	v_mov_b32_e32 v85, v76
.LBB68_143:
	s_or_b32 exec_lo, exec_lo, s1
.LBB68_144:
	s_andn2_saveexec_b32 s0, s0
	s_cbranch_execz .LBB68_146
; %bb.145:
	v_mov_b32_e32 v85, 8
	ds_write2_b64 v82, v[54:55], v[52:53] offset0:9 offset1:10
	ds_write2_b64 v82, v[48:49], v[50:51] offset0:11 offset1:12
	;; [unrolled: 1-line block ×13, first 2 shown]
.LBB68_146:
	s_or_b32 exec_lo, exec_lo, s0
	s_mov_b32 s0, exec_lo
	s_waitcnt lgkmcnt(0)
	s_waitcnt_vscnt null, 0x0
	s_barrier
	buffer_gl0_inv
	v_cmpx_lt_i32_e32 8, v85
	s_cbranch_execz .LBB68_148
; %bb.147:
	v_mul_f64 v[56:57], v[0:1], v[56:57]
	ds_read2_b64 v[86:89], v82 offset0:9 offset1:10
	ds_read2_b64 v[90:93], v82 offset0:11 offset1:12
	;; [unrolled: 1-line block ×13, first 2 shown]
	s_waitcnt lgkmcnt(12)
	v_fma_f64 v[54:55], -v[56:57], v[86:87], v[54:55]
	v_fma_f64 v[52:53], -v[56:57], v[88:89], v[52:53]
	s_waitcnt lgkmcnt(11)
	v_fma_f64 v[48:49], -v[56:57], v[90:91], v[48:49]
	v_fma_f64 v[50:51], -v[56:57], v[92:93], v[50:51]
	;; [unrolled: 3-line block ×13, first 2 shown]
.LBB68_148:
	s_or_b32 exec_lo, exec_lo, s0
	v_lshl_add_u32 v0, v85, 3, v82
	s_barrier
	buffer_gl0_inv
	v_mov_b32_e32 v76, 9
	ds_write_b64 v0, v[54:55]
	s_waitcnt lgkmcnt(0)
	s_barrier
	buffer_gl0_inv
	ds_read_b64 v[0:1], v82 offset:72
	s_cmp_lt_i32 s7, 11
	s_cbranch_scc1 .LBB68_151
; %bb.149:
	v_add3_u32 v77, v83, 0, 0x50
	v_mov_b32_e32 v76, 9
	s_mov_b32 s0, 10
.LBB68_150:                             ; =>This Inner Loop Header: Depth=1
	ds_read_b64 v[86:87], v77
	v_add_nc_u32_e32 v77, 8, v77
	s_waitcnt lgkmcnt(0)
	v_cmp_lt_f64_e64 vcc_lo, |v[0:1]|, |v[86:87]|
	v_cndmask_b32_e32 v1, v1, v87, vcc_lo
	v_cndmask_b32_e32 v0, v0, v86, vcc_lo
	v_cndmask_b32_e64 v76, v76, s0, vcc_lo
	s_add_i32 s0, s0, 1
	s_cmp_lg_u32 s7, s0
	s_cbranch_scc1 .LBB68_150
.LBB68_151:
	s_mov_b32 s0, exec_lo
	s_waitcnt lgkmcnt(0)
	v_cmpx_eq_f64_e32 0, v[0:1]
	s_xor_b32 s0, exec_lo, s0
; %bb.152:
	v_cmp_ne_u32_e32 vcc_lo, 0, v84
	v_cndmask_b32_e32 v84, 10, v84, vcc_lo
; %bb.153:
	s_andn2_saveexec_b32 s0, s0
	s_cbranch_execz .LBB68_155
; %bb.154:
	v_div_scale_f64 v[77:78], null, v[0:1], v[0:1], 1.0
	v_rcp_f64_e32 v[86:87], v[77:78]
	v_fma_f64 v[88:89], -v[77:78], v[86:87], 1.0
	v_fma_f64 v[86:87], v[86:87], v[88:89], v[86:87]
	v_fma_f64 v[88:89], -v[77:78], v[86:87], 1.0
	v_fma_f64 v[86:87], v[86:87], v[88:89], v[86:87]
	v_div_scale_f64 v[88:89], vcc_lo, 1.0, v[0:1], 1.0
	v_mul_f64 v[90:91], v[88:89], v[86:87]
	v_fma_f64 v[77:78], -v[77:78], v[90:91], v[88:89]
	v_div_fmas_f64 v[77:78], v[77:78], v[86:87], v[90:91]
	v_div_fixup_f64 v[0:1], v[77:78], v[0:1], 1.0
.LBB68_155:
	s_or_b32 exec_lo, exec_lo, s0
	s_mov_b32 s0, exec_lo
	v_cmpx_ne_u32_e64 v85, v76
	s_xor_b32 s0, exec_lo, s0
	s_cbranch_execz .LBB68_161
; %bb.156:
	s_mov_b32 s1, exec_lo
	v_cmpx_eq_u32_e32 9, v85
	s_cbranch_execz .LBB68_160
; %bb.157:
	v_cmp_ne_u32_e32 vcc_lo, 9, v76
	s_xor_b32 s2, s6, -1
	s_and_b32 s3, s2, vcc_lo
	s_and_saveexec_b32 s2, s3
	s_cbranch_execz .LBB68_159
; %bb.158:
	v_ashrrev_i32_e32 v77, 31, v76
	v_lshlrev_b64 v[77:78], 2, v[76:77]
	v_add_co_u32 v77, vcc_lo, v4, v77
	v_add_co_ci_u32_e64 v78, null, v5, v78, vcc_lo
	s_clause 0x1
	global_load_dword v79, v[77:78], off
	global_load_dword v85, v[4:5], off offset:36
	s_waitcnt vmcnt(1)
	global_store_dword v[4:5], v79, off offset:36
	s_waitcnt vmcnt(0)
	global_store_dword v[77:78], v85, off
.LBB68_159:
	s_or_b32 exec_lo, exec_lo, s2
	v_mov_b32_e32 v79, v76
	v_mov_b32_e32 v85, v76
.LBB68_160:
	s_or_b32 exec_lo, exec_lo, s1
.LBB68_161:
	s_andn2_saveexec_b32 s0, s0
	s_cbranch_execz .LBB68_163
; %bb.162:
	v_mov_b32_e32 v76, v52
	v_mov_b32_e32 v77, v53
	v_mov_b32_e32 v85, v48
	v_mov_b32_e32 v86, v49
	v_mov_b32_e32 v87, v50
	v_mov_b32_e32 v88, v51
	v_mov_b32_e32 v89, v44
	v_mov_b32_e32 v90, v45
	v_mov_b32_e32 v91, v46
	v_mov_b32_e32 v92, v47
	v_mov_b32_e32 v93, v42
	v_mov_b32_e32 v94, v43
	ds_write2_b64 v82, v[76:77], v[85:86] offset0:10 offset1:11
	ds_write2_b64 v82, v[87:88], v[89:90] offset0:12 offset1:13
	;; [unrolled: 1-line block ×3, first 2 shown]
	v_mov_b32_e32 v76, v40
	v_mov_b32_e32 v77, v41
	;; [unrolled: 1-line block ×20, first 2 shown]
	ds_write2_b64 v82, v[76:77], v[85:86] offset0:16 offset1:17
	ds_write2_b64 v82, v[87:88], v[89:90] offset0:18 offset1:19
	;; [unrolled: 1-line block ×5, first 2 shown]
	v_mov_b32_e32 v76, v20
	v_mov_b32_e32 v77, v21
	v_mov_b32_e32 v85, v18
	v_mov_b32_e32 v86, v19
	v_mov_b32_e32 v87, v16
	v_mov_b32_e32 v88, v17
	v_mov_b32_e32 v89, v14
	v_mov_b32_e32 v90, v15
	ds_write2_b64 v82, v[76:77], v[85:86] offset0:26 offset1:27
	v_mov_b32_e32 v85, 9
	v_mov_b32_e32 v91, v12
	;; [unrolled: 1-line block ×9, first 2 shown]
	ds_write2_b64 v82, v[87:88], v[89:90] offset0:28 offset1:29
	ds_write2_b64 v82, v[91:92], v[93:94] offset0:30 offset1:31
	;; [unrolled: 1-line block ×3, first 2 shown]
	ds_write_b64 v82, v[74:75] offset:272
.LBB68_163:
	s_or_b32 exec_lo, exec_lo, s0
	s_mov_b32 s0, exec_lo
	s_waitcnt lgkmcnt(0)
	s_waitcnt_vscnt null, 0x0
	s_barrier
	buffer_gl0_inv
	v_cmpx_lt_i32_e32 9, v85
	s_cbranch_execz .LBB68_165
; %bb.164:
	v_mul_f64 v[54:55], v[0:1], v[54:55]
	ds_read2_b64 v[86:89], v82 offset0:10 offset1:11
	ds_read2_b64 v[90:93], v82 offset0:12 offset1:13
	;; [unrolled: 1-line block ×12, first 2 shown]
	ds_read_b64 v[0:1], v82 offset:272
	s_waitcnt lgkmcnt(12)
	v_fma_f64 v[52:53], -v[54:55], v[86:87], v[52:53]
	v_fma_f64 v[48:49], -v[54:55], v[88:89], v[48:49]
	s_waitcnt lgkmcnt(11)
	v_fma_f64 v[50:51], -v[54:55], v[90:91], v[50:51]
	v_fma_f64 v[44:45], -v[54:55], v[92:93], v[44:45]
	;; [unrolled: 3-line block ×12, first 2 shown]
	s_waitcnt lgkmcnt(0)
	v_fma_f64 v[74:75], -v[54:55], v[0:1], v[74:75]
.LBB68_165:
	s_or_b32 exec_lo, exec_lo, s0
	v_lshl_add_u32 v0, v85, 3, v82
	s_barrier
	buffer_gl0_inv
	v_mov_b32_e32 v76, 10
	ds_write_b64 v0, v[52:53]
	s_waitcnt lgkmcnt(0)
	s_barrier
	buffer_gl0_inv
	ds_read_b64 v[0:1], v82 offset:80
	s_cmp_lt_i32 s7, 12
	s_cbranch_scc1 .LBB68_168
; %bb.166:
	v_add3_u32 v77, v83, 0, 0x58
	v_mov_b32_e32 v76, 10
	s_mov_b32 s0, 11
.LBB68_167:                             ; =>This Inner Loop Header: Depth=1
	ds_read_b64 v[86:87], v77
	v_add_nc_u32_e32 v77, 8, v77
	s_waitcnt lgkmcnt(0)
	v_cmp_lt_f64_e64 vcc_lo, |v[0:1]|, |v[86:87]|
	v_cndmask_b32_e32 v1, v1, v87, vcc_lo
	v_cndmask_b32_e32 v0, v0, v86, vcc_lo
	v_cndmask_b32_e64 v76, v76, s0, vcc_lo
	s_add_i32 s0, s0, 1
	s_cmp_lg_u32 s7, s0
	s_cbranch_scc1 .LBB68_167
.LBB68_168:
	s_mov_b32 s0, exec_lo
	s_waitcnt lgkmcnt(0)
	v_cmpx_eq_f64_e32 0, v[0:1]
	s_xor_b32 s0, exec_lo, s0
; %bb.169:
	v_cmp_ne_u32_e32 vcc_lo, 0, v84
	v_cndmask_b32_e32 v84, 11, v84, vcc_lo
; %bb.170:
	s_andn2_saveexec_b32 s0, s0
	s_cbranch_execz .LBB68_172
; %bb.171:
	v_div_scale_f64 v[77:78], null, v[0:1], v[0:1], 1.0
	v_rcp_f64_e32 v[86:87], v[77:78]
	v_fma_f64 v[88:89], -v[77:78], v[86:87], 1.0
	v_fma_f64 v[86:87], v[86:87], v[88:89], v[86:87]
	v_fma_f64 v[88:89], -v[77:78], v[86:87], 1.0
	v_fma_f64 v[86:87], v[86:87], v[88:89], v[86:87]
	v_div_scale_f64 v[88:89], vcc_lo, 1.0, v[0:1], 1.0
	v_mul_f64 v[90:91], v[88:89], v[86:87]
	v_fma_f64 v[77:78], -v[77:78], v[90:91], v[88:89]
	v_div_fmas_f64 v[77:78], v[77:78], v[86:87], v[90:91]
	v_div_fixup_f64 v[0:1], v[77:78], v[0:1], 1.0
.LBB68_172:
	s_or_b32 exec_lo, exec_lo, s0
	s_mov_b32 s0, exec_lo
	v_cmpx_ne_u32_e64 v85, v76
	s_xor_b32 s0, exec_lo, s0
	s_cbranch_execz .LBB68_178
; %bb.173:
	s_mov_b32 s1, exec_lo
	v_cmpx_eq_u32_e32 10, v85
	s_cbranch_execz .LBB68_177
; %bb.174:
	v_cmp_ne_u32_e32 vcc_lo, 10, v76
	s_xor_b32 s2, s6, -1
	s_and_b32 s3, s2, vcc_lo
	s_and_saveexec_b32 s2, s3
	s_cbranch_execz .LBB68_176
; %bb.175:
	v_ashrrev_i32_e32 v77, 31, v76
	v_lshlrev_b64 v[77:78], 2, v[76:77]
	v_add_co_u32 v77, vcc_lo, v4, v77
	v_add_co_ci_u32_e64 v78, null, v5, v78, vcc_lo
	s_clause 0x1
	global_load_dword v79, v[77:78], off
	global_load_dword v85, v[4:5], off offset:40
	s_waitcnt vmcnt(1)
	global_store_dword v[4:5], v79, off offset:40
	s_waitcnt vmcnt(0)
	global_store_dword v[77:78], v85, off
.LBB68_176:
	s_or_b32 exec_lo, exec_lo, s2
	v_mov_b32_e32 v79, v76
	v_mov_b32_e32 v85, v76
.LBB68_177:
	s_or_b32 exec_lo, exec_lo, s1
.LBB68_178:
	s_andn2_saveexec_b32 s0, s0
	s_cbranch_execz .LBB68_180
; %bb.179:
	v_mov_b32_e32 v85, 10
	ds_write2_b64 v82, v[48:49], v[50:51] offset0:11 offset1:12
	ds_write2_b64 v82, v[44:45], v[46:47] offset0:13 offset1:14
	;; [unrolled: 1-line block ×12, first 2 shown]
.LBB68_180:
	s_or_b32 exec_lo, exec_lo, s0
	s_mov_b32 s0, exec_lo
	s_waitcnt lgkmcnt(0)
	s_waitcnt_vscnt null, 0x0
	s_barrier
	buffer_gl0_inv
	v_cmpx_lt_i32_e32 10, v85
	s_cbranch_execz .LBB68_182
; %bb.181:
	v_mul_f64 v[52:53], v[0:1], v[52:53]
	ds_read2_b64 v[86:89], v82 offset0:11 offset1:12
	ds_read2_b64 v[90:93], v82 offset0:13 offset1:14
	;; [unrolled: 1-line block ×12, first 2 shown]
	s_waitcnt lgkmcnt(11)
	v_fma_f64 v[48:49], -v[52:53], v[86:87], v[48:49]
	v_fma_f64 v[50:51], -v[52:53], v[88:89], v[50:51]
	s_waitcnt lgkmcnt(10)
	v_fma_f64 v[44:45], -v[52:53], v[90:91], v[44:45]
	v_fma_f64 v[46:47], -v[52:53], v[92:93], v[46:47]
	;; [unrolled: 3-line block ×12, first 2 shown]
.LBB68_182:
	s_or_b32 exec_lo, exec_lo, s0
	v_lshl_add_u32 v0, v85, 3, v82
	s_barrier
	buffer_gl0_inv
	v_mov_b32_e32 v76, 11
	ds_write_b64 v0, v[48:49]
	s_waitcnt lgkmcnt(0)
	s_barrier
	buffer_gl0_inv
	ds_read_b64 v[0:1], v82 offset:88
	s_cmp_lt_i32 s7, 13
	s_cbranch_scc1 .LBB68_185
; %bb.183:
	v_add3_u32 v77, v83, 0, 0x60
	v_mov_b32_e32 v76, 11
	s_mov_b32 s0, 12
.LBB68_184:                             ; =>This Inner Loop Header: Depth=1
	ds_read_b64 v[86:87], v77
	v_add_nc_u32_e32 v77, 8, v77
	s_waitcnt lgkmcnt(0)
	v_cmp_lt_f64_e64 vcc_lo, |v[0:1]|, |v[86:87]|
	v_cndmask_b32_e32 v1, v1, v87, vcc_lo
	v_cndmask_b32_e32 v0, v0, v86, vcc_lo
	v_cndmask_b32_e64 v76, v76, s0, vcc_lo
	s_add_i32 s0, s0, 1
	s_cmp_lg_u32 s7, s0
	s_cbranch_scc1 .LBB68_184
.LBB68_185:
	s_mov_b32 s0, exec_lo
	s_waitcnt lgkmcnt(0)
	v_cmpx_eq_f64_e32 0, v[0:1]
	s_xor_b32 s0, exec_lo, s0
; %bb.186:
	v_cmp_ne_u32_e32 vcc_lo, 0, v84
	v_cndmask_b32_e32 v84, 12, v84, vcc_lo
; %bb.187:
	s_andn2_saveexec_b32 s0, s0
	s_cbranch_execz .LBB68_189
; %bb.188:
	v_div_scale_f64 v[77:78], null, v[0:1], v[0:1], 1.0
	v_rcp_f64_e32 v[86:87], v[77:78]
	v_fma_f64 v[88:89], -v[77:78], v[86:87], 1.0
	v_fma_f64 v[86:87], v[86:87], v[88:89], v[86:87]
	v_fma_f64 v[88:89], -v[77:78], v[86:87], 1.0
	v_fma_f64 v[86:87], v[86:87], v[88:89], v[86:87]
	v_div_scale_f64 v[88:89], vcc_lo, 1.0, v[0:1], 1.0
	v_mul_f64 v[90:91], v[88:89], v[86:87]
	v_fma_f64 v[77:78], -v[77:78], v[90:91], v[88:89]
	v_div_fmas_f64 v[77:78], v[77:78], v[86:87], v[90:91]
	v_div_fixup_f64 v[0:1], v[77:78], v[0:1], 1.0
.LBB68_189:
	s_or_b32 exec_lo, exec_lo, s0
	s_mov_b32 s0, exec_lo
	v_cmpx_ne_u32_e64 v85, v76
	s_xor_b32 s0, exec_lo, s0
	s_cbranch_execz .LBB68_195
; %bb.190:
	s_mov_b32 s1, exec_lo
	v_cmpx_eq_u32_e32 11, v85
	s_cbranch_execz .LBB68_194
; %bb.191:
	v_cmp_ne_u32_e32 vcc_lo, 11, v76
	s_xor_b32 s2, s6, -1
	s_and_b32 s3, s2, vcc_lo
	s_and_saveexec_b32 s2, s3
	s_cbranch_execz .LBB68_193
; %bb.192:
	v_ashrrev_i32_e32 v77, 31, v76
	v_lshlrev_b64 v[77:78], 2, v[76:77]
	v_add_co_u32 v77, vcc_lo, v4, v77
	v_add_co_ci_u32_e64 v78, null, v5, v78, vcc_lo
	s_clause 0x1
	global_load_dword v79, v[77:78], off
	global_load_dword v85, v[4:5], off offset:44
	s_waitcnt vmcnt(1)
	global_store_dword v[4:5], v79, off offset:44
	s_waitcnt vmcnt(0)
	global_store_dword v[77:78], v85, off
.LBB68_193:
	s_or_b32 exec_lo, exec_lo, s2
	v_mov_b32_e32 v79, v76
	v_mov_b32_e32 v85, v76
.LBB68_194:
	s_or_b32 exec_lo, exec_lo, s1
.LBB68_195:
	s_andn2_saveexec_b32 s0, s0
	s_cbranch_execz .LBB68_197
; %bb.196:
	v_mov_b32_e32 v76, v50
	v_mov_b32_e32 v77, v51
	;; [unrolled: 1-line block ×8, first 2 shown]
	ds_write2_b64 v82, v[76:77], v[85:86] offset0:12 offset1:13
	ds_write2_b64 v82, v[87:88], v[89:90] offset0:14 offset1:15
	v_mov_b32_e32 v76, v40
	v_mov_b32_e32 v77, v41
	;; [unrolled: 1-line block ×20, first 2 shown]
	ds_write2_b64 v82, v[76:77], v[85:86] offset0:16 offset1:17
	ds_write2_b64 v82, v[87:88], v[89:90] offset0:18 offset1:19
	ds_write2_b64 v82, v[91:92], v[93:94] offset0:20 offset1:21
	ds_write2_b64 v82, v[95:96], v[97:98] offset0:22 offset1:23
	ds_write2_b64 v82, v[99:100], v[101:102] offset0:24 offset1:25
	v_mov_b32_e32 v76, v20
	v_mov_b32_e32 v77, v21
	;; [unrolled: 1-line block ×8, first 2 shown]
	ds_write2_b64 v82, v[76:77], v[85:86] offset0:26 offset1:27
	v_mov_b32_e32 v85, 11
	v_mov_b32_e32 v91, v12
	;; [unrolled: 1-line block ×9, first 2 shown]
	ds_write2_b64 v82, v[87:88], v[89:90] offset0:28 offset1:29
	ds_write2_b64 v82, v[91:92], v[93:94] offset0:30 offset1:31
	;; [unrolled: 1-line block ×3, first 2 shown]
	ds_write_b64 v82, v[74:75] offset:272
.LBB68_197:
	s_or_b32 exec_lo, exec_lo, s0
	s_mov_b32 s0, exec_lo
	s_waitcnt lgkmcnt(0)
	s_waitcnt_vscnt null, 0x0
	s_barrier
	buffer_gl0_inv
	v_cmpx_lt_i32_e32 11, v85
	s_cbranch_execz .LBB68_199
; %bb.198:
	v_mul_f64 v[48:49], v[0:1], v[48:49]
	ds_read2_b64 v[86:89], v82 offset0:12 offset1:13
	ds_read2_b64 v[90:93], v82 offset0:14 offset1:15
	;; [unrolled: 1-line block ×11, first 2 shown]
	ds_read_b64 v[0:1], v82 offset:272
	s_waitcnt lgkmcnt(11)
	v_fma_f64 v[50:51], -v[48:49], v[86:87], v[50:51]
	v_fma_f64 v[44:45], -v[48:49], v[88:89], v[44:45]
	s_waitcnt lgkmcnt(10)
	v_fma_f64 v[46:47], -v[48:49], v[90:91], v[46:47]
	v_fma_f64 v[42:43], -v[48:49], v[92:93], v[42:43]
	;; [unrolled: 3-line block ×11, first 2 shown]
	s_waitcnt lgkmcnt(0)
	v_fma_f64 v[74:75], -v[48:49], v[0:1], v[74:75]
.LBB68_199:
	s_or_b32 exec_lo, exec_lo, s0
	v_lshl_add_u32 v0, v85, 3, v82
	s_barrier
	buffer_gl0_inv
	v_mov_b32_e32 v76, 12
	ds_write_b64 v0, v[50:51]
	s_waitcnt lgkmcnt(0)
	s_barrier
	buffer_gl0_inv
	ds_read_b64 v[0:1], v82 offset:96
	s_cmp_lt_i32 s7, 14
	s_cbranch_scc1 .LBB68_202
; %bb.200:
	v_add3_u32 v77, v83, 0, 0x68
	v_mov_b32_e32 v76, 12
	s_mov_b32 s0, 13
.LBB68_201:                             ; =>This Inner Loop Header: Depth=1
	ds_read_b64 v[86:87], v77
	v_add_nc_u32_e32 v77, 8, v77
	s_waitcnt lgkmcnt(0)
	v_cmp_lt_f64_e64 vcc_lo, |v[0:1]|, |v[86:87]|
	v_cndmask_b32_e32 v1, v1, v87, vcc_lo
	v_cndmask_b32_e32 v0, v0, v86, vcc_lo
	v_cndmask_b32_e64 v76, v76, s0, vcc_lo
	s_add_i32 s0, s0, 1
	s_cmp_lg_u32 s7, s0
	s_cbranch_scc1 .LBB68_201
.LBB68_202:
	s_mov_b32 s0, exec_lo
	s_waitcnt lgkmcnt(0)
	v_cmpx_eq_f64_e32 0, v[0:1]
	s_xor_b32 s0, exec_lo, s0
; %bb.203:
	v_cmp_ne_u32_e32 vcc_lo, 0, v84
	v_cndmask_b32_e32 v84, 13, v84, vcc_lo
; %bb.204:
	s_andn2_saveexec_b32 s0, s0
	s_cbranch_execz .LBB68_206
; %bb.205:
	v_div_scale_f64 v[77:78], null, v[0:1], v[0:1], 1.0
	v_rcp_f64_e32 v[86:87], v[77:78]
	v_fma_f64 v[88:89], -v[77:78], v[86:87], 1.0
	v_fma_f64 v[86:87], v[86:87], v[88:89], v[86:87]
	v_fma_f64 v[88:89], -v[77:78], v[86:87], 1.0
	v_fma_f64 v[86:87], v[86:87], v[88:89], v[86:87]
	v_div_scale_f64 v[88:89], vcc_lo, 1.0, v[0:1], 1.0
	v_mul_f64 v[90:91], v[88:89], v[86:87]
	v_fma_f64 v[77:78], -v[77:78], v[90:91], v[88:89]
	v_div_fmas_f64 v[77:78], v[77:78], v[86:87], v[90:91]
	v_div_fixup_f64 v[0:1], v[77:78], v[0:1], 1.0
.LBB68_206:
	s_or_b32 exec_lo, exec_lo, s0
	s_mov_b32 s0, exec_lo
	v_cmpx_ne_u32_e64 v85, v76
	s_xor_b32 s0, exec_lo, s0
	s_cbranch_execz .LBB68_212
; %bb.207:
	s_mov_b32 s1, exec_lo
	v_cmpx_eq_u32_e32 12, v85
	s_cbranch_execz .LBB68_211
; %bb.208:
	v_cmp_ne_u32_e32 vcc_lo, 12, v76
	s_xor_b32 s2, s6, -1
	s_and_b32 s3, s2, vcc_lo
	s_and_saveexec_b32 s2, s3
	s_cbranch_execz .LBB68_210
; %bb.209:
	v_ashrrev_i32_e32 v77, 31, v76
	v_lshlrev_b64 v[77:78], 2, v[76:77]
	v_add_co_u32 v77, vcc_lo, v4, v77
	v_add_co_ci_u32_e64 v78, null, v5, v78, vcc_lo
	s_clause 0x1
	global_load_dword v79, v[77:78], off
	global_load_dword v85, v[4:5], off offset:48
	s_waitcnt vmcnt(1)
	global_store_dword v[4:5], v79, off offset:48
	s_waitcnt vmcnt(0)
	global_store_dword v[77:78], v85, off
.LBB68_210:
	s_or_b32 exec_lo, exec_lo, s2
	v_mov_b32_e32 v79, v76
	v_mov_b32_e32 v85, v76
.LBB68_211:
	s_or_b32 exec_lo, exec_lo, s1
.LBB68_212:
	s_andn2_saveexec_b32 s0, s0
	s_cbranch_execz .LBB68_214
; %bb.213:
	v_mov_b32_e32 v85, 12
	ds_write2_b64 v82, v[44:45], v[46:47] offset0:13 offset1:14
	ds_write2_b64 v82, v[42:43], v[40:41] offset0:15 offset1:16
	;; [unrolled: 1-line block ×11, first 2 shown]
.LBB68_214:
	s_or_b32 exec_lo, exec_lo, s0
	s_mov_b32 s0, exec_lo
	s_waitcnt lgkmcnt(0)
	s_waitcnt_vscnt null, 0x0
	s_barrier
	buffer_gl0_inv
	v_cmpx_lt_i32_e32 12, v85
	s_cbranch_execz .LBB68_216
; %bb.215:
	v_mul_f64 v[50:51], v[0:1], v[50:51]
	ds_read2_b64 v[86:89], v82 offset0:13 offset1:14
	ds_read2_b64 v[90:93], v82 offset0:15 offset1:16
	;; [unrolled: 1-line block ×11, first 2 shown]
	s_waitcnt lgkmcnt(10)
	v_fma_f64 v[44:45], -v[50:51], v[86:87], v[44:45]
	v_fma_f64 v[46:47], -v[50:51], v[88:89], v[46:47]
	s_waitcnt lgkmcnt(9)
	v_fma_f64 v[42:43], -v[50:51], v[90:91], v[42:43]
	v_fma_f64 v[40:41], -v[50:51], v[92:93], v[40:41]
	;; [unrolled: 3-line block ×11, first 2 shown]
.LBB68_216:
	s_or_b32 exec_lo, exec_lo, s0
	v_lshl_add_u32 v0, v85, 3, v82
	s_barrier
	buffer_gl0_inv
	v_mov_b32_e32 v76, 13
	ds_write_b64 v0, v[44:45]
	s_waitcnt lgkmcnt(0)
	s_barrier
	buffer_gl0_inv
	ds_read_b64 v[0:1], v82 offset:104
	s_cmp_lt_i32 s7, 15
	s_cbranch_scc1 .LBB68_219
; %bb.217:
	v_add3_u32 v77, v83, 0, 0x70
	v_mov_b32_e32 v76, 13
	s_mov_b32 s0, 14
.LBB68_218:                             ; =>This Inner Loop Header: Depth=1
	ds_read_b64 v[86:87], v77
	v_add_nc_u32_e32 v77, 8, v77
	s_waitcnt lgkmcnt(0)
	v_cmp_lt_f64_e64 vcc_lo, |v[0:1]|, |v[86:87]|
	v_cndmask_b32_e32 v1, v1, v87, vcc_lo
	v_cndmask_b32_e32 v0, v0, v86, vcc_lo
	v_cndmask_b32_e64 v76, v76, s0, vcc_lo
	s_add_i32 s0, s0, 1
	s_cmp_lg_u32 s7, s0
	s_cbranch_scc1 .LBB68_218
.LBB68_219:
	s_mov_b32 s0, exec_lo
	s_waitcnt lgkmcnt(0)
	v_cmpx_eq_f64_e32 0, v[0:1]
	s_xor_b32 s0, exec_lo, s0
; %bb.220:
	v_cmp_ne_u32_e32 vcc_lo, 0, v84
	v_cndmask_b32_e32 v84, 14, v84, vcc_lo
; %bb.221:
	s_andn2_saveexec_b32 s0, s0
	s_cbranch_execz .LBB68_223
; %bb.222:
	v_div_scale_f64 v[77:78], null, v[0:1], v[0:1], 1.0
	v_rcp_f64_e32 v[86:87], v[77:78]
	v_fma_f64 v[88:89], -v[77:78], v[86:87], 1.0
	v_fma_f64 v[86:87], v[86:87], v[88:89], v[86:87]
	v_fma_f64 v[88:89], -v[77:78], v[86:87], 1.0
	v_fma_f64 v[86:87], v[86:87], v[88:89], v[86:87]
	v_div_scale_f64 v[88:89], vcc_lo, 1.0, v[0:1], 1.0
	v_mul_f64 v[90:91], v[88:89], v[86:87]
	v_fma_f64 v[77:78], -v[77:78], v[90:91], v[88:89]
	v_div_fmas_f64 v[77:78], v[77:78], v[86:87], v[90:91]
	v_div_fixup_f64 v[0:1], v[77:78], v[0:1], 1.0
.LBB68_223:
	s_or_b32 exec_lo, exec_lo, s0
	s_mov_b32 s0, exec_lo
	v_cmpx_ne_u32_e64 v85, v76
	s_xor_b32 s0, exec_lo, s0
	s_cbranch_execz .LBB68_229
; %bb.224:
	s_mov_b32 s1, exec_lo
	v_cmpx_eq_u32_e32 13, v85
	s_cbranch_execz .LBB68_228
; %bb.225:
	v_cmp_ne_u32_e32 vcc_lo, 13, v76
	s_xor_b32 s2, s6, -1
	s_and_b32 s3, s2, vcc_lo
	s_and_saveexec_b32 s2, s3
	s_cbranch_execz .LBB68_227
; %bb.226:
	v_ashrrev_i32_e32 v77, 31, v76
	v_lshlrev_b64 v[77:78], 2, v[76:77]
	v_add_co_u32 v77, vcc_lo, v4, v77
	v_add_co_ci_u32_e64 v78, null, v5, v78, vcc_lo
	s_clause 0x1
	global_load_dword v79, v[77:78], off
	global_load_dword v85, v[4:5], off offset:52
	s_waitcnt vmcnt(1)
	global_store_dword v[4:5], v79, off offset:52
	s_waitcnt vmcnt(0)
	global_store_dword v[77:78], v85, off
.LBB68_227:
	s_or_b32 exec_lo, exec_lo, s2
	v_mov_b32_e32 v79, v76
	v_mov_b32_e32 v85, v76
.LBB68_228:
	s_or_b32 exec_lo, exec_lo, s1
.LBB68_229:
	s_andn2_saveexec_b32 s0, s0
	s_cbranch_execz .LBB68_231
; %bb.230:
	v_mov_b32_e32 v76, v46
	v_mov_b32_e32 v77, v47
	;; [unrolled: 1-line block ×8, first 2 shown]
	ds_write2_b64 v82, v[76:77], v[85:86] offset0:14 offset1:15
	v_mov_b32_e32 v76, v38
	v_mov_b32_e32 v77, v39
	;; [unrolled: 1-line block ×16, first 2 shown]
	ds_write2_b64 v82, v[87:88], v[76:77] offset0:16 offset1:17
	ds_write2_b64 v82, v[85:86], v[89:90] offset0:18 offset1:19
	;; [unrolled: 1-line block ×5, first 2 shown]
	v_mov_b32_e32 v76, v20
	v_mov_b32_e32 v77, v21
	v_mov_b32_e32 v85, v18
	v_mov_b32_e32 v86, v19
	v_mov_b32_e32 v87, v16
	v_mov_b32_e32 v88, v17
	v_mov_b32_e32 v89, v14
	v_mov_b32_e32 v90, v15
	ds_write2_b64 v82, v[76:77], v[85:86] offset0:26 offset1:27
	v_mov_b32_e32 v85, 13
	v_mov_b32_e32 v91, v12
	;; [unrolled: 1-line block ×9, first 2 shown]
	ds_write2_b64 v82, v[87:88], v[89:90] offset0:28 offset1:29
	ds_write2_b64 v82, v[91:92], v[93:94] offset0:30 offset1:31
	;; [unrolled: 1-line block ×3, first 2 shown]
	ds_write_b64 v82, v[74:75] offset:272
.LBB68_231:
	s_or_b32 exec_lo, exec_lo, s0
	s_mov_b32 s0, exec_lo
	s_waitcnt lgkmcnt(0)
	s_waitcnt_vscnt null, 0x0
	s_barrier
	buffer_gl0_inv
	v_cmpx_lt_i32_e32 13, v85
	s_cbranch_execz .LBB68_233
; %bb.232:
	v_mul_f64 v[44:45], v[0:1], v[44:45]
	ds_read2_b64 v[86:89], v82 offset0:14 offset1:15
	ds_read2_b64 v[90:93], v82 offset0:16 offset1:17
	ds_read2_b64 v[94:97], v82 offset0:18 offset1:19
	ds_read2_b64 v[98:101], v82 offset0:20 offset1:21
	ds_read2_b64 v[102:105], v82 offset0:22 offset1:23
	ds_read2_b64 v[106:109], v82 offset0:24 offset1:25
	ds_read2_b64 v[110:113], v82 offset0:26 offset1:27
	ds_read2_b64 v[114:117], v82 offset0:28 offset1:29
	ds_read2_b64 v[118:121], v82 offset0:30 offset1:31
	ds_read2_b64 v[122:125], v82 offset0:32 offset1:33
	ds_read_b64 v[0:1], v82 offset:272
	s_waitcnt lgkmcnt(10)
	v_fma_f64 v[46:47], -v[44:45], v[86:87], v[46:47]
	v_fma_f64 v[42:43], -v[44:45], v[88:89], v[42:43]
	s_waitcnt lgkmcnt(9)
	v_fma_f64 v[40:41], -v[44:45], v[90:91], v[40:41]
	v_fma_f64 v[38:39], -v[44:45], v[92:93], v[38:39]
	;; [unrolled: 3-line block ×10, first 2 shown]
	s_waitcnt lgkmcnt(0)
	v_fma_f64 v[74:75], -v[44:45], v[0:1], v[74:75]
.LBB68_233:
	s_or_b32 exec_lo, exec_lo, s0
	v_lshl_add_u32 v0, v85, 3, v82
	s_barrier
	buffer_gl0_inv
	v_mov_b32_e32 v76, 14
	ds_write_b64 v0, v[46:47]
	s_waitcnt lgkmcnt(0)
	s_barrier
	buffer_gl0_inv
	ds_read_b64 v[0:1], v82 offset:112
	s_cmp_lt_i32 s7, 16
	s_cbranch_scc1 .LBB68_236
; %bb.234:
	v_add3_u32 v77, v83, 0, 0x78
	v_mov_b32_e32 v76, 14
	s_mov_b32 s0, 15
.LBB68_235:                             ; =>This Inner Loop Header: Depth=1
	ds_read_b64 v[86:87], v77
	v_add_nc_u32_e32 v77, 8, v77
	s_waitcnt lgkmcnt(0)
	v_cmp_lt_f64_e64 vcc_lo, |v[0:1]|, |v[86:87]|
	v_cndmask_b32_e32 v1, v1, v87, vcc_lo
	v_cndmask_b32_e32 v0, v0, v86, vcc_lo
	v_cndmask_b32_e64 v76, v76, s0, vcc_lo
	s_add_i32 s0, s0, 1
	s_cmp_lg_u32 s7, s0
	s_cbranch_scc1 .LBB68_235
.LBB68_236:
	s_mov_b32 s0, exec_lo
	s_waitcnt lgkmcnt(0)
	v_cmpx_eq_f64_e32 0, v[0:1]
	s_xor_b32 s0, exec_lo, s0
; %bb.237:
	v_cmp_ne_u32_e32 vcc_lo, 0, v84
	v_cndmask_b32_e32 v84, 15, v84, vcc_lo
; %bb.238:
	s_andn2_saveexec_b32 s0, s0
	s_cbranch_execz .LBB68_240
; %bb.239:
	v_div_scale_f64 v[77:78], null, v[0:1], v[0:1], 1.0
	v_rcp_f64_e32 v[86:87], v[77:78]
	v_fma_f64 v[88:89], -v[77:78], v[86:87], 1.0
	v_fma_f64 v[86:87], v[86:87], v[88:89], v[86:87]
	v_fma_f64 v[88:89], -v[77:78], v[86:87], 1.0
	v_fma_f64 v[86:87], v[86:87], v[88:89], v[86:87]
	v_div_scale_f64 v[88:89], vcc_lo, 1.0, v[0:1], 1.0
	v_mul_f64 v[90:91], v[88:89], v[86:87]
	v_fma_f64 v[77:78], -v[77:78], v[90:91], v[88:89]
	v_div_fmas_f64 v[77:78], v[77:78], v[86:87], v[90:91]
	v_div_fixup_f64 v[0:1], v[77:78], v[0:1], 1.0
.LBB68_240:
	s_or_b32 exec_lo, exec_lo, s0
	s_mov_b32 s0, exec_lo
	v_cmpx_ne_u32_e64 v85, v76
	s_xor_b32 s0, exec_lo, s0
	s_cbranch_execz .LBB68_246
; %bb.241:
	s_mov_b32 s1, exec_lo
	v_cmpx_eq_u32_e32 14, v85
	s_cbranch_execz .LBB68_245
; %bb.242:
	v_cmp_ne_u32_e32 vcc_lo, 14, v76
	s_xor_b32 s2, s6, -1
	s_and_b32 s3, s2, vcc_lo
	s_and_saveexec_b32 s2, s3
	s_cbranch_execz .LBB68_244
; %bb.243:
	v_ashrrev_i32_e32 v77, 31, v76
	v_lshlrev_b64 v[77:78], 2, v[76:77]
	v_add_co_u32 v77, vcc_lo, v4, v77
	v_add_co_ci_u32_e64 v78, null, v5, v78, vcc_lo
	s_clause 0x1
	global_load_dword v79, v[77:78], off
	global_load_dword v85, v[4:5], off offset:56
	s_waitcnt vmcnt(1)
	global_store_dword v[4:5], v79, off offset:56
	s_waitcnt vmcnt(0)
	global_store_dword v[77:78], v85, off
.LBB68_244:
	s_or_b32 exec_lo, exec_lo, s2
	v_mov_b32_e32 v79, v76
	v_mov_b32_e32 v85, v76
.LBB68_245:
	s_or_b32 exec_lo, exec_lo, s1
.LBB68_246:
	s_andn2_saveexec_b32 s0, s0
	s_cbranch_execz .LBB68_248
; %bb.247:
	v_mov_b32_e32 v85, 14
	ds_write2_b64 v82, v[42:43], v[40:41] offset0:15 offset1:16
	ds_write2_b64 v82, v[38:39], v[36:37] offset0:17 offset1:18
	ds_write2_b64 v82, v[34:35], v[32:33] offset0:19 offset1:20
	ds_write2_b64 v82, v[28:29], v[30:31] offset0:21 offset1:22
	ds_write2_b64 v82, v[24:25], v[26:27] offset0:23 offset1:24
	ds_write2_b64 v82, v[22:23], v[20:21] offset0:25 offset1:26
	ds_write2_b64 v82, v[18:19], v[16:17] offset0:27 offset1:28
	ds_write2_b64 v82, v[14:15], v[12:13] offset0:29 offset1:30
	ds_write2_b64 v82, v[8:9], v[10:11] offset0:31 offset1:32
	ds_write2_b64 v82, v[6:7], v[74:75] offset0:33 offset1:34
.LBB68_248:
	s_or_b32 exec_lo, exec_lo, s0
	s_mov_b32 s0, exec_lo
	s_waitcnt lgkmcnt(0)
	s_waitcnt_vscnt null, 0x0
	s_barrier
	buffer_gl0_inv
	v_cmpx_lt_i32_e32 14, v85
	s_cbranch_execz .LBB68_250
; %bb.249:
	v_mul_f64 v[46:47], v[0:1], v[46:47]
	ds_read2_b64 v[86:89], v82 offset0:15 offset1:16
	ds_read2_b64 v[90:93], v82 offset0:17 offset1:18
	;; [unrolled: 1-line block ×10, first 2 shown]
	s_waitcnt lgkmcnt(9)
	v_fma_f64 v[42:43], -v[46:47], v[86:87], v[42:43]
	v_fma_f64 v[40:41], -v[46:47], v[88:89], v[40:41]
	s_waitcnt lgkmcnt(8)
	v_fma_f64 v[38:39], -v[46:47], v[90:91], v[38:39]
	v_fma_f64 v[36:37], -v[46:47], v[92:93], v[36:37]
	;; [unrolled: 3-line block ×10, first 2 shown]
.LBB68_250:
	s_or_b32 exec_lo, exec_lo, s0
	v_lshl_add_u32 v0, v85, 3, v82
	s_barrier
	buffer_gl0_inv
	v_mov_b32_e32 v76, 15
	ds_write_b64 v0, v[42:43]
	s_waitcnt lgkmcnt(0)
	s_barrier
	buffer_gl0_inv
	ds_read_b64 v[0:1], v82 offset:120
	s_cmp_lt_i32 s7, 17
	s_cbranch_scc1 .LBB68_253
; %bb.251:
	v_add3_u32 v77, v83, 0, 0x80
	v_mov_b32_e32 v76, 15
	s_mov_b32 s0, 16
.LBB68_252:                             ; =>This Inner Loop Header: Depth=1
	ds_read_b64 v[86:87], v77
	v_add_nc_u32_e32 v77, 8, v77
	s_waitcnt lgkmcnt(0)
	v_cmp_lt_f64_e64 vcc_lo, |v[0:1]|, |v[86:87]|
	v_cndmask_b32_e32 v1, v1, v87, vcc_lo
	v_cndmask_b32_e32 v0, v0, v86, vcc_lo
	v_cndmask_b32_e64 v76, v76, s0, vcc_lo
	s_add_i32 s0, s0, 1
	s_cmp_lg_u32 s7, s0
	s_cbranch_scc1 .LBB68_252
.LBB68_253:
	s_mov_b32 s0, exec_lo
	s_waitcnt lgkmcnt(0)
	v_cmpx_eq_f64_e32 0, v[0:1]
	s_xor_b32 s0, exec_lo, s0
; %bb.254:
	v_cmp_ne_u32_e32 vcc_lo, 0, v84
	v_cndmask_b32_e32 v84, 16, v84, vcc_lo
; %bb.255:
	s_andn2_saveexec_b32 s0, s0
	s_cbranch_execz .LBB68_257
; %bb.256:
	v_div_scale_f64 v[77:78], null, v[0:1], v[0:1], 1.0
	v_rcp_f64_e32 v[86:87], v[77:78]
	v_fma_f64 v[88:89], -v[77:78], v[86:87], 1.0
	v_fma_f64 v[86:87], v[86:87], v[88:89], v[86:87]
	v_fma_f64 v[88:89], -v[77:78], v[86:87], 1.0
	v_fma_f64 v[86:87], v[86:87], v[88:89], v[86:87]
	v_div_scale_f64 v[88:89], vcc_lo, 1.0, v[0:1], 1.0
	v_mul_f64 v[90:91], v[88:89], v[86:87]
	v_fma_f64 v[77:78], -v[77:78], v[90:91], v[88:89]
	v_div_fmas_f64 v[77:78], v[77:78], v[86:87], v[90:91]
	v_div_fixup_f64 v[0:1], v[77:78], v[0:1], 1.0
.LBB68_257:
	s_or_b32 exec_lo, exec_lo, s0
	s_mov_b32 s0, exec_lo
	v_cmpx_ne_u32_e64 v85, v76
	s_xor_b32 s0, exec_lo, s0
	s_cbranch_execz .LBB68_263
; %bb.258:
	s_mov_b32 s1, exec_lo
	v_cmpx_eq_u32_e32 15, v85
	s_cbranch_execz .LBB68_262
; %bb.259:
	v_cmp_ne_u32_e32 vcc_lo, 15, v76
	s_xor_b32 s2, s6, -1
	s_and_b32 s3, s2, vcc_lo
	s_and_saveexec_b32 s2, s3
	s_cbranch_execz .LBB68_261
; %bb.260:
	v_ashrrev_i32_e32 v77, 31, v76
	v_lshlrev_b64 v[77:78], 2, v[76:77]
	v_add_co_u32 v77, vcc_lo, v4, v77
	v_add_co_ci_u32_e64 v78, null, v5, v78, vcc_lo
	s_clause 0x1
	global_load_dword v79, v[77:78], off
	global_load_dword v85, v[4:5], off offset:60
	s_waitcnt vmcnt(1)
	global_store_dword v[4:5], v79, off offset:60
	s_waitcnt vmcnt(0)
	global_store_dword v[77:78], v85, off
.LBB68_261:
	s_or_b32 exec_lo, exec_lo, s2
	v_mov_b32_e32 v79, v76
	v_mov_b32_e32 v85, v76
.LBB68_262:
	s_or_b32 exec_lo, exec_lo, s1
.LBB68_263:
	s_andn2_saveexec_b32 s0, s0
	s_cbranch_execz .LBB68_265
; %bb.264:
	v_mov_b32_e32 v76, v40
	v_mov_b32_e32 v77, v41
	;; [unrolled: 1-line block ×20, first 2 shown]
	ds_write2_b64 v82, v[76:77], v[85:86] offset0:16 offset1:17
	ds_write2_b64 v82, v[87:88], v[89:90] offset0:18 offset1:19
	;; [unrolled: 1-line block ×5, first 2 shown]
	v_mov_b32_e32 v76, v20
	v_mov_b32_e32 v77, v21
	;; [unrolled: 1-line block ×8, first 2 shown]
	ds_write2_b64 v82, v[76:77], v[85:86] offset0:26 offset1:27
	v_mov_b32_e32 v85, 15
	v_mov_b32_e32 v91, v12
	;; [unrolled: 1-line block ×9, first 2 shown]
	ds_write2_b64 v82, v[87:88], v[89:90] offset0:28 offset1:29
	ds_write2_b64 v82, v[91:92], v[93:94] offset0:30 offset1:31
	;; [unrolled: 1-line block ×3, first 2 shown]
	ds_write_b64 v82, v[74:75] offset:272
.LBB68_265:
	s_or_b32 exec_lo, exec_lo, s0
	s_mov_b32 s0, exec_lo
	s_waitcnt lgkmcnt(0)
	s_waitcnt_vscnt null, 0x0
	s_barrier
	buffer_gl0_inv
	v_cmpx_lt_i32_e32 15, v85
	s_cbranch_execz .LBB68_267
; %bb.266:
	v_mul_f64 v[42:43], v[0:1], v[42:43]
	ds_read2_b64 v[86:89], v82 offset0:16 offset1:17
	ds_read2_b64 v[90:93], v82 offset0:18 offset1:19
	;; [unrolled: 1-line block ×9, first 2 shown]
	ds_read_b64 v[0:1], v82 offset:272
	s_waitcnt lgkmcnt(9)
	v_fma_f64 v[40:41], -v[42:43], v[86:87], v[40:41]
	v_fma_f64 v[38:39], -v[42:43], v[88:89], v[38:39]
	s_waitcnt lgkmcnt(8)
	v_fma_f64 v[36:37], -v[42:43], v[90:91], v[36:37]
	v_fma_f64 v[34:35], -v[42:43], v[92:93], v[34:35]
	;; [unrolled: 3-line block ×9, first 2 shown]
	s_waitcnt lgkmcnt(0)
	v_fma_f64 v[74:75], -v[42:43], v[0:1], v[74:75]
.LBB68_267:
	s_or_b32 exec_lo, exec_lo, s0
	v_lshl_add_u32 v0, v85, 3, v82
	s_barrier
	buffer_gl0_inv
	v_mov_b32_e32 v76, 16
	ds_write_b64 v0, v[40:41]
	s_waitcnt lgkmcnt(0)
	s_barrier
	buffer_gl0_inv
	ds_read_b64 v[0:1], v82 offset:128
	s_cmp_lt_i32 s7, 18
	s_cbranch_scc1 .LBB68_270
; %bb.268:
	v_add3_u32 v77, v83, 0, 0x88
	v_mov_b32_e32 v76, 16
	s_mov_b32 s0, 17
.LBB68_269:                             ; =>This Inner Loop Header: Depth=1
	ds_read_b64 v[86:87], v77
	v_add_nc_u32_e32 v77, 8, v77
	s_waitcnt lgkmcnt(0)
	v_cmp_lt_f64_e64 vcc_lo, |v[0:1]|, |v[86:87]|
	v_cndmask_b32_e32 v1, v1, v87, vcc_lo
	v_cndmask_b32_e32 v0, v0, v86, vcc_lo
	v_cndmask_b32_e64 v76, v76, s0, vcc_lo
	s_add_i32 s0, s0, 1
	s_cmp_lg_u32 s7, s0
	s_cbranch_scc1 .LBB68_269
.LBB68_270:
	s_mov_b32 s0, exec_lo
	s_waitcnt lgkmcnt(0)
	v_cmpx_eq_f64_e32 0, v[0:1]
	s_xor_b32 s0, exec_lo, s0
; %bb.271:
	v_cmp_ne_u32_e32 vcc_lo, 0, v84
	v_cndmask_b32_e32 v84, 17, v84, vcc_lo
; %bb.272:
	s_andn2_saveexec_b32 s0, s0
	s_cbranch_execz .LBB68_274
; %bb.273:
	v_div_scale_f64 v[77:78], null, v[0:1], v[0:1], 1.0
	v_rcp_f64_e32 v[86:87], v[77:78]
	v_fma_f64 v[88:89], -v[77:78], v[86:87], 1.0
	v_fma_f64 v[86:87], v[86:87], v[88:89], v[86:87]
	v_fma_f64 v[88:89], -v[77:78], v[86:87], 1.0
	v_fma_f64 v[86:87], v[86:87], v[88:89], v[86:87]
	v_div_scale_f64 v[88:89], vcc_lo, 1.0, v[0:1], 1.0
	v_mul_f64 v[90:91], v[88:89], v[86:87]
	v_fma_f64 v[77:78], -v[77:78], v[90:91], v[88:89]
	v_div_fmas_f64 v[77:78], v[77:78], v[86:87], v[90:91]
	v_div_fixup_f64 v[0:1], v[77:78], v[0:1], 1.0
.LBB68_274:
	s_or_b32 exec_lo, exec_lo, s0
	s_mov_b32 s0, exec_lo
	v_cmpx_ne_u32_e64 v85, v76
	s_xor_b32 s0, exec_lo, s0
	s_cbranch_execz .LBB68_280
; %bb.275:
	s_mov_b32 s1, exec_lo
	v_cmpx_eq_u32_e32 16, v85
	s_cbranch_execz .LBB68_279
; %bb.276:
	v_cmp_ne_u32_e32 vcc_lo, 16, v76
	s_xor_b32 s2, s6, -1
	s_and_b32 s3, s2, vcc_lo
	s_and_saveexec_b32 s2, s3
	s_cbranch_execz .LBB68_278
; %bb.277:
	v_ashrrev_i32_e32 v77, 31, v76
	v_lshlrev_b64 v[77:78], 2, v[76:77]
	v_add_co_u32 v77, vcc_lo, v4, v77
	v_add_co_ci_u32_e64 v78, null, v5, v78, vcc_lo
	s_clause 0x1
	global_load_dword v79, v[77:78], off
	global_load_dword v85, v[4:5], off offset:64
	s_waitcnt vmcnt(1)
	global_store_dword v[4:5], v79, off offset:64
	s_waitcnt vmcnt(0)
	global_store_dword v[77:78], v85, off
.LBB68_278:
	s_or_b32 exec_lo, exec_lo, s2
	v_mov_b32_e32 v79, v76
	v_mov_b32_e32 v85, v76
.LBB68_279:
	s_or_b32 exec_lo, exec_lo, s1
.LBB68_280:
	s_andn2_saveexec_b32 s0, s0
	s_cbranch_execz .LBB68_282
; %bb.281:
	v_mov_b32_e32 v85, 16
	ds_write2_b64 v82, v[38:39], v[36:37] offset0:17 offset1:18
	ds_write2_b64 v82, v[34:35], v[32:33] offset0:19 offset1:20
	;; [unrolled: 1-line block ×9, first 2 shown]
.LBB68_282:
	s_or_b32 exec_lo, exec_lo, s0
	s_mov_b32 s0, exec_lo
	s_waitcnt lgkmcnt(0)
	s_waitcnt_vscnt null, 0x0
	s_barrier
	buffer_gl0_inv
	v_cmpx_lt_i32_e32 16, v85
	s_cbranch_execz .LBB68_284
; %bb.283:
	v_mul_f64 v[40:41], v[0:1], v[40:41]
	ds_read2_b64 v[86:89], v82 offset0:17 offset1:18
	ds_read2_b64 v[90:93], v82 offset0:19 offset1:20
	;; [unrolled: 1-line block ×9, first 2 shown]
	s_waitcnt lgkmcnt(8)
	v_fma_f64 v[38:39], -v[40:41], v[86:87], v[38:39]
	v_fma_f64 v[36:37], -v[40:41], v[88:89], v[36:37]
	s_waitcnt lgkmcnt(7)
	v_fma_f64 v[34:35], -v[40:41], v[90:91], v[34:35]
	v_fma_f64 v[32:33], -v[40:41], v[92:93], v[32:33]
	;; [unrolled: 3-line block ×9, first 2 shown]
.LBB68_284:
	s_or_b32 exec_lo, exec_lo, s0
	v_lshl_add_u32 v0, v85, 3, v82
	s_barrier
	buffer_gl0_inv
	v_mov_b32_e32 v76, 17
	ds_write_b64 v0, v[38:39]
	s_waitcnt lgkmcnt(0)
	s_barrier
	buffer_gl0_inv
	ds_read_b64 v[0:1], v82 offset:136
	s_cmp_lt_i32 s7, 19
	s_cbranch_scc1 .LBB68_287
; %bb.285:
	v_add3_u32 v77, v83, 0, 0x90
	v_mov_b32_e32 v76, 17
	s_mov_b32 s0, 18
.LBB68_286:                             ; =>This Inner Loop Header: Depth=1
	ds_read_b64 v[86:87], v77
	v_add_nc_u32_e32 v77, 8, v77
	s_waitcnt lgkmcnt(0)
	v_cmp_lt_f64_e64 vcc_lo, |v[0:1]|, |v[86:87]|
	v_cndmask_b32_e32 v1, v1, v87, vcc_lo
	v_cndmask_b32_e32 v0, v0, v86, vcc_lo
	v_cndmask_b32_e64 v76, v76, s0, vcc_lo
	s_add_i32 s0, s0, 1
	s_cmp_lg_u32 s7, s0
	s_cbranch_scc1 .LBB68_286
.LBB68_287:
	s_mov_b32 s0, exec_lo
	s_waitcnt lgkmcnt(0)
	v_cmpx_eq_f64_e32 0, v[0:1]
	s_xor_b32 s0, exec_lo, s0
; %bb.288:
	v_cmp_ne_u32_e32 vcc_lo, 0, v84
	v_cndmask_b32_e32 v84, 18, v84, vcc_lo
; %bb.289:
	s_andn2_saveexec_b32 s0, s0
	s_cbranch_execz .LBB68_291
; %bb.290:
	v_div_scale_f64 v[77:78], null, v[0:1], v[0:1], 1.0
	v_rcp_f64_e32 v[86:87], v[77:78]
	v_fma_f64 v[88:89], -v[77:78], v[86:87], 1.0
	v_fma_f64 v[86:87], v[86:87], v[88:89], v[86:87]
	v_fma_f64 v[88:89], -v[77:78], v[86:87], 1.0
	v_fma_f64 v[86:87], v[86:87], v[88:89], v[86:87]
	v_div_scale_f64 v[88:89], vcc_lo, 1.0, v[0:1], 1.0
	v_mul_f64 v[90:91], v[88:89], v[86:87]
	v_fma_f64 v[77:78], -v[77:78], v[90:91], v[88:89]
	v_div_fmas_f64 v[77:78], v[77:78], v[86:87], v[90:91]
	v_div_fixup_f64 v[0:1], v[77:78], v[0:1], 1.0
.LBB68_291:
	s_or_b32 exec_lo, exec_lo, s0
	s_mov_b32 s0, exec_lo
	v_cmpx_ne_u32_e64 v85, v76
	s_xor_b32 s0, exec_lo, s0
	s_cbranch_execz .LBB68_297
; %bb.292:
	s_mov_b32 s1, exec_lo
	v_cmpx_eq_u32_e32 17, v85
	s_cbranch_execz .LBB68_296
; %bb.293:
	v_cmp_ne_u32_e32 vcc_lo, 17, v76
	s_xor_b32 s2, s6, -1
	s_and_b32 s3, s2, vcc_lo
	s_and_saveexec_b32 s2, s3
	s_cbranch_execz .LBB68_295
; %bb.294:
	v_ashrrev_i32_e32 v77, 31, v76
	v_lshlrev_b64 v[77:78], 2, v[76:77]
	v_add_co_u32 v77, vcc_lo, v4, v77
	v_add_co_ci_u32_e64 v78, null, v5, v78, vcc_lo
	s_clause 0x1
	global_load_dword v79, v[77:78], off
	global_load_dword v85, v[4:5], off offset:68
	s_waitcnt vmcnt(1)
	global_store_dword v[4:5], v79, off offset:68
	s_waitcnt vmcnt(0)
	global_store_dword v[77:78], v85, off
.LBB68_295:
	s_or_b32 exec_lo, exec_lo, s2
	v_mov_b32_e32 v79, v76
	v_mov_b32_e32 v85, v76
.LBB68_296:
	s_or_b32 exec_lo, exec_lo, s1
.LBB68_297:
	s_andn2_saveexec_b32 s0, s0
	s_cbranch_execz .LBB68_299
; %bb.298:
	v_mov_b32_e32 v76, v36
	v_mov_b32_e32 v77, v37
	v_mov_b32_e32 v85, v34
	v_mov_b32_e32 v86, v35
	v_mov_b32_e32 v87, v32
	v_mov_b32_e32 v88, v33
	v_mov_b32_e32 v89, v28
	v_mov_b32_e32 v90, v29
	v_mov_b32_e32 v91, v30
	v_mov_b32_e32 v92, v31
	v_mov_b32_e32 v93, v24
	v_mov_b32_e32 v94, v25
	v_mov_b32_e32 v95, v26
	v_mov_b32_e32 v96, v27
	v_mov_b32_e32 v97, v22
	v_mov_b32_e32 v98, v23
	ds_write2_b64 v82, v[76:77], v[85:86] offset0:18 offset1:19
	ds_write2_b64 v82, v[87:88], v[89:90] offset0:20 offset1:21
	;; [unrolled: 1-line block ×4, first 2 shown]
	v_mov_b32_e32 v76, v20
	v_mov_b32_e32 v77, v21
	v_mov_b32_e32 v85, v18
	v_mov_b32_e32 v86, v19
	v_mov_b32_e32 v87, v16
	v_mov_b32_e32 v88, v17
	v_mov_b32_e32 v89, v14
	v_mov_b32_e32 v90, v15
	ds_write2_b64 v82, v[76:77], v[85:86] offset0:26 offset1:27
	v_mov_b32_e32 v85, 17
	v_mov_b32_e32 v91, v12
	;; [unrolled: 1-line block ×9, first 2 shown]
	ds_write2_b64 v82, v[87:88], v[89:90] offset0:28 offset1:29
	ds_write2_b64 v82, v[91:92], v[93:94] offset0:30 offset1:31
	;; [unrolled: 1-line block ×3, first 2 shown]
	ds_write_b64 v82, v[74:75] offset:272
.LBB68_299:
	s_or_b32 exec_lo, exec_lo, s0
	s_mov_b32 s0, exec_lo
	s_waitcnt lgkmcnt(0)
	s_waitcnt_vscnt null, 0x0
	s_barrier
	buffer_gl0_inv
	v_cmpx_lt_i32_e32 17, v85
	s_cbranch_execz .LBB68_301
; %bb.300:
	v_mul_f64 v[38:39], v[0:1], v[38:39]
	ds_read2_b64 v[86:89], v82 offset0:18 offset1:19
	ds_read2_b64 v[90:93], v82 offset0:20 offset1:21
	ds_read2_b64 v[94:97], v82 offset0:22 offset1:23
	ds_read2_b64 v[98:101], v82 offset0:24 offset1:25
	ds_read2_b64 v[102:105], v82 offset0:26 offset1:27
	ds_read2_b64 v[106:109], v82 offset0:28 offset1:29
	ds_read2_b64 v[110:113], v82 offset0:30 offset1:31
	ds_read2_b64 v[114:117], v82 offset0:32 offset1:33
	ds_read_b64 v[0:1], v82 offset:272
	s_waitcnt lgkmcnt(8)
	v_fma_f64 v[36:37], -v[38:39], v[86:87], v[36:37]
	v_fma_f64 v[34:35], -v[38:39], v[88:89], v[34:35]
	s_waitcnt lgkmcnt(7)
	v_fma_f64 v[32:33], -v[38:39], v[90:91], v[32:33]
	v_fma_f64 v[28:29], -v[38:39], v[92:93], v[28:29]
	;; [unrolled: 3-line block ×8, first 2 shown]
	s_waitcnt lgkmcnt(0)
	v_fma_f64 v[74:75], -v[38:39], v[0:1], v[74:75]
.LBB68_301:
	s_or_b32 exec_lo, exec_lo, s0
	v_lshl_add_u32 v0, v85, 3, v82
	s_barrier
	buffer_gl0_inv
	v_mov_b32_e32 v76, 18
	ds_write_b64 v0, v[36:37]
	s_waitcnt lgkmcnt(0)
	s_barrier
	buffer_gl0_inv
	ds_read_b64 v[0:1], v82 offset:144
	s_cmp_lt_i32 s7, 20
	s_cbranch_scc1 .LBB68_304
; %bb.302:
	v_add3_u32 v77, v83, 0, 0x98
	v_mov_b32_e32 v76, 18
	s_mov_b32 s0, 19
.LBB68_303:                             ; =>This Inner Loop Header: Depth=1
	ds_read_b64 v[86:87], v77
	v_add_nc_u32_e32 v77, 8, v77
	s_waitcnt lgkmcnt(0)
	v_cmp_lt_f64_e64 vcc_lo, |v[0:1]|, |v[86:87]|
	v_cndmask_b32_e32 v1, v1, v87, vcc_lo
	v_cndmask_b32_e32 v0, v0, v86, vcc_lo
	v_cndmask_b32_e64 v76, v76, s0, vcc_lo
	s_add_i32 s0, s0, 1
	s_cmp_lg_u32 s7, s0
	s_cbranch_scc1 .LBB68_303
.LBB68_304:
	s_mov_b32 s0, exec_lo
	s_waitcnt lgkmcnt(0)
	v_cmpx_eq_f64_e32 0, v[0:1]
	s_xor_b32 s0, exec_lo, s0
; %bb.305:
	v_cmp_ne_u32_e32 vcc_lo, 0, v84
	v_cndmask_b32_e32 v84, 19, v84, vcc_lo
; %bb.306:
	s_andn2_saveexec_b32 s0, s0
	s_cbranch_execz .LBB68_308
; %bb.307:
	v_div_scale_f64 v[77:78], null, v[0:1], v[0:1], 1.0
	v_rcp_f64_e32 v[86:87], v[77:78]
	v_fma_f64 v[88:89], -v[77:78], v[86:87], 1.0
	v_fma_f64 v[86:87], v[86:87], v[88:89], v[86:87]
	v_fma_f64 v[88:89], -v[77:78], v[86:87], 1.0
	v_fma_f64 v[86:87], v[86:87], v[88:89], v[86:87]
	v_div_scale_f64 v[88:89], vcc_lo, 1.0, v[0:1], 1.0
	v_mul_f64 v[90:91], v[88:89], v[86:87]
	v_fma_f64 v[77:78], -v[77:78], v[90:91], v[88:89]
	v_div_fmas_f64 v[77:78], v[77:78], v[86:87], v[90:91]
	v_div_fixup_f64 v[0:1], v[77:78], v[0:1], 1.0
.LBB68_308:
	s_or_b32 exec_lo, exec_lo, s0
	s_mov_b32 s0, exec_lo
	v_cmpx_ne_u32_e64 v85, v76
	s_xor_b32 s0, exec_lo, s0
	s_cbranch_execz .LBB68_314
; %bb.309:
	s_mov_b32 s1, exec_lo
	v_cmpx_eq_u32_e32 18, v85
	s_cbranch_execz .LBB68_313
; %bb.310:
	v_cmp_ne_u32_e32 vcc_lo, 18, v76
	s_xor_b32 s2, s6, -1
	s_and_b32 s3, s2, vcc_lo
	s_and_saveexec_b32 s2, s3
	s_cbranch_execz .LBB68_312
; %bb.311:
	v_ashrrev_i32_e32 v77, 31, v76
	v_lshlrev_b64 v[77:78], 2, v[76:77]
	v_add_co_u32 v77, vcc_lo, v4, v77
	v_add_co_ci_u32_e64 v78, null, v5, v78, vcc_lo
	s_clause 0x1
	global_load_dword v79, v[77:78], off
	global_load_dword v85, v[4:5], off offset:72
	s_waitcnt vmcnt(1)
	global_store_dword v[4:5], v79, off offset:72
	s_waitcnt vmcnt(0)
	global_store_dword v[77:78], v85, off
.LBB68_312:
	s_or_b32 exec_lo, exec_lo, s2
	v_mov_b32_e32 v79, v76
	v_mov_b32_e32 v85, v76
.LBB68_313:
	s_or_b32 exec_lo, exec_lo, s1
.LBB68_314:
	s_andn2_saveexec_b32 s0, s0
	s_cbranch_execz .LBB68_316
; %bb.315:
	v_mov_b32_e32 v85, 18
	ds_write2_b64 v82, v[34:35], v[32:33] offset0:19 offset1:20
	ds_write2_b64 v82, v[28:29], v[30:31] offset0:21 offset1:22
	;; [unrolled: 1-line block ×8, first 2 shown]
.LBB68_316:
	s_or_b32 exec_lo, exec_lo, s0
	s_mov_b32 s0, exec_lo
	s_waitcnt lgkmcnt(0)
	s_waitcnt_vscnt null, 0x0
	s_barrier
	buffer_gl0_inv
	v_cmpx_lt_i32_e32 18, v85
	s_cbranch_execz .LBB68_318
; %bb.317:
	v_mul_f64 v[36:37], v[0:1], v[36:37]
	ds_read2_b64 v[86:89], v82 offset0:19 offset1:20
	ds_read2_b64 v[90:93], v82 offset0:21 offset1:22
	ds_read2_b64 v[94:97], v82 offset0:23 offset1:24
	ds_read2_b64 v[98:101], v82 offset0:25 offset1:26
	ds_read2_b64 v[102:105], v82 offset0:27 offset1:28
	ds_read2_b64 v[106:109], v82 offset0:29 offset1:30
	ds_read2_b64 v[110:113], v82 offset0:31 offset1:32
	ds_read2_b64 v[114:117], v82 offset0:33 offset1:34
	s_waitcnt lgkmcnt(7)
	v_fma_f64 v[34:35], -v[36:37], v[86:87], v[34:35]
	v_fma_f64 v[32:33], -v[36:37], v[88:89], v[32:33]
	s_waitcnt lgkmcnt(6)
	v_fma_f64 v[28:29], -v[36:37], v[90:91], v[28:29]
	v_fma_f64 v[30:31], -v[36:37], v[92:93], v[30:31]
	;; [unrolled: 3-line block ×8, first 2 shown]
.LBB68_318:
	s_or_b32 exec_lo, exec_lo, s0
	v_lshl_add_u32 v0, v85, 3, v82
	s_barrier
	buffer_gl0_inv
	v_mov_b32_e32 v76, 19
	ds_write_b64 v0, v[34:35]
	s_waitcnt lgkmcnt(0)
	s_barrier
	buffer_gl0_inv
	ds_read_b64 v[0:1], v82 offset:152
	s_cmp_lt_i32 s7, 21
	s_cbranch_scc1 .LBB68_321
; %bb.319:
	v_add3_u32 v77, v83, 0, 0xa0
	v_mov_b32_e32 v76, 19
	s_mov_b32 s0, 20
.LBB68_320:                             ; =>This Inner Loop Header: Depth=1
	ds_read_b64 v[86:87], v77
	v_add_nc_u32_e32 v77, 8, v77
	s_waitcnt lgkmcnt(0)
	v_cmp_lt_f64_e64 vcc_lo, |v[0:1]|, |v[86:87]|
	v_cndmask_b32_e32 v1, v1, v87, vcc_lo
	v_cndmask_b32_e32 v0, v0, v86, vcc_lo
	v_cndmask_b32_e64 v76, v76, s0, vcc_lo
	s_add_i32 s0, s0, 1
	s_cmp_lg_u32 s7, s0
	s_cbranch_scc1 .LBB68_320
.LBB68_321:
	s_mov_b32 s0, exec_lo
	s_waitcnt lgkmcnt(0)
	v_cmpx_eq_f64_e32 0, v[0:1]
	s_xor_b32 s0, exec_lo, s0
; %bb.322:
	v_cmp_ne_u32_e32 vcc_lo, 0, v84
	v_cndmask_b32_e32 v84, 20, v84, vcc_lo
; %bb.323:
	s_andn2_saveexec_b32 s0, s0
	s_cbranch_execz .LBB68_325
; %bb.324:
	v_div_scale_f64 v[77:78], null, v[0:1], v[0:1], 1.0
	v_rcp_f64_e32 v[86:87], v[77:78]
	v_fma_f64 v[88:89], -v[77:78], v[86:87], 1.0
	v_fma_f64 v[86:87], v[86:87], v[88:89], v[86:87]
	v_fma_f64 v[88:89], -v[77:78], v[86:87], 1.0
	v_fma_f64 v[86:87], v[86:87], v[88:89], v[86:87]
	v_div_scale_f64 v[88:89], vcc_lo, 1.0, v[0:1], 1.0
	v_mul_f64 v[90:91], v[88:89], v[86:87]
	v_fma_f64 v[77:78], -v[77:78], v[90:91], v[88:89]
	v_div_fmas_f64 v[77:78], v[77:78], v[86:87], v[90:91]
	v_div_fixup_f64 v[0:1], v[77:78], v[0:1], 1.0
.LBB68_325:
	s_or_b32 exec_lo, exec_lo, s0
	s_mov_b32 s0, exec_lo
	v_cmpx_ne_u32_e64 v85, v76
	s_xor_b32 s0, exec_lo, s0
	s_cbranch_execz .LBB68_331
; %bb.326:
	s_mov_b32 s1, exec_lo
	v_cmpx_eq_u32_e32 19, v85
	s_cbranch_execz .LBB68_330
; %bb.327:
	v_cmp_ne_u32_e32 vcc_lo, 19, v76
	s_xor_b32 s2, s6, -1
	s_and_b32 s3, s2, vcc_lo
	s_and_saveexec_b32 s2, s3
	s_cbranch_execz .LBB68_329
; %bb.328:
	v_ashrrev_i32_e32 v77, 31, v76
	v_lshlrev_b64 v[77:78], 2, v[76:77]
	v_add_co_u32 v77, vcc_lo, v4, v77
	v_add_co_ci_u32_e64 v78, null, v5, v78, vcc_lo
	s_clause 0x1
	global_load_dword v79, v[77:78], off
	global_load_dword v85, v[4:5], off offset:76
	s_waitcnt vmcnt(1)
	global_store_dword v[4:5], v79, off offset:76
	s_waitcnt vmcnt(0)
	global_store_dword v[77:78], v85, off
.LBB68_329:
	s_or_b32 exec_lo, exec_lo, s2
	v_mov_b32_e32 v79, v76
	v_mov_b32_e32 v85, v76
.LBB68_330:
	s_or_b32 exec_lo, exec_lo, s1
.LBB68_331:
	s_andn2_saveexec_b32 s0, s0
	s_cbranch_execz .LBB68_333
; %bb.332:
	v_mov_b32_e32 v76, v32
	v_mov_b32_e32 v77, v33
	;; [unrolled: 1-line block ×12, first 2 shown]
	ds_write2_b64 v82, v[76:77], v[85:86] offset0:20 offset1:21
	ds_write2_b64 v82, v[87:88], v[89:90] offset0:22 offset1:23
	;; [unrolled: 1-line block ×3, first 2 shown]
	v_mov_b32_e32 v76, v20
	v_mov_b32_e32 v77, v21
	;; [unrolled: 1-line block ×8, first 2 shown]
	ds_write2_b64 v82, v[76:77], v[85:86] offset0:26 offset1:27
	v_mov_b32_e32 v85, 19
	v_mov_b32_e32 v91, v12
	;; [unrolled: 1-line block ×9, first 2 shown]
	ds_write2_b64 v82, v[87:88], v[89:90] offset0:28 offset1:29
	ds_write2_b64 v82, v[91:92], v[93:94] offset0:30 offset1:31
	;; [unrolled: 1-line block ×3, first 2 shown]
	ds_write_b64 v82, v[74:75] offset:272
.LBB68_333:
	s_or_b32 exec_lo, exec_lo, s0
	s_mov_b32 s0, exec_lo
	s_waitcnt lgkmcnt(0)
	s_waitcnt_vscnt null, 0x0
	s_barrier
	buffer_gl0_inv
	v_cmpx_lt_i32_e32 19, v85
	s_cbranch_execz .LBB68_335
; %bb.334:
	v_mul_f64 v[34:35], v[0:1], v[34:35]
	ds_read2_b64 v[86:89], v82 offset0:20 offset1:21
	ds_read2_b64 v[90:93], v82 offset0:22 offset1:23
	;; [unrolled: 1-line block ×7, first 2 shown]
	ds_read_b64 v[0:1], v82 offset:272
	s_waitcnt lgkmcnt(7)
	v_fma_f64 v[32:33], -v[34:35], v[86:87], v[32:33]
	v_fma_f64 v[28:29], -v[34:35], v[88:89], v[28:29]
	s_waitcnt lgkmcnt(6)
	v_fma_f64 v[30:31], -v[34:35], v[90:91], v[30:31]
	v_fma_f64 v[24:25], -v[34:35], v[92:93], v[24:25]
	;; [unrolled: 3-line block ×7, first 2 shown]
	s_waitcnt lgkmcnt(0)
	v_fma_f64 v[74:75], -v[34:35], v[0:1], v[74:75]
.LBB68_335:
	s_or_b32 exec_lo, exec_lo, s0
	v_lshl_add_u32 v0, v85, 3, v82
	s_barrier
	buffer_gl0_inv
	v_mov_b32_e32 v76, 20
	ds_write_b64 v0, v[32:33]
	s_waitcnt lgkmcnt(0)
	s_barrier
	buffer_gl0_inv
	ds_read_b64 v[0:1], v82 offset:160
	s_cmp_lt_i32 s7, 22
	s_cbranch_scc1 .LBB68_338
; %bb.336:
	v_add3_u32 v77, v83, 0, 0xa8
	v_mov_b32_e32 v76, 20
	s_mov_b32 s0, 21
.LBB68_337:                             ; =>This Inner Loop Header: Depth=1
	ds_read_b64 v[86:87], v77
	v_add_nc_u32_e32 v77, 8, v77
	s_waitcnt lgkmcnt(0)
	v_cmp_lt_f64_e64 vcc_lo, |v[0:1]|, |v[86:87]|
	v_cndmask_b32_e32 v1, v1, v87, vcc_lo
	v_cndmask_b32_e32 v0, v0, v86, vcc_lo
	v_cndmask_b32_e64 v76, v76, s0, vcc_lo
	s_add_i32 s0, s0, 1
	s_cmp_lg_u32 s7, s0
	s_cbranch_scc1 .LBB68_337
.LBB68_338:
	s_mov_b32 s0, exec_lo
	s_waitcnt lgkmcnt(0)
	v_cmpx_eq_f64_e32 0, v[0:1]
	s_xor_b32 s0, exec_lo, s0
; %bb.339:
	v_cmp_ne_u32_e32 vcc_lo, 0, v84
	v_cndmask_b32_e32 v84, 21, v84, vcc_lo
; %bb.340:
	s_andn2_saveexec_b32 s0, s0
	s_cbranch_execz .LBB68_342
; %bb.341:
	v_div_scale_f64 v[77:78], null, v[0:1], v[0:1], 1.0
	v_rcp_f64_e32 v[86:87], v[77:78]
	v_fma_f64 v[88:89], -v[77:78], v[86:87], 1.0
	v_fma_f64 v[86:87], v[86:87], v[88:89], v[86:87]
	v_fma_f64 v[88:89], -v[77:78], v[86:87], 1.0
	v_fma_f64 v[86:87], v[86:87], v[88:89], v[86:87]
	v_div_scale_f64 v[88:89], vcc_lo, 1.0, v[0:1], 1.0
	v_mul_f64 v[90:91], v[88:89], v[86:87]
	v_fma_f64 v[77:78], -v[77:78], v[90:91], v[88:89]
	v_div_fmas_f64 v[77:78], v[77:78], v[86:87], v[90:91]
	v_div_fixup_f64 v[0:1], v[77:78], v[0:1], 1.0
.LBB68_342:
	s_or_b32 exec_lo, exec_lo, s0
	s_mov_b32 s0, exec_lo
	v_cmpx_ne_u32_e64 v85, v76
	s_xor_b32 s0, exec_lo, s0
	s_cbranch_execz .LBB68_348
; %bb.343:
	s_mov_b32 s1, exec_lo
	v_cmpx_eq_u32_e32 20, v85
	s_cbranch_execz .LBB68_347
; %bb.344:
	v_cmp_ne_u32_e32 vcc_lo, 20, v76
	s_xor_b32 s2, s6, -1
	s_and_b32 s3, s2, vcc_lo
	s_and_saveexec_b32 s2, s3
	s_cbranch_execz .LBB68_346
; %bb.345:
	v_ashrrev_i32_e32 v77, 31, v76
	v_lshlrev_b64 v[77:78], 2, v[76:77]
	v_add_co_u32 v77, vcc_lo, v4, v77
	v_add_co_ci_u32_e64 v78, null, v5, v78, vcc_lo
	s_clause 0x1
	global_load_dword v79, v[77:78], off
	global_load_dword v85, v[4:5], off offset:80
	s_waitcnt vmcnt(1)
	global_store_dword v[4:5], v79, off offset:80
	s_waitcnt vmcnt(0)
	global_store_dword v[77:78], v85, off
.LBB68_346:
	s_or_b32 exec_lo, exec_lo, s2
	v_mov_b32_e32 v79, v76
	v_mov_b32_e32 v85, v76
.LBB68_347:
	s_or_b32 exec_lo, exec_lo, s1
.LBB68_348:
	s_andn2_saveexec_b32 s0, s0
	s_cbranch_execz .LBB68_350
; %bb.349:
	v_mov_b32_e32 v85, 20
	ds_write2_b64 v82, v[28:29], v[30:31] offset0:21 offset1:22
	ds_write2_b64 v82, v[24:25], v[26:27] offset0:23 offset1:24
	;; [unrolled: 1-line block ×7, first 2 shown]
.LBB68_350:
	s_or_b32 exec_lo, exec_lo, s0
	s_mov_b32 s0, exec_lo
	s_waitcnt lgkmcnt(0)
	s_waitcnt_vscnt null, 0x0
	s_barrier
	buffer_gl0_inv
	v_cmpx_lt_i32_e32 20, v85
	s_cbranch_execz .LBB68_352
; %bb.351:
	v_mul_f64 v[32:33], v[0:1], v[32:33]
	ds_read2_b64 v[86:89], v82 offset0:21 offset1:22
	ds_read2_b64 v[90:93], v82 offset0:23 offset1:24
	;; [unrolled: 1-line block ×7, first 2 shown]
	s_waitcnt lgkmcnt(6)
	v_fma_f64 v[28:29], -v[32:33], v[86:87], v[28:29]
	v_fma_f64 v[30:31], -v[32:33], v[88:89], v[30:31]
	s_waitcnt lgkmcnt(5)
	v_fma_f64 v[24:25], -v[32:33], v[90:91], v[24:25]
	v_fma_f64 v[26:27], -v[32:33], v[92:93], v[26:27]
	;; [unrolled: 3-line block ×7, first 2 shown]
.LBB68_352:
	s_or_b32 exec_lo, exec_lo, s0
	v_lshl_add_u32 v0, v85, 3, v82
	s_barrier
	buffer_gl0_inv
	v_mov_b32_e32 v76, 21
	ds_write_b64 v0, v[28:29]
	s_waitcnt lgkmcnt(0)
	s_barrier
	buffer_gl0_inv
	ds_read_b64 v[0:1], v82 offset:168
	s_cmp_lt_i32 s7, 23
	s_cbranch_scc1 .LBB68_355
; %bb.353:
	v_add3_u32 v77, v83, 0, 0xb0
	v_mov_b32_e32 v76, 21
	s_mov_b32 s0, 22
.LBB68_354:                             ; =>This Inner Loop Header: Depth=1
	ds_read_b64 v[86:87], v77
	v_add_nc_u32_e32 v77, 8, v77
	s_waitcnt lgkmcnt(0)
	v_cmp_lt_f64_e64 vcc_lo, |v[0:1]|, |v[86:87]|
	v_cndmask_b32_e32 v1, v1, v87, vcc_lo
	v_cndmask_b32_e32 v0, v0, v86, vcc_lo
	v_cndmask_b32_e64 v76, v76, s0, vcc_lo
	s_add_i32 s0, s0, 1
	s_cmp_lg_u32 s7, s0
	s_cbranch_scc1 .LBB68_354
.LBB68_355:
	s_mov_b32 s0, exec_lo
	s_waitcnt lgkmcnt(0)
	v_cmpx_eq_f64_e32 0, v[0:1]
	s_xor_b32 s0, exec_lo, s0
; %bb.356:
	v_cmp_ne_u32_e32 vcc_lo, 0, v84
	v_cndmask_b32_e32 v84, 22, v84, vcc_lo
; %bb.357:
	s_andn2_saveexec_b32 s0, s0
	s_cbranch_execz .LBB68_359
; %bb.358:
	v_div_scale_f64 v[77:78], null, v[0:1], v[0:1], 1.0
	v_rcp_f64_e32 v[86:87], v[77:78]
	v_fma_f64 v[88:89], -v[77:78], v[86:87], 1.0
	v_fma_f64 v[86:87], v[86:87], v[88:89], v[86:87]
	v_fma_f64 v[88:89], -v[77:78], v[86:87], 1.0
	v_fma_f64 v[86:87], v[86:87], v[88:89], v[86:87]
	v_div_scale_f64 v[88:89], vcc_lo, 1.0, v[0:1], 1.0
	v_mul_f64 v[90:91], v[88:89], v[86:87]
	v_fma_f64 v[77:78], -v[77:78], v[90:91], v[88:89]
	v_div_fmas_f64 v[77:78], v[77:78], v[86:87], v[90:91]
	v_div_fixup_f64 v[0:1], v[77:78], v[0:1], 1.0
.LBB68_359:
	s_or_b32 exec_lo, exec_lo, s0
	s_mov_b32 s0, exec_lo
	v_cmpx_ne_u32_e64 v85, v76
	s_xor_b32 s0, exec_lo, s0
	s_cbranch_execz .LBB68_365
; %bb.360:
	s_mov_b32 s1, exec_lo
	v_cmpx_eq_u32_e32 21, v85
	s_cbranch_execz .LBB68_364
; %bb.361:
	v_cmp_ne_u32_e32 vcc_lo, 21, v76
	s_xor_b32 s2, s6, -1
	s_and_b32 s3, s2, vcc_lo
	s_and_saveexec_b32 s2, s3
	s_cbranch_execz .LBB68_363
; %bb.362:
	v_ashrrev_i32_e32 v77, 31, v76
	v_lshlrev_b64 v[77:78], 2, v[76:77]
	v_add_co_u32 v77, vcc_lo, v4, v77
	v_add_co_ci_u32_e64 v78, null, v5, v78, vcc_lo
	s_clause 0x1
	global_load_dword v79, v[77:78], off
	global_load_dword v85, v[4:5], off offset:84
	s_waitcnt vmcnt(1)
	global_store_dword v[4:5], v79, off offset:84
	s_waitcnt vmcnt(0)
	global_store_dword v[77:78], v85, off
.LBB68_363:
	s_or_b32 exec_lo, exec_lo, s2
	v_mov_b32_e32 v79, v76
	v_mov_b32_e32 v85, v76
.LBB68_364:
	s_or_b32 exec_lo, exec_lo, s1
.LBB68_365:
	s_andn2_saveexec_b32 s0, s0
	s_cbranch_execz .LBB68_367
; %bb.366:
	v_mov_b32_e32 v76, v30
	v_mov_b32_e32 v77, v31
	;; [unrolled: 1-line block ×8, first 2 shown]
	ds_write2_b64 v82, v[76:77], v[85:86] offset0:22 offset1:23
	ds_write2_b64 v82, v[87:88], v[89:90] offset0:24 offset1:25
	v_mov_b32_e32 v76, v20
	v_mov_b32_e32 v77, v21
	;; [unrolled: 1-line block ×8, first 2 shown]
	ds_write2_b64 v82, v[76:77], v[85:86] offset0:26 offset1:27
	v_mov_b32_e32 v85, 21
	v_mov_b32_e32 v91, v12
	;; [unrolled: 1-line block ×9, first 2 shown]
	ds_write2_b64 v82, v[87:88], v[89:90] offset0:28 offset1:29
	ds_write2_b64 v82, v[91:92], v[93:94] offset0:30 offset1:31
	;; [unrolled: 1-line block ×3, first 2 shown]
	ds_write_b64 v82, v[74:75] offset:272
.LBB68_367:
	s_or_b32 exec_lo, exec_lo, s0
	s_mov_b32 s0, exec_lo
	s_waitcnt lgkmcnt(0)
	s_waitcnt_vscnt null, 0x0
	s_barrier
	buffer_gl0_inv
	v_cmpx_lt_i32_e32 21, v85
	s_cbranch_execz .LBB68_369
; %bb.368:
	v_mul_f64 v[28:29], v[0:1], v[28:29]
	ds_read2_b64 v[86:89], v82 offset0:22 offset1:23
	ds_read2_b64 v[90:93], v82 offset0:24 offset1:25
	;; [unrolled: 1-line block ×6, first 2 shown]
	ds_read_b64 v[0:1], v82 offset:272
	s_waitcnt lgkmcnt(6)
	v_fma_f64 v[30:31], -v[28:29], v[86:87], v[30:31]
	v_fma_f64 v[24:25], -v[28:29], v[88:89], v[24:25]
	s_waitcnt lgkmcnt(5)
	v_fma_f64 v[26:27], -v[28:29], v[90:91], v[26:27]
	v_fma_f64 v[22:23], -v[28:29], v[92:93], v[22:23]
	;; [unrolled: 3-line block ×6, first 2 shown]
	s_waitcnt lgkmcnt(0)
	v_fma_f64 v[74:75], -v[28:29], v[0:1], v[74:75]
.LBB68_369:
	s_or_b32 exec_lo, exec_lo, s0
	v_lshl_add_u32 v0, v85, 3, v82
	s_barrier
	buffer_gl0_inv
	v_mov_b32_e32 v76, 22
	ds_write_b64 v0, v[30:31]
	s_waitcnt lgkmcnt(0)
	s_barrier
	buffer_gl0_inv
	ds_read_b64 v[0:1], v82 offset:176
	s_cmp_lt_i32 s7, 24
	s_cbranch_scc1 .LBB68_372
; %bb.370:
	v_add3_u32 v77, v83, 0, 0xb8
	v_mov_b32_e32 v76, 22
	s_mov_b32 s0, 23
.LBB68_371:                             ; =>This Inner Loop Header: Depth=1
	ds_read_b64 v[86:87], v77
	v_add_nc_u32_e32 v77, 8, v77
	s_waitcnt lgkmcnt(0)
	v_cmp_lt_f64_e64 vcc_lo, |v[0:1]|, |v[86:87]|
	v_cndmask_b32_e32 v1, v1, v87, vcc_lo
	v_cndmask_b32_e32 v0, v0, v86, vcc_lo
	v_cndmask_b32_e64 v76, v76, s0, vcc_lo
	s_add_i32 s0, s0, 1
	s_cmp_lg_u32 s7, s0
	s_cbranch_scc1 .LBB68_371
.LBB68_372:
	s_mov_b32 s0, exec_lo
	s_waitcnt lgkmcnt(0)
	v_cmpx_eq_f64_e32 0, v[0:1]
	s_xor_b32 s0, exec_lo, s0
; %bb.373:
	v_cmp_ne_u32_e32 vcc_lo, 0, v84
	v_cndmask_b32_e32 v84, 23, v84, vcc_lo
; %bb.374:
	s_andn2_saveexec_b32 s0, s0
	s_cbranch_execz .LBB68_376
; %bb.375:
	v_div_scale_f64 v[77:78], null, v[0:1], v[0:1], 1.0
	v_rcp_f64_e32 v[86:87], v[77:78]
	v_fma_f64 v[88:89], -v[77:78], v[86:87], 1.0
	v_fma_f64 v[86:87], v[86:87], v[88:89], v[86:87]
	v_fma_f64 v[88:89], -v[77:78], v[86:87], 1.0
	v_fma_f64 v[86:87], v[86:87], v[88:89], v[86:87]
	v_div_scale_f64 v[88:89], vcc_lo, 1.0, v[0:1], 1.0
	v_mul_f64 v[90:91], v[88:89], v[86:87]
	v_fma_f64 v[77:78], -v[77:78], v[90:91], v[88:89]
	v_div_fmas_f64 v[77:78], v[77:78], v[86:87], v[90:91]
	v_div_fixup_f64 v[0:1], v[77:78], v[0:1], 1.0
.LBB68_376:
	s_or_b32 exec_lo, exec_lo, s0
	s_mov_b32 s0, exec_lo
	v_cmpx_ne_u32_e64 v85, v76
	s_xor_b32 s0, exec_lo, s0
	s_cbranch_execz .LBB68_382
; %bb.377:
	s_mov_b32 s1, exec_lo
	v_cmpx_eq_u32_e32 22, v85
	s_cbranch_execz .LBB68_381
; %bb.378:
	v_cmp_ne_u32_e32 vcc_lo, 22, v76
	s_xor_b32 s2, s6, -1
	s_and_b32 s3, s2, vcc_lo
	s_and_saveexec_b32 s2, s3
	s_cbranch_execz .LBB68_380
; %bb.379:
	v_ashrrev_i32_e32 v77, 31, v76
	v_lshlrev_b64 v[77:78], 2, v[76:77]
	v_add_co_u32 v77, vcc_lo, v4, v77
	v_add_co_ci_u32_e64 v78, null, v5, v78, vcc_lo
	s_clause 0x1
	global_load_dword v79, v[77:78], off
	global_load_dword v85, v[4:5], off offset:88
	s_waitcnt vmcnt(1)
	global_store_dword v[4:5], v79, off offset:88
	s_waitcnt vmcnt(0)
	global_store_dword v[77:78], v85, off
.LBB68_380:
	s_or_b32 exec_lo, exec_lo, s2
	v_mov_b32_e32 v79, v76
	v_mov_b32_e32 v85, v76
.LBB68_381:
	s_or_b32 exec_lo, exec_lo, s1
.LBB68_382:
	s_andn2_saveexec_b32 s0, s0
	s_cbranch_execz .LBB68_384
; %bb.383:
	v_mov_b32_e32 v85, 22
	ds_write2_b64 v82, v[24:25], v[26:27] offset0:23 offset1:24
	ds_write2_b64 v82, v[22:23], v[20:21] offset0:25 offset1:26
	;; [unrolled: 1-line block ×6, first 2 shown]
.LBB68_384:
	s_or_b32 exec_lo, exec_lo, s0
	s_mov_b32 s0, exec_lo
	s_waitcnt lgkmcnt(0)
	s_waitcnt_vscnt null, 0x0
	s_barrier
	buffer_gl0_inv
	v_cmpx_lt_i32_e32 22, v85
	s_cbranch_execz .LBB68_386
; %bb.385:
	v_mul_f64 v[30:31], v[0:1], v[30:31]
	ds_read2_b64 v[86:89], v82 offset0:23 offset1:24
	ds_read2_b64 v[90:93], v82 offset0:25 offset1:26
	;; [unrolled: 1-line block ×6, first 2 shown]
	s_waitcnt lgkmcnt(5)
	v_fma_f64 v[24:25], -v[30:31], v[86:87], v[24:25]
	v_fma_f64 v[26:27], -v[30:31], v[88:89], v[26:27]
	s_waitcnt lgkmcnt(4)
	v_fma_f64 v[22:23], -v[30:31], v[90:91], v[22:23]
	v_fma_f64 v[20:21], -v[30:31], v[92:93], v[20:21]
	;; [unrolled: 3-line block ×6, first 2 shown]
.LBB68_386:
	s_or_b32 exec_lo, exec_lo, s0
	v_lshl_add_u32 v0, v85, 3, v82
	s_barrier
	buffer_gl0_inv
	v_mov_b32_e32 v76, 23
	ds_write_b64 v0, v[24:25]
	s_waitcnt lgkmcnt(0)
	s_barrier
	buffer_gl0_inv
	ds_read_b64 v[0:1], v82 offset:184
	s_cmp_lt_i32 s7, 25
	s_cbranch_scc1 .LBB68_389
; %bb.387:
	v_add3_u32 v77, v83, 0, 0xc0
	v_mov_b32_e32 v76, 23
	s_mov_b32 s0, 24
.LBB68_388:                             ; =>This Inner Loop Header: Depth=1
	ds_read_b64 v[86:87], v77
	v_add_nc_u32_e32 v77, 8, v77
	s_waitcnt lgkmcnt(0)
	v_cmp_lt_f64_e64 vcc_lo, |v[0:1]|, |v[86:87]|
	v_cndmask_b32_e32 v1, v1, v87, vcc_lo
	v_cndmask_b32_e32 v0, v0, v86, vcc_lo
	v_cndmask_b32_e64 v76, v76, s0, vcc_lo
	s_add_i32 s0, s0, 1
	s_cmp_lg_u32 s7, s0
	s_cbranch_scc1 .LBB68_388
.LBB68_389:
	s_mov_b32 s0, exec_lo
	s_waitcnt lgkmcnt(0)
	v_cmpx_eq_f64_e32 0, v[0:1]
	s_xor_b32 s0, exec_lo, s0
; %bb.390:
	v_cmp_ne_u32_e32 vcc_lo, 0, v84
	v_cndmask_b32_e32 v84, 24, v84, vcc_lo
; %bb.391:
	s_andn2_saveexec_b32 s0, s0
	s_cbranch_execz .LBB68_393
; %bb.392:
	v_div_scale_f64 v[77:78], null, v[0:1], v[0:1], 1.0
	v_rcp_f64_e32 v[86:87], v[77:78]
	v_fma_f64 v[88:89], -v[77:78], v[86:87], 1.0
	v_fma_f64 v[86:87], v[86:87], v[88:89], v[86:87]
	v_fma_f64 v[88:89], -v[77:78], v[86:87], 1.0
	v_fma_f64 v[86:87], v[86:87], v[88:89], v[86:87]
	v_div_scale_f64 v[88:89], vcc_lo, 1.0, v[0:1], 1.0
	v_mul_f64 v[90:91], v[88:89], v[86:87]
	v_fma_f64 v[77:78], -v[77:78], v[90:91], v[88:89]
	v_div_fmas_f64 v[77:78], v[77:78], v[86:87], v[90:91]
	v_div_fixup_f64 v[0:1], v[77:78], v[0:1], 1.0
.LBB68_393:
	s_or_b32 exec_lo, exec_lo, s0
	s_mov_b32 s0, exec_lo
	v_cmpx_ne_u32_e64 v85, v76
	s_xor_b32 s0, exec_lo, s0
	s_cbranch_execz .LBB68_399
; %bb.394:
	s_mov_b32 s1, exec_lo
	v_cmpx_eq_u32_e32 23, v85
	s_cbranch_execz .LBB68_398
; %bb.395:
	v_cmp_ne_u32_e32 vcc_lo, 23, v76
	s_xor_b32 s2, s6, -1
	s_and_b32 s3, s2, vcc_lo
	s_and_saveexec_b32 s2, s3
	s_cbranch_execz .LBB68_397
; %bb.396:
	v_ashrrev_i32_e32 v77, 31, v76
	v_lshlrev_b64 v[77:78], 2, v[76:77]
	v_add_co_u32 v77, vcc_lo, v4, v77
	v_add_co_ci_u32_e64 v78, null, v5, v78, vcc_lo
	s_clause 0x1
	global_load_dword v79, v[77:78], off
	global_load_dword v85, v[4:5], off offset:92
	s_waitcnt vmcnt(1)
	global_store_dword v[4:5], v79, off offset:92
	s_waitcnt vmcnt(0)
	global_store_dword v[77:78], v85, off
.LBB68_397:
	s_or_b32 exec_lo, exec_lo, s2
	v_mov_b32_e32 v79, v76
	v_mov_b32_e32 v85, v76
.LBB68_398:
	s_or_b32 exec_lo, exec_lo, s1
.LBB68_399:
	s_andn2_saveexec_b32 s0, s0
	s_cbranch_execz .LBB68_401
; %bb.400:
	v_mov_b32_e32 v76, v26
	v_mov_b32_e32 v77, v27
	;; [unrolled: 1-line block ×8, first 2 shown]
	ds_write2_b64 v82, v[76:77], v[85:86] offset0:24 offset1:25
	v_mov_b32_e32 v76, v18
	v_mov_b32_e32 v77, v19
	;; [unrolled: 1-line block ×13, first 2 shown]
	ds_write2_b64 v82, v[87:88], v[76:77] offset0:26 offset1:27
	ds_write2_b64 v82, v[89:90], v[91:92] offset0:28 offset1:29
	;; [unrolled: 1-line block ×4, first 2 shown]
	ds_write_b64 v82, v[74:75] offset:272
.LBB68_401:
	s_or_b32 exec_lo, exec_lo, s0
	s_mov_b32 s0, exec_lo
	s_waitcnt lgkmcnt(0)
	s_waitcnt_vscnt null, 0x0
	s_barrier
	buffer_gl0_inv
	v_cmpx_lt_i32_e32 23, v85
	s_cbranch_execz .LBB68_403
; %bb.402:
	v_mul_f64 v[24:25], v[0:1], v[24:25]
	ds_read2_b64 v[86:89], v82 offset0:24 offset1:25
	ds_read2_b64 v[90:93], v82 offset0:26 offset1:27
	;; [unrolled: 1-line block ×5, first 2 shown]
	ds_read_b64 v[0:1], v82 offset:272
	s_waitcnt lgkmcnt(5)
	v_fma_f64 v[26:27], -v[24:25], v[86:87], v[26:27]
	v_fma_f64 v[22:23], -v[24:25], v[88:89], v[22:23]
	s_waitcnt lgkmcnt(4)
	v_fma_f64 v[20:21], -v[24:25], v[90:91], v[20:21]
	v_fma_f64 v[18:19], -v[24:25], v[92:93], v[18:19]
	;; [unrolled: 3-line block ×5, first 2 shown]
	s_waitcnt lgkmcnt(0)
	v_fma_f64 v[74:75], -v[24:25], v[0:1], v[74:75]
.LBB68_403:
	s_or_b32 exec_lo, exec_lo, s0
	v_lshl_add_u32 v0, v85, 3, v82
	s_barrier
	buffer_gl0_inv
	v_mov_b32_e32 v76, 24
	ds_write_b64 v0, v[26:27]
	s_waitcnt lgkmcnt(0)
	s_barrier
	buffer_gl0_inv
	ds_read_b64 v[0:1], v82 offset:192
	s_cmp_lt_i32 s7, 26
	s_cbranch_scc1 .LBB68_406
; %bb.404:
	v_add3_u32 v77, v83, 0, 0xc8
	v_mov_b32_e32 v76, 24
	s_mov_b32 s0, 25
.LBB68_405:                             ; =>This Inner Loop Header: Depth=1
	ds_read_b64 v[86:87], v77
	v_add_nc_u32_e32 v77, 8, v77
	s_waitcnt lgkmcnt(0)
	v_cmp_lt_f64_e64 vcc_lo, |v[0:1]|, |v[86:87]|
	v_cndmask_b32_e32 v1, v1, v87, vcc_lo
	v_cndmask_b32_e32 v0, v0, v86, vcc_lo
	v_cndmask_b32_e64 v76, v76, s0, vcc_lo
	s_add_i32 s0, s0, 1
	s_cmp_lg_u32 s7, s0
	s_cbranch_scc1 .LBB68_405
.LBB68_406:
	s_mov_b32 s0, exec_lo
	s_waitcnt lgkmcnt(0)
	v_cmpx_eq_f64_e32 0, v[0:1]
	s_xor_b32 s0, exec_lo, s0
; %bb.407:
	v_cmp_ne_u32_e32 vcc_lo, 0, v84
	v_cndmask_b32_e32 v84, 25, v84, vcc_lo
; %bb.408:
	s_andn2_saveexec_b32 s0, s0
	s_cbranch_execz .LBB68_410
; %bb.409:
	v_div_scale_f64 v[77:78], null, v[0:1], v[0:1], 1.0
	v_rcp_f64_e32 v[86:87], v[77:78]
	v_fma_f64 v[88:89], -v[77:78], v[86:87], 1.0
	v_fma_f64 v[86:87], v[86:87], v[88:89], v[86:87]
	v_fma_f64 v[88:89], -v[77:78], v[86:87], 1.0
	v_fma_f64 v[86:87], v[86:87], v[88:89], v[86:87]
	v_div_scale_f64 v[88:89], vcc_lo, 1.0, v[0:1], 1.0
	v_mul_f64 v[90:91], v[88:89], v[86:87]
	v_fma_f64 v[77:78], -v[77:78], v[90:91], v[88:89]
	v_div_fmas_f64 v[77:78], v[77:78], v[86:87], v[90:91]
	v_div_fixup_f64 v[0:1], v[77:78], v[0:1], 1.0
.LBB68_410:
	s_or_b32 exec_lo, exec_lo, s0
	s_mov_b32 s0, exec_lo
	v_cmpx_ne_u32_e64 v85, v76
	s_xor_b32 s0, exec_lo, s0
	s_cbranch_execz .LBB68_416
; %bb.411:
	s_mov_b32 s1, exec_lo
	v_cmpx_eq_u32_e32 24, v85
	s_cbranch_execz .LBB68_415
; %bb.412:
	v_cmp_ne_u32_e32 vcc_lo, 24, v76
	s_xor_b32 s2, s6, -1
	s_and_b32 s3, s2, vcc_lo
	s_and_saveexec_b32 s2, s3
	s_cbranch_execz .LBB68_414
; %bb.413:
	v_ashrrev_i32_e32 v77, 31, v76
	v_lshlrev_b64 v[77:78], 2, v[76:77]
	v_add_co_u32 v77, vcc_lo, v4, v77
	v_add_co_ci_u32_e64 v78, null, v5, v78, vcc_lo
	s_clause 0x1
	global_load_dword v79, v[77:78], off
	global_load_dword v85, v[4:5], off offset:96
	s_waitcnt vmcnt(1)
	global_store_dword v[4:5], v79, off offset:96
	s_waitcnt vmcnt(0)
	global_store_dword v[77:78], v85, off
.LBB68_414:
	s_or_b32 exec_lo, exec_lo, s2
	v_mov_b32_e32 v79, v76
	v_mov_b32_e32 v85, v76
.LBB68_415:
	s_or_b32 exec_lo, exec_lo, s1
.LBB68_416:
	s_andn2_saveexec_b32 s0, s0
	s_cbranch_execz .LBB68_418
; %bb.417:
	v_mov_b32_e32 v85, 24
	ds_write2_b64 v82, v[22:23], v[20:21] offset0:25 offset1:26
	ds_write2_b64 v82, v[18:19], v[16:17] offset0:27 offset1:28
	;; [unrolled: 1-line block ×5, first 2 shown]
.LBB68_418:
	s_or_b32 exec_lo, exec_lo, s0
	s_mov_b32 s0, exec_lo
	s_waitcnt lgkmcnt(0)
	s_waitcnt_vscnt null, 0x0
	s_barrier
	buffer_gl0_inv
	v_cmpx_lt_i32_e32 24, v85
	s_cbranch_execz .LBB68_420
; %bb.419:
	v_mul_f64 v[26:27], v[0:1], v[26:27]
	ds_read2_b64 v[86:89], v82 offset0:25 offset1:26
	ds_read2_b64 v[90:93], v82 offset0:27 offset1:28
	;; [unrolled: 1-line block ×5, first 2 shown]
	s_waitcnt lgkmcnt(4)
	v_fma_f64 v[22:23], -v[26:27], v[86:87], v[22:23]
	v_fma_f64 v[20:21], -v[26:27], v[88:89], v[20:21]
	s_waitcnt lgkmcnt(3)
	v_fma_f64 v[18:19], -v[26:27], v[90:91], v[18:19]
	v_fma_f64 v[16:17], -v[26:27], v[92:93], v[16:17]
	;; [unrolled: 3-line block ×5, first 2 shown]
.LBB68_420:
	s_or_b32 exec_lo, exec_lo, s0
	v_lshl_add_u32 v0, v85, 3, v82
	s_barrier
	buffer_gl0_inv
	v_mov_b32_e32 v76, 25
	ds_write_b64 v0, v[22:23]
	s_waitcnt lgkmcnt(0)
	s_barrier
	buffer_gl0_inv
	ds_read_b64 v[0:1], v82 offset:200
	s_cmp_lt_i32 s7, 27
	s_cbranch_scc1 .LBB68_423
; %bb.421:
	v_add3_u32 v77, v83, 0, 0xd0
	v_mov_b32_e32 v76, 25
	s_mov_b32 s0, 26
.LBB68_422:                             ; =>This Inner Loop Header: Depth=1
	ds_read_b64 v[86:87], v77
	v_add_nc_u32_e32 v77, 8, v77
	s_waitcnt lgkmcnt(0)
	v_cmp_lt_f64_e64 vcc_lo, |v[0:1]|, |v[86:87]|
	v_cndmask_b32_e32 v1, v1, v87, vcc_lo
	v_cndmask_b32_e32 v0, v0, v86, vcc_lo
	v_cndmask_b32_e64 v76, v76, s0, vcc_lo
	s_add_i32 s0, s0, 1
	s_cmp_lg_u32 s7, s0
	s_cbranch_scc1 .LBB68_422
.LBB68_423:
	s_mov_b32 s0, exec_lo
	s_waitcnt lgkmcnt(0)
	v_cmpx_eq_f64_e32 0, v[0:1]
	s_xor_b32 s0, exec_lo, s0
; %bb.424:
	v_cmp_ne_u32_e32 vcc_lo, 0, v84
	v_cndmask_b32_e32 v84, 26, v84, vcc_lo
; %bb.425:
	s_andn2_saveexec_b32 s0, s0
	s_cbranch_execz .LBB68_427
; %bb.426:
	v_div_scale_f64 v[77:78], null, v[0:1], v[0:1], 1.0
	v_rcp_f64_e32 v[86:87], v[77:78]
	v_fma_f64 v[88:89], -v[77:78], v[86:87], 1.0
	v_fma_f64 v[86:87], v[86:87], v[88:89], v[86:87]
	v_fma_f64 v[88:89], -v[77:78], v[86:87], 1.0
	v_fma_f64 v[86:87], v[86:87], v[88:89], v[86:87]
	v_div_scale_f64 v[88:89], vcc_lo, 1.0, v[0:1], 1.0
	v_mul_f64 v[90:91], v[88:89], v[86:87]
	v_fma_f64 v[77:78], -v[77:78], v[90:91], v[88:89]
	v_div_fmas_f64 v[77:78], v[77:78], v[86:87], v[90:91]
	v_div_fixup_f64 v[0:1], v[77:78], v[0:1], 1.0
.LBB68_427:
	s_or_b32 exec_lo, exec_lo, s0
	s_mov_b32 s0, exec_lo
	v_cmpx_ne_u32_e64 v85, v76
	s_xor_b32 s0, exec_lo, s0
	s_cbranch_execz .LBB68_433
; %bb.428:
	s_mov_b32 s1, exec_lo
	v_cmpx_eq_u32_e32 25, v85
	s_cbranch_execz .LBB68_432
; %bb.429:
	v_cmp_ne_u32_e32 vcc_lo, 25, v76
	s_xor_b32 s2, s6, -1
	s_and_b32 s3, s2, vcc_lo
	s_and_saveexec_b32 s2, s3
	s_cbranch_execz .LBB68_431
; %bb.430:
	v_ashrrev_i32_e32 v77, 31, v76
	v_lshlrev_b64 v[77:78], 2, v[76:77]
	v_add_co_u32 v77, vcc_lo, v4, v77
	v_add_co_ci_u32_e64 v78, null, v5, v78, vcc_lo
	s_clause 0x1
	global_load_dword v79, v[77:78], off
	global_load_dword v85, v[4:5], off offset:100
	s_waitcnt vmcnt(1)
	global_store_dword v[4:5], v79, off offset:100
	s_waitcnt vmcnt(0)
	global_store_dword v[77:78], v85, off
.LBB68_431:
	s_or_b32 exec_lo, exec_lo, s2
	v_mov_b32_e32 v79, v76
	v_mov_b32_e32 v85, v76
.LBB68_432:
	s_or_b32 exec_lo, exec_lo, s1
.LBB68_433:
	s_andn2_saveexec_b32 s0, s0
	s_cbranch_execz .LBB68_435
; %bb.434:
	v_mov_b32_e32 v76, v20
	v_mov_b32_e32 v77, v21
	;; [unrolled: 1-line block ×8, first 2 shown]
	ds_write2_b64 v82, v[76:77], v[85:86] offset0:26 offset1:27
	v_mov_b32_e32 v85, 25
	v_mov_b32_e32 v91, v12
	v_mov_b32_e32 v92, v13
	v_mov_b32_e32 v93, v8
	v_mov_b32_e32 v94, v9
	v_mov_b32_e32 v95, v10
	v_mov_b32_e32 v96, v11
	v_mov_b32_e32 v97, v6
	v_mov_b32_e32 v98, v7
	ds_write2_b64 v82, v[87:88], v[89:90] offset0:28 offset1:29
	ds_write2_b64 v82, v[91:92], v[93:94] offset0:30 offset1:31
	;; [unrolled: 1-line block ×3, first 2 shown]
	ds_write_b64 v82, v[74:75] offset:272
.LBB68_435:
	s_or_b32 exec_lo, exec_lo, s0
	s_mov_b32 s0, exec_lo
	s_waitcnt lgkmcnt(0)
	s_waitcnt_vscnt null, 0x0
	s_barrier
	buffer_gl0_inv
	v_cmpx_lt_i32_e32 25, v85
	s_cbranch_execz .LBB68_437
; %bb.436:
	v_mul_f64 v[22:23], v[0:1], v[22:23]
	ds_read2_b64 v[86:89], v82 offset0:26 offset1:27
	ds_read2_b64 v[90:93], v82 offset0:28 offset1:29
	;; [unrolled: 1-line block ×4, first 2 shown]
	ds_read_b64 v[0:1], v82 offset:272
	s_waitcnt lgkmcnt(4)
	v_fma_f64 v[20:21], -v[22:23], v[86:87], v[20:21]
	v_fma_f64 v[18:19], -v[22:23], v[88:89], v[18:19]
	s_waitcnt lgkmcnt(3)
	v_fma_f64 v[16:17], -v[22:23], v[90:91], v[16:17]
	v_fma_f64 v[14:15], -v[22:23], v[92:93], v[14:15]
	;; [unrolled: 3-line block ×4, first 2 shown]
	s_waitcnt lgkmcnt(0)
	v_fma_f64 v[74:75], -v[22:23], v[0:1], v[74:75]
.LBB68_437:
	s_or_b32 exec_lo, exec_lo, s0
	v_lshl_add_u32 v0, v85, 3, v82
	s_barrier
	buffer_gl0_inv
	v_mov_b32_e32 v76, 26
	ds_write_b64 v0, v[20:21]
	s_waitcnt lgkmcnt(0)
	s_barrier
	buffer_gl0_inv
	ds_read_b64 v[0:1], v82 offset:208
	s_cmp_lt_i32 s7, 28
	s_cbranch_scc1 .LBB68_440
; %bb.438:
	v_add3_u32 v77, v83, 0, 0xd8
	v_mov_b32_e32 v76, 26
	s_mov_b32 s0, 27
.LBB68_439:                             ; =>This Inner Loop Header: Depth=1
	ds_read_b64 v[86:87], v77
	v_add_nc_u32_e32 v77, 8, v77
	s_waitcnt lgkmcnt(0)
	v_cmp_lt_f64_e64 vcc_lo, |v[0:1]|, |v[86:87]|
	v_cndmask_b32_e32 v1, v1, v87, vcc_lo
	v_cndmask_b32_e32 v0, v0, v86, vcc_lo
	v_cndmask_b32_e64 v76, v76, s0, vcc_lo
	s_add_i32 s0, s0, 1
	s_cmp_lg_u32 s7, s0
	s_cbranch_scc1 .LBB68_439
.LBB68_440:
	s_mov_b32 s0, exec_lo
	s_waitcnt lgkmcnt(0)
	v_cmpx_eq_f64_e32 0, v[0:1]
	s_xor_b32 s0, exec_lo, s0
; %bb.441:
	v_cmp_ne_u32_e32 vcc_lo, 0, v84
	v_cndmask_b32_e32 v84, 27, v84, vcc_lo
; %bb.442:
	s_andn2_saveexec_b32 s0, s0
	s_cbranch_execz .LBB68_444
; %bb.443:
	v_div_scale_f64 v[77:78], null, v[0:1], v[0:1], 1.0
	v_rcp_f64_e32 v[86:87], v[77:78]
	v_fma_f64 v[88:89], -v[77:78], v[86:87], 1.0
	v_fma_f64 v[86:87], v[86:87], v[88:89], v[86:87]
	v_fma_f64 v[88:89], -v[77:78], v[86:87], 1.0
	v_fma_f64 v[86:87], v[86:87], v[88:89], v[86:87]
	v_div_scale_f64 v[88:89], vcc_lo, 1.0, v[0:1], 1.0
	v_mul_f64 v[90:91], v[88:89], v[86:87]
	v_fma_f64 v[77:78], -v[77:78], v[90:91], v[88:89]
	v_div_fmas_f64 v[77:78], v[77:78], v[86:87], v[90:91]
	v_div_fixup_f64 v[0:1], v[77:78], v[0:1], 1.0
.LBB68_444:
	s_or_b32 exec_lo, exec_lo, s0
	s_mov_b32 s0, exec_lo
	v_cmpx_ne_u32_e64 v85, v76
	s_xor_b32 s0, exec_lo, s0
	s_cbranch_execz .LBB68_450
; %bb.445:
	s_mov_b32 s1, exec_lo
	v_cmpx_eq_u32_e32 26, v85
	s_cbranch_execz .LBB68_449
; %bb.446:
	v_cmp_ne_u32_e32 vcc_lo, 26, v76
	s_xor_b32 s2, s6, -1
	s_and_b32 s3, s2, vcc_lo
	s_and_saveexec_b32 s2, s3
	s_cbranch_execz .LBB68_448
; %bb.447:
	v_ashrrev_i32_e32 v77, 31, v76
	v_lshlrev_b64 v[77:78], 2, v[76:77]
	v_add_co_u32 v77, vcc_lo, v4, v77
	v_add_co_ci_u32_e64 v78, null, v5, v78, vcc_lo
	s_clause 0x1
	global_load_dword v79, v[77:78], off
	global_load_dword v85, v[4:5], off offset:104
	s_waitcnt vmcnt(1)
	global_store_dword v[4:5], v79, off offset:104
	s_waitcnt vmcnt(0)
	global_store_dword v[77:78], v85, off
.LBB68_448:
	s_or_b32 exec_lo, exec_lo, s2
	v_mov_b32_e32 v79, v76
	v_mov_b32_e32 v85, v76
.LBB68_449:
	s_or_b32 exec_lo, exec_lo, s1
.LBB68_450:
	s_andn2_saveexec_b32 s0, s0
	s_cbranch_execz .LBB68_452
; %bb.451:
	v_mov_b32_e32 v85, 26
	ds_write2_b64 v82, v[18:19], v[16:17] offset0:27 offset1:28
	ds_write2_b64 v82, v[14:15], v[12:13] offset0:29 offset1:30
	;; [unrolled: 1-line block ×4, first 2 shown]
.LBB68_452:
	s_or_b32 exec_lo, exec_lo, s0
	s_mov_b32 s0, exec_lo
	s_waitcnt lgkmcnt(0)
	s_waitcnt_vscnt null, 0x0
	s_barrier
	buffer_gl0_inv
	v_cmpx_lt_i32_e32 26, v85
	s_cbranch_execz .LBB68_454
; %bb.453:
	v_mul_f64 v[20:21], v[0:1], v[20:21]
	ds_read2_b64 v[86:89], v82 offset0:27 offset1:28
	ds_read2_b64 v[90:93], v82 offset0:29 offset1:30
	;; [unrolled: 1-line block ×4, first 2 shown]
	s_waitcnt lgkmcnt(3)
	v_fma_f64 v[18:19], -v[20:21], v[86:87], v[18:19]
	v_fma_f64 v[16:17], -v[20:21], v[88:89], v[16:17]
	s_waitcnt lgkmcnt(2)
	v_fma_f64 v[14:15], -v[20:21], v[90:91], v[14:15]
	v_fma_f64 v[12:13], -v[20:21], v[92:93], v[12:13]
	;; [unrolled: 3-line block ×4, first 2 shown]
.LBB68_454:
	s_or_b32 exec_lo, exec_lo, s0
	v_lshl_add_u32 v0, v85, 3, v82
	s_barrier
	buffer_gl0_inv
	v_mov_b32_e32 v76, 27
	ds_write_b64 v0, v[18:19]
	s_waitcnt lgkmcnt(0)
	s_barrier
	buffer_gl0_inv
	ds_read_b64 v[0:1], v82 offset:216
	s_cmp_lt_i32 s7, 29
	s_cbranch_scc1 .LBB68_457
; %bb.455:
	v_add3_u32 v77, v83, 0, 0xe0
	v_mov_b32_e32 v76, 27
	s_mov_b32 s0, 28
.LBB68_456:                             ; =>This Inner Loop Header: Depth=1
	ds_read_b64 v[86:87], v77
	v_add_nc_u32_e32 v77, 8, v77
	s_waitcnt lgkmcnt(0)
	v_cmp_lt_f64_e64 vcc_lo, |v[0:1]|, |v[86:87]|
	v_cndmask_b32_e32 v1, v1, v87, vcc_lo
	v_cndmask_b32_e32 v0, v0, v86, vcc_lo
	v_cndmask_b32_e64 v76, v76, s0, vcc_lo
	s_add_i32 s0, s0, 1
	s_cmp_lg_u32 s7, s0
	s_cbranch_scc1 .LBB68_456
.LBB68_457:
	s_mov_b32 s0, exec_lo
	s_waitcnt lgkmcnt(0)
	v_cmpx_eq_f64_e32 0, v[0:1]
	s_xor_b32 s0, exec_lo, s0
; %bb.458:
	v_cmp_ne_u32_e32 vcc_lo, 0, v84
	v_cndmask_b32_e32 v84, 28, v84, vcc_lo
; %bb.459:
	s_andn2_saveexec_b32 s0, s0
	s_cbranch_execz .LBB68_461
; %bb.460:
	v_div_scale_f64 v[77:78], null, v[0:1], v[0:1], 1.0
	v_rcp_f64_e32 v[86:87], v[77:78]
	v_fma_f64 v[88:89], -v[77:78], v[86:87], 1.0
	v_fma_f64 v[86:87], v[86:87], v[88:89], v[86:87]
	v_fma_f64 v[88:89], -v[77:78], v[86:87], 1.0
	v_fma_f64 v[86:87], v[86:87], v[88:89], v[86:87]
	v_div_scale_f64 v[88:89], vcc_lo, 1.0, v[0:1], 1.0
	v_mul_f64 v[90:91], v[88:89], v[86:87]
	v_fma_f64 v[77:78], -v[77:78], v[90:91], v[88:89]
	v_div_fmas_f64 v[77:78], v[77:78], v[86:87], v[90:91]
	v_div_fixup_f64 v[0:1], v[77:78], v[0:1], 1.0
.LBB68_461:
	s_or_b32 exec_lo, exec_lo, s0
	s_mov_b32 s0, exec_lo
	v_cmpx_ne_u32_e64 v85, v76
	s_xor_b32 s0, exec_lo, s0
	s_cbranch_execz .LBB68_467
; %bb.462:
	s_mov_b32 s1, exec_lo
	v_cmpx_eq_u32_e32 27, v85
	s_cbranch_execz .LBB68_466
; %bb.463:
	v_cmp_ne_u32_e32 vcc_lo, 27, v76
	s_xor_b32 s2, s6, -1
	s_and_b32 s3, s2, vcc_lo
	s_and_saveexec_b32 s2, s3
	s_cbranch_execz .LBB68_465
; %bb.464:
	v_ashrrev_i32_e32 v77, 31, v76
	v_lshlrev_b64 v[77:78], 2, v[76:77]
	v_add_co_u32 v77, vcc_lo, v4, v77
	v_add_co_ci_u32_e64 v78, null, v5, v78, vcc_lo
	s_clause 0x1
	global_load_dword v79, v[77:78], off
	global_load_dword v85, v[4:5], off offset:108
	s_waitcnt vmcnt(1)
	global_store_dword v[4:5], v79, off offset:108
	s_waitcnt vmcnt(0)
	global_store_dword v[77:78], v85, off
.LBB68_465:
	s_or_b32 exec_lo, exec_lo, s2
	v_mov_b32_e32 v79, v76
	v_mov_b32_e32 v85, v76
.LBB68_466:
	s_or_b32 exec_lo, exec_lo, s1
.LBB68_467:
	s_andn2_saveexec_b32 s0, s0
	s_cbranch_execz .LBB68_469
; %bb.468:
	v_mov_b32_e32 v76, v16
	v_mov_b32_e32 v77, v17
	;; [unrolled: 1-line block ×13, first 2 shown]
	ds_write2_b64 v82, v[76:77], v[86:87] offset0:28 offset1:29
	ds_write2_b64 v82, v[88:89], v[90:91] offset0:30 offset1:31
	;; [unrolled: 1-line block ×3, first 2 shown]
	ds_write_b64 v82, v[74:75] offset:272
.LBB68_469:
	s_or_b32 exec_lo, exec_lo, s0
	s_mov_b32 s0, exec_lo
	s_waitcnt lgkmcnt(0)
	s_waitcnt_vscnt null, 0x0
	s_barrier
	buffer_gl0_inv
	v_cmpx_lt_i32_e32 27, v85
	s_cbranch_execz .LBB68_471
; %bb.470:
	v_mul_f64 v[18:19], v[0:1], v[18:19]
	ds_read2_b64 v[86:89], v82 offset0:28 offset1:29
	ds_read2_b64 v[90:93], v82 offset0:30 offset1:31
	;; [unrolled: 1-line block ×3, first 2 shown]
	ds_read_b64 v[0:1], v82 offset:272
	s_waitcnt lgkmcnt(3)
	v_fma_f64 v[16:17], -v[18:19], v[86:87], v[16:17]
	v_fma_f64 v[14:15], -v[18:19], v[88:89], v[14:15]
	s_waitcnt lgkmcnt(2)
	v_fma_f64 v[12:13], -v[18:19], v[90:91], v[12:13]
	v_fma_f64 v[8:9], -v[18:19], v[92:93], v[8:9]
	;; [unrolled: 3-line block ×3, first 2 shown]
	s_waitcnt lgkmcnt(0)
	v_fma_f64 v[74:75], -v[18:19], v[0:1], v[74:75]
.LBB68_471:
	s_or_b32 exec_lo, exec_lo, s0
	v_lshl_add_u32 v0, v85, 3, v82
	s_barrier
	buffer_gl0_inv
	v_mov_b32_e32 v76, 28
	ds_write_b64 v0, v[16:17]
	s_waitcnt lgkmcnt(0)
	s_barrier
	buffer_gl0_inv
	ds_read_b64 v[0:1], v82 offset:224
	s_cmp_lt_i32 s7, 30
	s_cbranch_scc1 .LBB68_474
; %bb.472:
	v_add3_u32 v77, v83, 0, 0xe8
	v_mov_b32_e32 v76, 28
	s_mov_b32 s0, 29
.LBB68_473:                             ; =>This Inner Loop Header: Depth=1
	ds_read_b64 v[86:87], v77
	v_add_nc_u32_e32 v77, 8, v77
	s_waitcnt lgkmcnt(0)
	v_cmp_lt_f64_e64 vcc_lo, |v[0:1]|, |v[86:87]|
	v_cndmask_b32_e32 v1, v1, v87, vcc_lo
	v_cndmask_b32_e32 v0, v0, v86, vcc_lo
	v_cndmask_b32_e64 v76, v76, s0, vcc_lo
	s_add_i32 s0, s0, 1
	s_cmp_lg_u32 s7, s0
	s_cbranch_scc1 .LBB68_473
.LBB68_474:
	s_mov_b32 s0, exec_lo
	s_waitcnt lgkmcnt(0)
	v_cmpx_eq_f64_e32 0, v[0:1]
	s_xor_b32 s0, exec_lo, s0
; %bb.475:
	v_cmp_ne_u32_e32 vcc_lo, 0, v84
	v_cndmask_b32_e32 v84, 29, v84, vcc_lo
; %bb.476:
	s_andn2_saveexec_b32 s0, s0
	s_cbranch_execz .LBB68_478
; %bb.477:
	v_div_scale_f64 v[77:78], null, v[0:1], v[0:1], 1.0
	v_rcp_f64_e32 v[86:87], v[77:78]
	v_fma_f64 v[88:89], -v[77:78], v[86:87], 1.0
	v_fma_f64 v[86:87], v[86:87], v[88:89], v[86:87]
	v_fma_f64 v[88:89], -v[77:78], v[86:87], 1.0
	v_fma_f64 v[86:87], v[86:87], v[88:89], v[86:87]
	v_div_scale_f64 v[88:89], vcc_lo, 1.0, v[0:1], 1.0
	v_mul_f64 v[90:91], v[88:89], v[86:87]
	v_fma_f64 v[77:78], -v[77:78], v[90:91], v[88:89]
	v_div_fmas_f64 v[77:78], v[77:78], v[86:87], v[90:91]
	v_div_fixup_f64 v[0:1], v[77:78], v[0:1], 1.0
.LBB68_478:
	s_or_b32 exec_lo, exec_lo, s0
	s_mov_b32 s0, exec_lo
	v_cmpx_ne_u32_e64 v85, v76
	s_xor_b32 s0, exec_lo, s0
	s_cbranch_execz .LBB68_484
; %bb.479:
	s_mov_b32 s1, exec_lo
	v_cmpx_eq_u32_e32 28, v85
	s_cbranch_execz .LBB68_483
; %bb.480:
	v_cmp_ne_u32_e32 vcc_lo, 28, v76
	s_xor_b32 s2, s6, -1
	s_and_b32 s3, s2, vcc_lo
	s_and_saveexec_b32 s2, s3
	s_cbranch_execz .LBB68_482
; %bb.481:
	v_ashrrev_i32_e32 v77, 31, v76
	v_lshlrev_b64 v[77:78], 2, v[76:77]
	v_add_co_u32 v77, vcc_lo, v4, v77
	v_add_co_ci_u32_e64 v78, null, v5, v78, vcc_lo
	s_clause 0x1
	global_load_dword v79, v[77:78], off
	global_load_dword v85, v[4:5], off offset:112
	s_waitcnt vmcnt(1)
	global_store_dword v[4:5], v79, off offset:112
	s_waitcnt vmcnt(0)
	global_store_dword v[77:78], v85, off
.LBB68_482:
	s_or_b32 exec_lo, exec_lo, s2
	v_mov_b32_e32 v79, v76
	v_mov_b32_e32 v85, v76
.LBB68_483:
	s_or_b32 exec_lo, exec_lo, s1
.LBB68_484:
	s_andn2_saveexec_b32 s0, s0
	s_cbranch_execz .LBB68_486
; %bb.485:
	v_mov_b32_e32 v85, 28
	ds_write2_b64 v82, v[14:15], v[12:13] offset0:29 offset1:30
	ds_write2_b64 v82, v[8:9], v[10:11] offset0:31 offset1:32
	;; [unrolled: 1-line block ×3, first 2 shown]
.LBB68_486:
	s_or_b32 exec_lo, exec_lo, s0
	s_mov_b32 s0, exec_lo
	s_waitcnt lgkmcnt(0)
	s_waitcnt_vscnt null, 0x0
	s_barrier
	buffer_gl0_inv
	v_cmpx_lt_i32_e32 28, v85
	s_cbranch_execz .LBB68_488
; %bb.487:
	v_mul_f64 v[16:17], v[0:1], v[16:17]
	ds_read2_b64 v[86:89], v82 offset0:29 offset1:30
	ds_read2_b64 v[90:93], v82 offset0:31 offset1:32
	;; [unrolled: 1-line block ×3, first 2 shown]
	s_waitcnt lgkmcnt(2)
	v_fma_f64 v[14:15], -v[16:17], v[86:87], v[14:15]
	v_fma_f64 v[12:13], -v[16:17], v[88:89], v[12:13]
	s_waitcnt lgkmcnt(1)
	v_fma_f64 v[8:9], -v[16:17], v[90:91], v[8:9]
	v_fma_f64 v[10:11], -v[16:17], v[92:93], v[10:11]
	;; [unrolled: 3-line block ×3, first 2 shown]
.LBB68_488:
	s_or_b32 exec_lo, exec_lo, s0
	v_lshl_add_u32 v0, v85, 3, v82
	s_barrier
	buffer_gl0_inv
	v_mov_b32_e32 v76, 29
	ds_write_b64 v0, v[14:15]
	s_waitcnt lgkmcnt(0)
	s_barrier
	buffer_gl0_inv
	ds_read_b64 v[0:1], v82 offset:232
	s_cmp_lt_i32 s7, 31
	s_cbranch_scc1 .LBB68_491
; %bb.489:
	v_add3_u32 v77, v83, 0, 0xf0
	v_mov_b32_e32 v76, 29
	s_mov_b32 s0, 30
.LBB68_490:                             ; =>This Inner Loop Header: Depth=1
	ds_read_b64 v[86:87], v77
	v_add_nc_u32_e32 v77, 8, v77
	s_waitcnt lgkmcnt(0)
	v_cmp_lt_f64_e64 vcc_lo, |v[0:1]|, |v[86:87]|
	v_cndmask_b32_e32 v1, v1, v87, vcc_lo
	v_cndmask_b32_e32 v0, v0, v86, vcc_lo
	v_cndmask_b32_e64 v76, v76, s0, vcc_lo
	s_add_i32 s0, s0, 1
	s_cmp_lg_u32 s7, s0
	s_cbranch_scc1 .LBB68_490
.LBB68_491:
	s_mov_b32 s0, exec_lo
	s_waitcnt lgkmcnt(0)
	v_cmpx_eq_f64_e32 0, v[0:1]
	s_xor_b32 s0, exec_lo, s0
; %bb.492:
	v_cmp_ne_u32_e32 vcc_lo, 0, v84
	v_cndmask_b32_e32 v84, 30, v84, vcc_lo
; %bb.493:
	s_andn2_saveexec_b32 s0, s0
	s_cbranch_execz .LBB68_495
; %bb.494:
	v_div_scale_f64 v[77:78], null, v[0:1], v[0:1], 1.0
	v_rcp_f64_e32 v[86:87], v[77:78]
	v_fma_f64 v[88:89], -v[77:78], v[86:87], 1.0
	v_fma_f64 v[86:87], v[86:87], v[88:89], v[86:87]
	v_fma_f64 v[88:89], -v[77:78], v[86:87], 1.0
	v_fma_f64 v[86:87], v[86:87], v[88:89], v[86:87]
	v_div_scale_f64 v[88:89], vcc_lo, 1.0, v[0:1], 1.0
	v_mul_f64 v[90:91], v[88:89], v[86:87]
	v_fma_f64 v[77:78], -v[77:78], v[90:91], v[88:89]
	v_div_fmas_f64 v[77:78], v[77:78], v[86:87], v[90:91]
	v_div_fixup_f64 v[0:1], v[77:78], v[0:1], 1.0
.LBB68_495:
	s_or_b32 exec_lo, exec_lo, s0
	s_mov_b32 s0, exec_lo
	v_cmpx_ne_u32_e64 v85, v76
	s_xor_b32 s0, exec_lo, s0
	s_cbranch_execz .LBB68_501
; %bb.496:
	s_mov_b32 s1, exec_lo
	v_cmpx_eq_u32_e32 29, v85
	s_cbranch_execz .LBB68_500
; %bb.497:
	v_cmp_ne_u32_e32 vcc_lo, 29, v76
	s_xor_b32 s2, s6, -1
	s_and_b32 s3, s2, vcc_lo
	s_and_saveexec_b32 s2, s3
	s_cbranch_execz .LBB68_499
; %bb.498:
	v_ashrrev_i32_e32 v77, 31, v76
	v_lshlrev_b64 v[77:78], 2, v[76:77]
	v_add_co_u32 v77, vcc_lo, v4, v77
	v_add_co_ci_u32_e64 v78, null, v5, v78, vcc_lo
	s_clause 0x1
	global_load_dword v79, v[77:78], off
	global_load_dword v85, v[4:5], off offset:116
	s_waitcnt vmcnt(1)
	global_store_dword v[4:5], v79, off offset:116
	s_waitcnt vmcnt(0)
	global_store_dword v[77:78], v85, off
.LBB68_499:
	s_or_b32 exec_lo, exec_lo, s2
	v_mov_b32_e32 v79, v76
	v_mov_b32_e32 v85, v76
.LBB68_500:
	s_or_b32 exec_lo, exec_lo, s1
.LBB68_501:
	s_andn2_saveexec_b32 s0, s0
	s_cbranch_execz .LBB68_503
; %bb.502:
	v_mov_b32_e32 v76, v12
	v_mov_b32_e32 v77, v13
	;; [unrolled: 1-line block ×9, first 2 shown]
	ds_write2_b64 v82, v[76:77], v[86:87] offset0:30 offset1:31
	ds_write2_b64 v82, v[88:89], v[90:91] offset0:32 offset1:33
	ds_write_b64 v82, v[74:75] offset:272
.LBB68_503:
	s_or_b32 exec_lo, exec_lo, s0
	s_mov_b32 s0, exec_lo
	s_waitcnt lgkmcnt(0)
	s_waitcnt_vscnt null, 0x0
	s_barrier
	buffer_gl0_inv
	v_cmpx_lt_i32_e32 29, v85
	s_cbranch_execz .LBB68_505
; %bb.504:
	v_mul_f64 v[14:15], v[0:1], v[14:15]
	ds_read2_b64 v[86:89], v82 offset0:30 offset1:31
	ds_read2_b64 v[90:93], v82 offset0:32 offset1:33
	ds_read_b64 v[0:1], v82 offset:272
	s_waitcnt lgkmcnt(2)
	v_fma_f64 v[12:13], -v[14:15], v[86:87], v[12:13]
	v_fma_f64 v[8:9], -v[14:15], v[88:89], v[8:9]
	s_waitcnt lgkmcnt(1)
	v_fma_f64 v[10:11], -v[14:15], v[90:91], v[10:11]
	v_fma_f64 v[6:7], -v[14:15], v[92:93], v[6:7]
	s_waitcnt lgkmcnt(0)
	v_fma_f64 v[74:75], -v[14:15], v[0:1], v[74:75]
.LBB68_505:
	s_or_b32 exec_lo, exec_lo, s0
	v_lshl_add_u32 v0, v85, 3, v82
	s_barrier
	buffer_gl0_inv
	v_mov_b32_e32 v76, 30
	ds_write_b64 v0, v[12:13]
	s_waitcnt lgkmcnt(0)
	s_barrier
	buffer_gl0_inv
	ds_read_b64 v[0:1], v82 offset:240
	s_cmp_lt_i32 s7, 32
	s_cbranch_scc1 .LBB68_508
; %bb.506:
	v_add3_u32 v77, v83, 0, 0xf8
	v_mov_b32_e32 v76, 30
	s_mov_b32 s0, 31
.LBB68_507:                             ; =>This Inner Loop Header: Depth=1
	ds_read_b64 v[86:87], v77
	v_add_nc_u32_e32 v77, 8, v77
	s_waitcnt lgkmcnt(0)
	v_cmp_lt_f64_e64 vcc_lo, |v[0:1]|, |v[86:87]|
	v_cndmask_b32_e32 v1, v1, v87, vcc_lo
	v_cndmask_b32_e32 v0, v0, v86, vcc_lo
	v_cndmask_b32_e64 v76, v76, s0, vcc_lo
	s_add_i32 s0, s0, 1
	s_cmp_lg_u32 s7, s0
	s_cbranch_scc1 .LBB68_507
.LBB68_508:
	s_mov_b32 s0, exec_lo
	s_waitcnt lgkmcnt(0)
	v_cmpx_eq_f64_e32 0, v[0:1]
	s_xor_b32 s0, exec_lo, s0
; %bb.509:
	v_cmp_ne_u32_e32 vcc_lo, 0, v84
	v_cndmask_b32_e32 v84, 31, v84, vcc_lo
; %bb.510:
	s_andn2_saveexec_b32 s0, s0
	s_cbranch_execz .LBB68_512
; %bb.511:
	v_div_scale_f64 v[77:78], null, v[0:1], v[0:1], 1.0
	v_rcp_f64_e32 v[86:87], v[77:78]
	v_fma_f64 v[88:89], -v[77:78], v[86:87], 1.0
	v_fma_f64 v[86:87], v[86:87], v[88:89], v[86:87]
	v_fma_f64 v[88:89], -v[77:78], v[86:87], 1.0
	v_fma_f64 v[86:87], v[86:87], v[88:89], v[86:87]
	v_div_scale_f64 v[88:89], vcc_lo, 1.0, v[0:1], 1.0
	v_mul_f64 v[90:91], v[88:89], v[86:87]
	v_fma_f64 v[77:78], -v[77:78], v[90:91], v[88:89]
	v_div_fmas_f64 v[77:78], v[77:78], v[86:87], v[90:91]
	v_div_fixup_f64 v[0:1], v[77:78], v[0:1], 1.0
.LBB68_512:
	s_or_b32 exec_lo, exec_lo, s0
	s_mov_b32 s0, exec_lo
	v_cmpx_ne_u32_e64 v85, v76
	s_xor_b32 s0, exec_lo, s0
	s_cbranch_execz .LBB68_518
; %bb.513:
	s_mov_b32 s1, exec_lo
	v_cmpx_eq_u32_e32 30, v85
	s_cbranch_execz .LBB68_517
; %bb.514:
	v_cmp_ne_u32_e32 vcc_lo, 30, v76
	s_xor_b32 s2, s6, -1
	s_and_b32 s3, s2, vcc_lo
	s_and_saveexec_b32 s2, s3
	s_cbranch_execz .LBB68_516
; %bb.515:
	v_ashrrev_i32_e32 v77, 31, v76
	v_lshlrev_b64 v[77:78], 2, v[76:77]
	v_add_co_u32 v77, vcc_lo, v4, v77
	v_add_co_ci_u32_e64 v78, null, v5, v78, vcc_lo
	s_clause 0x1
	global_load_dword v79, v[77:78], off
	global_load_dword v85, v[4:5], off offset:120
	s_waitcnt vmcnt(1)
	global_store_dword v[4:5], v79, off offset:120
	s_waitcnt vmcnt(0)
	global_store_dword v[77:78], v85, off
.LBB68_516:
	s_or_b32 exec_lo, exec_lo, s2
	v_mov_b32_e32 v79, v76
	v_mov_b32_e32 v85, v76
.LBB68_517:
	s_or_b32 exec_lo, exec_lo, s1
.LBB68_518:
	s_andn2_saveexec_b32 s0, s0
	s_cbranch_execz .LBB68_520
; %bb.519:
	v_mov_b32_e32 v85, 30
	ds_write2_b64 v82, v[8:9], v[10:11] offset0:31 offset1:32
	ds_write2_b64 v82, v[6:7], v[74:75] offset0:33 offset1:34
.LBB68_520:
	s_or_b32 exec_lo, exec_lo, s0
	s_mov_b32 s0, exec_lo
	s_waitcnt lgkmcnt(0)
	s_waitcnt_vscnt null, 0x0
	s_barrier
	buffer_gl0_inv
	v_cmpx_lt_i32_e32 30, v85
	s_cbranch_execz .LBB68_522
; %bb.521:
	v_mul_f64 v[12:13], v[0:1], v[12:13]
	ds_read2_b64 v[86:89], v82 offset0:31 offset1:32
	ds_read2_b64 v[90:93], v82 offset0:33 offset1:34
	s_waitcnt lgkmcnt(1)
	v_fma_f64 v[8:9], -v[12:13], v[86:87], v[8:9]
	v_fma_f64 v[10:11], -v[12:13], v[88:89], v[10:11]
	s_waitcnt lgkmcnt(0)
	v_fma_f64 v[6:7], -v[12:13], v[90:91], v[6:7]
	v_fma_f64 v[74:75], -v[12:13], v[92:93], v[74:75]
.LBB68_522:
	s_or_b32 exec_lo, exec_lo, s0
	v_lshl_add_u32 v0, v85, 3, v82
	s_barrier
	buffer_gl0_inv
	v_mov_b32_e32 v76, 31
	ds_write_b64 v0, v[8:9]
	s_waitcnt lgkmcnt(0)
	s_barrier
	buffer_gl0_inv
	ds_read_b64 v[0:1], v82 offset:248
	s_cmp_lt_i32 s7, 33
	s_cbranch_scc1 .LBB68_525
; %bb.523:
	v_add3_u32 v77, v83, 0, 0x100
	v_mov_b32_e32 v76, 31
	s_mov_b32 s0, 32
.LBB68_524:                             ; =>This Inner Loop Header: Depth=1
	ds_read_b64 v[86:87], v77
	v_add_nc_u32_e32 v77, 8, v77
	s_waitcnt lgkmcnt(0)
	v_cmp_lt_f64_e64 vcc_lo, |v[0:1]|, |v[86:87]|
	v_cndmask_b32_e32 v1, v1, v87, vcc_lo
	v_cndmask_b32_e32 v0, v0, v86, vcc_lo
	v_cndmask_b32_e64 v76, v76, s0, vcc_lo
	s_add_i32 s0, s0, 1
	s_cmp_lg_u32 s7, s0
	s_cbranch_scc1 .LBB68_524
.LBB68_525:
	s_mov_b32 s0, exec_lo
	s_waitcnt lgkmcnt(0)
	v_cmpx_eq_f64_e32 0, v[0:1]
	s_xor_b32 s0, exec_lo, s0
; %bb.526:
	v_cmp_ne_u32_e32 vcc_lo, 0, v84
	v_cndmask_b32_e32 v84, 32, v84, vcc_lo
; %bb.527:
	s_andn2_saveexec_b32 s0, s0
	s_cbranch_execz .LBB68_529
; %bb.528:
	v_div_scale_f64 v[77:78], null, v[0:1], v[0:1], 1.0
	v_rcp_f64_e32 v[86:87], v[77:78]
	v_fma_f64 v[88:89], -v[77:78], v[86:87], 1.0
	v_fma_f64 v[86:87], v[86:87], v[88:89], v[86:87]
	v_fma_f64 v[88:89], -v[77:78], v[86:87], 1.0
	v_fma_f64 v[86:87], v[86:87], v[88:89], v[86:87]
	v_div_scale_f64 v[88:89], vcc_lo, 1.0, v[0:1], 1.0
	v_mul_f64 v[90:91], v[88:89], v[86:87]
	v_fma_f64 v[77:78], -v[77:78], v[90:91], v[88:89]
	v_div_fmas_f64 v[77:78], v[77:78], v[86:87], v[90:91]
	v_div_fixup_f64 v[0:1], v[77:78], v[0:1], 1.0
.LBB68_529:
	s_or_b32 exec_lo, exec_lo, s0
	s_mov_b32 s0, exec_lo
	v_cmpx_ne_u32_e64 v85, v76
	s_xor_b32 s0, exec_lo, s0
	s_cbranch_execz .LBB68_535
; %bb.530:
	s_mov_b32 s1, exec_lo
	v_cmpx_eq_u32_e32 31, v85
	s_cbranch_execz .LBB68_534
; %bb.531:
	v_cmp_ne_u32_e32 vcc_lo, 31, v76
	s_xor_b32 s2, s6, -1
	s_and_b32 s3, s2, vcc_lo
	s_and_saveexec_b32 s2, s3
	s_cbranch_execz .LBB68_533
; %bb.532:
	v_ashrrev_i32_e32 v77, 31, v76
	v_lshlrev_b64 v[77:78], 2, v[76:77]
	v_add_co_u32 v77, vcc_lo, v4, v77
	v_add_co_ci_u32_e64 v78, null, v5, v78, vcc_lo
	s_clause 0x1
	global_load_dword v79, v[77:78], off
	global_load_dword v85, v[4:5], off offset:124
	s_waitcnt vmcnt(1)
	global_store_dword v[4:5], v79, off offset:124
	s_waitcnt vmcnt(0)
	global_store_dword v[77:78], v85, off
.LBB68_533:
	s_or_b32 exec_lo, exec_lo, s2
	v_mov_b32_e32 v79, v76
	v_mov_b32_e32 v85, v76
.LBB68_534:
	s_or_b32 exec_lo, exec_lo, s1
.LBB68_535:
	s_andn2_saveexec_b32 s0, s0
	s_cbranch_execz .LBB68_537
; %bb.536:
	v_mov_b32_e32 v76, v10
	v_mov_b32_e32 v77, v11
	;; [unrolled: 1-line block ×5, first 2 shown]
	ds_write2_b64 v82, v[76:77], v[86:87] offset0:32 offset1:33
	ds_write_b64 v82, v[74:75] offset:272
.LBB68_537:
	s_or_b32 exec_lo, exec_lo, s0
	s_mov_b32 s0, exec_lo
	s_waitcnt lgkmcnt(0)
	s_waitcnt_vscnt null, 0x0
	s_barrier
	buffer_gl0_inv
	v_cmpx_lt_i32_e32 31, v85
	s_cbranch_execz .LBB68_539
; %bb.538:
	v_mul_f64 v[8:9], v[0:1], v[8:9]
	ds_read2_b64 v[86:89], v82 offset0:32 offset1:33
	ds_read_b64 v[0:1], v82 offset:272
	s_waitcnt lgkmcnt(1)
	v_fma_f64 v[10:11], -v[8:9], v[86:87], v[10:11]
	v_fma_f64 v[6:7], -v[8:9], v[88:89], v[6:7]
	s_waitcnt lgkmcnt(0)
	v_fma_f64 v[74:75], -v[8:9], v[0:1], v[74:75]
.LBB68_539:
	s_or_b32 exec_lo, exec_lo, s0
	v_lshl_add_u32 v0, v85, 3, v82
	s_barrier
	buffer_gl0_inv
	v_mov_b32_e32 v76, 32
	ds_write_b64 v0, v[10:11]
	s_waitcnt lgkmcnt(0)
	s_barrier
	buffer_gl0_inv
	ds_read_b64 v[0:1], v82 offset:256
	s_cmp_lt_i32 s7, 34
	s_cbranch_scc1 .LBB68_542
; %bb.540:
	v_add3_u32 v77, v83, 0, 0x108
	v_mov_b32_e32 v76, 32
	s_mov_b32 s0, 33
.LBB68_541:                             ; =>This Inner Loop Header: Depth=1
	ds_read_b64 v[86:87], v77
	v_add_nc_u32_e32 v77, 8, v77
	s_waitcnt lgkmcnt(0)
	v_cmp_lt_f64_e64 vcc_lo, |v[0:1]|, |v[86:87]|
	v_cndmask_b32_e32 v1, v1, v87, vcc_lo
	v_cndmask_b32_e32 v0, v0, v86, vcc_lo
	v_cndmask_b32_e64 v76, v76, s0, vcc_lo
	s_add_i32 s0, s0, 1
	s_cmp_lg_u32 s7, s0
	s_cbranch_scc1 .LBB68_541
.LBB68_542:
	s_mov_b32 s0, exec_lo
	s_waitcnt lgkmcnt(0)
	v_cmpx_eq_f64_e32 0, v[0:1]
	s_xor_b32 s0, exec_lo, s0
; %bb.543:
	v_cmp_ne_u32_e32 vcc_lo, 0, v84
	v_cndmask_b32_e32 v84, 33, v84, vcc_lo
; %bb.544:
	s_andn2_saveexec_b32 s0, s0
	s_cbranch_execz .LBB68_546
; %bb.545:
	v_div_scale_f64 v[77:78], null, v[0:1], v[0:1], 1.0
	v_rcp_f64_e32 v[86:87], v[77:78]
	v_fma_f64 v[88:89], -v[77:78], v[86:87], 1.0
	v_fma_f64 v[86:87], v[86:87], v[88:89], v[86:87]
	v_fma_f64 v[88:89], -v[77:78], v[86:87], 1.0
	v_fma_f64 v[86:87], v[86:87], v[88:89], v[86:87]
	v_div_scale_f64 v[88:89], vcc_lo, 1.0, v[0:1], 1.0
	v_mul_f64 v[90:91], v[88:89], v[86:87]
	v_fma_f64 v[77:78], -v[77:78], v[90:91], v[88:89]
	v_div_fmas_f64 v[77:78], v[77:78], v[86:87], v[90:91]
	v_div_fixup_f64 v[0:1], v[77:78], v[0:1], 1.0
.LBB68_546:
	s_or_b32 exec_lo, exec_lo, s0
	s_mov_b32 s0, exec_lo
	v_cmpx_ne_u32_e64 v85, v76
	s_xor_b32 s0, exec_lo, s0
	s_cbranch_execz .LBB68_552
; %bb.547:
	s_mov_b32 s1, exec_lo
	v_cmpx_eq_u32_e32 32, v85
	s_cbranch_execz .LBB68_551
; %bb.548:
	v_cmp_ne_u32_e32 vcc_lo, 32, v76
	s_xor_b32 s2, s6, -1
	s_and_b32 s3, s2, vcc_lo
	s_and_saveexec_b32 s2, s3
	s_cbranch_execz .LBB68_550
; %bb.549:
	v_ashrrev_i32_e32 v77, 31, v76
	v_lshlrev_b64 v[77:78], 2, v[76:77]
	v_add_co_u32 v77, vcc_lo, v4, v77
	v_add_co_ci_u32_e64 v78, null, v5, v78, vcc_lo
	s_clause 0x1
	global_load_dword v79, v[77:78], off
	global_load_dword v85, v[4:5], off offset:128
	s_waitcnt vmcnt(1)
	global_store_dword v[4:5], v79, off offset:128
	s_waitcnt vmcnt(0)
	global_store_dword v[77:78], v85, off
.LBB68_550:
	s_or_b32 exec_lo, exec_lo, s2
	v_mov_b32_e32 v79, v76
	v_mov_b32_e32 v85, v76
.LBB68_551:
	s_or_b32 exec_lo, exec_lo, s1
.LBB68_552:
	s_andn2_saveexec_b32 s0, s0
; %bb.553:
	v_mov_b32_e32 v85, 32
	ds_write2_b64 v82, v[6:7], v[74:75] offset0:33 offset1:34
; %bb.554:
	s_or_b32 exec_lo, exec_lo, s0
	s_mov_b32 s0, exec_lo
	s_waitcnt lgkmcnt(0)
	s_waitcnt_vscnt null, 0x0
	s_barrier
	buffer_gl0_inv
	v_cmpx_lt_i32_e32 32, v85
	s_cbranch_execz .LBB68_556
; %bb.555:
	v_mul_f64 v[10:11], v[0:1], v[10:11]
	ds_read2_b64 v[86:89], v82 offset0:33 offset1:34
	s_waitcnt lgkmcnt(0)
	v_fma_f64 v[6:7], -v[10:11], v[86:87], v[6:7]
	v_fma_f64 v[74:75], -v[10:11], v[88:89], v[74:75]
.LBB68_556:
	s_or_b32 exec_lo, exec_lo, s0
	v_lshl_add_u32 v0, v85, 3, v82
	s_barrier
	buffer_gl0_inv
	v_mov_b32_e32 v76, 33
	ds_write_b64 v0, v[6:7]
	s_waitcnt lgkmcnt(0)
	s_barrier
	buffer_gl0_inv
	ds_read_b64 v[0:1], v82 offset:264
	s_cmp_lt_i32 s7, 35
	s_cbranch_scc1 .LBB68_559
; %bb.557:
	v_add3_u32 v77, v83, 0, 0x110
	v_mov_b32_e32 v76, 33
	s_mov_b32 s0, 34
.LBB68_558:                             ; =>This Inner Loop Header: Depth=1
	ds_read_b64 v[86:87], v77
	v_add_nc_u32_e32 v77, 8, v77
	s_waitcnt lgkmcnt(0)
	v_cmp_lt_f64_e64 vcc_lo, |v[0:1]|, |v[86:87]|
	v_cndmask_b32_e32 v1, v1, v87, vcc_lo
	v_cndmask_b32_e32 v0, v0, v86, vcc_lo
	v_cndmask_b32_e64 v76, v76, s0, vcc_lo
	s_add_i32 s0, s0, 1
	s_cmp_lg_u32 s7, s0
	s_cbranch_scc1 .LBB68_558
.LBB68_559:
	s_mov_b32 s0, exec_lo
	s_waitcnt lgkmcnt(0)
	v_cmpx_eq_f64_e32 0, v[0:1]
	s_xor_b32 s0, exec_lo, s0
; %bb.560:
	v_cmp_ne_u32_e32 vcc_lo, 0, v84
	v_cndmask_b32_e32 v84, 34, v84, vcc_lo
; %bb.561:
	s_andn2_saveexec_b32 s0, s0
	s_cbranch_execz .LBB68_563
; %bb.562:
	v_div_scale_f64 v[77:78], null, v[0:1], v[0:1], 1.0
	v_rcp_f64_e32 v[86:87], v[77:78]
	v_fma_f64 v[88:89], -v[77:78], v[86:87], 1.0
	v_fma_f64 v[86:87], v[86:87], v[88:89], v[86:87]
	v_fma_f64 v[88:89], -v[77:78], v[86:87], 1.0
	v_fma_f64 v[86:87], v[86:87], v[88:89], v[86:87]
	v_div_scale_f64 v[88:89], vcc_lo, 1.0, v[0:1], 1.0
	v_mul_f64 v[90:91], v[88:89], v[86:87]
	v_fma_f64 v[77:78], -v[77:78], v[90:91], v[88:89]
	v_div_fmas_f64 v[77:78], v[77:78], v[86:87], v[90:91]
	v_div_fixup_f64 v[0:1], v[77:78], v[0:1], 1.0
.LBB68_563:
	s_or_b32 exec_lo, exec_lo, s0
	s_mov_b32 s0, exec_lo
	v_cmpx_ne_u32_e64 v85, v76
	s_xor_b32 s0, exec_lo, s0
	s_cbranch_execz .LBB68_569
; %bb.564:
	s_mov_b32 s1, exec_lo
	v_cmpx_eq_u32_e32 33, v85
	s_cbranch_execz .LBB68_568
; %bb.565:
	v_cmp_ne_u32_e32 vcc_lo, 33, v76
	s_xor_b32 s2, s6, -1
	s_and_b32 s3, s2, vcc_lo
	s_and_saveexec_b32 s2, s3
	s_cbranch_execz .LBB68_567
; %bb.566:
	v_ashrrev_i32_e32 v77, 31, v76
	v_lshlrev_b64 v[77:78], 2, v[76:77]
	v_add_co_u32 v77, vcc_lo, v4, v77
	v_add_co_ci_u32_e64 v78, null, v5, v78, vcc_lo
	s_clause 0x1
	global_load_dword v79, v[77:78], off
	global_load_dword v85, v[4:5], off offset:132
	s_waitcnt vmcnt(1)
	global_store_dword v[4:5], v79, off offset:132
	s_waitcnt vmcnt(0)
	global_store_dword v[77:78], v85, off
.LBB68_567:
	s_or_b32 exec_lo, exec_lo, s2
	v_mov_b32_e32 v79, v76
	v_mov_b32_e32 v85, v76
.LBB68_568:
	s_or_b32 exec_lo, exec_lo, s1
.LBB68_569:
	s_andn2_saveexec_b32 s0, s0
; %bb.570:
	v_mov_b32_e32 v85, 33
	ds_write_b64 v82, v[74:75] offset:272
; %bb.571:
	s_or_b32 exec_lo, exec_lo, s0
	s_mov_b32 s0, exec_lo
	s_waitcnt lgkmcnt(0)
	s_waitcnt_vscnt null, 0x0
	s_barrier
	buffer_gl0_inv
	v_cmpx_lt_i32_e32 33, v85
	s_cbranch_execz .LBB68_573
; %bb.572:
	v_mul_f64 v[6:7], v[0:1], v[6:7]
	ds_read_b64 v[0:1], v82 offset:272
	s_waitcnt lgkmcnt(0)
	v_fma_f64 v[74:75], -v[6:7], v[0:1], v[74:75]
.LBB68_573:
	s_or_b32 exec_lo, exec_lo, s0
	v_lshl_add_u32 v0, v85, 3, v82
	s_barrier
	buffer_gl0_inv
	v_mov_b32_e32 v76, 34
	ds_write_b64 v0, v[74:75]
	s_waitcnt lgkmcnt(0)
	s_barrier
	buffer_gl0_inv
	ds_read_b64 v[0:1], v82 offset:272
	s_cmp_lt_i32 s7, 36
	s_cbranch_scc1 .LBB68_576
; %bb.574:
	v_add3_u32 v77, v83, 0, 0x118
	v_mov_b32_e32 v76, 34
	s_mov_b32 s0, 35
.LBB68_575:                             ; =>This Inner Loop Header: Depth=1
	ds_read_b64 v[82:83], v77
	v_add_nc_u32_e32 v77, 8, v77
	s_waitcnt lgkmcnt(0)
	v_cmp_lt_f64_e64 vcc_lo, |v[0:1]|, |v[82:83]|
	v_cndmask_b32_e32 v1, v1, v83, vcc_lo
	v_cndmask_b32_e32 v0, v0, v82, vcc_lo
	v_cndmask_b32_e64 v76, v76, s0, vcc_lo
	s_add_i32 s0, s0, 1
	s_cmp_lg_u32 s7, s0
	s_cbranch_scc1 .LBB68_575
.LBB68_576:
	s_mov_b32 s0, exec_lo
	s_waitcnt lgkmcnt(0)
	v_cmpx_eq_f64_e32 0, v[0:1]
	s_xor_b32 s0, exec_lo, s0
; %bb.577:
	v_cmp_ne_u32_e32 vcc_lo, 0, v84
	v_cndmask_b32_e32 v84, 35, v84, vcc_lo
; %bb.578:
	s_andn2_saveexec_b32 s0, s0
	s_cbranch_execz .LBB68_580
; %bb.579:
	v_div_scale_f64 v[77:78], null, v[0:1], v[0:1], 1.0
	v_rcp_f64_e32 v[82:83], v[77:78]
	v_fma_f64 v[86:87], -v[77:78], v[82:83], 1.0
	v_fma_f64 v[82:83], v[82:83], v[86:87], v[82:83]
	v_fma_f64 v[86:87], -v[77:78], v[82:83], 1.0
	v_fma_f64 v[82:83], v[82:83], v[86:87], v[82:83]
	v_div_scale_f64 v[86:87], vcc_lo, 1.0, v[0:1], 1.0
	v_mul_f64 v[88:89], v[86:87], v[82:83]
	v_fma_f64 v[77:78], -v[77:78], v[88:89], v[86:87]
	v_div_fmas_f64 v[77:78], v[77:78], v[82:83], v[88:89]
	v_div_fixup_f64 v[0:1], v[77:78], v[0:1], 1.0
.LBB68_580:
	s_or_b32 exec_lo, exec_lo, s0
	v_mov_b32_e32 v77, 34
	s_mov_b32 s0, exec_lo
	v_cmpx_ne_u32_e64 v85, v76
	s_cbranch_execz .LBB68_586
; %bb.581:
	s_mov_b32 s1, exec_lo
	v_cmpx_eq_u32_e32 34, v85
	s_cbranch_execz .LBB68_585
; %bb.582:
	v_cmp_ne_u32_e32 vcc_lo, 34, v76
	s_xor_b32 s2, s6, -1
	s_and_b32 s3, s2, vcc_lo
	s_and_saveexec_b32 s2, s3
	s_cbranch_execz .LBB68_584
; %bb.583:
	v_ashrrev_i32_e32 v77, 31, v76
	v_lshlrev_b64 v[77:78], 2, v[76:77]
	v_add_co_u32 v77, vcc_lo, v4, v77
	v_add_co_ci_u32_e64 v78, null, v5, v78, vcc_lo
	s_clause 0x1
	global_load_dword v79, v[77:78], off
	global_load_dword v82, v[4:5], off offset:136
	s_waitcnt vmcnt(1)
	global_store_dword v[4:5], v79, off offset:136
	s_waitcnt vmcnt(0)
	global_store_dword v[77:78], v82, off
.LBB68_584:
	s_or_b32 exec_lo, exec_lo, s2
	v_mov_b32_e32 v79, v76
	v_mov_b32_e32 v85, v76
.LBB68_585:
	s_or_b32 exec_lo, exec_lo, s1
	v_mov_b32_e32 v77, v85
.LBB68_586:
	s_or_b32 exec_lo, exec_lo, s0
	s_load_dwordx8 s[0:7], s[4:5], 0x28
	v_ashrrev_i32_e32 v78, 31, v77
	s_mov_b32 s9, exec_lo
	s_waitcnt lgkmcnt(0)
	s_waitcnt_vscnt null, 0x0
	s_barrier
	buffer_gl0_inv
	s_barrier
	buffer_gl0_inv
	v_cmpx_gt_i32_e32 35, v77
	s_cbranch_execz .LBB68_588
; %bb.587:
	v_mul_lo_u32 v76, s5, v2
	v_mul_lo_u32 v82, s4, v3
	v_mad_u64_u32 v[4:5], null, s4, v2, 0
	s_lshl_b64 s[2:3], s[2:3], 2
	v_add3_u32 v5, v5, v82, v76
	v_lshlrev_b64 v[4:5], 2, v[4:5]
	v_add_co_u32 v76, vcc_lo, s0, v4
	v_add_co_ci_u32_e64 v82, null, s1, v5, vcc_lo
	v_lshlrev_b64 v[4:5], 2, v[77:78]
	v_add_co_u32 v76, vcc_lo, v76, s2
	v_add_co_ci_u32_e64 v82, null, s3, v82, vcc_lo
	v_add_co_u32 v4, vcc_lo, v76, v4
	v_add_co_ci_u32_e64 v5, null, v82, v5, vcc_lo
	v_add3_u32 v76, v79, s13, 1
	global_store_dword v[4:5], v76, off
.LBB68_588:
	s_or_b32 exec_lo, exec_lo, s9
	s_mov_b32 s1, exec_lo
	v_cmpx_eq_u32_e32 0, v77
	s_cbranch_execz .LBB68_591
; %bb.589:
	v_lshlrev_b64 v[2:3], 2, v[2:3]
	v_cmp_ne_u32_e64 s0, 0, v84
	v_add_co_u32 v2, vcc_lo, s6, v2
	v_add_co_ci_u32_e64 v3, null, s7, v3, vcc_lo
	global_load_dword v4, v[2:3], off
	s_waitcnt vmcnt(0)
	v_cmp_eq_u32_e32 vcc_lo, 0, v4
	s_and_b32 s0, vcc_lo, s0
	s_and_b32 exec_lo, exec_lo, s0
	s_cbranch_execz .LBB68_591
; %bb.590:
	v_add_nc_u32_e32 v4, s13, v84
	global_store_dword v[2:3], v4, off
.LBB68_591:
	s_or_b32 exec_lo, exec_lo, s1
	v_add3_u32 v2, s8, s8, v77
	v_lshlrev_b64 v[4:5], 3, v[77:78]
	v_mul_f64 v[0:1], v[0:1], v[74:75]
	v_cmp_lt_i32_e32 vcc_lo, 34, v77
	v_ashrrev_i32_e32 v3, 31, v2
	v_add_nc_u32_e32 v76, s8, v2
	v_add_co_u32 v4, s0, v80, v4
	v_add_co_ci_u32_e64 v5, null, v81, v5, s0
	v_lshlrev_b64 v[2:3], 3, v[2:3]
	v_add_co_u32 v82, s0, v4, s10
	v_add_co_ci_u32_e64 v83, null, s11, v5, s0
	v_add_nc_u32_e32 v78, s8, v76
	v_add_co_u32 v2, s0, v80, v2
	v_add_co_ci_u32_e64 v3, null, v81, v3, s0
	v_ashrrev_i32_e32 v77, 31, v76
	flat_store_dwordx2 v[4:5], v[72:73]
	flat_store_dwordx2 v[82:83], v[68:69]
	flat_store_dwordx2 v[2:3], v[70:71]
	v_add_nc_u32_e32 v68, s8, v78
	v_ashrrev_i32_e32 v79, 31, v78
	v_lshlrev_b64 v[4:5], 3, v[76:77]
	v_cndmask_b32_e32 v1, v75, v1, vcc_lo
	v_cndmask_b32_e32 v0, v74, v0, vcc_lo
	v_add_nc_u32_e32 v70, s8, v68
	v_lshlrev_b64 v[2:3], 3, v[78:79]
	v_ashrrev_i32_e32 v69, 31, v68
	v_add_co_u32 v4, vcc_lo, v80, v4
	v_add_nc_u32_e32 v72, s8, v70
	v_add_co_ci_u32_e64 v5, null, v81, v5, vcc_lo
	v_add_co_u32 v2, vcc_lo, v80, v2
	v_ashrrev_i32_e32 v71, 31, v70
	v_add_co_ci_u32_e64 v3, null, v81, v3, vcc_lo
	v_ashrrev_i32_e32 v73, 31, v72
	v_lshlrev_b64 v[68:69], 3, v[68:69]
	flat_store_dwordx2 v[4:5], v[64:65]
	flat_store_dwordx2 v[2:3], v[66:67]
	v_lshlrev_b64 v[2:3], 3, v[70:71]
	v_add_nc_u32_e32 v66, s8, v72
	v_lshlrev_b64 v[64:65], 3, v[72:73]
	v_add_co_u32 v4, vcc_lo, v80, v68
	v_add_co_ci_u32_e64 v5, null, v81, v69, vcc_lo
	v_add_co_u32 v2, vcc_lo, v80, v2
	v_add_co_ci_u32_e64 v3, null, v81, v3, vcc_lo
	v_add_co_u32 v64, vcc_lo, v80, v64
	v_add_nc_u32_e32 v68, s8, v66
	v_add_co_ci_u32_e64 v65, null, v81, v65, vcc_lo
	v_ashrrev_i32_e32 v67, 31, v66
	flat_store_dwordx2 v[4:5], v[62:63]
	flat_store_dwordx2 v[2:3], v[60:61]
	flat_store_dwordx2 v[64:65], v[58:59]
	v_add_nc_u32_e32 v58, s8, v68
	v_ashrrev_i32_e32 v69, 31, v68
	v_lshlrev_b64 v[4:5], 3, v[66:67]
	v_add_nc_u32_e32 v60, s8, v58
	v_lshlrev_b64 v[2:3], 3, v[68:69]
	v_ashrrev_i32_e32 v59, 31, v58
	v_add_co_u32 v4, vcc_lo, v80, v4
	v_add_nc_u32_e32 v62, s8, v60
	v_add_co_ci_u32_e64 v5, null, v81, v5, vcc_lo
	v_add_co_u32 v2, vcc_lo, v80, v2
	v_ashrrev_i32_e32 v61, 31, v60
	v_add_co_ci_u32_e64 v3, null, v81, v3, vcc_lo
	v_ashrrev_i32_e32 v63, 31, v62
	v_lshlrev_b64 v[58:59], 3, v[58:59]
	flat_store_dwordx2 v[4:5], v[56:57]
	flat_store_dwordx2 v[2:3], v[54:55]
	v_lshlrev_b64 v[2:3], 3, v[60:61]
	v_add_nc_u32_e32 v56, s8, v62
	v_lshlrev_b64 v[54:55], 3, v[62:63]
	v_add_co_u32 v4, vcc_lo, v80, v58
	v_add_co_ci_u32_e64 v5, null, v81, v59, vcc_lo
	v_add_co_u32 v2, vcc_lo, v80, v2
	v_add_co_ci_u32_e64 v3, null, v81, v3, vcc_lo
	v_add_co_u32 v54, vcc_lo, v80, v54
	v_add_nc_u32_e32 v58, s8, v56
	v_add_co_ci_u32_e64 v55, null, v81, v55, vcc_lo
	v_ashrrev_i32_e32 v57, 31, v56
	flat_store_dwordx2 v[4:5], v[52:53]
	flat_store_dwordx2 v[2:3], v[48:49]
	flat_store_dwordx2 v[54:55], v[50:51]
	v_add_nc_u32_e32 v48, s8, v58
	v_ashrrev_i32_e32 v59, 31, v58
	v_lshlrev_b64 v[4:5], 3, v[56:57]
	;; [unrolled: 30-line block ×4, first 2 shown]
	v_add_nc_u32_e32 v30, s8, v28
	v_lshlrev_b64 v[2:3], 3, v[38:39]
	v_ashrrev_i32_e32 v29, 31, v28
	v_add_co_u32 v4, vcc_lo, v80, v4
	v_add_nc_u32_e32 v32, s8, v30
	v_add_co_ci_u32_e64 v5, null, v81, v5, vcc_lo
	v_add_co_u32 v2, vcc_lo, v80, v2
	v_ashrrev_i32_e32 v31, 31, v30
	v_add_co_ci_u32_e64 v3, null, v81, v3, vcc_lo
	v_ashrrev_i32_e32 v33, 31, v32
	v_lshlrev_b64 v[28:29], 3, v[28:29]
	flat_store_dwordx2 v[4:5], v[24:25]
	flat_store_dwordx2 v[2:3], v[26:27]
	v_lshlrev_b64 v[2:3], 3, v[30:31]
	v_add_nc_u32_e32 v26, s8, v32
	v_lshlrev_b64 v[24:25], 3, v[32:33]
	v_add_co_u32 v4, vcc_lo, v80, v28
	v_add_co_ci_u32_e64 v5, null, v81, v29, vcc_lo
	v_add_co_u32 v2, vcc_lo, v80, v2
	v_add_nc_u32_e32 v28, s8, v26
	v_add_co_ci_u32_e64 v3, null, v81, v3, vcc_lo
	v_add_co_u32 v24, vcc_lo, v80, v24
	v_ashrrev_i32_e32 v27, 31, v26
	v_add_co_ci_u32_e64 v25, null, v81, v25, vcc_lo
	v_ashrrev_i32_e32 v29, 31, v28
	flat_store_dwordx2 v[4:5], v[22:23]
	v_lshlrev_b64 v[4:5], 3, v[26:27]
	flat_store_dwordx2 v[2:3], v[20:21]
	flat_store_dwordx2 v[24:25], v[18:19]
	v_add_nc_u32_e32 v18, s8, v28
	v_lshlrev_b64 v[2:3], 3, v[28:29]
	v_add_co_u32 v4, vcc_lo, v80, v4
	v_add_nc_u32_e32 v20, s8, v18
	v_add_co_ci_u32_e64 v5, null, v81, v5, vcc_lo
	v_add_co_u32 v2, vcc_lo, v80, v2
	v_add_co_ci_u32_e64 v3, null, v81, v3, vcc_lo
	v_add_nc_u32_e32 v22, s8, v20
	v_ashrrev_i32_e32 v19, 31, v18
	flat_store_dwordx2 v[4:5], v[16:17]
	flat_store_dwordx2 v[2:3], v[14:15]
	v_ashrrev_i32_e32 v21, 31, v20
	v_add_nc_u32_e32 v14, s8, v22
	v_lshlrev_b64 v[4:5], 3, v[18:19]
	v_ashrrev_i32_e32 v23, 31, v22
	v_lshlrev_b64 v[2:3], 3, v[20:21]
	v_add_nc_u32_e32 v18, s8, v14
	v_ashrrev_i32_e32 v15, 31, v14
	v_lshlrev_b64 v[16:17], 3, v[22:23]
	v_add_co_u32 v4, vcc_lo, v80, v4
	v_ashrrev_i32_e32 v19, 31, v18
	v_lshlrev_b64 v[14:15], 3, v[14:15]
	v_add_co_ci_u32_e64 v5, null, v81, v5, vcc_lo
	v_add_co_u32 v2, vcc_lo, v80, v2
	v_lshlrev_b64 v[18:19], 3, v[18:19]
	v_add_co_ci_u32_e64 v3, null, v81, v3, vcc_lo
	v_add_co_u32 v16, vcc_lo, v80, v16
	v_add_co_ci_u32_e64 v17, null, v81, v17, vcc_lo
	v_add_co_u32 v14, vcc_lo, v80, v14
	;; [unrolled: 2-line block ×3, first 2 shown]
	v_add_co_ci_u32_e64 v19, null, v81, v19, vcc_lo
	flat_store_dwordx2 v[4:5], v[12:13]
	flat_store_dwordx2 v[2:3], v[8:9]
	;; [unrolled: 1-line block ×5, first 2 shown]
.LBB68_592:
	s_endpgm
	.section	.rodata,"a",@progbits
	.p2align	6, 0x0
	.amdhsa_kernel _ZN9rocsolver6v33100L18getf2_small_kernelILi35EdiiPKPdEEvT1_T3_lS5_lPS5_llPT2_S5_S5_S7_l
		.amdhsa_group_segment_fixed_size 0
		.amdhsa_private_segment_fixed_size 0
		.amdhsa_kernarg_size 352
		.amdhsa_user_sgpr_count 6
		.amdhsa_user_sgpr_private_segment_buffer 1
		.amdhsa_user_sgpr_dispatch_ptr 0
		.amdhsa_user_sgpr_queue_ptr 0
		.amdhsa_user_sgpr_kernarg_segment_ptr 1
		.amdhsa_user_sgpr_dispatch_id 0
		.amdhsa_user_sgpr_flat_scratch_init 0
		.amdhsa_user_sgpr_private_segment_size 0
		.amdhsa_wavefront_size32 1
		.amdhsa_uses_dynamic_stack 0
		.amdhsa_system_sgpr_private_segment_wavefront_offset 0
		.amdhsa_system_sgpr_workgroup_id_x 1
		.amdhsa_system_sgpr_workgroup_id_y 1
		.amdhsa_system_sgpr_workgroup_id_z 0
		.amdhsa_system_sgpr_workgroup_info 0
		.amdhsa_system_vgpr_workitem_id 1
		.amdhsa_next_free_vgpr 154
		.amdhsa_next_free_sgpr 14
		.amdhsa_reserve_vcc 1
		.amdhsa_reserve_flat_scratch 1
		.amdhsa_float_round_mode_32 0
		.amdhsa_float_round_mode_16_64 0
		.amdhsa_float_denorm_mode_32 3
		.amdhsa_float_denorm_mode_16_64 3
		.amdhsa_dx10_clamp 1
		.amdhsa_ieee_mode 1
		.amdhsa_fp16_overflow 0
		.amdhsa_workgroup_processor_mode 1
		.amdhsa_memory_ordered 1
		.amdhsa_forward_progress 1
		.amdhsa_shared_vgpr_count 0
		.amdhsa_exception_fp_ieee_invalid_op 0
		.amdhsa_exception_fp_denorm_src 0
		.amdhsa_exception_fp_ieee_div_zero 0
		.amdhsa_exception_fp_ieee_overflow 0
		.amdhsa_exception_fp_ieee_underflow 0
		.amdhsa_exception_fp_ieee_inexact 0
		.amdhsa_exception_int_div_zero 0
	.end_amdhsa_kernel
	.section	.text._ZN9rocsolver6v33100L18getf2_small_kernelILi35EdiiPKPdEEvT1_T3_lS5_lPS5_llPT2_S5_S5_S7_l,"axG",@progbits,_ZN9rocsolver6v33100L18getf2_small_kernelILi35EdiiPKPdEEvT1_T3_lS5_lPS5_llPT2_S5_S5_S7_l,comdat
.Lfunc_end68:
	.size	_ZN9rocsolver6v33100L18getf2_small_kernelILi35EdiiPKPdEEvT1_T3_lS5_lPS5_llPT2_S5_S5_S7_l, .Lfunc_end68-_ZN9rocsolver6v33100L18getf2_small_kernelILi35EdiiPKPdEEvT1_T3_lS5_lPS5_llPT2_S5_S5_S7_l
                                        ; -- End function
	.set _ZN9rocsolver6v33100L18getf2_small_kernelILi35EdiiPKPdEEvT1_T3_lS5_lPS5_llPT2_S5_S5_S7_l.num_vgpr, 154
	.set _ZN9rocsolver6v33100L18getf2_small_kernelILi35EdiiPKPdEEvT1_T3_lS5_lPS5_llPT2_S5_S5_S7_l.num_agpr, 0
	.set _ZN9rocsolver6v33100L18getf2_small_kernelILi35EdiiPKPdEEvT1_T3_lS5_lPS5_llPT2_S5_S5_S7_l.numbered_sgpr, 14
	.set _ZN9rocsolver6v33100L18getf2_small_kernelILi35EdiiPKPdEEvT1_T3_lS5_lPS5_llPT2_S5_S5_S7_l.num_named_barrier, 0
	.set _ZN9rocsolver6v33100L18getf2_small_kernelILi35EdiiPKPdEEvT1_T3_lS5_lPS5_llPT2_S5_S5_S7_l.private_seg_size, 0
	.set _ZN9rocsolver6v33100L18getf2_small_kernelILi35EdiiPKPdEEvT1_T3_lS5_lPS5_llPT2_S5_S5_S7_l.uses_vcc, 1
	.set _ZN9rocsolver6v33100L18getf2_small_kernelILi35EdiiPKPdEEvT1_T3_lS5_lPS5_llPT2_S5_S5_S7_l.uses_flat_scratch, 1
	.set _ZN9rocsolver6v33100L18getf2_small_kernelILi35EdiiPKPdEEvT1_T3_lS5_lPS5_llPT2_S5_S5_S7_l.has_dyn_sized_stack, 0
	.set _ZN9rocsolver6v33100L18getf2_small_kernelILi35EdiiPKPdEEvT1_T3_lS5_lPS5_llPT2_S5_S5_S7_l.has_recursion, 0
	.set _ZN9rocsolver6v33100L18getf2_small_kernelILi35EdiiPKPdEEvT1_T3_lS5_lPS5_llPT2_S5_S5_S7_l.has_indirect_call, 0
	.section	.AMDGPU.csdata,"",@progbits
; Kernel info:
; codeLenInByte = 32240
; TotalNumSgprs: 16
; NumVgprs: 154
; ScratchSize: 0
; MemoryBound: 0
; FloatMode: 240
; IeeeMode: 1
; LDSByteSize: 0 bytes/workgroup (compile time only)
; SGPRBlocks: 0
; VGPRBlocks: 19
; NumSGPRsForWavesPerEU: 16
; NumVGPRsForWavesPerEU: 154
; Occupancy: 6
; WaveLimiterHint : 1
; COMPUTE_PGM_RSRC2:SCRATCH_EN: 0
; COMPUTE_PGM_RSRC2:USER_SGPR: 6
; COMPUTE_PGM_RSRC2:TRAP_HANDLER: 0
; COMPUTE_PGM_RSRC2:TGID_X_EN: 1
; COMPUTE_PGM_RSRC2:TGID_Y_EN: 1
; COMPUTE_PGM_RSRC2:TGID_Z_EN: 0
; COMPUTE_PGM_RSRC2:TIDIG_COMP_CNT: 1
	.section	.text._ZN9rocsolver6v33100L23getf2_npvt_small_kernelILi35EdiiPKPdEEvT1_T3_lS5_lPT2_S5_S5_,"axG",@progbits,_ZN9rocsolver6v33100L23getf2_npvt_small_kernelILi35EdiiPKPdEEvT1_T3_lS5_lPT2_S5_S5_,comdat
	.globl	_ZN9rocsolver6v33100L23getf2_npvt_small_kernelILi35EdiiPKPdEEvT1_T3_lS5_lPT2_S5_S5_ ; -- Begin function _ZN9rocsolver6v33100L23getf2_npvt_small_kernelILi35EdiiPKPdEEvT1_T3_lS5_lPT2_S5_S5_
	.p2align	8
	.type	_ZN9rocsolver6v33100L23getf2_npvt_small_kernelILi35EdiiPKPdEEvT1_T3_lS5_lPT2_S5_S5_,@function
_ZN9rocsolver6v33100L23getf2_npvt_small_kernelILi35EdiiPKPdEEvT1_T3_lS5_lPT2_S5_S5_: ; @_ZN9rocsolver6v33100L23getf2_npvt_small_kernelILi35EdiiPKPdEEvT1_T3_lS5_lPT2_S5_S5_
; %bb.0:
	s_clause 0x1
	s_load_dword s0, s[4:5], 0x44
	s_load_dwordx2 s[8:9], s[4:5], 0x30
	s_waitcnt lgkmcnt(0)
	s_lshr_b32 s10, s0, 16
	s_mov_b32 s0, exec_lo
	v_mad_u64_u32 v[2:3], null, s7, s10, v[1:2]
	v_cmpx_gt_i32_e64 s8, v2
	s_cbranch_execz .LBB69_178
; %bb.1:
	s_clause 0x1
	s_load_dwordx4 s[0:3], s[4:5], 0x8
	s_load_dword s6, s[4:5], 0x18
	v_ashrrev_i32_e32 v3, 31, v2
	v_lshlrev_b32_e32 v74, 3, v0
	v_lshlrev_b32_e32 v144, 3, v1
	s_mulk_i32 s10, 0x118
	v_mad_u32_u24 v212, 0x118, v1, 0
	v_lshlrev_b64 v[4:5], 3, v[2:3]
	v_add3_u32 v1, 0, s10, v144
	s_waitcnt lgkmcnt(0)
	v_add_co_u32 v4, vcc_lo, s0, v4
	v_add_co_ci_u32_e64 v5, null, s1, v5, vcc_lo
	v_add3_u32 v6, s6, s6, v0
	s_lshl_b64 s[2:3], s[2:3], 3
	s_ashr_i32 s7, s6, 31
	global_load_dwordx2 v[4:5], v[4:5], off
	s_lshl_b64 s[0:1], s[6:7], 3
	v_add_nc_u32_e32 v8, s6, v6
	v_ashrrev_i32_e32 v7, 31, v6
	v_add_nc_u32_e32 v10, s6, v8
	v_ashrrev_i32_e32 v9, 31, v8
	v_lshlrev_b64 v[6:7], 3, v[6:7]
	v_add_nc_u32_e32 v12, s6, v10
	v_ashrrev_i32_e32 v11, 31, v10
	v_lshlrev_b64 v[8:9], 3, v[8:9]
	;; [unrolled: 3-line block ×30, first 2 shown]
	v_ashrrev_i32_e32 v69, 31, v68
	v_add_nc_u32_e32 v70, s6, v68
	v_lshlrev_b64 v[66:67], 3, v[66:67]
	v_lshlrev_b64 v[68:69], 3, v[68:69]
	v_ashrrev_i32_e32 v71, 31, v70
	v_lshlrev_b64 v[72:73], 3, v[70:71]
	s_waitcnt vmcnt(0)
	v_add_co_u32 v75, vcc_lo, v4, s2
	v_add_co_ci_u32_e64 v76, null, s3, v5, vcc_lo
	v_add_co_u32 v4, vcc_lo, v75, v6
	v_add_co_ci_u32_e64 v5, null, v76, v7, vcc_lo
	;; [unrolled: 2-line block ×36, first 2 shown]
	s_clause 0x22
	flat_load_dwordx2 v[126:127], v[8:9]
	flat_load_dwordx2 v[110:111], v[10:11]
	;; [unrolled: 1-line block ×35, first 2 shown]
	v_cmp_ne_u32_e64 s1, 0, v0
	v_cmp_eq_u32_e64 s0, 0, v0
	s_and_saveexec_b32 s2, s0
	s_cbranch_execz .LBB69_4
; %bb.2:
	s_waitcnt vmcnt(6) lgkmcnt(6)
	ds_write_b64 v1, v[136:137]
	s_waitcnt vmcnt(4) lgkmcnt(5)
	ds_write2_b64 v212, v[140:141], v[142:143] offset0:1 offset1:2
	s_waitcnt vmcnt(3) lgkmcnt(5)
	ds_write2_b64 v212, v[138:139], v[126:127] offset0:3 offset1:4
	ds_write2_b64 v212, v[110:111], v[124:125] offset0:5 offset1:6
	;; [unrolled: 1-line block ×14, first 2 shown]
	s_waitcnt vmcnt(2) lgkmcnt(18)
	ds_write2_b64 v212, v[72:73], v[132:133] offset0:31 offset1:32
	s_waitcnt vmcnt(0) lgkmcnt(17)
	ds_write2_b64 v212, v[130:131], v[134:135] offset0:33 offset1:34
	ds_read_b64 v[144:145], v1
	s_waitcnt lgkmcnt(0)
	v_cmp_neq_f64_e32 vcc_lo, 0, v[144:145]
	s_and_b32 exec_lo, exec_lo, vcc_lo
	s_cbranch_execz .LBB69_4
; %bb.3:
	v_div_scale_f64 v[146:147], null, v[144:145], v[144:145], 1.0
	v_rcp_f64_e32 v[148:149], v[146:147]
	v_fma_f64 v[150:151], -v[146:147], v[148:149], 1.0
	v_fma_f64 v[148:149], v[148:149], v[150:151], v[148:149]
	v_fma_f64 v[150:151], -v[146:147], v[148:149], 1.0
	v_fma_f64 v[148:149], v[148:149], v[150:151], v[148:149]
	v_div_scale_f64 v[150:151], vcc_lo, 1.0, v[144:145], 1.0
	v_mul_f64 v[152:153], v[150:151], v[148:149]
	v_fma_f64 v[146:147], -v[146:147], v[152:153], v[150:151]
	v_div_fmas_f64 v[146:147], v[146:147], v[148:149], v[152:153]
	v_div_fixup_f64 v[144:145], v[146:147], v[144:145], 1.0
	ds_write_b64 v1, v[144:145]
.LBB69_4:
	s_or_b32 exec_lo, exec_lo, s2
	s_waitcnt vmcnt(0) lgkmcnt(0)
	s_barrier
	buffer_gl0_inv
	ds_read_b64 v[144:145], v1
	s_and_saveexec_b32 s2, s1
	s_cbranch_execz .LBB69_6
; %bb.5:
	s_waitcnt lgkmcnt(0)
	v_mul_f64 v[136:137], v[144:145], v[136:137]
	ds_read2_b64 v[146:149], v212 offset0:1 offset1:2
	ds_read2_b64 v[150:153], v212 offset0:3 offset1:4
	;; [unrolled: 1-line block ×13, first 2 shown]
	s_waitcnt lgkmcnt(12)
	v_fma_f64 v[140:141], -v[136:137], v[146:147], v[140:141]
	v_fma_f64 v[142:143], -v[136:137], v[148:149], v[142:143]
	s_waitcnt lgkmcnt(11)
	v_fma_f64 v[138:139], -v[136:137], v[150:151], v[138:139]
	v_fma_f64 v[126:127], -v[136:137], v[152:153], v[126:127]
	;; [unrolled: 3-line block ×4, first 2 shown]
	ds_read2_b64 v[146:149], v212 offset0:27 offset1:28
	ds_read2_b64 v[150:153], v212 offset0:29 offset1:30
	;; [unrolled: 1-line block ×4, first 2 shown]
	s_waitcnt lgkmcnt(12)
	v_fma_f64 v[106:107], -v[136:137], v[162:163], v[106:107]
	v_fma_f64 v[120:121], -v[136:137], v[164:165], v[120:121]
	s_waitcnt lgkmcnt(11)
	v_fma_f64 v[104:105], -v[136:137], v[166:167], v[104:105]
	v_fma_f64 v[118:119], -v[136:137], v[168:169], v[118:119]
	;; [unrolled: 3-line block ×13, first 2 shown]
.LBB69_6:
	s_or_b32 exec_lo, exec_lo, s2
	s_mov_b32 s1, exec_lo
	s_waitcnt lgkmcnt(0)
	s_barrier
	buffer_gl0_inv
	v_cmpx_eq_u32_e32 1, v0
	s_cbranch_execz .LBB69_9
; %bb.7:
	v_mov_b32_e32 v146, v142
	v_mov_b32_e32 v147, v143
	;; [unrolled: 1-line block ×4, first 2 shown]
	ds_write_b64 v1, v[140:141]
	ds_write2_b64 v212, v[146:147], v[148:149] offset0:2 offset1:3
	v_mov_b32_e32 v146, v126
	v_mov_b32_e32 v147, v127
	v_mov_b32_e32 v148, v110
	v_mov_b32_e32 v149, v111
	v_mov_b32_e32 v150, v124
	v_mov_b32_e32 v151, v125
	v_mov_b32_e32 v152, v108
	v_mov_b32_e32 v153, v109
	v_mov_b32_e32 v154, v122
	v_mov_b32_e32 v155, v123
	v_mov_b32_e32 v156, v106
	v_mov_b32_e32 v157, v107
	v_mov_b32_e32 v158, v120
	v_mov_b32_e32 v159, v121
	v_mov_b32_e32 v160, v104
	v_mov_b32_e32 v161, v105
	v_mov_b32_e32 v162, v118
	v_mov_b32_e32 v163, v119
	v_mov_b32_e32 v164, v102
	v_mov_b32_e32 v165, v103
	ds_write2_b64 v212, v[146:147], v[148:149] offset0:4 offset1:5
	ds_write2_b64 v212, v[150:151], v[152:153] offset0:6 offset1:7
	ds_write2_b64 v212, v[154:155], v[156:157] offset0:8 offset1:9
	ds_write2_b64 v212, v[158:159], v[160:161] offset0:10 offset1:11
	ds_write2_b64 v212, v[162:163], v[164:165] offset0:12 offset1:13
	v_mov_b32_e32 v146, v116
	v_mov_b32_e32 v147, v117
	v_mov_b32_e32 v148, v100
	v_mov_b32_e32 v149, v101
	v_mov_b32_e32 v150, v114
	v_mov_b32_e32 v151, v115
	v_mov_b32_e32 v152, v98
	v_mov_b32_e32 v153, v99
	v_mov_b32_e32 v154, v112
	v_mov_b32_e32 v155, v113
	v_mov_b32_e32 v156, v84
	v_mov_b32_e32 v157, v85
	v_mov_b32_e32 v158, v96
	v_mov_b32_e32 v159, v97
	v_mov_b32_e32 v160, v82
	v_mov_b32_e32 v161, v83
	v_mov_b32_e32 v162, v94
	v_mov_b32_e32 v163, v95
	v_mov_b32_e32 v164, v80
	v_mov_b32_e32 v165, v81
	ds_write2_b64 v212, v[146:147], v[148:149] offset0:14 offset1:15
	ds_write2_b64 v212, v[150:151], v[152:153] offset0:16 offset1:17
	ds_write2_b64 v212, v[154:155], v[156:157] offset0:18 offset1:19
	ds_write2_b64 v212, v[158:159], v[160:161] offset0:20 offset1:21
	;; [unrolled: 25-line block ×3, first 2 shown]
	ds_write2_b64 v212, v[162:163], v[164:165] offset0:32 offset1:33
	ds_write_b64 v212, v[134:135] offset:272
	ds_read_b64 v[146:147], v1
	s_waitcnt lgkmcnt(0)
	v_cmp_neq_f64_e32 vcc_lo, 0, v[146:147]
	s_and_b32 exec_lo, exec_lo, vcc_lo
	s_cbranch_execz .LBB69_9
; %bb.8:
	v_div_scale_f64 v[148:149], null, v[146:147], v[146:147], 1.0
	v_rcp_f64_e32 v[150:151], v[148:149]
	v_fma_f64 v[152:153], -v[148:149], v[150:151], 1.0
	v_fma_f64 v[150:151], v[150:151], v[152:153], v[150:151]
	v_fma_f64 v[152:153], -v[148:149], v[150:151], 1.0
	v_fma_f64 v[150:151], v[150:151], v[152:153], v[150:151]
	v_div_scale_f64 v[152:153], vcc_lo, 1.0, v[146:147], 1.0
	v_mul_f64 v[154:155], v[152:153], v[150:151]
	v_fma_f64 v[148:149], -v[148:149], v[154:155], v[152:153]
	v_div_fmas_f64 v[148:149], v[148:149], v[150:151], v[154:155]
	v_div_fixup_f64 v[146:147], v[148:149], v[146:147], 1.0
	ds_write_b64 v1, v[146:147]
.LBB69_9:
	s_or_b32 exec_lo, exec_lo, s1
	s_waitcnt lgkmcnt(0)
	s_barrier
	buffer_gl0_inv
	ds_read_b64 v[146:147], v1
	s_mov_b32 s1, exec_lo
	v_cmpx_lt_u32_e32 1, v0
	s_cbranch_execz .LBB69_11
; %bb.10:
	s_waitcnt lgkmcnt(0)
	v_mul_f64 v[140:141], v[146:147], v[140:141]
	ds_read2_b64 v[148:151], v212 offset0:2 offset1:3
	ds_read2_b64 v[152:155], v212 offset0:4 offset1:5
	;; [unrolled: 1-line block ×13, first 2 shown]
	s_waitcnt lgkmcnt(12)
	v_fma_f64 v[142:143], -v[140:141], v[148:149], v[142:143]
	v_fma_f64 v[138:139], -v[140:141], v[150:151], v[138:139]
	s_waitcnt lgkmcnt(11)
	v_fma_f64 v[126:127], -v[140:141], v[152:153], v[126:127]
	v_fma_f64 v[110:111], -v[140:141], v[154:155], v[110:111]
	;; [unrolled: 3-line block ×3, first 2 shown]
	s_waitcnt lgkmcnt(9)
	v_fma_f64 v[122:123], -v[140:141], v[160:161], v[122:123]
	ds_read2_b64 v[148:151], v212 offset0:28 offset1:29
	ds_read2_b64 v[152:155], v212 offset0:30 offset1:31
	;; [unrolled: 1-line block ×3, first 2 shown]
	ds_read_b64 v[160:161], v212 offset:272
	v_fma_f64 v[106:107], -v[140:141], v[162:163], v[106:107]
	s_waitcnt lgkmcnt(12)
	v_fma_f64 v[120:121], -v[140:141], v[164:165], v[120:121]
	v_fma_f64 v[104:105], -v[140:141], v[166:167], v[104:105]
	s_waitcnt lgkmcnt(11)
	v_fma_f64 v[118:119], -v[140:141], v[168:169], v[118:119]
	;; [unrolled: 3-line block ×13, first 2 shown]
.LBB69_11:
	s_or_b32 exec_lo, exec_lo, s1
	s_mov_b32 s1, exec_lo
	s_waitcnt lgkmcnt(0)
	s_barrier
	buffer_gl0_inv
	v_cmpx_eq_u32_e32 2, v0
	s_cbranch_execz .LBB69_14
; %bb.12:
	ds_write_b64 v1, v[142:143]
	ds_write2_b64 v212, v[138:139], v[126:127] offset0:3 offset1:4
	ds_write2_b64 v212, v[110:111], v[124:125] offset0:5 offset1:6
	;; [unrolled: 1-line block ×16, first 2 shown]
	ds_read_b64 v[148:149], v1
	s_waitcnt lgkmcnt(0)
	v_cmp_neq_f64_e32 vcc_lo, 0, v[148:149]
	s_and_b32 exec_lo, exec_lo, vcc_lo
	s_cbranch_execz .LBB69_14
; %bb.13:
	v_div_scale_f64 v[150:151], null, v[148:149], v[148:149], 1.0
	v_rcp_f64_e32 v[152:153], v[150:151]
	v_fma_f64 v[154:155], -v[150:151], v[152:153], 1.0
	v_fma_f64 v[152:153], v[152:153], v[154:155], v[152:153]
	v_fma_f64 v[154:155], -v[150:151], v[152:153], 1.0
	v_fma_f64 v[152:153], v[152:153], v[154:155], v[152:153]
	v_div_scale_f64 v[154:155], vcc_lo, 1.0, v[148:149], 1.0
	v_mul_f64 v[156:157], v[154:155], v[152:153]
	v_fma_f64 v[150:151], -v[150:151], v[156:157], v[154:155]
	v_div_fmas_f64 v[150:151], v[150:151], v[152:153], v[156:157]
	v_div_fixup_f64 v[148:149], v[150:151], v[148:149], 1.0
	ds_write_b64 v1, v[148:149]
.LBB69_14:
	s_or_b32 exec_lo, exec_lo, s1
	s_waitcnt lgkmcnt(0)
	s_barrier
	buffer_gl0_inv
	ds_read_b64 v[148:149], v1
	s_mov_b32 s1, exec_lo
	v_cmpx_lt_u32_e32 2, v0
	s_cbranch_execz .LBB69_16
; %bb.15:
	s_waitcnt lgkmcnt(0)
	v_mul_f64 v[142:143], v[148:149], v[142:143]
	ds_read2_b64 v[150:153], v212 offset0:3 offset1:4
	ds_read2_b64 v[154:157], v212 offset0:5 offset1:6
	;; [unrolled: 1-line block ×13, first 2 shown]
	s_waitcnt lgkmcnt(12)
	v_fma_f64 v[138:139], -v[142:143], v[150:151], v[138:139]
	v_fma_f64 v[126:127], -v[142:143], v[152:153], v[126:127]
	s_waitcnt lgkmcnt(11)
	v_fma_f64 v[110:111], -v[142:143], v[154:155], v[110:111]
	v_fma_f64 v[124:125], -v[142:143], v[156:157], v[124:125]
	;; [unrolled: 3-line block ×3, first 2 shown]
	ds_read2_b64 v[150:153], v212 offset0:29 offset1:30
	ds_read2_b64 v[154:157], v212 offset0:31 offset1:32
	;; [unrolled: 1-line block ×3, first 2 shown]
	s_waitcnt lgkmcnt(12)
	v_fma_f64 v[106:107], -v[142:143], v[162:163], v[106:107]
	v_fma_f64 v[120:121], -v[142:143], v[164:165], v[120:121]
	s_waitcnt lgkmcnt(11)
	v_fma_f64 v[104:105], -v[142:143], v[166:167], v[104:105]
	v_fma_f64 v[118:119], -v[142:143], v[168:169], v[118:119]
	;; [unrolled: 3-line block ×13, first 2 shown]
.LBB69_16:
	s_or_b32 exec_lo, exec_lo, s1
	s_mov_b32 s1, exec_lo
	s_waitcnt lgkmcnt(0)
	s_barrier
	buffer_gl0_inv
	v_cmpx_eq_u32_e32 3, v0
	s_cbranch_execz .LBB69_19
; %bb.17:
	v_mov_b32_e32 v150, v126
	v_mov_b32_e32 v151, v127
	;; [unrolled: 1-line block ×20, first 2 shown]
	ds_write_b64 v1, v[138:139]
	ds_write2_b64 v212, v[150:151], v[152:153] offset0:4 offset1:5
	ds_write2_b64 v212, v[154:155], v[156:157] offset0:6 offset1:7
	;; [unrolled: 1-line block ×5, first 2 shown]
	v_mov_b32_e32 v150, v116
	v_mov_b32_e32 v151, v117
	;; [unrolled: 1-line block ×20, first 2 shown]
	ds_write2_b64 v212, v[150:151], v[152:153] offset0:14 offset1:15
	ds_write2_b64 v212, v[154:155], v[156:157] offset0:16 offset1:17
	;; [unrolled: 1-line block ×5, first 2 shown]
	v_mov_b32_e32 v150, v92
	v_mov_b32_e32 v151, v93
	;; [unrolled: 1-line block ×20, first 2 shown]
	ds_write2_b64 v212, v[150:151], v[152:153] offset0:24 offset1:25
	ds_write2_b64 v212, v[154:155], v[156:157] offset0:26 offset1:27
	;; [unrolled: 1-line block ×5, first 2 shown]
	ds_write_b64 v212, v[134:135] offset:272
	ds_read_b64 v[150:151], v1
	s_waitcnt lgkmcnt(0)
	v_cmp_neq_f64_e32 vcc_lo, 0, v[150:151]
	s_and_b32 exec_lo, exec_lo, vcc_lo
	s_cbranch_execz .LBB69_19
; %bb.18:
	v_div_scale_f64 v[152:153], null, v[150:151], v[150:151], 1.0
	v_rcp_f64_e32 v[154:155], v[152:153]
	v_fma_f64 v[156:157], -v[152:153], v[154:155], 1.0
	v_fma_f64 v[154:155], v[154:155], v[156:157], v[154:155]
	v_fma_f64 v[156:157], -v[152:153], v[154:155], 1.0
	v_fma_f64 v[154:155], v[154:155], v[156:157], v[154:155]
	v_div_scale_f64 v[156:157], vcc_lo, 1.0, v[150:151], 1.0
	v_mul_f64 v[158:159], v[156:157], v[154:155]
	v_fma_f64 v[152:153], -v[152:153], v[158:159], v[156:157]
	v_div_fmas_f64 v[152:153], v[152:153], v[154:155], v[158:159]
	v_div_fixup_f64 v[150:151], v[152:153], v[150:151], 1.0
	ds_write_b64 v1, v[150:151]
.LBB69_19:
	s_or_b32 exec_lo, exec_lo, s1
	s_waitcnt lgkmcnt(0)
	s_barrier
	buffer_gl0_inv
	ds_read_b64 v[150:151], v1
	s_mov_b32 s1, exec_lo
	v_cmpx_lt_u32_e32 3, v0
	s_cbranch_execz .LBB69_21
; %bb.20:
	s_waitcnt lgkmcnt(0)
	v_mul_f64 v[138:139], v[150:151], v[138:139]
	ds_read2_b64 v[152:155], v212 offset0:4 offset1:5
	ds_read2_b64 v[156:159], v212 offset0:6 offset1:7
	;; [unrolled: 1-line block ×13, first 2 shown]
	s_waitcnt lgkmcnt(12)
	v_fma_f64 v[126:127], -v[138:139], v[152:153], v[126:127]
	v_fma_f64 v[110:111], -v[138:139], v[154:155], v[110:111]
	s_waitcnt lgkmcnt(11)
	v_fma_f64 v[124:125], -v[138:139], v[156:157], v[124:125]
	v_fma_f64 v[108:109], -v[138:139], v[158:159], v[108:109]
	s_waitcnt lgkmcnt(10)
	v_fma_f64 v[122:123], -v[138:139], v[160:161], v[122:123]
	ds_read2_b64 v[152:155], v212 offset0:30 offset1:31
	ds_read2_b64 v[156:159], v212 offset0:32 offset1:33
	ds_read_b64 v[160:161], v212 offset:272
	v_fma_f64 v[106:107], -v[138:139], v[162:163], v[106:107]
	s_waitcnt lgkmcnt(12)
	v_fma_f64 v[120:121], -v[138:139], v[164:165], v[120:121]
	v_fma_f64 v[104:105], -v[138:139], v[166:167], v[104:105]
	s_waitcnt lgkmcnt(11)
	v_fma_f64 v[118:119], -v[138:139], v[168:169], v[118:119]
	;; [unrolled: 3-line block ×13, first 2 shown]
.LBB69_21:
	s_or_b32 exec_lo, exec_lo, s1
	s_mov_b32 s1, exec_lo
	s_waitcnt lgkmcnt(0)
	s_barrier
	buffer_gl0_inv
	v_cmpx_eq_u32_e32 4, v0
	s_cbranch_execz .LBB69_24
; %bb.22:
	ds_write_b64 v1, v[126:127]
	ds_write2_b64 v212, v[110:111], v[124:125] offset0:5 offset1:6
	ds_write2_b64 v212, v[108:109], v[122:123] offset0:7 offset1:8
	;; [unrolled: 1-line block ×15, first 2 shown]
	ds_read_b64 v[152:153], v1
	s_waitcnt lgkmcnt(0)
	v_cmp_neq_f64_e32 vcc_lo, 0, v[152:153]
	s_and_b32 exec_lo, exec_lo, vcc_lo
	s_cbranch_execz .LBB69_24
; %bb.23:
	v_div_scale_f64 v[154:155], null, v[152:153], v[152:153], 1.0
	v_rcp_f64_e32 v[156:157], v[154:155]
	v_fma_f64 v[158:159], -v[154:155], v[156:157], 1.0
	v_fma_f64 v[156:157], v[156:157], v[158:159], v[156:157]
	v_fma_f64 v[158:159], -v[154:155], v[156:157], 1.0
	v_fma_f64 v[156:157], v[156:157], v[158:159], v[156:157]
	v_div_scale_f64 v[158:159], vcc_lo, 1.0, v[152:153], 1.0
	v_mul_f64 v[160:161], v[158:159], v[156:157]
	v_fma_f64 v[154:155], -v[154:155], v[160:161], v[158:159]
	v_div_fmas_f64 v[154:155], v[154:155], v[156:157], v[160:161]
	v_div_fixup_f64 v[152:153], v[154:155], v[152:153], 1.0
	ds_write_b64 v1, v[152:153]
.LBB69_24:
	s_or_b32 exec_lo, exec_lo, s1
	s_waitcnt lgkmcnt(0)
	s_barrier
	buffer_gl0_inv
	ds_read_b64 v[152:153], v1
	s_mov_b32 s1, exec_lo
	v_cmpx_lt_u32_e32 4, v0
	s_cbranch_execz .LBB69_26
; %bb.25:
	s_waitcnt lgkmcnt(0)
	v_mul_f64 v[126:127], v[152:153], v[126:127]
	ds_read2_b64 v[154:157], v212 offset0:5 offset1:6
	ds_read2_b64 v[158:161], v212 offset0:7 offset1:8
	;; [unrolled: 1-line block ×14, first 2 shown]
	s_waitcnt lgkmcnt(13)
	v_fma_f64 v[110:111], -v[126:127], v[154:155], v[110:111]
	v_fma_f64 v[124:125], -v[126:127], v[156:157], v[124:125]
	ds_read2_b64 v[154:157], v212 offset0:33 offset1:34
	s_waitcnt lgkmcnt(13)
	v_fma_f64 v[108:109], -v[126:127], v[158:159], v[108:109]
	v_fma_f64 v[122:123], -v[126:127], v[160:161], v[122:123]
	s_waitcnt lgkmcnt(12)
	v_fma_f64 v[106:107], -v[126:127], v[162:163], v[106:107]
	v_fma_f64 v[120:121], -v[126:127], v[164:165], v[120:121]
	;; [unrolled: 3-line block ×14, first 2 shown]
.LBB69_26:
	s_or_b32 exec_lo, exec_lo, s1
	s_mov_b32 s1, exec_lo
	s_waitcnt lgkmcnt(0)
	s_barrier
	buffer_gl0_inv
	v_cmpx_eq_u32_e32 5, v0
	s_cbranch_execz .LBB69_29
; %bb.27:
	v_mov_b32_e32 v154, v124
	v_mov_b32_e32 v155, v125
	;; [unrolled: 1-line block ×16, first 2 shown]
	ds_write_b64 v1, v[110:111]
	ds_write2_b64 v212, v[154:155], v[156:157] offset0:6 offset1:7
	ds_write2_b64 v212, v[158:159], v[160:161] offset0:8 offset1:9
	;; [unrolled: 1-line block ×4, first 2 shown]
	v_mov_b32_e32 v154, v116
	v_mov_b32_e32 v155, v117
	;; [unrolled: 1-line block ×20, first 2 shown]
	ds_write2_b64 v212, v[154:155], v[156:157] offset0:14 offset1:15
	ds_write2_b64 v212, v[158:159], v[160:161] offset0:16 offset1:17
	;; [unrolled: 1-line block ×5, first 2 shown]
	v_mov_b32_e32 v154, v92
	v_mov_b32_e32 v155, v93
	;; [unrolled: 1-line block ×20, first 2 shown]
	ds_write2_b64 v212, v[154:155], v[156:157] offset0:24 offset1:25
	ds_write2_b64 v212, v[158:159], v[160:161] offset0:26 offset1:27
	;; [unrolled: 1-line block ×5, first 2 shown]
	ds_write_b64 v212, v[134:135] offset:272
	ds_read_b64 v[154:155], v1
	s_waitcnt lgkmcnt(0)
	v_cmp_neq_f64_e32 vcc_lo, 0, v[154:155]
	s_and_b32 exec_lo, exec_lo, vcc_lo
	s_cbranch_execz .LBB69_29
; %bb.28:
	v_div_scale_f64 v[156:157], null, v[154:155], v[154:155], 1.0
	v_rcp_f64_e32 v[158:159], v[156:157]
	v_fma_f64 v[160:161], -v[156:157], v[158:159], 1.0
	v_fma_f64 v[158:159], v[158:159], v[160:161], v[158:159]
	v_fma_f64 v[160:161], -v[156:157], v[158:159], 1.0
	v_fma_f64 v[158:159], v[158:159], v[160:161], v[158:159]
	v_div_scale_f64 v[160:161], vcc_lo, 1.0, v[154:155], 1.0
	v_mul_f64 v[162:163], v[160:161], v[158:159]
	v_fma_f64 v[156:157], -v[156:157], v[162:163], v[160:161]
	v_div_fmas_f64 v[156:157], v[156:157], v[158:159], v[162:163]
	v_div_fixup_f64 v[154:155], v[156:157], v[154:155], 1.0
	ds_write_b64 v1, v[154:155]
.LBB69_29:
	s_or_b32 exec_lo, exec_lo, s1
	s_waitcnt lgkmcnt(0)
	s_barrier
	buffer_gl0_inv
	ds_read_b64 v[154:155], v1
	s_mov_b32 s1, exec_lo
	v_cmpx_lt_u32_e32 5, v0
	s_cbranch_execz .LBB69_31
; %bb.30:
	s_waitcnt lgkmcnt(0)
	v_mul_f64 v[110:111], v[154:155], v[110:111]
	ds_read2_b64 v[156:159], v212 offset0:6 offset1:7
	ds_read2_b64 v[160:163], v212 offset0:8 offset1:9
	;; [unrolled: 1-line block ×14, first 2 shown]
	s_waitcnt lgkmcnt(13)
	v_fma_f64 v[124:125], -v[110:111], v[156:157], v[124:125]
	ds_read_b64 v[156:157], v212 offset:272
	v_fma_f64 v[108:109], -v[110:111], v[158:159], v[108:109]
	s_waitcnt lgkmcnt(13)
	v_fma_f64 v[122:123], -v[110:111], v[160:161], v[122:123]
	v_fma_f64 v[106:107], -v[110:111], v[162:163], v[106:107]
	s_waitcnt lgkmcnt(12)
	v_fma_f64 v[120:121], -v[110:111], v[164:165], v[120:121]
	;; [unrolled: 3-line block ×14, first 2 shown]
.LBB69_31:
	s_or_b32 exec_lo, exec_lo, s1
	s_mov_b32 s1, exec_lo
	s_waitcnt lgkmcnt(0)
	s_barrier
	buffer_gl0_inv
	v_cmpx_eq_u32_e32 6, v0
	s_cbranch_execz .LBB69_34
; %bb.32:
	ds_write_b64 v1, v[124:125]
	ds_write2_b64 v212, v[108:109], v[122:123] offset0:7 offset1:8
	ds_write2_b64 v212, v[106:107], v[120:121] offset0:9 offset1:10
	ds_write2_b64 v212, v[104:105], v[118:119] offset0:11 offset1:12
	ds_write2_b64 v212, v[102:103], v[116:117] offset0:13 offset1:14
	ds_write2_b64 v212, v[100:101], v[114:115] offset0:15 offset1:16
	ds_write2_b64 v212, v[98:99], v[112:113] offset0:17 offset1:18
	ds_write2_b64 v212, v[84:85], v[96:97] offset0:19 offset1:20
	ds_write2_b64 v212, v[82:83], v[94:95] offset0:21 offset1:22
	ds_write2_b64 v212, v[80:81], v[92:93] offset0:23 offset1:24
	ds_write2_b64 v212, v[78:79], v[90:91] offset0:25 offset1:26
	ds_write2_b64 v212, v[76:77], v[88:89] offset0:27 offset1:28
	ds_write2_b64 v212, v[74:75], v[86:87] offset0:29 offset1:30
	ds_write2_b64 v212, v[72:73], v[132:133] offset0:31 offset1:32
	ds_write2_b64 v212, v[130:131], v[134:135] offset0:33 offset1:34
	ds_read_b64 v[156:157], v1
	s_waitcnt lgkmcnt(0)
	v_cmp_neq_f64_e32 vcc_lo, 0, v[156:157]
	s_and_b32 exec_lo, exec_lo, vcc_lo
	s_cbranch_execz .LBB69_34
; %bb.33:
	v_div_scale_f64 v[158:159], null, v[156:157], v[156:157], 1.0
	v_rcp_f64_e32 v[160:161], v[158:159]
	v_fma_f64 v[162:163], -v[158:159], v[160:161], 1.0
	v_fma_f64 v[160:161], v[160:161], v[162:163], v[160:161]
	v_fma_f64 v[162:163], -v[158:159], v[160:161], 1.0
	v_fma_f64 v[160:161], v[160:161], v[162:163], v[160:161]
	v_div_scale_f64 v[162:163], vcc_lo, 1.0, v[156:157], 1.0
	v_mul_f64 v[164:165], v[162:163], v[160:161]
	v_fma_f64 v[158:159], -v[158:159], v[164:165], v[162:163]
	v_div_fmas_f64 v[158:159], v[158:159], v[160:161], v[164:165]
	v_div_fixup_f64 v[156:157], v[158:159], v[156:157], 1.0
	ds_write_b64 v1, v[156:157]
.LBB69_34:
	s_or_b32 exec_lo, exec_lo, s1
	s_waitcnt lgkmcnt(0)
	s_barrier
	buffer_gl0_inv
	ds_read_b64 v[156:157], v1
	s_mov_b32 s1, exec_lo
	v_cmpx_lt_u32_e32 6, v0
	s_cbranch_execz .LBB69_36
; %bb.35:
	s_waitcnt lgkmcnt(0)
	v_mul_f64 v[124:125], v[156:157], v[124:125]
	ds_read2_b64 v[158:161], v212 offset0:7 offset1:8
	ds_read2_b64 v[162:165], v212 offset0:9 offset1:10
	;; [unrolled: 1-line block ×14, first 2 shown]
	s_waitcnt lgkmcnt(13)
	v_fma_f64 v[108:109], -v[124:125], v[158:159], v[108:109]
	v_fma_f64 v[122:123], -v[124:125], v[160:161], v[122:123]
	s_waitcnt lgkmcnt(12)
	v_fma_f64 v[106:107], -v[124:125], v[162:163], v[106:107]
	v_fma_f64 v[120:121], -v[124:125], v[164:165], v[120:121]
	;; [unrolled: 3-line block ×14, first 2 shown]
.LBB69_36:
	s_or_b32 exec_lo, exec_lo, s1
	s_mov_b32 s1, exec_lo
	s_waitcnt lgkmcnt(0)
	s_barrier
	buffer_gl0_inv
	v_cmpx_eq_u32_e32 7, v0
	s_cbranch_execz .LBB69_39
; %bb.37:
	v_mov_b32_e32 v158, v122
	v_mov_b32_e32 v159, v123
	v_mov_b32_e32 v160, v106
	v_mov_b32_e32 v161, v107
	v_mov_b32_e32 v162, v120
	v_mov_b32_e32 v163, v121
	v_mov_b32_e32 v164, v104
	v_mov_b32_e32 v165, v105
	v_mov_b32_e32 v166, v118
	v_mov_b32_e32 v167, v119
	v_mov_b32_e32 v168, v102
	v_mov_b32_e32 v169, v103
	ds_write_b64 v1, v[108:109]
	ds_write2_b64 v212, v[158:159], v[160:161] offset0:8 offset1:9
	ds_write2_b64 v212, v[162:163], v[164:165] offset0:10 offset1:11
	ds_write2_b64 v212, v[166:167], v[168:169] offset0:12 offset1:13
	v_mov_b32_e32 v158, v116
	v_mov_b32_e32 v159, v117
	;; [unrolled: 1-line block ×20, first 2 shown]
	ds_write2_b64 v212, v[158:159], v[160:161] offset0:14 offset1:15
	ds_write2_b64 v212, v[162:163], v[164:165] offset0:16 offset1:17
	;; [unrolled: 1-line block ×5, first 2 shown]
	v_mov_b32_e32 v158, v92
	v_mov_b32_e32 v159, v93
	;; [unrolled: 1-line block ×20, first 2 shown]
	ds_write2_b64 v212, v[158:159], v[160:161] offset0:24 offset1:25
	ds_write2_b64 v212, v[162:163], v[164:165] offset0:26 offset1:27
	;; [unrolled: 1-line block ×5, first 2 shown]
	ds_write_b64 v212, v[134:135] offset:272
	ds_read_b64 v[158:159], v1
	s_waitcnt lgkmcnt(0)
	v_cmp_neq_f64_e32 vcc_lo, 0, v[158:159]
	s_and_b32 exec_lo, exec_lo, vcc_lo
	s_cbranch_execz .LBB69_39
; %bb.38:
	v_div_scale_f64 v[160:161], null, v[158:159], v[158:159], 1.0
	v_rcp_f64_e32 v[162:163], v[160:161]
	v_fma_f64 v[164:165], -v[160:161], v[162:163], 1.0
	v_fma_f64 v[162:163], v[162:163], v[164:165], v[162:163]
	v_fma_f64 v[164:165], -v[160:161], v[162:163], 1.0
	v_fma_f64 v[162:163], v[162:163], v[164:165], v[162:163]
	v_div_scale_f64 v[164:165], vcc_lo, 1.0, v[158:159], 1.0
	v_mul_f64 v[166:167], v[164:165], v[162:163]
	v_fma_f64 v[160:161], -v[160:161], v[166:167], v[164:165]
	v_div_fmas_f64 v[160:161], v[160:161], v[162:163], v[166:167]
	v_div_fixup_f64 v[158:159], v[160:161], v[158:159], 1.0
	ds_write_b64 v1, v[158:159]
.LBB69_39:
	s_or_b32 exec_lo, exec_lo, s1
	s_waitcnt lgkmcnt(0)
	s_barrier
	buffer_gl0_inv
	ds_read_b64 v[158:159], v1
	s_mov_b32 s1, exec_lo
	v_cmpx_lt_u32_e32 7, v0
	s_cbranch_execz .LBB69_41
; %bb.40:
	s_waitcnt lgkmcnt(0)
	v_mul_f64 v[108:109], v[158:159], v[108:109]
	ds_read2_b64 v[160:163], v212 offset0:8 offset1:9
	ds_read2_b64 v[164:167], v212 offset0:10 offset1:11
	;; [unrolled: 1-line block ×13, first 2 shown]
	ds_read_b64 v[213:214], v212 offset:272
	s_waitcnt lgkmcnt(13)
	v_fma_f64 v[122:123], -v[108:109], v[160:161], v[122:123]
	v_fma_f64 v[106:107], -v[108:109], v[162:163], v[106:107]
	s_waitcnt lgkmcnt(12)
	v_fma_f64 v[120:121], -v[108:109], v[164:165], v[120:121]
	v_fma_f64 v[104:105], -v[108:109], v[166:167], v[104:105]
	;; [unrolled: 3-line block ×13, first 2 shown]
	s_waitcnt lgkmcnt(0)
	v_fma_f64 v[134:135], -v[108:109], v[213:214], v[134:135]
.LBB69_41:
	s_or_b32 exec_lo, exec_lo, s1
	s_mov_b32 s1, exec_lo
	s_waitcnt lgkmcnt(0)
	s_barrier
	buffer_gl0_inv
	v_cmpx_eq_u32_e32 8, v0
	s_cbranch_execz .LBB69_44
; %bb.42:
	ds_write_b64 v1, v[122:123]
	ds_write2_b64 v212, v[106:107], v[120:121] offset0:9 offset1:10
	ds_write2_b64 v212, v[104:105], v[118:119] offset0:11 offset1:12
	;; [unrolled: 1-line block ×13, first 2 shown]
	ds_read_b64 v[160:161], v1
	s_waitcnt lgkmcnt(0)
	v_cmp_neq_f64_e32 vcc_lo, 0, v[160:161]
	s_and_b32 exec_lo, exec_lo, vcc_lo
	s_cbranch_execz .LBB69_44
; %bb.43:
	v_div_scale_f64 v[162:163], null, v[160:161], v[160:161], 1.0
	v_rcp_f64_e32 v[164:165], v[162:163]
	v_fma_f64 v[166:167], -v[162:163], v[164:165], 1.0
	v_fma_f64 v[164:165], v[164:165], v[166:167], v[164:165]
	v_fma_f64 v[166:167], -v[162:163], v[164:165], 1.0
	v_fma_f64 v[164:165], v[164:165], v[166:167], v[164:165]
	v_div_scale_f64 v[166:167], vcc_lo, 1.0, v[160:161], 1.0
	v_mul_f64 v[168:169], v[166:167], v[164:165]
	v_fma_f64 v[162:163], -v[162:163], v[168:169], v[166:167]
	v_div_fmas_f64 v[162:163], v[162:163], v[164:165], v[168:169]
	v_div_fixup_f64 v[160:161], v[162:163], v[160:161], 1.0
	ds_write_b64 v1, v[160:161]
.LBB69_44:
	s_or_b32 exec_lo, exec_lo, s1
	s_waitcnt lgkmcnt(0)
	s_barrier
	buffer_gl0_inv
	ds_read_b64 v[160:161], v1
	s_mov_b32 s1, exec_lo
	v_cmpx_lt_u32_e32 8, v0
	s_cbranch_execz .LBB69_46
; %bb.45:
	s_waitcnt lgkmcnt(0)
	v_mul_f64 v[122:123], v[160:161], v[122:123]
	ds_read2_b64 v[162:165], v212 offset0:9 offset1:10
	ds_read2_b64 v[166:169], v212 offset0:11 offset1:12
	;; [unrolled: 1-line block ×13, first 2 shown]
	s_waitcnt lgkmcnt(12)
	v_fma_f64 v[106:107], -v[122:123], v[162:163], v[106:107]
	v_fma_f64 v[120:121], -v[122:123], v[164:165], v[120:121]
	s_waitcnt lgkmcnt(11)
	v_fma_f64 v[104:105], -v[122:123], v[166:167], v[104:105]
	v_fma_f64 v[118:119], -v[122:123], v[168:169], v[118:119]
	;; [unrolled: 3-line block ×13, first 2 shown]
.LBB69_46:
	s_or_b32 exec_lo, exec_lo, s1
	s_mov_b32 s1, exec_lo
	s_waitcnt lgkmcnt(0)
	s_barrier
	buffer_gl0_inv
	v_cmpx_eq_u32_e32 9, v0
	s_cbranch_execz .LBB69_49
; %bb.47:
	v_mov_b32_e32 v162, v120
	v_mov_b32_e32 v163, v121
	;; [unrolled: 1-line block ×8, first 2 shown]
	ds_write_b64 v1, v[106:107]
	ds_write2_b64 v212, v[162:163], v[164:165] offset0:10 offset1:11
	ds_write2_b64 v212, v[166:167], v[168:169] offset0:12 offset1:13
	v_mov_b32_e32 v162, v116
	v_mov_b32_e32 v163, v117
	;; [unrolled: 1-line block ×20, first 2 shown]
	ds_write2_b64 v212, v[162:163], v[164:165] offset0:14 offset1:15
	ds_write2_b64 v212, v[166:167], v[168:169] offset0:16 offset1:17
	;; [unrolled: 1-line block ×5, first 2 shown]
	v_mov_b32_e32 v162, v92
	v_mov_b32_e32 v163, v93
	;; [unrolled: 1-line block ×20, first 2 shown]
	ds_write2_b64 v212, v[162:163], v[164:165] offset0:24 offset1:25
	ds_write2_b64 v212, v[166:167], v[168:169] offset0:26 offset1:27
	;; [unrolled: 1-line block ×5, first 2 shown]
	ds_write_b64 v212, v[134:135] offset:272
	ds_read_b64 v[162:163], v1
	s_waitcnt lgkmcnt(0)
	v_cmp_neq_f64_e32 vcc_lo, 0, v[162:163]
	s_and_b32 exec_lo, exec_lo, vcc_lo
	s_cbranch_execz .LBB69_49
; %bb.48:
	v_div_scale_f64 v[164:165], null, v[162:163], v[162:163], 1.0
	v_rcp_f64_e32 v[166:167], v[164:165]
	v_fma_f64 v[168:169], -v[164:165], v[166:167], 1.0
	v_fma_f64 v[166:167], v[166:167], v[168:169], v[166:167]
	v_fma_f64 v[168:169], -v[164:165], v[166:167], 1.0
	v_fma_f64 v[166:167], v[166:167], v[168:169], v[166:167]
	v_div_scale_f64 v[168:169], vcc_lo, 1.0, v[162:163], 1.0
	v_mul_f64 v[170:171], v[168:169], v[166:167]
	v_fma_f64 v[164:165], -v[164:165], v[170:171], v[168:169]
	v_div_fmas_f64 v[164:165], v[164:165], v[166:167], v[170:171]
	v_div_fixup_f64 v[162:163], v[164:165], v[162:163], 1.0
	ds_write_b64 v1, v[162:163]
.LBB69_49:
	s_or_b32 exec_lo, exec_lo, s1
	s_waitcnt lgkmcnt(0)
	s_barrier
	buffer_gl0_inv
	ds_read_b64 v[162:163], v1
	s_mov_b32 s1, exec_lo
	v_cmpx_lt_u32_e32 9, v0
	s_cbranch_execz .LBB69_51
; %bb.50:
	s_waitcnt lgkmcnt(0)
	v_mul_f64 v[106:107], v[162:163], v[106:107]
	ds_read2_b64 v[164:167], v212 offset0:10 offset1:11
	ds_read2_b64 v[168:171], v212 offset0:12 offset1:13
	;; [unrolled: 1-line block ×12, first 2 shown]
	ds_read_b64 v[213:214], v212 offset:272
	s_waitcnt lgkmcnt(12)
	v_fma_f64 v[120:121], -v[106:107], v[164:165], v[120:121]
	v_fma_f64 v[104:105], -v[106:107], v[166:167], v[104:105]
	s_waitcnt lgkmcnt(11)
	v_fma_f64 v[118:119], -v[106:107], v[168:169], v[118:119]
	v_fma_f64 v[102:103], -v[106:107], v[170:171], v[102:103]
	;; [unrolled: 3-line block ×12, first 2 shown]
	s_waitcnt lgkmcnt(0)
	v_fma_f64 v[134:135], -v[106:107], v[213:214], v[134:135]
.LBB69_51:
	s_or_b32 exec_lo, exec_lo, s1
	s_mov_b32 s1, exec_lo
	s_waitcnt lgkmcnt(0)
	s_barrier
	buffer_gl0_inv
	v_cmpx_eq_u32_e32 10, v0
	s_cbranch_execz .LBB69_54
; %bb.52:
	ds_write_b64 v1, v[120:121]
	ds_write2_b64 v212, v[104:105], v[118:119] offset0:11 offset1:12
	ds_write2_b64 v212, v[102:103], v[116:117] offset0:13 offset1:14
	;; [unrolled: 1-line block ×12, first 2 shown]
	ds_read_b64 v[164:165], v1
	s_waitcnt lgkmcnt(0)
	v_cmp_neq_f64_e32 vcc_lo, 0, v[164:165]
	s_and_b32 exec_lo, exec_lo, vcc_lo
	s_cbranch_execz .LBB69_54
; %bb.53:
	v_div_scale_f64 v[166:167], null, v[164:165], v[164:165], 1.0
	v_rcp_f64_e32 v[168:169], v[166:167]
	v_fma_f64 v[170:171], -v[166:167], v[168:169], 1.0
	v_fma_f64 v[168:169], v[168:169], v[170:171], v[168:169]
	v_fma_f64 v[170:171], -v[166:167], v[168:169], 1.0
	v_fma_f64 v[168:169], v[168:169], v[170:171], v[168:169]
	v_div_scale_f64 v[170:171], vcc_lo, 1.0, v[164:165], 1.0
	v_mul_f64 v[172:173], v[170:171], v[168:169]
	v_fma_f64 v[166:167], -v[166:167], v[172:173], v[170:171]
	v_div_fmas_f64 v[166:167], v[166:167], v[168:169], v[172:173]
	v_div_fixup_f64 v[164:165], v[166:167], v[164:165], 1.0
	ds_write_b64 v1, v[164:165]
.LBB69_54:
	s_or_b32 exec_lo, exec_lo, s1
	s_waitcnt lgkmcnt(0)
	s_barrier
	buffer_gl0_inv
	ds_read_b64 v[164:165], v1
	s_mov_b32 s1, exec_lo
	v_cmpx_lt_u32_e32 10, v0
	s_cbranch_execz .LBB69_56
; %bb.55:
	s_waitcnt lgkmcnt(0)
	v_mul_f64 v[120:121], v[164:165], v[120:121]
	ds_read2_b64 v[166:169], v212 offset0:11 offset1:12
	ds_read2_b64 v[170:173], v212 offset0:13 offset1:14
	;; [unrolled: 1-line block ×12, first 2 shown]
	s_waitcnt lgkmcnt(11)
	v_fma_f64 v[104:105], -v[120:121], v[166:167], v[104:105]
	v_fma_f64 v[118:119], -v[120:121], v[168:169], v[118:119]
	s_waitcnt lgkmcnt(10)
	v_fma_f64 v[102:103], -v[120:121], v[170:171], v[102:103]
	v_fma_f64 v[116:117], -v[120:121], v[172:173], v[116:117]
	;; [unrolled: 3-line block ×12, first 2 shown]
.LBB69_56:
	s_or_b32 exec_lo, exec_lo, s1
	s_mov_b32 s1, exec_lo
	s_waitcnt lgkmcnt(0)
	s_barrier
	buffer_gl0_inv
	v_cmpx_eq_u32_e32 11, v0
	s_cbranch_execz .LBB69_59
; %bb.57:
	v_mov_b32_e32 v166, v118
	v_mov_b32_e32 v167, v119
	v_mov_b32_e32 v168, v102
	v_mov_b32_e32 v169, v103
	ds_write_b64 v1, v[104:105]
	ds_write2_b64 v212, v[166:167], v[168:169] offset0:12 offset1:13
	v_mov_b32_e32 v166, v116
	v_mov_b32_e32 v167, v117
	;; [unrolled: 1-line block ×20, first 2 shown]
	ds_write2_b64 v212, v[166:167], v[168:169] offset0:14 offset1:15
	ds_write2_b64 v212, v[170:171], v[172:173] offset0:16 offset1:17
	;; [unrolled: 1-line block ×5, first 2 shown]
	v_mov_b32_e32 v166, v92
	v_mov_b32_e32 v167, v93
	;; [unrolled: 1-line block ×20, first 2 shown]
	ds_write2_b64 v212, v[166:167], v[168:169] offset0:24 offset1:25
	ds_write2_b64 v212, v[170:171], v[172:173] offset0:26 offset1:27
	;; [unrolled: 1-line block ×5, first 2 shown]
	ds_write_b64 v212, v[134:135] offset:272
	ds_read_b64 v[166:167], v1
	s_waitcnt lgkmcnt(0)
	v_cmp_neq_f64_e32 vcc_lo, 0, v[166:167]
	s_and_b32 exec_lo, exec_lo, vcc_lo
	s_cbranch_execz .LBB69_59
; %bb.58:
	v_div_scale_f64 v[168:169], null, v[166:167], v[166:167], 1.0
	v_rcp_f64_e32 v[170:171], v[168:169]
	v_fma_f64 v[172:173], -v[168:169], v[170:171], 1.0
	v_fma_f64 v[170:171], v[170:171], v[172:173], v[170:171]
	v_fma_f64 v[172:173], -v[168:169], v[170:171], 1.0
	v_fma_f64 v[170:171], v[170:171], v[172:173], v[170:171]
	v_div_scale_f64 v[172:173], vcc_lo, 1.0, v[166:167], 1.0
	v_mul_f64 v[174:175], v[172:173], v[170:171]
	v_fma_f64 v[168:169], -v[168:169], v[174:175], v[172:173]
	v_div_fmas_f64 v[168:169], v[168:169], v[170:171], v[174:175]
	v_div_fixup_f64 v[166:167], v[168:169], v[166:167], 1.0
	ds_write_b64 v1, v[166:167]
.LBB69_59:
	s_or_b32 exec_lo, exec_lo, s1
	s_waitcnt lgkmcnt(0)
	s_barrier
	buffer_gl0_inv
	ds_read_b64 v[166:167], v1
	s_mov_b32 s1, exec_lo
	v_cmpx_lt_u32_e32 11, v0
	s_cbranch_execz .LBB69_61
; %bb.60:
	s_waitcnt lgkmcnt(0)
	v_mul_f64 v[104:105], v[166:167], v[104:105]
	ds_read2_b64 v[168:171], v212 offset0:12 offset1:13
	ds_read2_b64 v[172:175], v212 offset0:14 offset1:15
	;; [unrolled: 1-line block ×11, first 2 shown]
	ds_read_b64 v[213:214], v212 offset:272
	s_waitcnt lgkmcnt(11)
	v_fma_f64 v[118:119], -v[104:105], v[168:169], v[118:119]
	v_fma_f64 v[102:103], -v[104:105], v[170:171], v[102:103]
	s_waitcnt lgkmcnt(10)
	v_fma_f64 v[116:117], -v[104:105], v[172:173], v[116:117]
	v_fma_f64 v[100:101], -v[104:105], v[174:175], v[100:101]
	;; [unrolled: 3-line block ×11, first 2 shown]
	s_waitcnt lgkmcnt(0)
	v_fma_f64 v[134:135], -v[104:105], v[213:214], v[134:135]
.LBB69_61:
	s_or_b32 exec_lo, exec_lo, s1
	s_mov_b32 s1, exec_lo
	s_waitcnt lgkmcnt(0)
	s_barrier
	buffer_gl0_inv
	v_cmpx_eq_u32_e32 12, v0
	s_cbranch_execz .LBB69_64
; %bb.62:
	ds_write_b64 v1, v[118:119]
	ds_write2_b64 v212, v[102:103], v[116:117] offset0:13 offset1:14
	ds_write2_b64 v212, v[100:101], v[114:115] offset0:15 offset1:16
	;; [unrolled: 1-line block ×11, first 2 shown]
	ds_read_b64 v[168:169], v1
	s_waitcnt lgkmcnt(0)
	v_cmp_neq_f64_e32 vcc_lo, 0, v[168:169]
	s_and_b32 exec_lo, exec_lo, vcc_lo
	s_cbranch_execz .LBB69_64
; %bb.63:
	v_div_scale_f64 v[170:171], null, v[168:169], v[168:169], 1.0
	v_rcp_f64_e32 v[172:173], v[170:171]
	v_fma_f64 v[174:175], -v[170:171], v[172:173], 1.0
	v_fma_f64 v[172:173], v[172:173], v[174:175], v[172:173]
	v_fma_f64 v[174:175], -v[170:171], v[172:173], 1.0
	v_fma_f64 v[172:173], v[172:173], v[174:175], v[172:173]
	v_div_scale_f64 v[174:175], vcc_lo, 1.0, v[168:169], 1.0
	v_mul_f64 v[176:177], v[174:175], v[172:173]
	v_fma_f64 v[170:171], -v[170:171], v[176:177], v[174:175]
	v_div_fmas_f64 v[170:171], v[170:171], v[172:173], v[176:177]
	v_div_fixup_f64 v[168:169], v[170:171], v[168:169], 1.0
	ds_write_b64 v1, v[168:169]
.LBB69_64:
	s_or_b32 exec_lo, exec_lo, s1
	s_waitcnt lgkmcnt(0)
	s_barrier
	buffer_gl0_inv
	ds_read_b64 v[168:169], v1
	s_mov_b32 s1, exec_lo
	v_cmpx_lt_u32_e32 12, v0
	s_cbranch_execz .LBB69_66
; %bb.65:
	s_waitcnt lgkmcnt(0)
	v_mul_f64 v[118:119], v[168:169], v[118:119]
	ds_read2_b64 v[170:173], v212 offset0:13 offset1:14
	ds_read2_b64 v[174:177], v212 offset0:15 offset1:16
	;; [unrolled: 1-line block ×11, first 2 shown]
	s_waitcnt lgkmcnt(10)
	v_fma_f64 v[102:103], -v[118:119], v[170:171], v[102:103]
	v_fma_f64 v[116:117], -v[118:119], v[172:173], v[116:117]
	s_waitcnt lgkmcnt(9)
	v_fma_f64 v[100:101], -v[118:119], v[174:175], v[100:101]
	v_fma_f64 v[114:115], -v[118:119], v[176:177], v[114:115]
	;; [unrolled: 3-line block ×11, first 2 shown]
.LBB69_66:
	s_or_b32 exec_lo, exec_lo, s1
	s_mov_b32 s1, exec_lo
	s_waitcnt lgkmcnt(0)
	s_barrier
	buffer_gl0_inv
	v_cmpx_eq_u32_e32 13, v0
	s_cbranch_execz .LBB69_69
; %bb.67:
	v_mov_b32_e32 v170, v116
	v_mov_b32_e32 v171, v117
	;; [unrolled: 1-line block ×20, first 2 shown]
	ds_write_b64 v1, v[102:103]
	ds_write2_b64 v212, v[170:171], v[172:173] offset0:14 offset1:15
	ds_write2_b64 v212, v[174:175], v[176:177] offset0:16 offset1:17
	;; [unrolled: 1-line block ×5, first 2 shown]
	v_mov_b32_e32 v170, v92
	v_mov_b32_e32 v171, v93
	;; [unrolled: 1-line block ×20, first 2 shown]
	ds_write2_b64 v212, v[170:171], v[172:173] offset0:24 offset1:25
	ds_write2_b64 v212, v[174:175], v[176:177] offset0:26 offset1:27
	;; [unrolled: 1-line block ×5, first 2 shown]
	ds_write_b64 v212, v[134:135] offset:272
	ds_read_b64 v[170:171], v1
	s_waitcnt lgkmcnt(0)
	v_cmp_neq_f64_e32 vcc_lo, 0, v[170:171]
	s_and_b32 exec_lo, exec_lo, vcc_lo
	s_cbranch_execz .LBB69_69
; %bb.68:
	v_div_scale_f64 v[172:173], null, v[170:171], v[170:171], 1.0
	v_rcp_f64_e32 v[174:175], v[172:173]
	v_fma_f64 v[176:177], -v[172:173], v[174:175], 1.0
	v_fma_f64 v[174:175], v[174:175], v[176:177], v[174:175]
	v_fma_f64 v[176:177], -v[172:173], v[174:175], 1.0
	v_fma_f64 v[174:175], v[174:175], v[176:177], v[174:175]
	v_div_scale_f64 v[176:177], vcc_lo, 1.0, v[170:171], 1.0
	v_mul_f64 v[178:179], v[176:177], v[174:175]
	v_fma_f64 v[172:173], -v[172:173], v[178:179], v[176:177]
	v_div_fmas_f64 v[172:173], v[172:173], v[174:175], v[178:179]
	v_div_fixup_f64 v[170:171], v[172:173], v[170:171], 1.0
	ds_write_b64 v1, v[170:171]
.LBB69_69:
	s_or_b32 exec_lo, exec_lo, s1
	s_waitcnt lgkmcnt(0)
	s_barrier
	buffer_gl0_inv
	ds_read_b64 v[170:171], v1
	s_mov_b32 s1, exec_lo
	v_cmpx_lt_u32_e32 13, v0
	s_cbranch_execz .LBB69_71
; %bb.70:
	s_waitcnt lgkmcnt(0)
	v_mul_f64 v[102:103], v[170:171], v[102:103]
	ds_read2_b64 v[172:175], v212 offset0:14 offset1:15
	ds_read2_b64 v[176:179], v212 offset0:16 offset1:17
	ds_read2_b64 v[180:183], v212 offset0:18 offset1:19
	ds_read2_b64 v[184:187], v212 offset0:20 offset1:21
	ds_read2_b64 v[188:191], v212 offset0:22 offset1:23
	ds_read2_b64 v[192:195], v212 offset0:24 offset1:25
	ds_read2_b64 v[196:199], v212 offset0:26 offset1:27
	ds_read2_b64 v[200:203], v212 offset0:28 offset1:29
	ds_read2_b64 v[204:207], v212 offset0:30 offset1:31
	ds_read2_b64 v[208:211], v212 offset0:32 offset1:33
	ds_read_b64 v[213:214], v212 offset:272
	s_waitcnt lgkmcnt(10)
	v_fma_f64 v[116:117], -v[102:103], v[172:173], v[116:117]
	v_fma_f64 v[100:101], -v[102:103], v[174:175], v[100:101]
	s_waitcnt lgkmcnt(9)
	v_fma_f64 v[114:115], -v[102:103], v[176:177], v[114:115]
	v_fma_f64 v[98:99], -v[102:103], v[178:179], v[98:99]
	;; [unrolled: 3-line block ×10, first 2 shown]
	s_waitcnt lgkmcnt(0)
	v_fma_f64 v[134:135], -v[102:103], v[213:214], v[134:135]
.LBB69_71:
	s_or_b32 exec_lo, exec_lo, s1
	s_mov_b32 s1, exec_lo
	s_waitcnt lgkmcnt(0)
	s_barrier
	buffer_gl0_inv
	v_cmpx_eq_u32_e32 14, v0
	s_cbranch_execz .LBB69_74
; %bb.72:
	ds_write_b64 v1, v[116:117]
	ds_write2_b64 v212, v[100:101], v[114:115] offset0:15 offset1:16
	ds_write2_b64 v212, v[98:99], v[112:113] offset0:17 offset1:18
	;; [unrolled: 1-line block ×10, first 2 shown]
	ds_read_b64 v[172:173], v1
	s_waitcnt lgkmcnt(0)
	v_cmp_neq_f64_e32 vcc_lo, 0, v[172:173]
	s_and_b32 exec_lo, exec_lo, vcc_lo
	s_cbranch_execz .LBB69_74
; %bb.73:
	v_div_scale_f64 v[174:175], null, v[172:173], v[172:173], 1.0
	v_rcp_f64_e32 v[176:177], v[174:175]
	v_fma_f64 v[178:179], -v[174:175], v[176:177], 1.0
	v_fma_f64 v[176:177], v[176:177], v[178:179], v[176:177]
	v_fma_f64 v[178:179], -v[174:175], v[176:177], 1.0
	v_fma_f64 v[176:177], v[176:177], v[178:179], v[176:177]
	v_div_scale_f64 v[178:179], vcc_lo, 1.0, v[172:173], 1.0
	v_mul_f64 v[180:181], v[178:179], v[176:177]
	v_fma_f64 v[174:175], -v[174:175], v[180:181], v[178:179]
	v_div_fmas_f64 v[174:175], v[174:175], v[176:177], v[180:181]
	v_div_fixup_f64 v[172:173], v[174:175], v[172:173], 1.0
	ds_write_b64 v1, v[172:173]
.LBB69_74:
	s_or_b32 exec_lo, exec_lo, s1
	s_waitcnt lgkmcnt(0)
	s_barrier
	buffer_gl0_inv
	ds_read_b64 v[172:173], v1
	s_mov_b32 s1, exec_lo
	v_cmpx_lt_u32_e32 14, v0
	s_cbranch_execz .LBB69_76
; %bb.75:
	s_waitcnt lgkmcnt(0)
	v_mul_f64 v[116:117], v[172:173], v[116:117]
	ds_read2_b64 v[174:177], v212 offset0:15 offset1:16
	ds_read2_b64 v[178:181], v212 offset0:17 offset1:18
	;; [unrolled: 1-line block ×10, first 2 shown]
	s_waitcnt lgkmcnt(9)
	v_fma_f64 v[100:101], -v[116:117], v[174:175], v[100:101]
	v_fma_f64 v[114:115], -v[116:117], v[176:177], v[114:115]
	s_waitcnt lgkmcnt(8)
	v_fma_f64 v[98:99], -v[116:117], v[178:179], v[98:99]
	v_fma_f64 v[112:113], -v[116:117], v[180:181], v[112:113]
	;; [unrolled: 3-line block ×10, first 2 shown]
.LBB69_76:
	s_or_b32 exec_lo, exec_lo, s1
	s_mov_b32 s1, exec_lo
	s_waitcnt lgkmcnt(0)
	s_barrier
	buffer_gl0_inv
	v_cmpx_eq_u32_e32 15, v0
	s_cbranch_execz .LBB69_79
; %bb.77:
	v_mov_b32_e32 v174, v114
	v_mov_b32_e32 v175, v115
	;; [unrolled: 1-line block ×16, first 2 shown]
	ds_write_b64 v1, v[100:101]
	ds_write2_b64 v212, v[174:175], v[176:177] offset0:16 offset1:17
	ds_write2_b64 v212, v[178:179], v[180:181] offset0:18 offset1:19
	;; [unrolled: 1-line block ×4, first 2 shown]
	v_mov_b32_e32 v174, v92
	v_mov_b32_e32 v175, v93
	;; [unrolled: 1-line block ×20, first 2 shown]
	ds_write2_b64 v212, v[174:175], v[176:177] offset0:24 offset1:25
	ds_write2_b64 v212, v[178:179], v[180:181] offset0:26 offset1:27
	;; [unrolled: 1-line block ×5, first 2 shown]
	ds_write_b64 v212, v[134:135] offset:272
	ds_read_b64 v[174:175], v1
	s_waitcnt lgkmcnt(0)
	v_cmp_neq_f64_e32 vcc_lo, 0, v[174:175]
	s_and_b32 exec_lo, exec_lo, vcc_lo
	s_cbranch_execz .LBB69_79
; %bb.78:
	v_div_scale_f64 v[176:177], null, v[174:175], v[174:175], 1.0
	v_rcp_f64_e32 v[178:179], v[176:177]
	v_fma_f64 v[180:181], -v[176:177], v[178:179], 1.0
	v_fma_f64 v[178:179], v[178:179], v[180:181], v[178:179]
	v_fma_f64 v[180:181], -v[176:177], v[178:179], 1.0
	v_fma_f64 v[178:179], v[178:179], v[180:181], v[178:179]
	v_div_scale_f64 v[180:181], vcc_lo, 1.0, v[174:175], 1.0
	v_mul_f64 v[182:183], v[180:181], v[178:179]
	v_fma_f64 v[176:177], -v[176:177], v[182:183], v[180:181]
	v_div_fmas_f64 v[176:177], v[176:177], v[178:179], v[182:183]
	v_div_fixup_f64 v[174:175], v[176:177], v[174:175], 1.0
	ds_write_b64 v1, v[174:175]
.LBB69_79:
	s_or_b32 exec_lo, exec_lo, s1
	s_waitcnt lgkmcnt(0)
	s_barrier
	buffer_gl0_inv
	ds_read_b64 v[174:175], v1
	s_mov_b32 s1, exec_lo
	v_cmpx_lt_u32_e32 15, v0
	s_cbranch_execz .LBB69_81
; %bb.80:
	s_waitcnt lgkmcnt(0)
	v_mul_f64 v[100:101], v[174:175], v[100:101]
	ds_read2_b64 v[176:179], v212 offset0:16 offset1:17
	ds_read2_b64 v[180:183], v212 offset0:18 offset1:19
	;; [unrolled: 1-line block ×9, first 2 shown]
	ds_read_b64 v[213:214], v212 offset:272
	s_waitcnt lgkmcnt(9)
	v_fma_f64 v[114:115], -v[100:101], v[176:177], v[114:115]
	v_fma_f64 v[98:99], -v[100:101], v[178:179], v[98:99]
	s_waitcnt lgkmcnt(8)
	v_fma_f64 v[112:113], -v[100:101], v[180:181], v[112:113]
	v_fma_f64 v[84:85], -v[100:101], v[182:183], v[84:85]
	;; [unrolled: 3-line block ×9, first 2 shown]
	s_waitcnt lgkmcnt(0)
	v_fma_f64 v[134:135], -v[100:101], v[213:214], v[134:135]
.LBB69_81:
	s_or_b32 exec_lo, exec_lo, s1
	s_mov_b32 s1, exec_lo
	s_waitcnt lgkmcnt(0)
	s_barrier
	buffer_gl0_inv
	v_cmpx_eq_u32_e32 16, v0
	s_cbranch_execz .LBB69_84
; %bb.82:
	ds_write_b64 v1, v[114:115]
	ds_write2_b64 v212, v[98:99], v[112:113] offset0:17 offset1:18
	ds_write2_b64 v212, v[84:85], v[96:97] offset0:19 offset1:20
	;; [unrolled: 1-line block ×9, first 2 shown]
	ds_read_b64 v[176:177], v1
	s_waitcnt lgkmcnt(0)
	v_cmp_neq_f64_e32 vcc_lo, 0, v[176:177]
	s_and_b32 exec_lo, exec_lo, vcc_lo
	s_cbranch_execz .LBB69_84
; %bb.83:
	v_div_scale_f64 v[178:179], null, v[176:177], v[176:177], 1.0
	v_rcp_f64_e32 v[180:181], v[178:179]
	v_fma_f64 v[182:183], -v[178:179], v[180:181], 1.0
	v_fma_f64 v[180:181], v[180:181], v[182:183], v[180:181]
	v_fma_f64 v[182:183], -v[178:179], v[180:181], 1.0
	v_fma_f64 v[180:181], v[180:181], v[182:183], v[180:181]
	v_div_scale_f64 v[182:183], vcc_lo, 1.0, v[176:177], 1.0
	v_mul_f64 v[184:185], v[182:183], v[180:181]
	v_fma_f64 v[178:179], -v[178:179], v[184:185], v[182:183]
	v_div_fmas_f64 v[178:179], v[178:179], v[180:181], v[184:185]
	v_div_fixup_f64 v[176:177], v[178:179], v[176:177], 1.0
	ds_write_b64 v1, v[176:177]
.LBB69_84:
	s_or_b32 exec_lo, exec_lo, s1
	s_waitcnt lgkmcnt(0)
	s_barrier
	buffer_gl0_inv
	ds_read_b64 v[176:177], v1
	s_mov_b32 s1, exec_lo
	v_cmpx_lt_u32_e32 16, v0
	s_cbranch_execz .LBB69_86
; %bb.85:
	s_waitcnt lgkmcnt(0)
	v_mul_f64 v[114:115], v[176:177], v[114:115]
	ds_read2_b64 v[178:181], v212 offset0:17 offset1:18
	ds_read2_b64 v[182:185], v212 offset0:19 offset1:20
	;; [unrolled: 1-line block ×9, first 2 shown]
	s_waitcnt lgkmcnt(8)
	v_fma_f64 v[98:99], -v[114:115], v[178:179], v[98:99]
	v_fma_f64 v[112:113], -v[114:115], v[180:181], v[112:113]
	s_waitcnt lgkmcnt(7)
	v_fma_f64 v[84:85], -v[114:115], v[182:183], v[84:85]
	v_fma_f64 v[96:97], -v[114:115], v[184:185], v[96:97]
	;; [unrolled: 3-line block ×9, first 2 shown]
.LBB69_86:
	s_or_b32 exec_lo, exec_lo, s1
	s_mov_b32 s1, exec_lo
	s_waitcnt lgkmcnt(0)
	s_barrier
	buffer_gl0_inv
	v_cmpx_eq_u32_e32 17, v0
	s_cbranch_execz .LBB69_89
; %bb.87:
	v_mov_b32_e32 v178, v112
	v_mov_b32_e32 v179, v113
	;; [unrolled: 1-line block ×12, first 2 shown]
	ds_write_b64 v1, v[98:99]
	ds_write2_b64 v212, v[178:179], v[180:181] offset0:18 offset1:19
	ds_write2_b64 v212, v[182:183], v[184:185] offset0:20 offset1:21
	;; [unrolled: 1-line block ×3, first 2 shown]
	v_mov_b32_e32 v178, v92
	v_mov_b32_e32 v179, v93
	;; [unrolled: 1-line block ×20, first 2 shown]
	ds_write2_b64 v212, v[178:179], v[180:181] offset0:24 offset1:25
	ds_write2_b64 v212, v[182:183], v[184:185] offset0:26 offset1:27
	;; [unrolled: 1-line block ×5, first 2 shown]
	ds_write_b64 v212, v[134:135] offset:272
	ds_read_b64 v[178:179], v1
	s_waitcnt lgkmcnt(0)
	v_cmp_neq_f64_e32 vcc_lo, 0, v[178:179]
	s_and_b32 exec_lo, exec_lo, vcc_lo
	s_cbranch_execz .LBB69_89
; %bb.88:
	v_div_scale_f64 v[180:181], null, v[178:179], v[178:179], 1.0
	v_rcp_f64_e32 v[182:183], v[180:181]
	v_fma_f64 v[184:185], -v[180:181], v[182:183], 1.0
	v_fma_f64 v[182:183], v[182:183], v[184:185], v[182:183]
	v_fma_f64 v[184:185], -v[180:181], v[182:183], 1.0
	v_fma_f64 v[182:183], v[182:183], v[184:185], v[182:183]
	v_div_scale_f64 v[184:185], vcc_lo, 1.0, v[178:179], 1.0
	v_mul_f64 v[186:187], v[184:185], v[182:183]
	v_fma_f64 v[180:181], -v[180:181], v[186:187], v[184:185]
	v_div_fmas_f64 v[180:181], v[180:181], v[182:183], v[186:187]
	v_div_fixup_f64 v[178:179], v[180:181], v[178:179], 1.0
	ds_write_b64 v1, v[178:179]
.LBB69_89:
	s_or_b32 exec_lo, exec_lo, s1
	s_waitcnt lgkmcnt(0)
	s_barrier
	buffer_gl0_inv
	ds_read_b64 v[178:179], v1
	s_mov_b32 s1, exec_lo
	v_cmpx_lt_u32_e32 17, v0
	s_cbranch_execz .LBB69_91
; %bb.90:
	s_waitcnt lgkmcnt(0)
	v_mul_f64 v[98:99], v[178:179], v[98:99]
	ds_read2_b64 v[180:183], v212 offset0:18 offset1:19
	ds_read2_b64 v[184:187], v212 offset0:20 offset1:21
	;; [unrolled: 1-line block ×8, first 2 shown]
	ds_read_b64 v[213:214], v212 offset:272
	s_waitcnt lgkmcnt(8)
	v_fma_f64 v[112:113], -v[98:99], v[180:181], v[112:113]
	v_fma_f64 v[84:85], -v[98:99], v[182:183], v[84:85]
	s_waitcnt lgkmcnt(7)
	v_fma_f64 v[96:97], -v[98:99], v[184:185], v[96:97]
	v_fma_f64 v[82:83], -v[98:99], v[186:187], v[82:83]
	;; [unrolled: 3-line block ×8, first 2 shown]
	s_waitcnt lgkmcnt(0)
	v_fma_f64 v[134:135], -v[98:99], v[213:214], v[134:135]
.LBB69_91:
	s_or_b32 exec_lo, exec_lo, s1
	s_mov_b32 s1, exec_lo
	s_waitcnt lgkmcnt(0)
	s_barrier
	buffer_gl0_inv
	v_cmpx_eq_u32_e32 18, v0
	s_cbranch_execz .LBB69_94
; %bb.92:
	ds_write_b64 v1, v[112:113]
	ds_write2_b64 v212, v[84:85], v[96:97] offset0:19 offset1:20
	ds_write2_b64 v212, v[82:83], v[94:95] offset0:21 offset1:22
	;; [unrolled: 1-line block ×8, first 2 shown]
	ds_read_b64 v[180:181], v1
	s_waitcnt lgkmcnt(0)
	v_cmp_neq_f64_e32 vcc_lo, 0, v[180:181]
	s_and_b32 exec_lo, exec_lo, vcc_lo
	s_cbranch_execz .LBB69_94
; %bb.93:
	v_div_scale_f64 v[182:183], null, v[180:181], v[180:181], 1.0
	v_rcp_f64_e32 v[184:185], v[182:183]
	v_fma_f64 v[186:187], -v[182:183], v[184:185], 1.0
	v_fma_f64 v[184:185], v[184:185], v[186:187], v[184:185]
	v_fma_f64 v[186:187], -v[182:183], v[184:185], 1.0
	v_fma_f64 v[184:185], v[184:185], v[186:187], v[184:185]
	v_div_scale_f64 v[186:187], vcc_lo, 1.0, v[180:181], 1.0
	v_mul_f64 v[188:189], v[186:187], v[184:185]
	v_fma_f64 v[182:183], -v[182:183], v[188:189], v[186:187]
	v_div_fmas_f64 v[182:183], v[182:183], v[184:185], v[188:189]
	v_div_fixup_f64 v[180:181], v[182:183], v[180:181], 1.0
	ds_write_b64 v1, v[180:181]
.LBB69_94:
	s_or_b32 exec_lo, exec_lo, s1
	s_waitcnt lgkmcnt(0)
	s_barrier
	buffer_gl0_inv
	ds_read_b64 v[180:181], v1
	s_mov_b32 s1, exec_lo
	v_cmpx_lt_u32_e32 18, v0
	s_cbranch_execz .LBB69_96
; %bb.95:
	s_waitcnt lgkmcnt(0)
	v_mul_f64 v[112:113], v[180:181], v[112:113]
	ds_read2_b64 v[182:185], v212 offset0:19 offset1:20
	ds_read2_b64 v[186:189], v212 offset0:21 offset1:22
	;; [unrolled: 1-line block ×8, first 2 shown]
	s_waitcnt lgkmcnt(7)
	v_fma_f64 v[84:85], -v[112:113], v[182:183], v[84:85]
	v_fma_f64 v[96:97], -v[112:113], v[184:185], v[96:97]
	s_waitcnt lgkmcnt(6)
	v_fma_f64 v[82:83], -v[112:113], v[186:187], v[82:83]
	v_fma_f64 v[94:95], -v[112:113], v[188:189], v[94:95]
	;; [unrolled: 3-line block ×8, first 2 shown]
.LBB69_96:
	s_or_b32 exec_lo, exec_lo, s1
	s_mov_b32 s1, exec_lo
	s_waitcnt lgkmcnt(0)
	s_barrier
	buffer_gl0_inv
	v_cmpx_eq_u32_e32 19, v0
	s_cbranch_execz .LBB69_99
; %bb.97:
	v_mov_b32_e32 v182, v96
	v_mov_b32_e32 v183, v97
	;; [unrolled: 1-line block ×8, first 2 shown]
	ds_write_b64 v1, v[84:85]
	ds_write2_b64 v212, v[182:183], v[184:185] offset0:20 offset1:21
	ds_write2_b64 v212, v[186:187], v[188:189] offset0:22 offset1:23
	v_mov_b32_e32 v182, v92
	v_mov_b32_e32 v183, v93
	v_mov_b32_e32 v184, v78
	v_mov_b32_e32 v185, v79
	v_mov_b32_e32 v186, v90
	v_mov_b32_e32 v187, v91
	v_mov_b32_e32 v188, v76
	v_mov_b32_e32 v189, v77
	v_mov_b32_e32 v190, v88
	v_mov_b32_e32 v191, v89
	v_mov_b32_e32 v192, v74
	v_mov_b32_e32 v193, v75
	v_mov_b32_e32 v194, v86
	v_mov_b32_e32 v195, v87
	v_mov_b32_e32 v196, v72
	v_mov_b32_e32 v197, v73
	v_mov_b32_e32 v198, v132
	v_mov_b32_e32 v199, v133
	v_mov_b32_e32 v200, v130
	v_mov_b32_e32 v201, v131
	ds_write2_b64 v212, v[182:183], v[184:185] offset0:24 offset1:25
	ds_write2_b64 v212, v[186:187], v[188:189] offset0:26 offset1:27
	;; [unrolled: 1-line block ×5, first 2 shown]
	ds_write_b64 v212, v[134:135] offset:272
	ds_read_b64 v[182:183], v1
	s_waitcnt lgkmcnt(0)
	v_cmp_neq_f64_e32 vcc_lo, 0, v[182:183]
	s_and_b32 exec_lo, exec_lo, vcc_lo
	s_cbranch_execz .LBB69_99
; %bb.98:
	v_div_scale_f64 v[184:185], null, v[182:183], v[182:183], 1.0
	v_rcp_f64_e32 v[186:187], v[184:185]
	v_fma_f64 v[188:189], -v[184:185], v[186:187], 1.0
	v_fma_f64 v[186:187], v[186:187], v[188:189], v[186:187]
	v_fma_f64 v[188:189], -v[184:185], v[186:187], 1.0
	v_fma_f64 v[186:187], v[186:187], v[188:189], v[186:187]
	v_div_scale_f64 v[188:189], vcc_lo, 1.0, v[182:183], 1.0
	v_mul_f64 v[190:191], v[188:189], v[186:187]
	v_fma_f64 v[184:185], -v[184:185], v[190:191], v[188:189]
	v_div_fmas_f64 v[184:185], v[184:185], v[186:187], v[190:191]
	v_div_fixup_f64 v[182:183], v[184:185], v[182:183], 1.0
	ds_write_b64 v1, v[182:183]
.LBB69_99:
	s_or_b32 exec_lo, exec_lo, s1
	s_waitcnt lgkmcnt(0)
	s_barrier
	buffer_gl0_inv
	ds_read_b64 v[182:183], v1
	s_mov_b32 s1, exec_lo
	v_cmpx_lt_u32_e32 19, v0
	s_cbranch_execz .LBB69_101
; %bb.100:
	s_waitcnt lgkmcnt(0)
	v_mul_f64 v[84:85], v[182:183], v[84:85]
	ds_read2_b64 v[184:187], v212 offset0:20 offset1:21
	ds_read2_b64 v[188:191], v212 offset0:22 offset1:23
	;; [unrolled: 1-line block ×7, first 2 shown]
	ds_read_b64 v[213:214], v212 offset:272
	s_waitcnt lgkmcnt(7)
	v_fma_f64 v[96:97], -v[84:85], v[184:185], v[96:97]
	v_fma_f64 v[82:83], -v[84:85], v[186:187], v[82:83]
	s_waitcnt lgkmcnt(6)
	v_fma_f64 v[94:95], -v[84:85], v[188:189], v[94:95]
	v_fma_f64 v[80:81], -v[84:85], v[190:191], v[80:81]
	;; [unrolled: 3-line block ×7, first 2 shown]
	s_waitcnt lgkmcnt(0)
	v_fma_f64 v[134:135], -v[84:85], v[213:214], v[134:135]
.LBB69_101:
	s_or_b32 exec_lo, exec_lo, s1
	s_mov_b32 s1, exec_lo
	s_waitcnt lgkmcnt(0)
	s_barrier
	buffer_gl0_inv
	v_cmpx_eq_u32_e32 20, v0
	s_cbranch_execz .LBB69_104
; %bb.102:
	ds_write_b64 v1, v[96:97]
	ds_write2_b64 v212, v[82:83], v[94:95] offset0:21 offset1:22
	ds_write2_b64 v212, v[80:81], v[92:93] offset0:23 offset1:24
	;; [unrolled: 1-line block ×7, first 2 shown]
	ds_read_b64 v[184:185], v1
	s_waitcnt lgkmcnt(0)
	v_cmp_neq_f64_e32 vcc_lo, 0, v[184:185]
	s_and_b32 exec_lo, exec_lo, vcc_lo
	s_cbranch_execz .LBB69_104
; %bb.103:
	v_div_scale_f64 v[186:187], null, v[184:185], v[184:185], 1.0
	v_rcp_f64_e32 v[188:189], v[186:187]
	v_fma_f64 v[190:191], -v[186:187], v[188:189], 1.0
	v_fma_f64 v[188:189], v[188:189], v[190:191], v[188:189]
	v_fma_f64 v[190:191], -v[186:187], v[188:189], 1.0
	v_fma_f64 v[188:189], v[188:189], v[190:191], v[188:189]
	v_div_scale_f64 v[190:191], vcc_lo, 1.0, v[184:185], 1.0
	v_mul_f64 v[192:193], v[190:191], v[188:189]
	v_fma_f64 v[186:187], -v[186:187], v[192:193], v[190:191]
	v_div_fmas_f64 v[186:187], v[186:187], v[188:189], v[192:193]
	v_div_fixup_f64 v[184:185], v[186:187], v[184:185], 1.0
	ds_write_b64 v1, v[184:185]
.LBB69_104:
	s_or_b32 exec_lo, exec_lo, s1
	s_waitcnt lgkmcnt(0)
	s_barrier
	buffer_gl0_inv
	ds_read_b64 v[184:185], v1
	s_mov_b32 s1, exec_lo
	v_cmpx_lt_u32_e32 20, v0
	s_cbranch_execz .LBB69_106
; %bb.105:
	s_waitcnt lgkmcnt(0)
	v_mul_f64 v[96:97], v[184:185], v[96:97]
	ds_read2_b64 v[186:189], v212 offset0:21 offset1:22
	ds_read2_b64 v[190:193], v212 offset0:23 offset1:24
	;; [unrolled: 1-line block ×7, first 2 shown]
	s_waitcnt lgkmcnt(6)
	v_fma_f64 v[82:83], -v[96:97], v[186:187], v[82:83]
	v_fma_f64 v[94:95], -v[96:97], v[188:189], v[94:95]
	s_waitcnt lgkmcnt(5)
	v_fma_f64 v[80:81], -v[96:97], v[190:191], v[80:81]
	v_fma_f64 v[92:93], -v[96:97], v[192:193], v[92:93]
	s_waitcnt lgkmcnt(4)
	v_fma_f64 v[78:79], -v[96:97], v[194:195], v[78:79]
	v_fma_f64 v[90:91], -v[96:97], v[196:197], v[90:91]
	s_waitcnt lgkmcnt(3)
	v_fma_f64 v[76:77], -v[96:97], v[198:199], v[76:77]
	v_fma_f64 v[88:89], -v[96:97], v[200:201], v[88:89]
	s_waitcnt lgkmcnt(2)
	v_fma_f64 v[74:75], -v[96:97], v[202:203], v[74:75]
	v_fma_f64 v[86:87], -v[96:97], v[204:205], v[86:87]
	s_waitcnt lgkmcnt(1)
	v_fma_f64 v[72:73], -v[96:97], v[206:207], v[72:73]
	v_fma_f64 v[132:133], -v[96:97], v[208:209], v[132:133]
	s_waitcnt lgkmcnt(0)
	v_fma_f64 v[130:131], -v[96:97], v[213:214], v[130:131]
	v_fma_f64 v[134:135], -v[96:97], v[215:216], v[134:135]
.LBB69_106:
	s_or_b32 exec_lo, exec_lo, s1
	s_mov_b32 s1, exec_lo
	s_waitcnt lgkmcnt(0)
	s_barrier
	buffer_gl0_inv
	v_cmpx_eq_u32_e32 21, v0
	s_cbranch_execz .LBB69_109
; %bb.107:
	v_mov_b32_e32 v186, v94
	v_mov_b32_e32 v187, v95
	;; [unrolled: 1-line block ×4, first 2 shown]
	ds_write_b64 v1, v[82:83]
	ds_write2_b64 v212, v[186:187], v[188:189] offset0:22 offset1:23
	v_mov_b32_e32 v186, v92
	v_mov_b32_e32 v187, v93
	v_mov_b32_e32 v188, v78
	v_mov_b32_e32 v189, v79
	v_mov_b32_e32 v190, v90
	v_mov_b32_e32 v191, v91
	v_mov_b32_e32 v192, v76
	v_mov_b32_e32 v193, v77
	v_mov_b32_e32 v194, v88
	v_mov_b32_e32 v195, v89
	v_mov_b32_e32 v196, v74
	v_mov_b32_e32 v197, v75
	v_mov_b32_e32 v198, v86
	v_mov_b32_e32 v199, v87
	v_mov_b32_e32 v200, v72
	v_mov_b32_e32 v201, v73
	v_mov_b32_e32 v202, v132
	v_mov_b32_e32 v203, v133
	v_mov_b32_e32 v204, v130
	v_mov_b32_e32 v205, v131
	ds_write2_b64 v212, v[186:187], v[188:189] offset0:24 offset1:25
	ds_write2_b64 v212, v[190:191], v[192:193] offset0:26 offset1:27
	;; [unrolled: 1-line block ×5, first 2 shown]
	ds_write_b64 v212, v[134:135] offset:272
	ds_read_b64 v[186:187], v1
	s_waitcnt lgkmcnt(0)
	v_cmp_neq_f64_e32 vcc_lo, 0, v[186:187]
	s_and_b32 exec_lo, exec_lo, vcc_lo
	s_cbranch_execz .LBB69_109
; %bb.108:
	v_div_scale_f64 v[188:189], null, v[186:187], v[186:187], 1.0
	v_rcp_f64_e32 v[190:191], v[188:189]
	v_fma_f64 v[192:193], -v[188:189], v[190:191], 1.0
	v_fma_f64 v[190:191], v[190:191], v[192:193], v[190:191]
	v_fma_f64 v[192:193], -v[188:189], v[190:191], 1.0
	v_fma_f64 v[190:191], v[190:191], v[192:193], v[190:191]
	v_div_scale_f64 v[192:193], vcc_lo, 1.0, v[186:187], 1.0
	v_mul_f64 v[194:195], v[192:193], v[190:191]
	v_fma_f64 v[188:189], -v[188:189], v[194:195], v[192:193]
	v_div_fmas_f64 v[188:189], v[188:189], v[190:191], v[194:195]
	v_div_fixup_f64 v[186:187], v[188:189], v[186:187], 1.0
	ds_write_b64 v1, v[186:187]
.LBB69_109:
	s_or_b32 exec_lo, exec_lo, s1
	s_waitcnt lgkmcnt(0)
	s_barrier
	buffer_gl0_inv
	ds_read_b64 v[186:187], v1
	s_mov_b32 s1, exec_lo
	v_cmpx_lt_u32_e32 21, v0
	s_cbranch_execz .LBB69_111
; %bb.110:
	s_waitcnt lgkmcnt(0)
	v_mul_f64 v[82:83], v[186:187], v[82:83]
	ds_read2_b64 v[188:191], v212 offset0:22 offset1:23
	ds_read2_b64 v[192:195], v212 offset0:24 offset1:25
	;; [unrolled: 1-line block ×6, first 2 shown]
	ds_read_b64 v[213:214], v212 offset:272
	s_waitcnt lgkmcnt(6)
	v_fma_f64 v[94:95], -v[82:83], v[188:189], v[94:95]
	v_fma_f64 v[80:81], -v[82:83], v[190:191], v[80:81]
	s_waitcnt lgkmcnt(5)
	v_fma_f64 v[92:93], -v[82:83], v[192:193], v[92:93]
	v_fma_f64 v[78:79], -v[82:83], v[194:195], v[78:79]
	;; [unrolled: 3-line block ×6, first 2 shown]
	s_waitcnt lgkmcnt(0)
	v_fma_f64 v[134:135], -v[82:83], v[213:214], v[134:135]
.LBB69_111:
	s_or_b32 exec_lo, exec_lo, s1
	s_mov_b32 s1, exec_lo
	s_waitcnt lgkmcnt(0)
	s_barrier
	buffer_gl0_inv
	v_cmpx_eq_u32_e32 22, v0
	s_cbranch_execz .LBB69_114
; %bb.112:
	ds_write_b64 v1, v[94:95]
	ds_write2_b64 v212, v[80:81], v[92:93] offset0:23 offset1:24
	ds_write2_b64 v212, v[78:79], v[90:91] offset0:25 offset1:26
	;; [unrolled: 1-line block ×6, first 2 shown]
	ds_read_b64 v[188:189], v1
	s_waitcnt lgkmcnt(0)
	v_cmp_neq_f64_e32 vcc_lo, 0, v[188:189]
	s_and_b32 exec_lo, exec_lo, vcc_lo
	s_cbranch_execz .LBB69_114
; %bb.113:
	v_div_scale_f64 v[190:191], null, v[188:189], v[188:189], 1.0
	v_rcp_f64_e32 v[192:193], v[190:191]
	v_fma_f64 v[194:195], -v[190:191], v[192:193], 1.0
	v_fma_f64 v[192:193], v[192:193], v[194:195], v[192:193]
	v_fma_f64 v[194:195], -v[190:191], v[192:193], 1.0
	v_fma_f64 v[192:193], v[192:193], v[194:195], v[192:193]
	v_div_scale_f64 v[194:195], vcc_lo, 1.0, v[188:189], 1.0
	v_mul_f64 v[196:197], v[194:195], v[192:193]
	v_fma_f64 v[190:191], -v[190:191], v[196:197], v[194:195]
	v_div_fmas_f64 v[190:191], v[190:191], v[192:193], v[196:197]
	v_div_fixup_f64 v[188:189], v[190:191], v[188:189], 1.0
	ds_write_b64 v1, v[188:189]
.LBB69_114:
	s_or_b32 exec_lo, exec_lo, s1
	s_waitcnt lgkmcnt(0)
	s_barrier
	buffer_gl0_inv
	ds_read_b64 v[188:189], v1
	s_mov_b32 s1, exec_lo
	v_cmpx_lt_u32_e32 22, v0
	s_cbranch_execz .LBB69_116
; %bb.115:
	s_waitcnt lgkmcnt(0)
	v_mul_f64 v[94:95], v[188:189], v[94:95]
	ds_read2_b64 v[190:193], v212 offset0:23 offset1:24
	ds_read2_b64 v[194:197], v212 offset0:25 offset1:26
	;; [unrolled: 1-line block ×6, first 2 shown]
	s_waitcnt lgkmcnt(5)
	v_fma_f64 v[80:81], -v[94:95], v[190:191], v[80:81]
	v_fma_f64 v[92:93], -v[94:95], v[192:193], v[92:93]
	s_waitcnt lgkmcnt(4)
	v_fma_f64 v[78:79], -v[94:95], v[194:195], v[78:79]
	v_fma_f64 v[90:91], -v[94:95], v[196:197], v[90:91]
	;; [unrolled: 3-line block ×6, first 2 shown]
.LBB69_116:
	s_or_b32 exec_lo, exec_lo, s1
	s_mov_b32 s1, exec_lo
	s_waitcnt lgkmcnt(0)
	s_barrier
	buffer_gl0_inv
	v_cmpx_eq_u32_e32 23, v0
	s_cbranch_execz .LBB69_119
; %bb.117:
	v_mov_b32_e32 v190, v92
	v_mov_b32_e32 v191, v93
	;; [unrolled: 1-line block ×20, first 2 shown]
	ds_write_b64 v1, v[80:81]
	ds_write2_b64 v212, v[190:191], v[192:193] offset0:24 offset1:25
	ds_write2_b64 v212, v[194:195], v[196:197] offset0:26 offset1:27
	;; [unrolled: 1-line block ×5, first 2 shown]
	ds_write_b64 v212, v[134:135] offset:272
	ds_read_b64 v[190:191], v1
	s_waitcnt lgkmcnt(0)
	v_cmp_neq_f64_e32 vcc_lo, 0, v[190:191]
	s_and_b32 exec_lo, exec_lo, vcc_lo
	s_cbranch_execz .LBB69_119
; %bb.118:
	v_div_scale_f64 v[192:193], null, v[190:191], v[190:191], 1.0
	v_rcp_f64_e32 v[194:195], v[192:193]
	v_fma_f64 v[196:197], -v[192:193], v[194:195], 1.0
	v_fma_f64 v[194:195], v[194:195], v[196:197], v[194:195]
	v_fma_f64 v[196:197], -v[192:193], v[194:195], 1.0
	v_fma_f64 v[194:195], v[194:195], v[196:197], v[194:195]
	v_div_scale_f64 v[196:197], vcc_lo, 1.0, v[190:191], 1.0
	v_mul_f64 v[198:199], v[196:197], v[194:195]
	v_fma_f64 v[192:193], -v[192:193], v[198:199], v[196:197]
	v_div_fmas_f64 v[192:193], v[192:193], v[194:195], v[198:199]
	v_div_fixup_f64 v[190:191], v[192:193], v[190:191], 1.0
	ds_write_b64 v1, v[190:191]
.LBB69_119:
	s_or_b32 exec_lo, exec_lo, s1
	s_waitcnt lgkmcnt(0)
	s_barrier
	buffer_gl0_inv
	ds_read_b64 v[190:191], v1
	s_mov_b32 s1, exec_lo
	v_cmpx_lt_u32_e32 23, v0
	s_cbranch_execz .LBB69_121
; %bb.120:
	s_waitcnt lgkmcnt(0)
	v_mul_f64 v[80:81], v[190:191], v[80:81]
	ds_read2_b64 v[192:195], v212 offset0:24 offset1:25
	ds_read2_b64 v[196:199], v212 offset0:26 offset1:27
	ds_read2_b64 v[200:203], v212 offset0:28 offset1:29
	ds_read2_b64 v[204:207], v212 offset0:30 offset1:31
	ds_read2_b64 v[208:211], v212 offset0:32 offset1:33
	ds_read_b64 v[213:214], v212 offset:272
	s_waitcnt lgkmcnt(5)
	v_fma_f64 v[92:93], -v[80:81], v[192:193], v[92:93]
	v_fma_f64 v[78:79], -v[80:81], v[194:195], v[78:79]
	s_waitcnt lgkmcnt(4)
	v_fma_f64 v[90:91], -v[80:81], v[196:197], v[90:91]
	v_fma_f64 v[76:77], -v[80:81], v[198:199], v[76:77]
	;; [unrolled: 3-line block ×5, first 2 shown]
	s_waitcnt lgkmcnt(0)
	v_fma_f64 v[134:135], -v[80:81], v[213:214], v[134:135]
.LBB69_121:
	s_or_b32 exec_lo, exec_lo, s1
	s_mov_b32 s1, exec_lo
	s_waitcnt lgkmcnt(0)
	s_barrier
	buffer_gl0_inv
	v_cmpx_eq_u32_e32 24, v0
	s_cbranch_execz .LBB69_124
; %bb.122:
	ds_write_b64 v1, v[92:93]
	ds_write2_b64 v212, v[78:79], v[90:91] offset0:25 offset1:26
	ds_write2_b64 v212, v[76:77], v[88:89] offset0:27 offset1:28
	;; [unrolled: 1-line block ×5, first 2 shown]
	ds_read_b64 v[192:193], v1
	s_waitcnt lgkmcnt(0)
	v_cmp_neq_f64_e32 vcc_lo, 0, v[192:193]
	s_and_b32 exec_lo, exec_lo, vcc_lo
	s_cbranch_execz .LBB69_124
; %bb.123:
	v_div_scale_f64 v[194:195], null, v[192:193], v[192:193], 1.0
	v_rcp_f64_e32 v[196:197], v[194:195]
	v_fma_f64 v[198:199], -v[194:195], v[196:197], 1.0
	v_fma_f64 v[196:197], v[196:197], v[198:199], v[196:197]
	v_fma_f64 v[198:199], -v[194:195], v[196:197], 1.0
	v_fma_f64 v[196:197], v[196:197], v[198:199], v[196:197]
	v_div_scale_f64 v[198:199], vcc_lo, 1.0, v[192:193], 1.0
	v_mul_f64 v[200:201], v[198:199], v[196:197]
	v_fma_f64 v[194:195], -v[194:195], v[200:201], v[198:199]
	v_div_fmas_f64 v[194:195], v[194:195], v[196:197], v[200:201]
	v_div_fixup_f64 v[192:193], v[194:195], v[192:193], 1.0
	ds_write_b64 v1, v[192:193]
.LBB69_124:
	s_or_b32 exec_lo, exec_lo, s1
	s_waitcnt lgkmcnt(0)
	s_barrier
	buffer_gl0_inv
	ds_read_b64 v[192:193], v1
	s_mov_b32 s1, exec_lo
	v_cmpx_lt_u32_e32 24, v0
	s_cbranch_execz .LBB69_126
; %bb.125:
	s_waitcnt lgkmcnt(0)
	v_mul_f64 v[92:93], v[192:193], v[92:93]
	ds_read2_b64 v[194:197], v212 offset0:25 offset1:26
	ds_read2_b64 v[198:201], v212 offset0:27 offset1:28
	ds_read2_b64 v[202:205], v212 offset0:29 offset1:30
	ds_read2_b64 v[206:209], v212 offset0:31 offset1:32
	ds_read2_b64 v[213:216], v212 offset0:33 offset1:34
	s_waitcnt lgkmcnt(4)
	v_fma_f64 v[78:79], -v[92:93], v[194:195], v[78:79]
	v_fma_f64 v[90:91], -v[92:93], v[196:197], v[90:91]
	s_waitcnt lgkmcnt(3)
	v_fma_f64 v[76:77], -v[92:93], v[198:199], v[76:77]
	v_fma_f64 v[88:89], -v[92:93], v[200:201], v[88:89]
	s_waitcnt lgkmcnt(2)
	v_fma_f64 v[74:75], -v[92:93], v[202:203], v[74:75]
	v_fma_f64 v[86:87], -v[92:93], v[204:205], v[86:87]
	s_waitcnt lgkmcnt(1)
	v_fma_f64 v[72:73], -v[92:93], v[206:207], v[72:73]
	v_fma_f64 v[132:133], -v[92:93], v[208:209], v[132:133]
	s_waitcnt lgkmcnt(0)
	v_fma_f64 v[130:131], -v[92:93], v[213:214], v[130:131]
	v_fma_f64 v[134:135], -v[92:93], v[215:216], v[134:135]
.LBB69_126:
	s_or_b32 exec_lo, exec_lo, s1
	s_mov_b32 s1, exec_lo
	s_waitcnt lgkmcnt(0)
	s_barrier
	buffer_gl0_inv
	v_cmpx_eq_u32_e32 25, v0
	s_cbranch_execz .LBB69_129
; %bb.127:
	v_mov_b32_e32 v194, v90
	v_mov_b32_e32 v195, v91
	;; [unrolled: 1-line block ×16, first 2 shown]
	ds_write_b64 v1, v[78:79]
	ds_write2_b64 v212, v[194:195], v[196:197] offset0:26 offset1:27
	ds_write2_b64 v212, v[198:199], v[200:201] offset0:28 offset1:29
	;; [unrolled: 1-line block ×4, first 2 shown]
	ds_write_b64 v212, v[134:135] offset:272
	ds_read_b64 v[194:195], v1
	s_waitcnt lgkmcnt(0)
	v_cmp_neq_f64_e32 vcc_lo, 0, v[194:195]
	s_and_b32 exec_lo, exec_lo, vcc_lo
	s_cbranch_execz .LBB69_129
; %bb.128:
	v_div_scale_f64 v[196:197], null, v[194:195], v[194:195], 1.0
	v_rcp_f64_e32 v[198:199], v[196:197]
	v_fma_f64 v[200:201], -v[196:197], v[198:199], 1.0
	v_fma_f64 v[198:199], v[198:199], v[200:201], v[198:199]
	v_fma_f64 v[200:201], -v[196:197], v[198:199], 1.0
	v_fma_f64 v[198:199], v[198:199], v[200:201], v[198:199]
	v_div_scale_f64 v[200:201], vcc_lo, 1.0, v[194:195], 1.0
	v_mul_f64 v[202:203], v[200:201], v[198:199]
	v_fma_f64 v[196:197], -v[196:197], v[202:203], v[200:201]
	v_div_fmas_f64 v[196:197], v[196:197], v[198:199], v[202:203]
	v_div_fixup_f64 v[194:195], v[196:197], v[194:195], 1.0
	ds_write_b64 v1, v[194:195]
.LBB69_129:
	s_or_b32 exec_lo, exec_lo, s1
	s_waitcnt lgkmcnt(0)
	s_barrier
	buffer_gl0_inv
	ds_read_b64 v[194:195], v1
	s_mov_b32 s1, exec_lo
	v_cmpx_lt_u32_e32 25, v0
	s_cbranch_execz .LBB69_131
; %bb.130:
	s_waitcnt lgkmcnt(0)
	v_mul_f64 v[78:79], v[194:195], v[78:79]
	ds_read2_b64 v[196:199], v212 offset0:26 offset1:27
	ds_read2_b64 v[200:203], v212 offset0:28 offset1:29
	;; [unrolled: 1-line block ×4, first 2 shown]
	ds_read_b64 v[213:214], v212 offset:272
	s_waitcnt lgkmcnt(4)
	v_fma_f64 v[90:91], -v[78:79], v[196:197], v[90:91]
	v_fma_f64 v[76:77], -v[78:79], v[198:199], v[76:77]
	s_waitcnt lgkmcnt(3)
	v_fma_f64 v[88:89], -v[78:79], v[200:201], v[88:89]
	v_fma_f64 v[74:75], -v[78:79], v[202:203], v[74:75]
	;; [unrolled: 3-line block ×4, first 2 shown]
	s_waitcnt lgkmcnt(0)
	v_fma_f64 v[134:135], -v[78:79], v[213:214], v[134:135]
.LBB69_131:
	s_or_b32 exec_lo, exec_lo, s1
	s_mov_b32 s1, exec_lo
	s_waitcnt lgkmcnt(0)
	s_barrier
	buffer_gl0_inv
	v_cmpx_eq_u32_e32 26, v0
	s_cbranch_execz .LBB69_134
; %bb.132:
	ds_write_b64 v1, v[90:91]
	ds_write2_b64 v212, v[76:77], v[88:89] offset0:27 offset1:28
	ds_write2_b64 v212, v[74:75], v[86:87] offset0:29 offset1:30
	;; [unrolled: 1-line block ×4, first 2 shown]
	ds_read_b64 v[196:197], v1
	s_waitcnt lgkmcnt(0)
	v_cmp_neq_f64_e32 vcc_lo, 0, v[196:197]
	s_and_b32 exec_lo, exec_lo, vcc_lo
	s_cbranch_execz .LBB69_134
; %bb.133:
	v_div_scale_f64 v[198:199], null, v[196:197], v[196:197], 1.0
	v_rcp_f64_e32 v[200:201], v[198:199]
	v_fma_f64 v[202:203], -v[198:199], v[200:201], 1.0
	v_fma_f64 v[200:201], v[200:201], v[202:203], v[200:201]
	v_fma_f64 v[202:203], -v[198:199], v[200:201], 1.0
	v_fma_f64 v[200:201], v[200:201], v[202:203], v[200:201]
	v_div_scale_f64 v[202:203], vcc_lo, 1.0, v[196:197], 1.0
	v_mul_f64 v[204:205], v[202:203], v[200:201]
	v_fma_f64 v[198:199], -v[198:199], v[204:205], v[202:203]
	v_div_fmas_f64 v[198:199], v[198:199], v[200:201], v[204:205]
	v_div_fixup_f64 v[196:197], v[198:199], v[196:197], 1.0
	ds_write_b64 v1, v[196:197]
.LBB69_134:
	s_or_b32 exec_lo, exec_lo, s1
	s_waitcnt lgkmcnt(0)
	s_barrier
	buffer_gl0_inv
	ds_read_b64 v[196:197], v1
	s_mov_b32 s1, exec_lo
	v_cmpx_lt_u32_e32 26, v0
	s_cbranch_execz .LBB69_136
; %bb.135:
	s_waitcnt lgkmcnt(0)
	v_mul_f64 v[90:91], v[196:197], v[90:91]
	ds_read2_b64 v[198:201], v212 offset0:27 offset1:28
	ds_read2_b64 v[202:205], v212 offset0:29 offset1:30
	;; [unrolled: 1-line block ×4, first 2 shown]
	s_waitcnt lgkmcnt(3)
	v_fma_f64 v[76:77], -v[90:91], v[198:199], v[76:77]
	v_fma_f64 v[88:89], -v[90:91], v[200:201], v[88:89]
	s_waitcnt lgkmcnt(2)
	v_fma_f64 v[74:75], -v[90:91], v[202:203], v[74:75]
	v_fma_f64 v[86:87], -v[90:91], v[204:205], v[86:87]
	;; [unrolled: 3-line block ×4, first 2 shown]
.LBB69_136:
	s_or_b32 exec_lo, exec_lo, s1
	s_mov_b32 s1, exec_lo
	s_waitcnt lgkmcnt(0)
	s_barrier
	buffer_gl0_inv
	v_cmpx_eq_u32_e32 27, v0
	s_cbranch_execz .LBB69_139
; %bb.137:
	v_mov_b32_e32 v198, v88
	v_mov_b32_e32 v199, v89
	;; [unrolled: 1-line block ×12, first 2 shown]
	ds_write_b64 v1, v[76:77]
	ds_write2_b64 v212, v[198:199], v[200:201] offset0:28 offset1:29
	ds_write2_b64 v212, v[202:203], v[204:205] offset0:30 offset1:31
	;; [unrolled: 1-line block ×3, first 2 shown]
	ds_write_b64 v212, v[134:135] offset:272
	ds_read_b64 v[198:199], v1
	s_waitcnt lgkmcnt(0)
	v_cmp_neq_f64_e32 vcc_lo, 0, v[198:199]
	s_and_b32 exec_lo, exec_lo, vcc_lo
	s_cbranch_execz .LBB69_139
; %bb.138:
	v_div_scale_f64 v[200:201], null, v[198:199], v[198:199], 1.0
	v_rcp_f64_e32 v[202:203], v[200:201]
	v_fma_f64 v[204:205], -v[200:201], v[202:203], 1.0
	v_fma_f64 v[202:203], v[202:203], v[204:205], v[202:203]
	v_fma_f64 v[204:205], -v[200:201], v[202:203], 1.0
	v_fma_f64 v[202:203], v[202:203], v[204:205], v[202:203]
	v_div_scale_f64 v[204:205], vcc_lo, 1.0, v[198:199], 1.0
	v_mul_f64 v[206:207], v[204:205], v[202:203]
	v_fma_f64 v[200:201], -v[200:201], v[206:207], v[204:205]
	v_div_fmas_f64 v[200:201], v[200:201], v[202:203], v[206:207]
	v_div_fixup_f64 v[198:199], v[200:201], v[198:199], 1.0
	ds_write_b64 v1, v[198:199]
.LBB69_139:
	s_or_b32 exec_lo, exec_lo, s1
	s_waitcnt lgkmcnt(0)
	s_barrier
	buffer_gl0_inv
	ds_read_b64 v[198:199], v1
	s_mov_b32 s1, exec_lo
	v_cmpx_lt_u32_e32 27, v0
	s_cbranch_execz .LBB69_141
; %bb.140:
	s_waitcnt lgkmcnt(0)
	v_mul_f64 v[76:77], v[198:199], v[76:77]
	ds_read2_b64 v[200:203], v212 offset0:28 offset1:29
	ds_read2_b64 v[204:207], v212 offset0:30 offset1:31
	;; [unrolled: 1-line block ×3, first 2 shown]
	ds_read_b64 v[213:214], v212 offset:272
	s_waitcnt lgkmcnt(3)
	v_fma_f64 v[88:89], -v[76:77], v[200:201], v[88:89]
	v_fma_f64 v[74:75], -v[76:77], v[202:203], v[74:75]
	s_waitcnt lgkmcnt(2)
	v_fma_f64 v[86:87], -v[76:77], v[204:205], v[86:87]
	v_fma_f64 v[72:73], -v[76:77], v[206:207], v[72:73]
	;; [unrolled: 3-line block ×3, first 2 shown]
	s_waitcnt lgkmcnt(0)
	v_fma_f64 v[134:135], -v[76:77], v[213:214], v[134:135]
.LBB69_141:
	s_or_b32 exec_lo, exec_lo, s1
	s_mov_b32 s1, exec_lo
	s_waitcnt lgkmcnt(0)
	s_barrier
	buffer_gl0_inv
	v_cmpx_eq_u32_e32 28, v0
	s_cbranch_execz .LBB69_144
; %bb.142:
	ds_write_b64 v1, v[88:89]
	ds_write2_b64 v212, v[74:75], v[86:87] offset0:29 offset1:30
	ds_write2_b64 v212, v[72:73], v[132:133] offset0:31 offset1:32
	;; [unrolled: 1-line block ×3, first 2 shown]
	ds_read_b64 v[200:201], v1
	s_waitcnt lgkmcnt(0)
	v_cmp_neq_f64_e32 vcc_lo, 0, v[200:201]
	s_and_b32 exec_lo, exec_lo, vcc_lo
	s_cbranch_execz .LBB69_144
; %bb.143:
	v_div_scale_f64 v[202:203], null, v[200:201], v[200:201], 1.0
	v_rcp_f64_e32 v[204:205], v[202:203]
	v_fma_f64 v[206:207], -v[202:203], v[204:205], 1.0
	v_fma_f64 v[204:205], v[204:205], v[206:207], v[204:205]
	v_fma_f64 v[206:207], -v[202:203], v[204:205], 1.0
	v_fma_f64 v[204:205], v[204:205], v[206:207], v[204:205]
	v_div_scale_f64 v[206:207], vcc_lo, 1.0, v[200:201], 1.0
	v_mul_f64 v[208:209], v[206:207], v[204:205]
	v_fma_f64 v[202:203], -v[202:203], v[208:209], v[206:207]
	v_div_fmas_f64 v[202:203], v[202:203], v[204:205], v[208:209]
	v_div_fixup_f64 v[200:201], v[202:203], v[200:201], 1.0
	ds_write_b64 v1, v[200:201]
.LBB69_144:
	s_or_b32 exec_lo, exec_lo, s1
	s_waitcnt lgkmcnt(0)
	s_barrier
	buffer_gl0_inv
	ds_read_b64 v[200:201], v1
	s_mov_b32 s1, exec_lo
	v_cmpx_lt_u32_e32 28, v0
	s_cbranch_execz .LBB69_146
; %bb.145:
	s_waitcnt lgkmcnt(0)
	v_mul_f64 v[88:89], v[200:201], v[88:89]
	ds_read2_b64 v[202:205], v212 offset0:29 offset1:30
	ds_read2_b64 v[206:209], v212 offset0:31 offset1:32
	;; [unrolled: 1-line block ×3, first 2 shown]
	s_waitcnt lgkmcnt(2)
	v_fma_f64 v[74:75], -v[88:89], v[202:203], v[74:75]
	v_fma_f64 v[86:87], -v[88:89], v[204:205], v[86:87]
	s_waitcnt lgkmcnt(1)
	v_fma_f64 v[72:73], -v[88:89], v[206:207], v[72:73]
	v_fma_f64 v[132:133], -v[88:89], v[208:209], v[132:133]
	;; [unrolled: 3-line block ×3, first 2 shown]
.LBB69_146:
	s_or_b32 exec_lo, exec_lo, s1
	s_mov_b32 s1, exec_lo
	s_waitcnt lgkmcnt(0)
	s_barrier
	buffer_gl0_inv
	v_cmpx_eq_u32_e32 29, v0
	s_cbranch_execz .LBB69_149
; %bb.147:
	v_mov_b32_e32 v202, v86
	v_mov_b32_e32 v203, v87
	;; [unrolled: 1-line block ×8, first 2 shown]
	ds_write_b64 v1, v[74:75]
	ds_write2_b64 v212, v[202:203], v[204:205] offset0:30 offset1:31
	ds_write2_b64 v212, v[206:207], v[208:209] offset0:32 offset1:33
	ds_write_b64 v212, v[134:135] offset:272
	ds_read_b64 v[202:203], v1
	s_waitcnt lgkmcnt(0)
	v_cmp_neq_f64_e32 vcc_lo, 0, v[202:203]
	s_and_b32 exec_lo, exec_lo, vcc_lo
	s_cbranch_execz .LBB69_149
; %bb.148:
	v_div_scale_f64 v[204:205], null, v[202:203], v[202:203], 1.0
	v_rcp_f64_e32 v[206:207], v[204:205]
	v_fma_f64 v[208:209], -v[204:205], v[206:207], 1.0
	v_fma_f64 v[206:207], v[206:207], v[208:209], v[206:207]
	v_fma_f64 v[208:209], -v[204:205], v[206:207], 1.0
	v_fma_f64 v[206:207], v[206:207], v[208:209], v[206:207]
	v_div_scale_f64 v[208:209], vcc_lo, 1.0, v[202:203], 1.0
	v_mul_f64 v[210:211], v[208:209], v[206:207]
	v_fma_f64 v[204:205], -v[204:205], v[210:211], v[208:209]
	v_div_fmas_f64 v[204:205], v[204:205], v[206:207], v[210:211]
	v_div_fixup_f64 v[202:203], v[204:205], v[202:203], 1.0
	ds_write_b64 v1, v[202:203]
.LBB69_149:
	s_or_b32 exec_lo, exec_lo, s1
	s_waitcnt lgkmcnt(0)
	s_barrier
	buffer_gl0_inv
	ds_read_b64 v[202:203], v1
	s_mov_b32 s1, exec_lo
	v_cmpx_lt_u32_e32 29, v0
	s_cbranch_execz .LBB69_151
; %bb.150:
	s_waitcnt lgkmcnt(0)
	v_mul_f64 v[74:75], v[202:203], v[74:75]
	ds_read2_b64 v[204:207], v212 offset0:30 offset1:31
	ds_read2_b64 v[208:211], v212 offset0:32 offset1:33
	ds_read_b64 v[213:214], v212 offset:272
	s_waitcnt lgkmcnt(2)
	v_fma_f64 v[86:87], -v[74:75], v[204:205], v[86:87]
	v_fma_f64 v[72:73], -v[74:75], v[206:207], v[72:73]
	s_waitcnt lgkmcnt(1)
	v_fma_f64 v[132:133], -v[74:75], v[208:209], v[132:133]
	v_fma_f64 v[130:131], -v[74:75], v[210:211], v[130:131]
	s_waitcnt lgkmcnt(0)
	v_fma_f64 v[134:135], -v[74:75], v[213:214], v[134:135]
.LBB69_151:
	s_or_b32 exec_lo, exec_lo, s1
	s_mov_b32 s1, exec_lo
	s_waitcnt lgkmcnt(0)
	s_barrier
	buffer_gl0_inv
	v_cmpx_eq_u32_e32 30, v0
	s_cbranch_execz .LBB69_154
; %bb.152:
	ds_write_b64 v1, v[86:87]
	ds_write2_b64 v212, v[72:73], v[132:133] offset0:31 offset1:32
	ds_write2_b64 v212, v[130:131], v[134:135] offset0:33 offset1:34
	ds_read_b64 v[204:205], v1
	s_waitcnt lgkmcnt(0)
	v_cmp_neq_f64_e32 vcc_lo, 0, v[204:205]
	s_and_b32 exec_lo, exec_lo, vcc_lo
	s_cbranch_execz .LBB69_154
; %bb.153:
	v_div_scale_f64 v[206:207], null, v[204:205], v[204:205], 1.0
	v_rcp_f64_e32 v[208:209], v[206:207]
	v_fma_f64 v[210:211], -v[206:207], v[208:209], 1.0
	v_fma_f64 v[208:209], v[208:209], v[210:211], v[208:209]
	v_fma_f64 v[210:211], -v[206:207], v[208:209], 1.0
	v_fma_f64 v[208:209], v[208:209], v[210:211], v[208:209]
	v_div_scale_f64 v[210:211], vcc_lo, 1.0, v[204:205], 1.0
	v_mul_f64 v[213:214], v[210:211], v[208:209]
	v_fma_f64 v[206:207], -v[206:207], v[213:214], v[210:211]
	v_div_fmas_f64 v[206:207], v[206:207], v[208:209], v[213:214]
	v_div_fixup_f64 v[204:205], v[206:207], v[204:205], 1.0
	ds_write_b64 v1, v[204:205]
.LBB69_154:
	s_or_b32 exec_lo, exec_lo, s1
	s_waitcnt lgkmcnt(0)
	s_barrier
	buffer_gl0_inv
	ds_read_b64 v[204:205], v1
	s_mov_b32 s1, exec_lo
	v_cmpx_lt_u32_e32 30, v0
	s_cbranch_execz .LBB69_156
; %bb.155:
	s_waitcnt lgkmcnt(0)
	v_mul_f64 v[86:87], v[204:205], v[86:87]
	ds_read2_b64 v[206:209], v212 offset0:31 offset1:32
	ds_read2_b64 v[213:216], v212 offset0:33 offset1:34
	s_waitcnt lgkmcnt(1)
	v_fma_f64 v[72:73], -v[86:87], v[206:207], v[72:73]
	v_fma_f64 v[132:133], -v[86:87], v[208:209], v[132:133]
	s_waitcnt lgkmcnt(0)
	v_fma_f64 v[130:131], -v[86:87], v[213:214], v[130:131]
	v_fma_f64 v[134:135], -v[86:87], v[215:216], v[134:135]
.LBB69_156:
	s_or_b32 exec_lo, exec_lo, s1
	s_mov_b32 s1, exec_lo
	s_waitcnt lgkmcnt(0)
	s_barrier
	buffer_gl0_inv
	v_cmpx_eq_u32_e32 31, v0
	s_cbranch_execz .LBB69_159
; %bb.157:
	v_mov_b32_e32 v206, v132
	v_mov_b32_e32 v207, v133
	;; [unrolled: 1-line block ×4, first 2 shown]
	ds_write_b64 v1, v[72:73]
	ds_write2_b64 v212, v[206:207], v[208:209] offset0:32 offset1:33
	ds_write_b64 v212, v[134:135] offset:272
	ds_read_b64 v[206:207], v1
	s_waitcnt lgkmcnt(0)
	v_cmp_neq_f64_e32 vcc_lo, 0, v[206:207]
	s_and_b32 exec_lo, exec_lo, vcc_lo
	s_cbranch_execz .LBB69_159
; %bb.158:
	v_div_scale_f64 v[208:209], null, v[206:207], v[206:207], 1.0
	v_rcp_f64_e32 v[210:211], v[208:209]
	v_fma_f64 v[213:214], -v[208:209], v[210:211], 1.0
	v_fma_f64 v[210:211], v[210:211], v[213:214], v[210:211]
	v_fma_f64 v[213:214], -v[208:209], v[210:211], 1.0
	v_fma_f64 v[210:211], v[210:211], v[213:214], v[210:211]
	v_div_scale_f64 v[213:214], vcc_lo, 1.0, v[206:207], 1.0
	v_mul_f64 v[215:216], v[213:214], v[210:211]
	v_fma_f64 v[208:209], -v[208:209], v[215:216], v[213:214]
	v_div_fmas_f64 v[208:209], v[208:209], v[210:211], v[215:216]
	v_div_fixup_f64 v[206:207], v[208:209], v[206:207], 1.0
	ds_write_b64 v1, v[206:207]
.LBB69_159:
	s_or_b32 exec_lo, exec_lo, s1
	s_waitcnt lgkmcnt(0)
	s_barrier
	buffer_gl0_inv
	ds_read_b64 v[206:207], v1
	s_mov_b32 s1, exec_lo
	v_cmpx_lt_u32_e32 31, v0
	s_cbranch_execz .LBB69_161
; %bb.160:
	s_waitcnt lgkmcnt(0)
	v_mul_f64 v[72:73], v[206:207], v[72:73]
	ds_read2_b64 v[208:211], v212 offset0:32 offset1:33
	ds_read_b64 v[213:214], v212 offset:272
	s_waitcnt lgkmcnt(1)
	v_fma_f64 v[132:133], -v[72:73], v[208:209], v[132:133]
	v_fma_f64 v[130:131], -v[72:73], v[210:211], v[130:131]
	s_waitcnt lgkmcnt(0)
	v_fma_f64 v[134:135], -v[72:73], v[213:214], v[134:135]
.LBB69_161:
	s_or_b32 exec_lo, exec_lo, s1
	s_mov_b32 s1, exec_lo
	s_waitcnt lgkmcnt(0)
	s_barrier
	buffer_gl0_inv
	v_cmpx_eq_u32_e32 32, v0
	s_cbranch_execz .LBB69_164
; %bb.162:
	ds_write_b64 v1, v[132:133]
	ds_write2_b64 v212, v[130:131], v[134:135] offset0:33 offset1:34
	ds_read_b64 v[208:209], v1
	s_waitcnt lgkmcnt(0)
	v_cmp_neq_f64_e32 vcc_lo, 0, v[208:209]
	s_and_b32 exec_lo, exec_lo, vcc_lo
	s_cbranch_execz .LBB69_164
; %bb.163:
	v_div_scale_f64 v[210:211], null, v[208:209], v[208:209], 1.0
	v_rcp_f64_e32 v[213:214], v[210:211]
	v_fma_f64 v[215:216], -v[210:211], v[213:214], 1.0
	v_fma_f64 v[213:214], v[213:214], v[215:216], v[213:214]
	v_fma_f64 v[215:216], -v[210:211], v[213:214], 1.0
	v_fma_f64 v[213:214], v[213:214], v[215:216], v[213:214]
	v_div_scale_f64 v[215:216], vcc_lo, 1.0, v[208:209], 1.0
	v_mul_f64 v[217:218], v[215:216], v[213:214]
	v_fma_f64 v[210:211], -v[210:211], v[217:218], v[215:216]
	v_div_fmas_f64 v[210:211], v[210:211], v[213:214], v[217:218]
	v_div_fixup_f64 v[208:209], v[210:211], v[208:209], 1.0
	ds_write_b64 v1, v[208:209]
.LBB69_164:
	s_or_b32 exec_lo, exec_lo, s1
	s_waitcnt lgkmcnt(0)
	s_barrier
	buffer_gl0_inv
	ds_read_b64 v[208:209], v1
	s_mov_b32 s1, exec_lo
	v_cmpx_lt_u32_e32 32, v0
	s_cbranch_execz .LBB69_166
; %bb.165:
	s_waitcnt lgkmcnt(0)
	v_mul_f64 v[132:133], v[208:209], v[132:133]
	ds_read2_b64 v[213:216], v212 offset0:33 offset1:34
	s_waitcnt lgkmcnt(0)
	v_fma_f64 v[130:131], -v[132:133], v[213:214], v[130:131]
	v_fma_f64 v[134:135], -v[132:133], v[215:216], v[134:135]
.LBB69_166:
	s_or_b32 exec_lo, exec_lo, s1
	s_mov_b32 s1, exec_lo
	s_waitcnt lgkmcnt(0)
	s_barrier
	buffer_gl0_inv
	v_cmpx_eq_u32_e32 33, v0
	s_cbranch_execz .LBB69_169
; %bb.167:
	ds_write_b64 v1, v[130:131]
	ds_write_b64 v212, v[134:135] offset:272
	ds_read_b64 v[210:211], v1
	s_waitcnt lgkmcnt(0)
	v_cmp_neq_f64_e32 vcc_lo, 0, v[210:211]
	s_and_b32 exec_lo, exec_lo, vcc_lo
	s_cbranch_execz .LBB69_169
; %bb.168:
	v_div_scale_f64 v[213:214], null, v[210:211], v[210:211], 1.0
	v_rcp_f64_e32 v[215:216], v[213:214]
	v_fma_f64 v[217:218], -v[213:214], v[215:216], 1.0
	v_fma_f64 v[215:216], v[215:216], v[217:218], v[215:216]
	v_fma_f64 v[217:218], -v[213:214], v[215:216], 1.0
	v_fma_f64 v[215:216], v[215:216], v[217:218], v[215:216]
	v_div_scale_f64 v[217:218], vcc_lo, 1.0, v[210:211], 1.0
	v_mul_f64 v[219:220], v[217:218], v[215:216]
	v_fma_f64 v[213:214], -v[213:214], v[219:220], v[217:218]
	v_div_fmas_f64 v[213:214], v[213:214], v[215:216], v[219:220]
	v_div_fixup_f64 v[210:211], v[213:214], v[210:211], 1.0
	ds_write_b64 v1, v[210:211]
.LBB69_169:
	s_or_b32 exec_lo, exec_lo, s1
	s_waitcnt lgkmcnt(0)
	s_barrier
	buffer_gl0_inv
	ds_read_b64 v[210:211], v1
	s_mov_b32 s1, exec_lo
	v_cmpx_lt_u32_e32 33, v0
	s_cbranch_execz .LBB69_171
; %bb.170:
	s_waitcnt lgkmcnt(0)
	v_mul_f64 v[130:131], v[210:211], v[130:131]
	ds_read_b64 v[212:213], v212 offset:272
	s_waitcnt lgkmcnt(0)
	v_fma_f64 v[134:135], -v[130:131], v[212:213], v[134:135]
.LBB69_171:
	s_or_b32 exec_lo, exec_lo, s1
	s_mov_b32 s1, exec_lo
	s_waitcnt lgkmcnt(0)
	s_barrier
	buffer_gl0_inv
	v_cmpx_eq_u32_e32 34, v0
	s_cbranch_execz .LBB69_174
; %bb.172:
	v_cmp_neq_f64_e32 vcc_lo, 0, v[134:135]
	ds_write_b64 v1, v[134:135]
	s_and_b32 exec_lo, exec_lo, vcc_lo
	s_cbranch_execz .LBB69_174
; %bb.173:
	v_div_scale_f64 v[212:213], null, v[134:135], v[134:135], 1.0
	v_rcp_f64_e32 v[214:215], v[212:213]
	v_fma_f64 v[216:217], -v[212:213], v[214:215], 1.0
	v_fma_f64 v[214:215], v[214:215], v[216:217], v[214:215]
	v_fma_f64 v[216:217], -v[212:213], v[214:215], 1.0
	v_fma_f64 v[214:215], v[214:215], v[216:217], v[214:215]
	v_div_scale_f64 v[216:217], vcc_lo, 1.0, v[134:135], 1.0
	v_mul_f64 v[218:219], v[216:217], v[214:215]
	v_fma_f64 v[212:213], -v[212:213], v[218:219], v[216:217]
	v_div_fmas_f64 v[212:213], v[212:213], v[214:215], v[218:219]
	v_div_fixup_f64 v[212:213], v[212:213], v[134:135], 1.0
	ds_write_b64 v1, v[212:213]
.LBB69_174:
	s_or_b32 exec_lo, exec_lo, s1
	s_waitcnt lgkmcnt(0)
	s_barrier
	buffer_gl0_inv
	ds_read_b64 v[212:213], v1
	s_waitcnt lgkmcnt(0)
	s_barrier
	buffer_gl0_inv
	s_and_saveexec_b32 s6, s0
	s_cbranch_execz .LBB69_177
; %bb.175:
	v_cmp_eq_f64_e32 vcc_lo, 0, v[144:145]
	v_cmp_neq_f64_e64 s0, 0, v[146:147]
	v_cmp_eq_f64_e64 s1, 0, v[148:149]
	v_cmp_eq_f64_e64 s2, 0, v[150:151]
	s_load_dwordx2 s[4:5], s[4:5], 0x28
	v_cndmask_b32_e64 v1, 0, 1, vcc_lo
	s_or_b32 vcc_lo, s0, vcc_lo
	v_cmp_eq_f64_e64 s0, 0, v[152:153]
	v_cndmask_b32_e32 v1, 2, v1, vcc_lo
	v_cmp_eq_u32_e32 vcc_lo, 0, v1
	s_and_b32 s1, s1, vcc_lo
	v_cndmask_b32_e64 v1, v1, 3, s1
	v_cmp_eq_f64_e64 s1, 0, v[154:155]
	v_cmp_eq_u32_e32 vcc_lo, 0, v1
	s_and_b32 s2, s2, vcc_lo
	v_cndmask_b32_e64 v1, v1, 4, s2
	v_cmp_eq_f64_e64 s2, 0, v[156:157]
	v_cmp_eq_u32_e32 vcc_lo, 0, v1
	s_and_b32 s0, s0, vcc_lo
	v_cmp_eq_f64_e32 vcc_lo, 0, v[158:159]
	v_cndmask_b32_e64 v144, v1, 5, s0
	v_lshlrev_b64 v[1:2], 2, v[2:3]
	v_cmp_eq_u32_e64 s0, 0, v144
	s_waitcnt lgkmcnt(0)
	v_add_co_u32 v1, s3, s4, v1
	v_add_co_ci_u32_e64 v2, null, s5, v2, s3
	s_and_b32 s0, s1, s0
	v_cmp_eq_f64_e64 s1, 0, v[160:161]
	v_cndmask_b32_e64 v3, v144, 6, s0
	global_load_dword v144, v[1:2], off
	v_cmp_eq_u32_e64 s0, 0, v3
	s_and_b32 s0, s2, s0
	v_cmp_eq_f64_e64 s2, 0, v[162:163]
	v_cndmask_b32_e64 v3, v3, 7, s0
	v_cmp_eq_u32_e64 s0, 0, v3
	s_and_b32 s0, vcc_lo, s0
	v_cndmask_b32_e64 v3, v3, 8, s0
	v_cmp_eq_f64_e64 s0, 0, v[164:165]
	v_cmp_eq_u32_e32 vcc_lo, 0, v3
	s_and_b32 s1, s1, vcc_lo
	v_cndmask_b32_e64 v3, v3, 9, s1
	v_cmp_eq_f64_e64 s1, 0, v[166:167]
	v_cmp_eq_u32_e32 vcc_lo, 0, v3
	s_and_b32 s2, s2, vcc_lo
	;; [unrolled: 4-line block ×25, first 2 shown]
	v_cndmask_b32_e64 v3, v3, 33, s1
	v_cmp_eq_u32_e32 vcc_lo, 0, v3
	s_and_b32 s1, s2, vcc_lo
	v_cndmask_b32_e64 v3, v3, 34, s1
	v_cmp_eq_u32_e32 vcc_lo, 0, v3
	s_and_b32 s0, s0, vcc_lo
	s_waitcnt vmcnt(0)
	v_cmp_eq_u32_e32 vcc_lo, 0, v144
	v_cndmask_b32_e64 v3, v3, 35, s0
	v_cmp_ne_u32_e64 s0, 0, v3
	s_and_b32 s0, vcc_lo, s0
	s_and_b32 exec_lo, exec_lo, s0
	s_cbranch_execz .LBB69_177
; %bb.176:
	v_add_nc_u32_e32 v3, s9, v3
	global_store_dword v[1:2], v3, off
.LBB69_177:
	s_or_b32 exec_lo, exec_lo, s6
	v_mul_f64 v[1:2], v[212:213], v[134:135]
	v_cmp_lt_u32_e32 vcc_lo, 34, v0
	flat_store_dwordx2 v[70:71], v[136:137]
	flat_store_dwordx2 v[128:129], v[140:141]
	flat_store_dwordx2 v[4:5], v[142:143]
	flat_store_dwordx2 v[6:7], v[138:139]
	flat_store_dwordx2 v[8:9], v[126:127]
	flat_store_dwordx2 v[10:11], v[110:111]
	flat_store_dwordx2 v[12:13], v[124:125]
	flat_store_dwordx2 v[14:15], v[108:109]
	flat_store_dwordx2 v[16:17], v[122:123]
	flat_store_dwordx2 v[18:19], v[106:107]
	flat_store_dwordx2 v[20:21], v[120:121]
	flat_store_dwordx2 v[22:23], v[104:105]
	flat_store_dwordx2 v[24:25], v[118:119]
	flat_store_dwordx2 v[26:27], v[102:103]
	flat_store_dwordx2 v[28:29], v[116:117]
	flat_store_dwordx2 v[30:31], v[100:101]
	flat_store_dwordx2 v[32:33], v[114:115]
	flat_store_dwordx2 v[34:35], v[98:99]
	flat_store_dwordx2 v[38:39], v[112:113]
	v_cndmask_b32_e32 v2, v135, v2, vcc_lo
	v_cndmask_b32_e32 v1, v134, v1, vcc_lo
	flat_store_dwordx2 v[36:37], v[84:85]
	flat_store_dwordx2 v[40:41], v[96:97]
	;; [unrolled: 1-line block ×16, first 2 shown]
.LBB69_178:
	s_endpgm
	.section	.rodata,"a",@progbits
	.p2align	6, 0x0
	.amdhsa_kernel _ZN9rocsolver6v33100L23getf2_npvt_small_kernelILi35EdiiPKPdEEvT1_T3_lS5_lPT2_S5_S5_
		.amdhsa_group_segment_fixed_size 0
		.amdhsa_private_segment_fixed_size 0
		.amdhsa_kernarg_size 312
		.amdhsa_user_sgpr_count 6
		.amdhsa_user_sgpr_private_segment_buffer 1
		.amdhsa_user_sgpr_dispatch_ptr 0
		.amdhsa_user_sgpr_queue_ptr 0
		.amdhsa_user_sgpr_kernarg_segment_ptr 1
		.amdhsa_user_sgpr_dispatch_id 0
		.amdhsa_user_sgpr_flat_scratch_init 0
		.amdhsa_user_sgpr_private_segment_size 0
		.amdhsa_wavefront_size32 1
		.amdhsa_uses_dynamic_stack 0
		.amdhsa_system_sgpr_private_segment_wavefront_offset 0
		.amdhsa_system_sgpr_workgroup_id_x 1
		.amdhsa_system_sgpr_workgroup_id_y 1
		.amdhsa_system_sgpr_workgroup_id_z 0
		.amdhsa_system_sgpr_workgroup_info 0
		.amdhsa_system_vgpr_workitem_id 1
		.amdhsa_next_free_vgpr 221
		.amdhsa_next_free_sgpr 11
		.amdhsa_reserve_vcc 1
		.amdhsa_reserve_flat_scratch 1
		.amdhsa_float_round_mode_32 0
		.amdhsa_float_round_mode_16_64 0
		.amdhsa_float_denorm_mode_32 3
		.amdhsa_float_denorm_mode_16_64 3
		.amdhsa_dx10_clamp 1
		.amdhsa_ieee_mode 1
		.amdhsa_fp16_overflow 0
		.amdhsa_workgroup_processor_mode 1
		.amdhsa_memory_ordered 1
		.amdhsa_forward_progress 1
		.amdhsa_shared_vgpr_count 0
		.amdhsa_exception_fp_ieee_invalid_op 0
		.amdhsa_exception_fp_denorm_src 0
		.amdhsa_exception_fp_ieee_div_zero 0
		.amdhsa_exception_fp_ieee_overflow 0
		.amdhsa_exception_fp_ieee_underflow 0
		.amdhsa_exception_fp_ieee_inexact 0
		.amdhsa_exception_int_div_zero 0
	.end_amdhsa_kernel
	.section	.text._ZN9rocsolver6v33100L23getf2_npvt_small_kernelILi35EdiiPKPdEEvT1_T3_lS5_lPT2_S5_S5_,"axG",@progbits,_ZN9rocsolver6v33100L23getf2_npvt_small_kernelILi35EdiiPKPdEEvT1_T3_lS5_lPT2_S5_S5_,comdat
.Lfunc_end69:
	.size	_ZN9rocsolver6v33100L23getf2_npvt_small_kernelILi35EdiiPKPdEEvT1_T3_lS5_lPT2_S5_S5_, .Lfunc_end69-_ZN9rocsolver6v33100L23getf2_npvt_small_kernelILi35EdiiPKPdEEvT1_T3_lS5_lPT2_S5_S5_
                                        ; -- End function
	.set _ZN9rocsolver6v33100L23getf2_npvt_small_kernelILi35EdiiPKPdEEvT1_T3_lS5_lPT2_S5_S5_.num_vgpr, 221
	.set _ZN9rocsolver6v33100L23getf2_npvt_small_kernelILi35EdiiPKPdEEvT1_T3_lS5_lPT2_S5_S5_.num_agpr, 0
	.set _ZN9rocsolver6v33100L23getf2_npvt_small_kernelILi35EdiiPKPdEEvT1_T3_lS5_lPT2_S5_S5_.numbered_sgpr, 11
	.set _ZN9rocsolver6v33100L23getf2_npvt_small_kernelILi35EdiiPKPdEEvT1_T3_lS5_lPT2_S5_S5_.num_named_barrier, 0
	.set _ZN9rocsolver6v33100L23getf2_npvt_small_kernelILi35EdiiPKPdEEvT1_T3_lS5_lPT2_S5_S5_.private_seg_size, 0
	.set _ZN9rocsolver6v33100L23getf2_npvt_small_kernelILi35EdiiPKPdEEvT1_T3_lS5_lPT2_S5_S5_.uses_vcc, 1
	.set _ZN9rocsolver6v33100L23getf2_npvt_small_kernelILi35EdiiPKPdEEvT1_T3_lS5_lPT2_S5_S5_.uses_flat_scratch, 1
	.set _ZN9rocsolver6v33100L23getf2_npvt_small_kernelILi35EdiiPKPdEEvT1_T3_lS5_lPT2_S5_S5_.has_dyn_sized_stack, 0
	.set _ZN9rocsolver6v33100L23getf2_npvt_small_kernelILi35EdiiPKPdEEvT1_T3_lS5_lPT2_S5_S5_.has_recursion, 0
	.set _ZN9rocsolver6v33100L23getf2_npvt_small_kernelILi35EdiiPKPdEEvT1_T3_lS5_lPT2_S5_S5_.has_indirect_call, 0
	.section	.AMDGPU.csdata,"",@progbits
; Kernel info:
; codeLenInByte = 23104
; TotalNumSgprs: 13
; NumVgprs: 221
; ScratchSize: 0
; MemoryBound: 0
; FloatMode: 240
; IeeeMode: 1
; LDSByteSize: 0 bytes/workgroup (compile time only)
; SGPRBlocks: 0
; VGPRBlocks: 27
; NumSGPRsForWavesPerEU: 13
; NumVGPRsForWavesPerEU: 221
; Occupancy: 4
; WaveLimiterHint : 1
; COMPUTE_PGM_RSRC2:SCRATCH_EN: 0
; COMPUTE_PGM_RSRC2:USER_SGPR: 6
; COMPUTE_PGM_RSRC2:TRAP_HANDLER: 0
; COMPUTE_PGM_RSRC2:TGID_X_EN: 1
; COMPUTE_PGM_RSRC2:TGID_Y_EN: 1
; COMPUTE_PGM_RSRC2:TGID_Z_EN: 0
; COMPUTE_PGM_RSRC2:TIDIG_COMP_CNT: 1
	.section	.text._ZN9rocsolver6v33100L18getf2_small_kernelILi36EdiiPKPdEEvT1_T3_lS5_lPS5_llPT2_S5_S5_S7_l,"axG",@progbits,_ZN9rocsolver6v33100L18getf2_small_kernelILi36EdiiPKPdEEvT1_T3_lS5_lPS5_llPT2_S5_S5_S7_l,comdat
	.globl	_ZN9rocsolver6v33100L18getf2_small_kernelILi36EdiiPKPdEEvT1_T3_lS5_lPS5_llPT2_S5_S5_S7_l ; -- Begin function _ZN9rocsolver6v33100L18getf2_small_kernelILi36EdiiPKPdEEvT1_T3_lS5_lPS5_llPT2_S5_S5_S7_l
	.p2align	8
	.type	_ZN9rocsolver6v33100L18getf2_small_kernelILi36EdiiPKPdEEvT1_T3_lS5_lPS5_llPT2_S5_S5_S7_l,@function
_ZN9rocsolver6v33100L18getf2_small_kernelILi36EdiiPKPdEEvT1_T3_lS5_lPS5_llPT2_S5_S5_S7_l: ; @_ZN9rocsolver6v33100L18getf2_small_kernelILi36EdiiPKPdEEvT1_T3_lS5_lPS5_llPT2_S5_S5_S7_l
; %bb.0:
	s_clause 0x1
	s_load_dword s0, s[4:5], 0x6c
	s_load_dwordx2 s[12:13], s[4:5], 0x48
	s_waitcnt lgkmcnt(0)
	s_lshr_b32 s0, s0, 16
	v_mad_u64_u32 v[2:3], null, s7, s0, v[1:2]
	s_mov_b32 s0, exec_lo
	v_cmpx_gt_i32_e64 s12, v2
	s_cbranch_execz .LBB70_609
; %bb.1:
	s_clause 0x1
	s_load_dwordx4 s[0:3], s[4:5], 0x8
	s_load_dwordx4 s[8:11], s[4:5], 0x50
	v_ashrrev_i32_e32 v3, 31, v2
	v_lshlrev_b64 v[4:5], 3, v[2:3]
	s_waitcnt lgkmcnt(0)
	v_add_co_u32 v4, vcc_lo, s0, v4
	v_add_co_ci_u32_e64 v5, null, s1, v5, vcc_lo
	s_cmp_eq_u64 s[8:9], 0
	s_cselect_b32 s6, -1, 0
	global_load_dwordx2 v[6:7], v[4:5], off
	v_mov_b32_e32 v4, 0
	v_mov_b32_e32 v5, 0
	s_and_b32 vcc_lo, exec_lo, s6
	s_cbranch_vccnz .LBB70_3
; %bb.2:
	v_mul_lo_u32 v8, s11, v2
	v_mul_lo_u32 v9, s10, v3
	v_mad_u64_u32 v[4:5], null, s10, v2, 0
	v_add3_u32 v5, v5, v9, v8
	v_lshlrev_b64 v[4:5], 2, v[4:5]
	v_add_co_u32 v4, vcc_lo, s8, v4
	v_add_co_ci_u32_e64 v5, null, s9, v5, vcc_lo
.LBB70_3:
	s_clause 0x1
	s_load_dword s8, s[4:5], 0x18
	s_load_dword s7, s[4:5], 0x0
	s_lshl_b64 s[0:1], s[2:3], 3
	v_lshlrev_b32_e32 v114, 3, v0
	s_waitcnt vmcnt(0)
	v_add_co_u32 v82, vcc_lo, v6, s0
	v_add_co_ci_u32_e64 v83, null, s1, v7, vcc_lo
	s_waitcnt lgkmcnt(0)
	v_add3_u32 v8, s8, s8, v0
	s_ashr_i32 s9, s8, 31
	s_max_i32 s0, s7, 36
	s_lshl_b64 s[10:11], s[8:9], 3
	v_mul_lo_u32 v1, s0, v1
	v_add_nc_u32_e32 v10, s8, v8
	v_ashrrev_i32_e32 v9, 31, v8
	s_cmp_lt_i32 s7, 2
	v_ashrrev_i32_e32 v11, 31, v10
	v_add_nc_u32_e32 v12, s8, v10
	v_lshlrev_b64 v[8:9], 3, v[8:9]
	v_lshlrev_b64 v[6:7], 3, v[10:11]
	v_add_nc_u32_e32 v10, s8, v12
	v_ashrrev_i32_e32 v13, 31, v12
	v_add_co_u32 v8, vcc_lo, v82, v8
	v_add_co_ci_u32_e64 v9, null, v83, v9, vcc_lo
	v_add_nc_u32_e32 v14, s8, v10
	v_ashrrev_i32_e32 v11, 31, v10
	v_lshlrev_b64 v[12:13], 3, v[12:13]
	v_add_co_u32 v6, vcc_lo, v82, v6
	v_add_nc_u32_e32 v16, s8, v14
	v_ashrrev_i32_e32 v15, 31, v14
	v_lshlrev_b64 v[10:11], 3, v[10:11]
	v_add_co_ci_u32_e64 v7, null, v83, v7, vcc_lo
	v_add_nc_u32_e32 v18, s8, v16
	v_ashrrev_i32_e32 v17, 31, v16
	v_lshlrev_b64 v[14:15], 3, v[14:15]
	v_add_co_u32 v12, vcc_lo, v82, v12
	v_add_nc_u32_e32 v20, s8, v18
	v_ashrrev_i32_e32 v19, 31, v18
	v_lshlrev_b64 v[16:17], 3, v[16:17]
	v_add_co_ci_u32_e64 v13, null, v83, v13, vcc_lo
	v_add_nc_u32_e32 v22, s8, v20
	v_ashrrev_i32_e32 v21, 31, v20
	v_add_co_u32 v10, vcc_lo, v82, v10
	v_lshlrev_b64 v[18:19], 3, v[18:19]
	v_add_nc_u32_e32 v24, s8, v22
	v_ashrrev_i32_e32 v23, 31, v22
	v_add_co_ci_u32_e64 v11, null, v83, v11, vcc_lo
	v_add_co_u32 v14, vcc_lo, v82, v14
	v_add_nc_u32_e32 v26, s8, v24
	v_ashrrev_i32_e32 v25, 31, v24
	v_lshlrev_b64 v[20:21], 3, v[20:21]
	v_add_co_ci_u32_e64 v15, null, v83, v15, vcc_lo
	v_add_nc_u32_e32 v28, s8, v26
	v_ashrrev_i32_e32 v27, 31, v26
	v_add_co_u32 v16, vcc_lo, v82, v16
	v_lshlrev_b64 v[22:23], 3, v[22:23]
	v_add_nc_u32_e32 v30, s8, v28
	v_ashrrev_i32_e32 v29, 31, v28
	v_add_co_ci_u32_e64 v17, null, v83, v17, vcc_lo
	v_add_co_u32 v18, vcc_lo, v82, v18
	v_add_nc_u32_e32 v32, s8, v30
	v_lshlrev_b64 v[24:25], 3, v[24:25]
	v_ashrrev_i32_e32 v31, 31, v30
	v_add_co_ci_u32_e64 v19, null, v83, v19, vcc_lo
	v_add_nc_u32_e32 v34, s8, v32
	v_add_co_u32 v20, vcc_lo, v82, v20
	v_lshlrev_b64 v[26:27], 3, v[26:27]
	v_ashrrev_i32_e32 v33, 31, v32
	v_add_nc_u32_e32 v36, s8, v34
	v_add_co_ci_u32_e64 v21, null, v83, v21, vcc_lo
	v_add_co_u32 v22, vcc_lo, v82, v22
	v_add_nc_u32_e32 v38, s8, v36
	v_lshlrev_b64 v[28:29], 3, v[28:29]
	v_ashrrev_i32_e32 v35, 31, v34
	v_add_co_ci_u32_e64 v23, null, v83, v23, vcc_lo
	v_add_co_u32 v24, vcc_lo, v82, v24
	v_lshlrev_b64 v[30:31], 3, v[30:31]
	v_ashrrev_i32_e32 v37, 31, v36
	v_add_nc_u32_e32 v40, s8, v38
	v_add_co_ci_u32_e64 v25, null, v83, v25, vcc_lo
	v_add_co_u32 v26, vcc_lo, v82, v26
	v_lshlrev_b64 v[32:33], 3, v[32:33]
	v_ashrrev_i32_e32 v39, 31, v38
	v_add_co_ci_u32_e64 v27, null, v83, v27, vcc_lo
	v_add_co_u32 v28, vcc_lo, v82, v28
	v_lshlrev_b64 v[34:35], 3, v[34:35]
	v_add_co_ci_u32_e64 v29, null, v83, v29, vcc_lo
	v_add_co_u32 v30, vcc_lo, v82, v30
	v_lshlrev_b64 v[36:37], 3, v[36:37]
	v_add_nc_u32_e32 v42, s8, v40
	v_add_co_ci_u32_e64 v31, null, v83, v31, vcc_lo
	v_add_co_u32 v32, vcc_lo, v82, v32
	v_lshlrev_b64 v[38:39], 3, v[38:39]
	v_ashrrev_i32_e32 v41, 31, v40
	v_add_co_ci_u32_e64 v33, null, v83, v33, vcc_lo
	v_add_co_u32 v34, vcc_lo, v82, v34
	v_ashrrev_i32_e32 v43, 31, v42
	v_add_nc_u32_e32 v44, s8, v42
	v_add_co_ci_u32_e64 v35, null, v83, v35, vcc_lo
	v_add_co_u32 v36, vcc_lo, v82, v36
	v_lshlrev_b64 v[40:41], 3, v[40:41]
	v_add_co_ci_u32_e64 v37, null, v83, v37, vcc_lo
	v_add_co_u32 v76, vcc_lo, v82, v38
	v_add_co_ci_u32_e64 v77, null, v83, v39, vcc_lo
	v_lshlrev_b64 v[38:39], 3, v[42:43]
	v_ashrrev_i32_e32 v45, 31, v44
	v_add_nc_u32_e32 v42, s8, v44
	v_add_co_u32 v78, vcc_lo, v82, v40
	v_add_co_ci_u32_e64 v79, null, v83, v41, vcc_lo
	v_lshlrev_b64 v[40:41], 3, v[44:45]
	v_ashrrev_i32_e32 v43, 31, v42
	v_add_nc_u32_e32 v44, s8, v42
	;; [unrolled: 5-line block ×12, first 2 shown]
	v_add_co_u32 v102, vcc_lo, v82, v38
	v_add_co_ci_u32_e64 v103, null, v83, v39, vcc_lo
	v_lshlrev_b64 v[38:39], 3, v[42:43]
	v_add_nc_u32_e32 v42, s8, v44
	v_ashrrev_i32_e32 v45, 31, v44
	v_add_co_u32 v104, vcc_lo, v82, v40
	v_add_co_ci_u32_e64 v105, null, v83, v41, vcc_lo
	v_ashrrev_i32_e32 v43, 31, v42
	v_lshlrev_b64 v[40:41], 3, v[44:45]
	v_add_co_u32 v106, vcc_lo, v82, v38
	v_add_co_ci_u32_e64 v107, null, v83, v39, vcc_lo
	v_lshlrev_b64 v[38:39], 3, v[42:43]
	v_add_nc_u32_e32 v42, s8, v42
	v_add_co_u32 v108, vcc_lo, v82, v40
	v_add_co_ci_u32_e64 v109, null, v83, v41, vcc_lo
	v_ashrrev_i32_e32 v43, 31, v42
	v_add_co_u32 v110, vcc_lo, v82, v38
	v_add_co_ci_u32_e64 v111, null, v83, v39, vcc_lo
	v_add_co_u32 v40, vcc_lo, v82, v114
	v_add_co_ci_u32_e64 v41, null, 0, v83, vcc_lo
	v_lshlrev_b64 v[38:39], 3, v[42:43]
	v_add_co_u32 v42, vcc_lo, v40, s10
	v_add_co_ci_u32_e64 v43, null, s11, v41, vcc_lo
	v_add_co_u32 v112, vcc_lo, v82, v38
	v_add_co_ci_u32_e64 v113, null, v83, v39, vcc_lo
	s_clause 0x23
	flat_load_dwordx2 v[74:75], v[40:41]
	flat_load_dwordx2 v[72:73], v[42:43]
	;; [unrolled: 1-line block ×36, first 2 shown]
	v_lshl_add_u32 v84, v1, 3, 0
	v_lshlrev_b32_e32 v85, 3, v1
	v_mov_b32_e32 v80, 0
	v_add_nc_u32_e32 v78, v84, v114
	s_waitcnt vmcnt(35) lgkmcnt(35)
	ds_write_b64 v78, v[74:75]
	s_waitcnt vmcnt(0) lgkmcnt(0)
	s_barrier
	buffer_gl0_inv
	ds_read_b64 v[78:79], v84
	s_cbranch_scc1 .LBB70_6
; %bb.4:
	v_add3_u32 v1, v85, 0, 8
	v_mov_b32_e32 v80, 0
	s_mov_b32 s0, 1
.LBB70_5:                               ; =>This Inner Loop Header: Depth=1
	ds_read_b64 v[86:87], v1
	v_add_nc_u32_e32 v1, 8, v1
	s_waitcnt lgkmcnt(0)
	v_cmp_lt_f64_e64 vcc_lo, |v[78:79]|, |v[86:87]|
	v_cndmask_b32_e32 v79, v79, v87, vcc_lo
	v_cndmask_b32_e32 v78, v78, v86, vcc_lo
	v_cndmask_b32_e64 v80, v80, s0, vcc_lo
	s_add_i32 s0, s0, 1
	s_cmp_eq_u32 s7, s0
	s_cbranch_scc0 .LBB70_5
.LBB70_6:
	s_mov_b32 s0, exec_lo
                                        ; implicit-def: $vgpr87
	v_cmpx_ne_u32_e64 v0, v80
	s_xor_b32 s0, exec_lo, s0
	s_cbranch_execz .LBB70_12
; %bb.7:
	s_mov_b32 s1, exec_lo
	v_cmpx_eq_u32_e32 0, v0
	s_cbranch_execz .LBB70_11
; %bb.8:
	v_cmp_ne_u32_e32 vcc_lo, 0, v80
	s_xor_b32 s2, s6, -1
	s_and_b32 s3, s2, vcc_lo
	s_and_saveexec_b32 s2, s3
	s_cbranch_execz .LBB70_10
; %bb.9:
	v_ashrrev_i32_e32 v81, 31, v80
	v_lshlrev_b64 v[0:1], 2, v[80:81]
	v_add_co_u32 v0, vcc_lo, v4, v0
	v_add_co_ci_u32_e64 v1, null, v5, v1, vcc_lo
	s_clause 0x1
	global_load_dword v81, v[0:1], off
	global_load_dword v86, v[4:5], off
	s_waitcnt vmcnt(1)
	global_store_dword v[4:5], v81, off
	s_waitcnt vmcnt(0)
	global_store_dword v[0:1], v86, off
.LBB70_10:
	s_or_b32 exec_lo, exec_lo, s2
	v_mov_b32_e32 v0, v80
.LBB70_11:
	s_or_b32 exec_lo, exec_lo, s1
	v_mov_b32_e32 v87, v0
                                        ; implicit-def: $vgpr0
.LBB70_12:
	s_or_saveexec_b32 s0, s0
	v_mov_b32_e32 v81, v87
	s_xor_b32 exec_lo, exec_lo, s0
	s_cbranch_execz .LBB70_14
; %bb.13:
	v_mov_b32_e32 v87, 0
	v_mov_b32_e32 v81, v0
	ds_write2_b64 v84, v[72:73], v[70:71] offset0:1 offset1:2
	ds_write2_b64 v84, v[68:69], v[66:67] offset0:3 offset1:4
	;; [unrolled: 1-line block ×17, first 2 shown]
	ds_write_b64 v84, v[76:77] offset:280
.LBB70_14:
	s_or_b32 exec_lo, exec_lo, s0
	s_waitcnt lgkmcnt(0)
	v_cmp_eq_f64_e64 s0, 0, v[78:79]
	s_mov_b32 s1, exec_lo
	s_waitcnt_vscnt null, 0x0
	s_barrier
	buffer_gl0_inv
	v_cmpx_lt_i32_e32 0, v87
	s_cbranch_execz .LBB70_16
; %bb.15:
	v_div_scale_f64 v[0:1], null, v[78:79], v[78:79], 1.0
	v_div_scale_f64 v[92:93], vcc_lo, 1.0, v[78:79], 1.0
	v_rcp_f64_e32 v[88:89], v[0:1]
	v_fma_f64 v[90:91], -v[0:1], v[88:89], 1.0
	v_fma_f64 v[88:89], v[88:89], v[90:91], v[88:89]
	v_fma_f64 v[90:91], -v[0:1], v[88:89], 1.0
	v_fma_f64 v[88:89], v[88:89], v[90:91], v[88:89]
	v_mul_f64 v[90:91], v[92:93], v[88:89]
	v_fma_f64 v[0:1], -v[0:1], v[90:91], v[92:93]
	v_div_fmas_f64 v[0:1], v[0:1], v[88:89], v[90:91]
	ds_read2_b64 v[88:91], v84 offset0:1 offset1:2
	ds_read2_b64 v[92:95], v84 offset0:3 offset1:4
	;; [unrolled: 1-line block ×16, first 2 shown]
	v_div_fixup_f64 v[0:1], v[0:1], v[78:79], 1.0
	v_cndmask_b32_e64 v1, v1, v79, s0
	v_cndmask_b32_e64 v0, v0, v78, s0
	v_mul_f64 v[74:75], v[0:1], v[74:75]
	s_waitcnt lgkmcnt(15)
	v_fma_f64 v[72:73], -v[74:75], v[88:89], v[72:73]
	v_fma_f64 v[70:71], -v[74:75], v[90:91], v[70:71]
	ds_read2_b64 v[88:91], v84 offset0:33 offset1:34
	ds_read_b64 v[0:1], v84 offset:280
	s_waitcnt lgkmcnt(16)
	v_fma_f64 v[68:69], -v[74:75], v[92:93], v[68:69]
	v_fma_f64 v[66:67], -v[74:75], v[94:95], v[66:67]
	s_waitcnt lgkmcnt(15)
	v_fma_f64 v[64:65], -v[74:75], v[96:97], v[64:65]
	v_fma_f64 v[62:63], -v[74:75], v[98:99], v[62:63]
	s_waitcnt lgkmcnt(14)
	v_fma_f64 v[58:59], -v[74:75], v[100:101], v[58:59]
	v_fma_f64 v[60:61], -v[74:75], v[102:103], v[60:61]
	s_waitcnt lgkmcnt(13)
	v_fma_f64 v[54:55], -v[74:75], v[104:105], v[54:55]
	v_fma_f64 v[56:57], -v[74:75], v[106:107], v[56:57]
	s_waitcnt lgkmcnt(12)
	v_fma_f64 v[52:53], -v[74:75], v[108:109], v[52:53]
	v_fma_f64 v[50:51], -v[74:75], v[110:111], v[50:51]
	s_waitcnt lgkmcnt(11)
	v_fma_f64 v[48:49], -v[74:75], v[112:113], v[48:49]
	v_fma_f64 v[46:47], -v[74:75], v[114:115], v[46:47]
	s_waitcnt lgkmcnt(10)
	v_fma_f64 v[44:45], -v[74:75], v[116:117], v[44:45]
	v_fma_f64 v[42:43], -v[74:75], v[118:119], v[42:43]
	s_waitcnt lgkmcnt(9)
	v_fma_f64 v[38:39], -v[74:75], v[120:121], v[38:39]
	v_fma_f64 v[40:41], -v[74:75], v[122:123], v[40:41]
	s_waitcnt lgkmcnt(8)
	v_fma_f64 v[34:35], -v[74:75], v[124:125], v[34:35]
	v_fma_f64 v[36:37], -v[74:75], v[126:127], v[36:37]
	s_waitcnt lgkmcnt(7)
	v_fma_f64 v[32:33], -v[74:75], v[128:129], v[32:33]
	v_fma_f64 v[30:31], -v[74:75], v[130:131], v[30:31]
	s_waitcnt lgkmcnt(6)
	v_fma_f64 v[28:29], -v[74:75], v[132:133], v[28:29]
	v_fma_f64 v[26:27], -v[74:75], v[134:135], v[26:27]
	s_waitcnt lgkmcnt(5)
	v_fma_f64 v[24:25], -v[74:75], v[136:137], v[24:25]
	v_fma_f64 v[22:23], -v[74:75], v[138:139], v[22:23]
	s_waitcnt lgkmcnt(4)
	v_fma_f64 v[18:19], -v[74:75], v[140:141], v[18:19]
	v_fma_f64 v[20:21], -v[74:75], v[142:143], v[20:21]
	s_waitcnt lgkmcnt(3)
	v_fma_f64 v[16:17], -v[74:75], v[144:145], v[16:17]
	v_fma_f64 v[14:15], -v[74:75], v[146:147], v[14:15]
	s_waitcnt lgkmcnt(2)
	v_fma_f64 v[8:9], -v[74:75], v[148:149], v[8:9]
	v_fma_f64 v[12:13], -v[74:75], v[150:151], v[12:13]
	s_waitcnt lgkmcnt(1)
	v_fma_f64 v[6:7], -v[74:75], v[88:89], v[6:7]
	v_fma_f64 v[10:11], -v[74:75], v[90:91], v[10:11]
	s_waitcnt lgkmcnt(0)
	v_fma_f64 v[76:77], -v[74:75], v[0:1], v[76:77]
.LBB70_16:
	s_or_b32 exec_lo, exec_lo, s1
	v_lshl_add_u32 v0, v87, 3, v84
	s_barrier
	buffer_gl0_inv
	v_mov_b32_e32 v78, 1
	ds_write_b64 v0, v[72:73]
	s_waitcnt lgkmcnt(0)
	s_barrier
	buffer_gl0_inv
	ds_read_b64 v[0:1], v84 offset:8
	s_cmp_lt_i32 s7, 3
	s_cbranch_scc1 .LBB70_19
; %bb.17:
	v_add3_u32 v79, v85, 0, 16
	v_mov_b32_e32 v78, 1
	s_mov_b32 s1, 2
.LBB70_18:                              ; =>This Inner Loop Header: Depth=1
	ds_read_b64 v[88:89], v79
	v_add_nc_u32_e32 v79, 8, v79
	s_waitcnt lgkmcnt(0)
	v_cmp_lt_f64_e64 vcc_lo, |v[0:1]|, |v[88:89]|
	v_cndmask_b32_e32 v1, v1, v89, vcc_lo
	v_cndmask_b32_e32 v0, v0, v88, vcc_lo
	v_cndmask_b32_e64 v78, v78, s1, vcc_lo
	s_add_i32 s1, s1, 1
	s_cmp_lg_u32 s7, s1
	s_cbranch_scc1 .LBB70_18
.LBB70_19:
	s_mov_b32 s1, exec_lo
	v_cmpx_ne_u32_e64 v87, v78
	s_xor_b32 s1, exec_lo, s1
	s_cbranch_execz .LBB70_25
; %bb.20:
	s_mov_b32 s2, exec_lo
	v_cmpx_eq_u32_e32 1, v87
	s_cbranch_execz .LBB70_24
; %bb.21:
	v_cmp_ne_u32_e32 vcc_lo, 1, v78
	s_xor_b32 s3, s6, -1
	s_and_b32 s9, s3, vcc_lo
	s_and_saveexec_b32 s3, s9
	s_cbranch_execz .LBB70_23
; %bb.22:
	v_ashrrev_i32_e32 v79, 31, v78
	v_lshlrev_b64 v[79:80], 2, v[78:79]
	v_add_co_u32 v79, vcc_lo, v4, v79
	v_add_co_ci_u32_e64 v80, null, v5, v80, vcc_lo
	s_clause 0x1
	global_load_dword v81, v[79:80], off
	global_load_dword v86, v[4:5], off offset:4
	s_waitcnt vmcnt(1)
	global_store_dword v[4:5], v81, off offset:4
	s_waitcnt vmcnt(0)
	global_store_dword v[79:80], v86, off
.LBB70_23:
	s_or_b32 exec_lo, exec_lo, s3
	v_mov_b32_e32 v81, v78
	v_mov_b32_e32 v87, v78
.LBB70_24:
	s_or_b32 exec_lo, exec_lo, s2
.LBB70_25:
	s_andn2_saveexec_b32 s1, s1
	s_cbranch_execz .LBB70_27
; %bb.26:
	v_mov_b32_e32 v78, v70
	v_mov_b32_e32 v79, v71
	;; [unrolled: 1-line block ×12, first 2 shown]
	ds_write2_b64 v84, v[78:79], v[86:87] offset0:2 offset1:3
	ds_write2_b64 v84, v[88:89], v[90:91] offset0:4 offset1:5
	;; [unrolled: 1-line block ×3, first 2 shown]
	v_mov_b32_e32 v78, v60
	v_mov_b32_e32 v79, v61
	;; [unrolled: 1-line block ×20, first 2 shown]
	ds_write2_b64 v84, v[78:79], v[86:87] offset0:8 offset1:9
	ds_write2_b64 v84, v[88:89], v[90:91] offset0:10 offset1:11
	;; [unrolled: 1-line block ×5, first 2 shown]
	v_mov_b32_e32 v78, v40
	v_mov_b32_e32 v79, v41
	;; [unrolled: 1-line block ×20, first 2 shown]
	ds_write2_b64 v84, v[78:79], v[86:87] offset0:18 offset1:19
	ds_write2_b64 v84, v[88:89], v[90:91] offset0:20 offset1:21
	;; [unrolled: 1-line block ×5, first 2 shown]
	v_mov_b32_e32 v78, v20
	v_mov_b32_e32 v79, v21
	;; [unrolled: 1-line block ×15, first 2 shown]
	ds_write2_b64 v84, v[78:79], v[88:89] offset0:28 offset1:29
	ds_write2_b64 v84, v[90:91], v[92:93] offset0:30 offset1:31
	;; [unrolled: 1-line block ×4, first 2 shown]
.LBB70_27:
	s_or_b32 exec_lo, exec_lo, s1
	s_waitcnt lgkmcnt(0)
	v_cmp_neq_f64_e64 s1, 0, v[0:1]
	s_mov_b32 s2, exec_lo
	s_waitcnt_vscnt null, 0x0
	s_barrier
	buffer_gl0_inv
	v_cmpx_lt_i32_e32 1, v87
	s_cbranch_execz .LBB70_29
; %bb.28:
	v_div_scale_f64 v[78:79], null, v[0:1], v[0:1], 1.0
	v_div_scale_f64 v[92:93], vcc_lo, 1.0, v[0:1], 1.0
	v_rcp_f64_e32 v[88:89], v[78:79]
	v_fma_f64 v[90:91], -v[78:79], v[88:89], 1.0
	v_fma_f64 v[88:89], v[88:89], v[90:91], v[88:89]
	v_fma_f64 v[90:91], -v[78:79], v[88:89], 1.0
	v_fma_f64 v[88:89], v[88:89], v[90:91], v[88:89]
	v_mul_f64 v[90:91], v[92:93], v[88:89]
	v_fma_f64 v[78:79], -v[78:79], v[90:91], v[92:93]
	v_div_fmas_f64 v[78:79], v[78:79], v[88:89], v[90:91]
	ds_read2_b64 v[88:91], v84 offset0:2 offset1:3
	ds_read2_b64 v[92:95], v84 offset0:4 offset1:5
	;; [unrolled: 1-line block ×17, first 2 shown]
	v_div_fixup_f64 v[78:79], v[78:79], v[0:1], 1.0
	v_cndmask_b32_e64 v1, v1, v79, s1
	v_cndmask_b32_e64 v0, v0, v78, s1
	v_mul_f64 v[72:73], v[0:1], v[72:73]
	s_waitcnt lgkmcnt(16)
	v_fma_f64 v[70:71], -v[72:73], v[88:89], v[70:71]
	v_fma_f64 v[68:69], -v[72:73], v[90:91], v[68:69]
	s_waitcnt lgkmcnt(15)
	v_fma_f64 v[66:67], -v[72:73], v[92:93], v[66:67]
	v_fma_f64 v[64:65], -v[72:73], v[94:95], v[64:65]
	;; [unrolled: 3-line block ×17, first 2 shown]
.LBB70_29:
	s_or_b32 exec_lo, exec_lo, s2
	v_lshl_add_u32 v0, v87, 3, v84
	s_barrier
	buffer_gl0_inv
	v_mov_b32_e32 v78, 2
	ds_write_b64 v0, v[70:71]
	s_waitcnt lgkmcnt(0)
	s_barrier
	buffer_gl0_inv
	ds_read_b64 v[0:1], v84 offset:16
	s_cmp_lt_i32 s7, 4
	s_mov_b32 s2, 3
	s_cbranch_scc1 .LBB70_32
; %bb.30:
	v_add3_u32 v79, v85, 0, 24
	v_mov_b32_e32 v78, 2
.LBB70_31:                              ; =>This Inner Loop Header: Depth=1
	ds_read_b64 v[88:89], v79
	v_add_nc_u32_e32 v79, 8, v79
	s_waitcnt lgkmcnt(0)
	v_cmp_lt_f64_e64 vcc_lo, |v[0:1]|, |v[88:89]|
	v_cndmask_b32_e32 v1, v1, v89, vcc_lo
	v_cndmask_b32_e32 v0, v0, v88, vcc_lo
	v_cndmask_b32_e64 v78, v78, s2, vcc_lo
	s_add_i32 s2, s2, 1
	s_cmp_lg_u32 s7, s2
	s_cbranch_scc1 .LBB70_31
.LBB70_32:
	v_cndmask_b32_e64 v79, 2, 1, s0
	v_cndmask_b32_e64 v80, 0, 1, s0
	s_mov_b32 s0, exec_lo
	v_cndmask_b32_e64 v86, v79, v80, s1
	s_waitcnt lgkmcnt(0)
	v_cmpx_eq_f64_e32 0, v[0:1]
	s_xor_b32 s0, exec_lo, s0
; %bb.33:
	v_cmp_ne_u32_e32 vcc_lo, 0, v86
	v_cndmask_b32_e32 v86, 3, v86, vcc_lo
; %bb.34:
	s_andn2_saveexec_b32 s0, s0
	s_cbranch_execz .LBB70_36
; %bb.35:
	v_div_scale_f64 v[79:80], null, v[0:1], v[0:1], 1.0
	v_rcp_f64_e32 v[88:89], v[79:80]
	v_fma_f64 v[90:91], -v[79:80], v[88:89], 1.0
	v_fma_f64 v[88:89], v[88:89], v[90:91], v[88:89]
	v_fma_f64 v[90:91], -v[79:80], v[88:89], 1.0
	v_fma_f64 v[88:89], v[88:89], v[90:91], v[88:89]
	v_div_scale_f64 v[90:91], vcc_lo, 1.0, v[0:1], 1.0
	v_mul_f64 v[92:93], v[90:91], v[88:89]
	v_fma_f64 v[79:80], -v[79:80], v[92:93], v[90:91]
	v_div_fmas_f64 v[79:80], v[79:80], v[88:89], v[92:93]
	v_div_fixup_f64 v[0:1], v[79:80], v[0:1], 1.0
.LBB70_36:
	s_or_b32 exec_lo, exec_lo, s0
	s_mov_b32 s0, exec_lo
	v_cmpx_ne_u32_e64 v87, v78
	s_xor_b32 s0, exec_lo, s0
	s_cbranch_execz .LBB70_42
; %bb.37:
	s_mov_b32 s1, exec_lo
	v_cmpx_eq_u32_e32 2, v87
	s_cbranch_execz .LBB70_41
; %bb.38:
	v_cmp_ne_u32_e32 vcc_lo, 2, v78
	s_xor_b32 s2, s6, -1
	s_and_b32 s3, s2, vcc_lo
	s_and_saveexec_b32 s2, s3
	s_cbranch_execz .LBB70_40
; %bb.39:
	v_ashrrev_i32_e32 v79, 31, v78
	v_lshlrev_b64 v[79:80], 2, v[78:79]
	v_add_co_u32 v79, vcc_lo, v4, v79
	v_add_co_ci_u32_e64 v80, null, v5, v80, vcc_lo
	s_clause 0x1
	global_load_dword v81, v[79:80], off
	global_load_dword v87, v[4:5], off offset:8
	s_waitcnt vmcnt(1)
	global_store_dword v[4:5], v81, off offset:8
	s_waitcnt vmcnt(0)
	global_store_dword v[79:80], v87, off
.LBB70_40:
	s_or_b32 exec_lo, exec_lo, s2
	v_mov_b32_e32 v81, v78
	v_mov_b32_e32 v87, v78
.LBB70_41:
	s_or_b32 exec_lo, exec_lo, s1
.LBB70_42:
	s_andn2_saveexec_b32 s0, s0
	s_cbranch_execz .LBB70_44
; %bb.43:
	v_mov_b32_e32 v87, 2
	ds_write2_b64 v84, v[68:69], v[66:67] offset0:3 offset1:4
	ds_write2_b64 v84, v[64:65], v[62:63] offset0:5 offset1:6
	;; [unrolled: 1-line block ×16, first 2 shown]
	ds_write_b64 v84, v[76:77] offset:280
.LBB70_44:
	s_or_b32 exec_lo, exec_lo, s0
	s_mov_b32 s0, exec_lo
	s_waitcnt lgkmcnt(0)
	s_waitcnt_vscnt null, 0x0
	s_barrier
	buffer_gl0_inv
	v_cmpx_lt_i32_e32 2, v87
	s_cbranch_execz .LBB70_46
; %bb.45:
	v_mul_f64 v[70:71], v[0:1], v[70:71]
	ds_read2_b64 v[88:91], v84 offset0:3 offset1:4
	ds_read2_b64 v[92:95], v84 offset0:5 offset1:6
	;; [unrolled: 1-line block ×13, first 2 shown]
	ds_read_b64 v[0:1], v84 offset:280
	s_waitcnt lgkmcnt(13)
	v_fma_f64 v[68:69], -v[70:71], v[88:89], v[68:69]
	v_fma_f64 v[66:67], -v[70:71], v[90:91], v[66:67]
	s_waitcnt lgkmcnt(12)
	v_fma_f64 v[64:65], -v[70:71], v[92:93], v[64:65]
	v_fma_f64 v[62:63], -v[70:71], v[94:95], v[62:63]
	;; [unrolled: 3-line block ×3, first 2 shown]
	ds_read2_b64 v[88:91], v84 offset0:29 offset1:30
	ds_read2_b64 v[92:95], v84 offset0:31 offset1:32
	;; [unrolled: 1-line block ×3, first 2 shown]
	s_waitcnt lgkmcnt(13)
	v_fma_f64 v[54:55], -v[70:71], v[100:101], v[54:55]
	v_fma_f64 v[56:57], -v[70:71], v[102:103], v[56:57]
	s_waitcnt lgkmcnt(12)
	v_fma_f64 v[52:53], -v[70:71], v[104:105], v[52:53]
	v_fma_f64 v[50:51], -v[70:71], v[106:107], v[50:51]
	;; [unrolled: 3-line block ×13, first 2 shown]
	v_fma_f64 v[76:77], -v[70:71], v[0:1], v[76:77]
.LBB70_46:
	s_or_b32 exec_lo, exec_lo, s0
	v_lshl_add_u32 v0, v87, 3, v84
	s_barrier
	buffer_gl0_inv
	v_mov_b32_e32 v78, 3
	ds_write_b64 v0, v[68:69]
	s_waitcnt lgkmcnt(0)
	s_barrier
	buffer_gl0_inv
	ds_read_b64 v[0:1], v84 offset:24
	s_cmp_lt_i32 s7, 5
	s_cbranch_scc1 .LBB70_49
; %bb.47:
	v_mov_b32_e32 v78, 3
	v_add3_u32 v79, v85, 0, 32
	s_mov_b32 s0, 4
.LBB70_48:                              ; =>This Inner Loop Header: Depth=1
	ds_read_b64 v[88:89], v79
	v_add_nc_u32_e32 v79, 8, v79
	s_waitcnt lgkmcnt(0)
	v_cmp_lt_f64_e64 vcc_lo, |v[0:1]|, |v[88:89]|
	v_cndmask_b32_e32 v1, v1, v89, vcc_lo
	v_cndmask_b32_e32 v0, v0, v88, vcc_lo
	v_cndmask_b32_e64 v78, v78, s0, vcc_lo
	s_add_i32 s0, s0, 1
	s_cmp_lg_u32 s7, s0
	s_cbranch_scc1 .LBB70_48
.LBB70_49:
	s_mov_b32 s0, exec_lo
	s_waitcnt lgkmcnt(0)
	v_cmpx_eq_f64_e32 0, v[0:1]
	s_xor_b32 s0, exec_lo, s0
; %bb.50:
	v_cmp_ne_u32_e32 vcc_lo, 0, v86
	v_cndmask_b32_e32 v86, 4, v86, vcc_lo
; %bb.51:
	s_andn2_saveexec_b32 s0, s0
	s_cbranch_execz .LBB70_53
; %bb.52:
	v_div_scale_f64 v[79:80], null, v[0:1], v[0:1], 1.0
	v_rcp_f64_e32 v[88:89], v[79:80]
	v_fma_f64 v[90:91], -v[79:80], v[88:89], 1.0
	v_fma_f64 v[88:89], v[88:89], v[90:91], v[88:89]
	v_fma_f64 v[90:91], -v[79:80], v[88:89], 1.0
	v_fma_f64 v[88:89], v[88:89], v[90:91], v[88:89]
	v_div_scale_f64 v[90:91], vcc_lo, 1.0, v[0:1], 1.0
	v_mul_f64 v[92:93], v[90:91], v[88:89]
	v_fma_f64 v[79:80], -v[79:80], v[92:93], v[90:91]
	v_div_fmas_f64 v[79:80], v[79:80], v[88:89], v[92:93]
	v_div_fixup_f64 v[0:1], v[79:80], v[0:1], 1.0
.LBB70_53:
	s_or_b32 exec_lo, exec_lo, s0
	s_mov_b32 s0, exec_lo
	v_cmpx_ne_u32_e64 v87, v78
	s_xor_b32 s0, exec_lo, s0
	s_cbranch_execz .LBB70_59
; %bb.54:
	s_mov_b32 s1, exec_lo
	v_cmpx_eq_u32_e32 3, v87
	s_cbranch_execz .LBB70_58
; %bb.55:
	v_cmp_ne_u32_e32 vcc_lo, 3, v78
	s_xor_b32 s2, s6, -1
	s_and_b32 s3, s2, vcc_lo
	s_and_saveexec_b32 s2, s3
	s_cbranch_execz .LBB70_57
; %bb.56:
	v_ashrrev_i32_e32 v79, 31, v78
	v_lshlrev_b64 v[79:80], 2, v[78:79]
	v_add_co_u32 v79, vcc_lo, v4, v79
	v_add_co_ci_u32_e64 v80, null, v5, v80, vcc_lo
	s_clause 0x1
	global_load_dword v81, v[79:80], off
	global_load_dword v87, v[4:5], off offset:12
	s_waitcnt vmcnt(1)
	global_store_dword v[4:5], v81, off offset:12
	s_waitcnt vmcnt(0)
	global_store_dword v[79:80], v87, off
.LBB70_57:
	s_or_b32 exec_lo, exec_lo, s2
	v_mov_b32_e32 v81, v78
	v_mov_b32_e32 v87, v78
.LBB70_58:
	s_or_b32 exec_lo, exec_lo, s1
.LBB70_59:
	s_andn2_saveexec_b32 s0, s0
	s_cbranch_execz .LBB70_61
; %bb.60:
	v_mov_b32_e32 v78, v66
	v_mov_b32_e32 v79, v67
	;; [unrolled: 1-line block ×8, first 2 shown]
	ds_write2_b64 v84, v[78:79], v[87:88] offset0:4 offset1:5
	ds_write2_b64 v84, v[89:90], v[91:92] offset0:6 offset1:7
	v_mov_b32_e32 v78, v60
	v_mov_b32_e32 v79, v61
	;; [unrolled: 1-line block ×20, first 2 shown]
	ds_write2_b64 v84, v[78:79], v[87:88] offset0:8 offset1:9
	ds_write2_b64 v84, v[89:90], v[91:92] offset0:10 offset1:11
	;; [unrolled: 1-line block ×5, first 2 shown]
	v_mov_b32_e32 v78, v40
	v_mov_b32_e32 v79, v41
	;; [unrolled: 1-line block ×20, first 2 shown]
	ds_write2_b64 v84, v[78:79], v[87:88] offset0:18 offset1:19
	ds_write2_b64 v84, v[89:90], v[91:92] offset0:20 offset1:21
	ds_write2_b64 v84, v[93:94], v[95:96] offset0:22 offset1:23
	ds_write2_b64 v84, v[97:98], v[99:100] offset0:24 offset1:25
	ds_write2_b64 v84, v[101:102], v[103:104] offset0:26 offset1:27
	v_mov_b32_e32 v78, v20
	v_mov_b32_e32 v79, v21
	;; [unrolled: 1-line block ×15, first 2 shown]
	ds_write2_b64 v84, v[78:79], v[88:89] offset0:28 offset1:29
	ds_write2_b64 v84, v[90:91], v[92:93] offset0:30 offset1:31
	;; [unrolled: 1-line block ×4, first 2 shown]
.LBB70_61:
	s_or_b32 exec_lo, exec_lo, s0
	s_mov_b32 s0, exec_lo
	s_waitcnt lgkmcnt(0)
	s_waitcnt_vscnt null, 0x0
	s_barrier
	buffer_gl0_inv
	v_cmpx_lt_i32_e32 3, v87
	s_cbranch_execz .LBB70_63
; %bb.62:
	v_mul_f64 v[68:69], v[0:1], v[68:69]
	ds_read2_b64 v[88:91], v84 offset0:4 offset1:5
	ds_read2_b64 v[92:95], v84 offset0:6 offset1:7
	;; [unrolled: 1-line block ×13, first 2 shown]
	s_waitcnt lgkmcnt(12)
	v_fma_f64 v[66:67], -v[68:69], v[88:89], v[66:67]
	v_fma_f64 v[64:65], -v[68:69], v[90:91], v[64:65]
	s_waitcnt lgkmcnt(11)
	v_fma_f64 v[62:63], -v[68:69], v[92:93], v[62:63]
	v_fma_f64 v[58:59], -v[68:69], v[94:95], v[58:59]
	;; [unrolled: 3-line block ×3, first 2 shown]
	ds_read2_b64 v[88:91], v84 offset0:30 offset1:31
	ds_read2_b64 v[92:95], v84 offset0:32 offset1:33
	;; [unrolled: 1-line block ×3, first 2 shown]
	s_waitcnt lgkmcnt(12)
	v_fma_f64 v[56:57], -v[68:69], v[100:101], v[56:57]
	v_fma_f64 v[52:53], -v[68:69], v[102:103], v[52:53]
	s_waitcnt lgkmcnt(11)
	v_fma_f64 v[50:51], -v[68:69], v[104:105], v[50:51]
	v_fma_f64 v[48:49], -v[68:69], v[106:107], v[48:49]
	;; [unrolled: 3-line block ×13, first 2 shown]
.LBB70_63:
	s_or_b32 exec_lo, exec_lo, s0
	v_lshl_add_u32 v0, v87, 3, v84
	s_barrier
	buffer_gl0_inv
	v_mov_b32_e32 v78, 4
	ds_write_b64 v0, v[66:67]
	s_waitcnt lgkmcnt(0)
	s_barrier
	buffer_gl0_inv
	ds_read_b64 v[0:1], v84 offset:32
	s_cmp_lt_i32 s7, 6
	s_cbranch_scc1 .LBB70_66
; %bb.64:
	v_add3_u32 v79, v85, 0, 40
	v_mov_b32_e32 v78, 4
	s_mov_b32 s0, 5
.LBB70_65:                              ; =>This Inner Loop Header: Depth=1
	ds_read_b64 v[88:89], v79
	v_add_nc_u32_e32 v79, 8, v79
	s_waitcnt lgkmcnt(0)
	v_cmp_lt_f64_e64 vcc_lo, |v[0:1]|, |v[88:89]|
	v_cndmask_b32_e32 v1, v1, v89, vcc_lo
	v_cndmask_b32_e32 v0, v0, v88, vcc_lo
	v_cndmask_b32_e64 v78, v78, s0, vcc_lo
	s_add_i32 s0, s0, 1
	s_cmp_lg_u32 s7, s0
	s_cbranch_scc1 .LBB70_65
.LBB70_66:
	s_mov_b32 s0, exec_lo
	s_waitcnt lgkmcnt(0)
	v_cmpx_eq_f64_e32 0, v[0:1]
	s_xor_b32 s0, exec_lo, s0
; %bb.67:
	v_cmp_ne_u32_e32 vcc_lo, 0, v86
	v_cndmask_b32_e32 v86, 5, v86, vcc_lo
; %bb.68:
	s_andn2_saveexec_b32 s0, s0
	s_cbranch_execz .LBB70_70
; %bb.69:
	v_div_scale_f64 v[79:80], null, v[0:1], v[0:1], 1.0
	v_rcp_f64_e32 v[88:89], v[79:80]
	v_fma_f64 v[90:91], -v[79:80], v[88:89], 1.0
	v_fma_f64 v[88:89], v[88:89], v[90:91], v[88:89]
	v_fma_f64 v[90:91], -v[79:80], v[88:89], 1.0
	v_fma_f64 v[88:89], v[88:89], v[90:91], v[88:89]
	v_div_scale_f64 v[90:91], vcc_lo, 1.0, v[0:1], 1.0
	v_mul_f64 v[92:93], v[90:91], v[88:89]
	v_fma_f64 v[79:80], -v[79:80], v[92:93], v[90:91]
	v_div_fmas_f64 v[79:80], v[79:80], v[88:89], v[92:93]
	v_div_fixup_f64 v[0:1], v[79:80], v[0:1], 1.0
.LBB70_70:
	s_or_b32 exec_lo, exec_lo, s0
	s_mov_b32 s0, exec_lo
	v_cmpx_ne_u32_e64 v87, v78
	s_xor_b32 s0, exec_lo, s0
	s_cbranch_execz .LBB70_76
; %bb.71:
	s_mov_b32 s1, exec_lo
	v_cmpx_eq_u32_e32 4, v87
	s_cbranch_execz .LBB70_75
; %bb.72:
	v_cmp_ne_u32_e32 vcc_lo, 4, v78
	s_xor_b32 s2, s6, -1
	s_and_b32 s3, s2, vcc_lo
	s_and_saveexec_b32 s2, s3
	s_cbranch_execz .LBB70_74
; %bb.73:
	v_ashrrev_i32_e32 v79, 31, v78
	v_lshlrev_b64 v[79:80], 2, v[78:79]
	v_add_co_u32 v79, vcc_lo, v4, v79
	v_add_co_ci_u32_e64 v80, null, v5, v80, vcc_lo
	s_clause 0x1
	global_load_dword v81, v[79:80], off
	global_load_dword v87, v[4:5], off offset:16
	s_waitcnt vmcnt(1)
	global_store_dword v[4:5], v81, off offset:16
	s_waitcnt vmcnt(0)
	global_store_dword v[79:80], v87, off
.LBB70_74:
	s_or_b32 exec_lo, exec_lo, s2
	v_mov_b32_e32 v81, v78
	v_mov_b32_e32 v87, v78
.LBB70_75:
	s_or_b32 exec_lo, exec_lo, s1
.LBB70_76:
	s_andn2_saveexec_b32 s0, s0
	s_cbranch_execz .LBB70_78
; %bb.77:
	v_mov_b32_e32 v87, 4
	ds_write2_b64 v84, v[64:65], v[62:63] offset0:5 offset1:6
	ds_write2_b64 v84, v[58:59], v[60:61] offset0:7 offset1:8
	;; [unrolled: 1-line block ×15, first 2 shown]
	ds_write_b64 v84, v[76:77] offset:280
.LBB70_78:
	s_or_b32 exec_lo, exec_lo, s0
	s_mov_b32 s0, exec_lo
	s_waitcnt lgkmcnt(0)
	s_waitcnt_vscnt null, 0x0
	s_barrier
	buffer_gl0_inv
	v_cmpx_lt_i32_e32 4, v87
	s_cbranch_execz .LBB70_80
; %bb.79:
	v_mul_f64 v[66:67], v[0:1], v[66:67]
	ds_read2_b64 v[88:91], v84 offset0:5 offset1:6
	ds_read2_b64 v[92:95], v84 offset0:7 offset1:8
	ds_read2_b64 v[96:99], v84 offset0:9 offset1:10
	ds_read2_b64 v[100:103], v84 offset0:11 offset1:12
	ds_read2_b64 v[104:107], v84 offset0:13 offset1:14
	ds_read2_b64 v[108:111], v84 offset0:15 offset1:16
	ds_read2_b64 v[112:115], v84 offset0:17 offset1:18
	ds_read2_b64 v[116:119], v84 offset0:19 offset1:20
	ds_read2_b64 v[120:123], v84 offset0:21 offset1:22
	ds_read2_b64 v[124:127], v84 offset0:23 offset1:24
	ds_read2_b64 v[128:131], v84 offset0:25 offset1:26
	ds_read2_b64 v[132:135], v84 offset0:27 offset1:28
	ds_read2_b64 v[136:139], v84 offset0:29 offset1:30
	ds_read_b64 v[0:1], v84 offset:280
	s_waitcnt lgkmcnt(13)
	v_fma_f64 v[64:65], -v[66:67], v[88:89], v[64:65]
	v_fma_f64 v[62:63], -v[66:67], v[90:91], v[62:63]
	s_waitcnt lgkmcnt(12)
	v_fma_f64 v[58:59], -v[66:67], v[92:93], v[58:59]
	v_fma_f64 v[60:61], -v[66:67], v[94:95], v[60:61]
	ds_read2_b64 v[88:91], v84 offset0:31 offset1:32
	ds_read2_b64 v[92:95], v84 offset0:33 offset1:34
	s_waitcnt lgkmcnt(13)
	v_fma_f64 v[54:55], -v[66:67], v[96:97], v[54:55]
	v_fma_f64 v[56:57], -v[66:67], v[98:99], v[56:57]
	s_waitcnt lgkmcnt(12)
	v_fma_f64 v[52:53], -v[66:67], v[100:101], v[52:53]
	v_fma_f64 v[50:51], -v[66:67], v[102:103], v[50:51]
	;; [unrolled: 3-line block ×13, first 2 shown]
	v_fma_f64 v[76:77], -v[66:67], v[0:1], v[76:77]
.LBB70_80:
	s_or_b32 exec_lo, exec_lo, s0
	v_lshl_add_u32 v0, v87, 3, v84
	s_barrier
	buffer_gl0_inv
	v_mov_b32_e32 v78, 5
	ds_write_b64 v0, v[64:65]
	s_waitcnt lgkmcnt(0)
	s_barrier
	buffer_gl0_inv
	ds_read_b64 v[0:1], v84 offset:40
	s_cmp_lt_i32 s7, 7
	s_cbranch_scc1 .LBB70_83
; %bb.81:
	v_add3_u32 v79, v85, 0, 48
	v_mov_b32_e32 v78, 5
	s_mov_b32 s0, 6
.LBB70_82:                              ; =>This Inner Loop Header: Depth=1
	ds_read_b64 v[88:89], v79
	v_add_nc_u32_e32 v79, 8, v79
	s_waitcnt lgkmcnt(0)
	v_cmp_lt_f64_e64 vcc_lo, |v[0:1]|, |v[88:89]|
	v_cndmask_b32_e32 v1, v1, v89, vcc_lo
	v_cndmask_b32_e32 v0, v0, v88, vcc_lo
	v_cndmask_b32_e64 v78, v78, s0, vcc_lo
	s_add_i32 s0, s0, 1
	s_cmp_lg_u32 s7, s0
	s_cbranch_scc1 .LBB70_82
.LBB70_83:
	s_mov_b32 s0, exec_lo
	s_waitcnt lgkmcnt(0)
	v_cmpx_eq_f64_e32 0, v[0:1]
	s_xor_b32 s0, exec_lo, s0
; %bb.84:
	v_cmp_ne_u32_e32 vcc_lo, 0, v86
	v_cndmask_b32_e32 v86, 6, v86, vcc_lo
; %bb.85:
	s_andn2_saveexec_b32 s0, s0
	s_cbranch_execz .LBB70_87
; %bb.86:
	v_div_scale_f64 v[79:80], null, v[0:1], v[0:1], 1.0
	v_rcp_f64_e32 v[88:89], v[79:80]
	v_fma_f64 v[90:91], -v[79:80], v[88:89], 1.0
	v_fma_f64 v[88:89], v[88:89], v[90:91], v[88:89]
	v_fma_f64 v[90:91], -v[79:80], v[88:89], 1.0
	v_fma_f64 v[88:89], v[88:89], v[90:91], v[88:89]
	v_div_scale_f64 v[90:91], vcc_lo, 1.0, v[0:1], 1.0
	v_mul_f64 v[92:93], v[90:91], v[88:89]
	v_fma_f64 v[79:80], -v[79:80], v[92:93], v[90:91]
	v_div_fmas_f64 v[79:80], v[79:80], v[88:89], v[92:93]
	v_div_fixup_f64 v[0:1], v[79:80], v[0:1], 1.0
.LBB70_87:
	s_or_b32 exec_lo, exec_lo, s0
	s_mov_b32 s0, exec_lo
	v_cmpx_ne_u32_e64 v87, v78
	s_xor_b32 s0, exec_lo, s0
	s_cbranch_execz .LBB70_93
; %bb.88:
	s_mov_b32 s1, exec_lo
	v_cmpx_eq_u32_e32 5, v87
	s_cbranch_execz .LBB70_92
; %bb.89:
	v_cmp_ne_u32_e32 vcc_lo, 5, v78
	s_xor_b32 s2, s6, -1
	s_and_b32 s3, s2, vcc_lo
	s_and_saveexec_b32 s2, s3
	s_cbranch_execz .LBB70_91
; %bb.90:
	v_ashrrev_i32_e32 v79, 31, v78
	v_lshlrev_b64 v[79:80], 2, v[78:79]
	v_add_co_u32 v79, vcc_lo, v4, v79
	v_add_co_ci_u32_e64 v80, null, v5, v80, vcc_lo
	s_clause 0x1
	global_load_dword v81, v[79:80], off
	global_load_dword v87, v[4:5], off offset:20
	s_waitcnt vmcnt(1)
	global_store_dword v[4:5], v81, off offset:20
	s_waitcnt vmcnt(0)
	global_store_dword v[79:80], v87, off
.LBB70_91:
	s_or_b32 exec_lo, exec_lo, s2
	v_mov_b32_e32 v81, v78
	v_mov_b32_e32 v87, v78
.LBB70_92:
	s_or_b32 exec_lo, exec_lo, s1
.LBB70_93:
	s_andn2_saveexec_b32 s0, s0
	s_cbranch_execz .LBB70_95
; %bb.94:
	v_mov_b32_e32 v78, v62
	v_mov_b32_e32 v79, v63
	;; [unrolled: 1-line block ×8, first 2 shown]
	ds_write2_b64 v84, v[78:79], v[87:88] offset0:6 offset1:7
	v_mov_b32_e32 v78, v54
	v_mov_b32_e32 v79, v55
	;; [unrolled: 1-line block ×16, first 2 shown]
	ds_write2_b64 v84, v[89:90], v[78:79] offset0:8 offset1:9
	ds_write2_b64 v84, v[87:88], v[91:92] offset0:10 offset1:11
	;; [unrolled: 1-line block ×5, first 2 shown]
	v_mov_b32_e32 v78, v40
	v_mov_b32_e32 v79, v41
	v_mov_b32_e32 v87, v34
	v_mov_b32_e32 v88, v35
	v_mov_b32_e32 v89, v36
	v_mov_b32_e32 v90, v37
	v_mov_b32_e32 v91, v32
	v_mov_b32_e32 v92, v33
	v_mov_b32_e32 v93, v30
	v_mov_b32_e32 v94, v31
	v_mov_b32_e32 v95, v28
	v_mov_b32_e32 v96, v29
	v_mov_b32_e32 v97, v26
	v_mov_b32_e32 v98, v27
	v_mov_b32_e32 v99, v24
	v_mov_b32_e32 v100, v25
	v_mov_b32_e32 v101, v22
	v_mov_b32_e32 v102, v23
	v_mov_b32_e32 v103, v18
	v_mov_b32_e32 v104, v19
	ds_write2_b64 v84, v[78:79], v[87:88] offset0:18 offset1:19
	ds_write2_b64 v84, v[89:90], v[91:92] offset0:20 offset1:21
	;; [unrolled: 1-line block ×5, first 2 shown]
	v_mov_b32_e32 v78, v20
	v_mov_b32_e32 v79, v21
	;; [unrolled: 1-line block ×15, first 2 shown]
	ds_write2_b64 v84, v[78:79], v[88:89] offset0:28 offset1:29
	ds_write2_b64 v84, v[90:91], v[92:93] offset0:30 offset1:31
	;; [unrolled: 1-line block ×4, first 2 shown]
.LBB70_95:
	s_or_b32 exec_lo, exec_lo, s0
	s_mov_b32 s0, exec_lo
	s_waitcnt lgkmcnt(0)
	s_waitcnt_vscnt null, 0x0
	s_barrier
	buffer_gl0_inv
	v_cmpx_lt_i32_e32 5, v87
	s_cbranch_execz .LBB70_97
; %bb.96:
	v_mul_f64 v[64:65], v[0:1], v[64:65]
	ds_read2_b64 v[88:91], v84 offset0:6 offset1:7
	ds_read2_b64 v[92:95], v84 offset0:8 offset1:9
	;; [unrolled: 1-line block ×14, first 2 shown]
	s_waitcnt lgkmcnt(13)
	v_fma_f64 v[62:63], -v[64:65], v[88:89], v[62:63]
	v_fma_f64 v[58:59], -v[64:65], v[90:91], v[58:59]
	ds_read2_b64 v[88:91], v84 offset0:34 offset1:35
	s_waitcnt lgkmcnt(13)
	v_fma_f64 v[60:61], -v[64:65], v[92:93], v[60:61]
	v_fma_f64 v[54:55], -v[64:65], v[94:95], v[54:55]
	s_waitcnt lgkmcnt(12)
	v_fma_f64 v[56:57], -v[64:65], v[96:97], v[56:57]
	v_fma_f64 v[52:53], -v[64:65], v[98:99], v[52:53]
	;; [unrolled: 3-line block ×14, first 2 shown]
.LBB70_97:
	s_or_b32 exec_lo, exec_lo, s0
	v_lshl_add_u32 v0, v87, 3, v84
	s_barrier
	buffer_gl0_inv
	v_mov_b32_e32 v78, 6
	ds_write_b64 v0, v[62:63]
	s_waitcnt lgkmcnt(0)
	s_barrier
	buffer_gl0_inv
	ds_read_b64 v[0:1], v84 offset:48
	s_cmp_lt_i32 s7, 8
	s_cbranch_scc1 .LBB70_100
; %bb.98:
	v_add3_u32 v79, v85, 0, 56
	v_mov_b32_e32 v78, 6
	s_mov_b32 s0, 7
.LBB70_99:                              ; =>This Inner Loop Header: Depth=1
	ds_read_b64 v[88:89], v79
	v_add_nc_u32_e32 v79, 8, v79
	s_waitcnt lgkmcnt(0)
	v_cmp_lt_f64_e64 vcc_lo, |v[0:1]|, |v[88:89]|
	v_cndmask_b32_e32 v1, v1, v89, vcc_lo
	v_cndmask_b32_e32 v0, v0, v88, vcc_lo
	v_cndmask_b32_e64 v78, v78, s0, vcc_lo
	s_add_i32 s0, s0, 1
	s_cmp_lg_u32 s7, s0
	s_cbranch_scc1 .LBB70_99
.LBB70_100:
	s_mov_b32 s0, exec_lo
	s_waitcnt lgkmcnt(0)
	v_cmpx_eq_f64_e32 0, v[0:1]
	s_xor_b32 s0, exec_lo, s0
; %bb.101:
	v_cmp_ne_u32_e32 vcc_lo, 0, v86
	v_cndmask_b32_e32 v86, 7, v86, vcc_lo
; %bb.102:
	s_andn2_saveexec_b32 s0, s0
	s_cbranch_execz .LBB70_104
; %bb.103:
	v_div_scale_f64 v[79:80], null, v[0:1], v[0:1], 1.0
	v_rcp_f64_e32 v[88:89], v[79:80]
	v_fma_f64 v[90:91], -v[79:80], v[88:89], 1.0
	v_fma_f64 v[88:89], v[88:89], v[90:91], v[88:89]
	v_fma_f64 v[90:91], -v[79:80], v[88:89], 1.0
	v_fma_f64 v[88:89], v[88:89], v[90:91], v[88:89]
	v_div_scale_f64 v[90:91], vcc_lo, 1.0, v[0:1], 1.0
	v_mul_f64 v[92:93], v[90:91], v[88:89]
	v_fma_f64 v[79:80], -v[79:80], v[92:93], v[90:91]
	v_div_fmas_f64 v[79:80], v[79:80], v[88:89], v[92:93]
	v_div_fixup_f64 v[0:1], v[79:80], v[0:1], 1.0
.LBB70_104:
	s_or_b32 exec_lo, exec_lo, s0
	s_mov_b32 s0, exec_lo
	v_cmpx_ne_u32_e64 v87, v78
	s_xor_b32 s0, exec_lo, s0
	s_cbranch_execz .LBB70_110
; %bb.105:
	s_mov_b32 s1, exec_lo
	v_cmpx_eq_u32_e32 6, v87
	s_cbranch_execz .LBB70_109
; %bb.106:
	v_cmp_ne_u32_e32 vcc_lo, 6, v78
	s_xor_b32 s2, s6, -1
	s_and_b32 s3, s2, vcc_lo
	s_and_saveexec_b32 s2, s3
	s_cbranch_execz .LBB70_108
; %bb.107:
	v_ashrrev_i32_e32 v79, 31, v78
	v_lshlrev_b64 v[79:80], 2, v[78:79]
	v_add_co_u32 v79, vcc_lo, v4, v79
	v_add_co_ci_u32_e64 v80, null, v5, v80, vcc_lo
	s_clause 0x1
	global_load_dword v81, v[79:80], off
	global_load_dword v87, v[4:5], off offset:24
	s_waitcnt vmcnt(1)
	global_store_dword v[4:5], v81, off offset:24
	s_waitcnt vmcnt(0)
	global_store_dword v[79:80], v87, off
.LBB70_108:
	s_or_b32 exec_lo, exec_lo, s2
	v_mov_b32_e32 v81, v78
	v_mov_b32_e32 v87, v78
.LBB70_109:
	s_or_b32 exec_lo, exec_lo, s1
.LBB70_110:
	s_andn2_saveexec_b32 s0, s0
	s_cbranch_execz .LBB70_112
; %bb.111:
	v_mov_b32_e32 v87, 6
	ds_write2_b64 v84, v[58:59], v[60:61] offset0:7 offset1:8
	ds_write2_b64 v84, v[54:55], v[56:57] offset0:9 offset1:10
	;; [unrolled: 1-line block ×14, first 2 shown]
	ds_write_b64 v84, v[76:77] offset:280
.LBB70_112:
	s_or_b32 exec_lo, exec_lo, s0
	s_mov_b32 s0, exec_lo
	s_waitcnt lgkmcnt(0)
	s_waitcnt_vscnt null, 0x0
	s_barrier
	buffer_gl0_inv
	v_cmpx_lt_i32_e32 6, v87
	s_cbranch_execz .LBB70_114
; %bb.113:
	v_mul_f64 v[62:63], v[0:1], v[62:63]
	ds_read2_b64 v[88:91], v84 offset0:7 offset1:8
	ds_read2_b64 v[92:95], v84 offset0:9 offset1:10
	;; [unrolled: 1-line block ×14, first 2 shown]
	ds_read_b64 v[0:1], v84 offset:280
	s_waitcnt lgkmcnt(14)
	v_fma_f64 v[58:59], -v[62:63], v[88:89], v[58:59]
	v_fma_f64 v[60:61], -v[62:63], v[90:91], v[60:61]
	s_waitcnt lgkmcnt(13)
	v_fma_f64 v[54:55], -v[62:63], v[92:93], v[54:55]
	v_fma_f64 v[56:57], -v[62:63], v[94:95], v[56:57]
	;; [unrolled: 3-line block ×14, first 2 shown]
	s_waitcnt lgkmcnt(0)
	v_fma_f64 v[76:77], -v[62:63], v[0:1], v[76:77]
.LBB70_114:
	s_or_b32 exec_lo, exec_lo, s0
	v_lshl_add_u32 v0, v87, 3, v84
	s_barrier
	buffer_gl0_inv
	v_mov_b32_e32 v78, 7
	ds_write_b64 v0, v[58:59]
	s_waitcnt lgkmcnt(0)
	s_barrier
	buffer_gl0_inv
	ds_read_b64 v[0:1], v84 offset:56
	s_cmp_lt_i32 s7, 9
	s_cbranch_scc1 .LBB70_117
; %bb.115:
	v_add3_u32 v79, v85, 0, 64
	v_mov_b32_e32 v78, 7
	s_mov_b32 s0, 8
.LBB70_116:                             ; =>This Inner Loop Header: Depth=1
	ds_read_b64 v[88:89], v79
	v_add_nc_u32_e32 v79, 8, v79
	s_waitcnt lgkmcnt(0)
	v_cmp_lt_f64_e64 vcc_lo, |v[0:1]|, |v[88:89]|
	v_cndmask_b32_e32 v1, v1, v89, vcc_lo
	v_cndmask_b32_e32 v0, v0, v88, vcc_lo
	v_cndmask_b32_e64 v78, v78, s0, vcc_lo
	s_add_i32 s0, s0, 1
	s_cmp_lg_u32 s7, s0
	s_cbranch_scc1 .LBB70_116
.LBB70_117:
	s_mov_b32 s0, exec_lo
	s_waitcnt lgkmcnt(0)
	v_cmpx_eq_f64_e32 0, v[0:1]
	s_xor_b32 s0, exec_lo, s0
; %bb.118:
	v_cmp_ne_u32_e32 vcc_lo, 0, v86
	v_cndmask_b32_e32 v86, 8, v86, vcc_lo
; %bb.119:
	s_andn2_saveexec_b32 s0, s0
	s_cbranch_execz .LBB70_121
; %bb.120:
	v_div_scale_f64 v[79:80], null, v[0:1], v[0:1], 1.0
	v_rcp_f64_e32 v[88:89], v[79:80]
	v_fma_f64 v[90:91], -v[79:80], v[88:89], 1.0
	v_fma_f64 v[88:89], v[88:89], v[90:91], v[88:89]
	v_fma_f64 v[90:91], -v[79:80], v[88:89], 1.0
	v_fma_f64 v[88:89], v[88:89], v[90:91], v[88:89]
	v_div_scale_f64 v[90:91], vcc_lo, 1.0, v[0:1], 1.0
	v_mul_f64 v[92:93], v[90:91], v[88:89]
	v_fma_f64 v[79:80], -v[79:80], v[92:93], v[90:91]
	v_div_fmas_f64 v[79:80], v[79:80], v[88:89], v[92:93]
	v_div_fixup_f64 v[0:1], v[79:80], v[0:1], 1.0
.LBB70_121:
	s_or_b32 exec_lo, exec_lo, s0
	s_mov_b32 s0, exec_lo
	v_cmpx_ne_u32_e64 v87, v78
	s_xor_b32 s0, exec_lo, s0
	s_cbranch_execz .LBB70_127
; %bb.122:
	s_mov_b32 s1, exec_lo
	v_cmpx_eq_u32_e32 7, v87
	s_cbranch_execz .LBB70_126
; %bb.123:
	v_cmp_ne_u32_e32 vcc_lo, 7, v78
	s_xor_b32 s2, s6, -1
	s_and_b32 s3, s2, vcc_lo
	s_and_saveexec_b32 s2, s3
	s_cbranch_execz .LBB70_125
; %bb.124:
	v_ashrrev_i32_e32 v79, 31, v78
	v_lshlrev_b64 v[79:80], 2, v[78:79]
	v_add_co_u32 v79, vcc_lo, v4, v79
	v_add_co_ci_u32_e64 v80, null, v5, v80, vcc_lo
	s_clause 0x1
	global_load_dword v81, v[79:80], off
	global_load_dword v87, v[4:5], off offset:28
	s_waitcnt vmcnt(1)
	global_store_dword v[4:5], v81, off offset:28
	s_waitcnt vmcnt(0)
	global_store_dword v[79:80], v87, off
.LBB70_125:
	s_or_b32 exec_lo, exec_lo, s2
	v_mov_b32_e32 v81, v78
	v_mov_b32_e32 v87, v78
.LBB70_126:
	s_or_b32 exec_lo, exec_lo, s1
.LBB70_127:
	s_andn2_saveexec_b32 s0, s0
	s_cbranch_execz .LBB70_129
; %bb.128:
	v_mov_b32_e32 v78, v60
	v_mov_b32_e32 v79, v61
	;; [unrolled: 1-line block ×20, first 2 shown]
	ds_write2_b64 v84, v[78:79], v[87:88] offset0:8 offset1:9
	ds_write2_b64 v84, v[89:90], v[91:92] offset0:10 offset1:11
	;; [unrolled: 1-line block ×5, first 2 shown]
	v_mov_b32_e32 v78, v40
	v_mov_b32_e32 v79, v41
	v_mov_b32_e32 v87, v34
	v_mov_b32_e32 v88, v35
	v_mov_b32_e32 v89, v36
	v_mov_b32_e32 v90, v37
	v_mov_b32_e32 v91, v32
	v_mov_b32_e32 v92, v33
	v_mov_b32_e32 v93, v30
	v_mov_b32_e32 v94, v31
	v_mov_b32_e32 v95, v28
	v_mov_b32_e32 v96, v29
	v_mov_b32_e32 v97, v26
	v_mov_b32_e32 v98, v27
	v_mov_b32_e32 v99, v24
	v_mov_b32_e32 v100, v25
	v_mov_b32_e32 v101, v22
	v_mov_b32_e32 v102, v23
	v_mov_b32_e32 v103, v18
	v_mov_b32_e32 v104, v19
	ds_write2_b64 v84, v[78:79], v[87:88] offset0:18 offset1:19
	ds_write2_b64 v84, v[89:90], v[91:92] offset0:20 offset1:21
	;; [unrolled: 1-line block ×5, first 2 shown]
	v_mov_b32_e32 v78, v20
	v_mov_b32_e32 v79, v21
	;; [unrolled: 1-line block ×15, first 2 shown]
	ds_write2_b64 v84, v[78:79], v[88:89] offset0:28 offset1:29
	ds_write2_b64 v84, v[90:91], v[92:93] offset0:30 offset1:31
	;; [unrolled: 1-line block ×4, first 2 shown]
.LBB70_129:
	s_or_b32 exec_lo, exec_lo, s0
	s_mov_b32 s0, exec_lo
	s_waitcnt lgkmcnt(0)
	s_waitcnt_vscnt null, 0x0
	s_barrier
	buffer_gl0_inv
	v_cmpx_lt_i32_e32 7, v87
	s_cbranch_execz .LBB70_131
; %bb.130:
	v_mul_f64 v[58:59], v[0:1], v[58:59]
	ds_read2_b64 v[88:91], v84 offset0:8 offset1:9
	ds_read2_b64 v[92:95], v84 offset0:10 offset1:11
	;; [unrolled: 1-line block ×14, first 2 shown]
	s_waitcnt lgkmcnt(13)
	v_fma_f64 v[60:61], -v[58:59], v[88:89], v[60:61]
	v_fma_f64 v[54:55], -v[58:59], v[90:91], v[54:55]
	s_waitcnt lgkmcnt(12)
	v_fma_f64 v[56:57], -v[58:59], v[92:93], v[56:57]
	v_fma_f64 v[52:53], -v[58:59], v[94:95], v[52:53]
	;; [unrolled: 3-line block ×14, first 2 shown]
.LBB70_131:
	s_or_b32 exec_lo, exec_lo, s0
	v_lshl_add_u32 v0, v87, 3, v84
	s_barrier
	buffer_gl0_inv
	v_mov_b32_e32 v78, 8
	ds_write_b64 v0, v[60:61]
	s_waitcnt lgkmcnt(0)
	s_barrier
	buffer_gl0_inv
	ds_read_b64 v[0:1], v84 offset:64
	s_cmp_lt_i32 s7, 10
	s_cbranch_scc1 .LBB70_134
; %bb.132:
	v_add3_u32 v79, v85, 0, 0x48
	v_mov_b32_e32 v78, 8
	s_mov_b32 s0, 9
.LBB70_133:                             ; =>This Inner Loop Header: Depth=1
	ds_read_b64 v[88:89], v79
	v_add_nc_u32_e32 v79, 8, v79
	s_waitcnt lgkmcnt(0)
	v_cmp_lt_f64_e64 vcc_lo, |v[0:1]|, |v[88:89]|
	v_cndmask_b32_e32 v1, v1, v89, vcc_lo
	v_cndmask_b32_e32 v0, v0, v88, vcc_lo
	v_cndmask_b32_e64 v78, v78, s0, vcc_lo
	s_add_i32 s0, s0, 1
	s_cmp_lg_u32 s7, s0
	s_cbranch_scc1 .LBB70_133
.LBB70_134:
	s_mov_b32 s0, exec_lo
	s_waitcnt lgkmcnt(0)
	v_cmpx_eq_f64_e32 0, v[0:1]
	s_xor_b32 s0, exec_lo, s0
; %bb.135:
	v_cmp_ne_u32_e32 vcc_lo, 0, v86
	v_cndmask_b32_e32 v86, 9, v86, vcc_lo
; %bb.136:
	s_andn2_saveexec_b32 s0, s0
	s_cbranch_execz .LBB70_138
; %bb.137:
	v_div_scale_f64 v[79:80], null, v[0:1], v[0:1], 1.0
	v_rcp_f64_e32 v[88:89], v[79:80]
	v_fma_f64 v[90:91], -v[79:80], v[88:89], 1.0
	v_fma_f64 v[88:89], v[88:89], v[90:91], v[88:89]
	v_fma_f64 v[90:91], -v[79:80], v[88:89], 1.0
	v_fma_f64 v[88:89], v[88:89], v[90:91], v[88:89]
	v_div_scale_f64 v[90:91], vcc_lo, 1.0, v[0:1], 1.0
	v_mul_f64 v[92:93], v[90:91], v[88:89]
	v_fma_f64 v[79:80], -v[79:80], v[92:93], v[90:91]
	v_div_fmas_f64 v[79:80], v[79:80], v[88:89], v[92:93]
	v_div_fixup_f64 v[0:1], v[79:80], v[0:1], 1.0
.LBB70_138:
	s_or_b32 exec_lo, exec_lo, s0
	s_mov_b32 s0, exec_lo
	v_cmpx_ne_u32_e64 v87, v78
	s_xor_b32 s0, exec_lo, s0
	s_cbranch_execz .LBB70_144
; %bb.139:
	s_mov_b32 s1, exec_lo
	v_cmpx_eq_u32_e32 8, v87
	s_cbranch_execz .LBB70_143
; %bb.140:
	v_cmp_ne_u32_e32 vcc_lo, 8, v78
	s_xor_b32 s2, s6, -1
	s_and_b32 s3, s2, vcc_lo
	s_and_saveexec_b32 s2, s3
	s_cbranch_execz .LBB70_142
; %bb.141:
	v_ashrrev_i32_e32 v79, 31, v78
	v_lshlrev_b64 v[79:80], 2, v[78:79]
	v_add_co_u32 v79, vcc_lo, v4, v79
	v_add_co_ci_u32_e64 v80, null, v5, v80, vcc_lo
	s_clause 0x1
	global_load_dword v81, v[79:80], off
	global_load_dword v87, v[4:5], off offset:32
	s_waitcnt vmcnt(1)
	global_store_dword v[4:5], v81, off offset:32
	s_waitcnt vmcnt(0)
	global_store_dword v[79:80], v87, off
.LBB70_142:
	s_or_b32 exec_lo, exec_lo, s2
	v_mov_b32_e32 v81, v78
	v_mov_b32_e32 v87, v78
.LBB70_143:
	s_or_b32 exec_lo, exec_lo, s1
.LBB70_144:
	s_andn2_saveexec_b32 s0, s0
	s_cbranch_execz .LBB70_146
; %bb.145:
	v_mov_b32_e32 v87, 8
	ds_write2_b64 v84, v[54:55], v[56:57] offset0:9 offset1:10
	ds_write2_b64 v84, v[52:53], v[50:51] offset0:11 offset1:12
	;; [unrolled: 1-line block ×13, first 2 shown]
	ds_write_b64 v84, v[76:77] offset:280
.LBB70_146:
	s_or_b32 exec_lo, exec_lo, s0
	s_mov_b32 s0, exec_lo
	s_waitcnt lgkmcnt(0)
	s_waitcnt_vscnt null, 0x0
	s_barrier
	buffer_gl0_inv
	v_cmpx_lt_i32_e32 8, v87
	s_cbranch_execz .LBB70_148
; %bb.147:
	v_mul_f64 v[60:61], v[0:1], v[60:61]
	ds_read2_b64 v[88:91], v84 offset0:9 offset1:10
	ds_read2_b64 v[92:95], v84 offset0:11 offset1:12
	;; [unrolled: 1-line block ×13, first 2 shown]
	ds_read_b64 v[0:1], v84 offset:280
	s_waitcnt lgkmcnt(13)
	v_fma_f64 v[54:55], -v[60:61], v[88:89], v[54:55]
	v_fma_f64 v[56:57], -v[60:61], v[90:91], v[56:57]
	s_waitcnt lgkmcnt(12)
	v_fma_f64 v[52:53], -v[60:61], v[92:93], v[52:53]
	v_fma_f64 v[50:51], -v[60:61], v[94:95], v[50:51]
	s_waitcnt lgkmcnt(11)
	v_fma_f64 v[48:49], -v[60:61], v[96:97], v[48:49]
	v_fma_f64 v[46:47], -v[60:61], v[98:99], v[46:47]
	s_waitcnt lgkmcnt(10)
	v_fma_f64 v[44:45], -v[60:61], v[100:101], v[44:45]
	v_fma_f64 v[42:43], -v[60:61], v[102:103], v[42:43]
	s_waitcnt lgkmcnt(9)
	v_fma_f64 v[38:39], -v[60:61], v[104:105], v[38:39]
	v_fma_f64 v[40:41], -v[60:61], v[106:107], v[40:41]
	s_waitcnt lgkmcnt(8)
	v_fma_f64 v[34:35], -v[60:61], v[108:109], v[34:35]
	v_fma_f64 v[36:37], -v[60:61], v[110:111], v[36:37]
	s_waitcnt lgkmcnt(7)
	v_fma_f64 v[32:33], -v[60:61], v[112:113], v[32:33]
	v_fma_f64 v[30:31], -v[60:61], v[114:115], v[30:31]
	s_waitcnt lgkmcnt(6)
	v_fma_f64 v[28:29], -v[60:61], v[116:117], v[28:29]
	v_fma_f64 v[26:27], -v[60:61], v[118:119], v[26:27]
	s_waitcnt lgkmcnt(5)
	v_fma_f64 v[24:25], -v[60:61], v[120:121], v[24:25]
	v_fma_f64 v[22:23], -v[60:61], v[122:123], v[22:23]
	s_waitcnt lgkmcnt(4)
	v_fma_f64 v[18:19], -v[60:61], v[124:125], v[18:19]
	v_fma_f64 v[20:21], -v[60:61], v[126:127], v[20:21]
	s_waitcnt lgkmcnt(3)
	v_fma_f64 v[16:17], -v[60:61], v[128:129], v[16:17]
	v_fma_f64 v[14:15], -v[60:61], v[130:131], v[14:15]
	s_waitcnt lgkmcnt(2)
	v_fma_f64 v[8:9], -v[60:61], v[132:133], v[8:9]
	v_fma_f64 v[12:13], -v[60:61], v[134:135], v[12:13]
	s_waitcnt lgkmcnt(1)
	v_fma_f64 v[6:7], -v[60:61], v[136:137], v[6:7]
	v_fma_f64 v[10:11], -v[60:61], v[138:139], v[10:11]
	s_waitcnt lgkmcnt(0)
	v_fma_f64 v[76:77], -v[60:61], v[0:1], v[76:77]
.LBB70_148:
	s_or_b32 exec_lo, exec_lo, s0
	v_lshl_add_u32 v0, v87, 3, v84
	s_barrier
	buffer_gl0_inv
	v_mov_b32_e32 v78, 9
	ds_write_b64 v0, v[54:55]
	s_waitcnt lgkmcnt(0)
	s_barrier
	buffer_gl0_inv
	ds_read_b64 v[0:1], v84 offset:72
	s_cmp_lt_i32 s7, 11
	s_cbranch_scc1 .LBB70_151
; %bb.149:
	v_add3_u32 v79, v85, 0, 0x50
	v_mov_b32_e32 v78, 9
	s_mov_b32 s0, 10
.LBB70_150:                             ; =>This Inner Loop Header: Depth=1
	ds_read_b64 v[88:89], v79
	v_add_nc_u32_e32 v79, 8, v79
	s_waitcnt lgkmcnt(0)
	v_cmp_lt_f64_e64 vcc_lo, |v[0:1]|, |v[88:89]|
	v_cndmask_b32_e32 v1, v1, v89, vcc_lo
	v_cndmask_b32_e32 v0, v0, v88, vcc_lo
	v_cndmask_b32_e64 v78, v78, s0, vcc_lo
	s_add_i32 s0, s0, 1
	s_cmp_lg_u32 s7, s0
	s_cbranch_scc1 .LBB70_150
.LBB70_151:
	s_mov_b32 s0, exec_lo
	s_waitcnt lgkmcnt(0)
	v_cmpx_eq_f64_e32 0, v[0:1]
	s_xor_b32 s0, exec_lo, s0
; %bb.152:
	v_cmp_ne_u32_e32 vcc_lo, 0, v86
	v_cndmask_b32_e32 v86, 10, v86, vcc_lo
; %bb.153:
	s_andn2_saveexec_b32 s0, s0
	s_cbranch_execz .LBB70_155
; %bb.154:
	v_div_scale_f64 v[79:80], null, v[0:1], v[0:1], 1.0
	v_rcp_f64_e32 v[88:89], v[79:80]
	v_fma_f64 v[90:91], -v[79:80], v[88:89], 1.0
	v_fma_f64 v[88:89], v[88:89], v[90:91], v[88:89]
	v_fma_f64 v[90:91], -v[79:80], v[88:89], 1.0
	v_fma_f64 v[88:89], v[88:89], v[90:91], v[88:89]
	v_div_scale_f64 v[90:91], vcc_lo, 1.0, v[0:1], 1.0
	v_mul_f64 v[92:93], v[90:91], v[88:89]
	v_fma_f64 v[79:80], -v[79:80], v[92:93], v[90:91]
	v_div_fmas_f64 v[79:80], v[79:80], v[88:89], v[92:93]
	v_div_fixup_f64 v[0:1], v[79:80], v[0:1], 1.0
.LBB70_155:
	s_or_b32 exec_lo, exec_lo, s0
	s_mov_b32 s0, exec_lo
	v_cmpx_ne_u32_e64 v87, v78
	s_xor_b32 s0, exec_lo, s0
	s_cbranch_execz .LBB70_161
; %bb.156:
	s_mov_b32 s1, exec_lo
	v_cmpx_eq_u32_e32 9, v87
	s_cbranch_execz .LBB70_160
; %bb.157:
	v_cmp_ne_u32_e32 vcc_lo, 9, v78
	s_xor_b32 s2, s6, -1
	s_and_b32 s3, s2, vcc_lo
	s_and_saveexec_b32 s2, s3
	s_cbranch_execz .LBB70_159
; %bb.158:
	v_ashrrev_i32_e32 v79, 31, v78
	v_lshlrev_b64 v[79:80], 2, v[78:79]
	v_add_co_u32 v79, vcc_lo, v4, v79
	v_add_co_ci_u32_e64 v80, null, v5, v80, vcc_lo
	s_clause 0x1
	global_load_dword v81, v[79:80], off
	global_load_dword v87, v[4:5], off offset:36
	s_waitcnt vmcnt(1)
	global_store_dword v[4:5], v81, off offset:36
	s_waitcnt vmcnt(0)
	global_store_dword v[79:80], v87, off
.LBB70_159:
	s_or_b32 exec_lo, exec_lo, s2
	v_mov_b32_e32 v81, v78
	v_mov_b32_e32 v87, v78
.LBB70_160:
	s_or_b32 exec_lo, exec_lo, s1
.LBB70_161:
	s_andn2_saveexec_b32 s0, s0
	s_cbranch_execz .LBB70_163
; %bb.162:
	v_mov_b32_e32 v78, v56
	v_mov_b32_e32 v79, v57
	;; [unrolled: 1-line block ×16, first 2 shown]
	ds_write2_b64 v84, v[78:79], v[87:88] offset0:10 offset1:11
	ds_write2_b64 v84, v[89:90], v[91:92] offset0:12 offset1:13
	ds_write2_b64 v84, v[93:94], v[95:96] offset0:14 offset1:15
	ds_write2_b64 v84, v[97:98], v[99:100] offset0:16 offset1:17
	v_mov_b32_e32 v78, v40
	v_mov_b32_e32 v79, v41
	v_mov_b32_e32 v87, v34
	v_mov_b32_e32 v88, v35
	v_mov_b32_e32 v89, v36
	v_mov_b32_e32 v90, v37
	v_mov_b32_e32 v91, v32
	v_mov_b32_e32 v92, v33
	v_mov_b32_e32 v93, v30
	v_mov_b32_e32 v94, v31
	v_mov_b32_e32 v95, v28
	v_mov_b32_e32 v96, v29
	v_mov_b32_e32 v97, v26
	v_mov_b32_e32 v98, v27
	v_mov_b32_e32 v99, v24
	v_mov_b32_e32 v100, v25
	v_mov_b32_e32 v101, v22
	v_mov_b32_e32 v102, v23
	v_mov_b32_e32 v103, v18
	v_mov_b32_e32 v104, v19
	ds_write2_b64 v84, v[78:79], v[87:88] offset0:18 offset1:19
	ds_write2_b64 v84, v[89:90], v[91:92] offset0:20 offset1:21
	;; [unrolled: 1-line block ×5, first 2 shown]
	v_mov_b32_e32 v78, v20
	v_mov_b32_e32 v79, v21
	;; [unrolled: 1-line block ×15, first 2 shown]
	ds_write2_b64 v84, v[78:79], v[88:89] offset0:28 offset1:29
	ds_write2_b64 v84, v[90:91], v[92:93] offset0:30 offset1:31
	;; [unrolled: 1-line block ×4, first 2 shown]
.LBB70_163:
	s_or_b32 exec_lo, exec_lo, s0
	s_mov_b32 s0, exec_lo
	s_waitcnt lgkmcnt(0)
	s_waitcnt_vscnt null, 0x0
	s_barrier
	buffer_gl0_inv
	v_cmpx_lt_i32_e32 9, v87
	s_cbranch_execz .LBB70_165
; %bb.164:
	v_mul_f64 v[54:55], v[0:1], v[54:55]
	ds_read2_b64 v[88:91], v84 offset0:10 offset1:11
	ds_read2_b64 v[92:95], v84 offset0:12 offset1:13
	;; [unrolled: 1-line block ×13, first 2 shown]
	s_waitcnt lgkmcnt(12)
	v_fma_f64 v[56:57], -v[54:55], v[88:89], v[56:57]
	v_fma_f64 v[52:53], -v[54:55], v[90:91], v[52:53]
	s_waitcnt lgkmcnt(11)
	v_fma_f64 v[50:51], -v[54:55], v[92:93], v[50:51]
	v_fma_f64 v[48:49], -v[54:55], v[94:95], v[48:49]
	;; [unrolled: 3-line block ×13, first 2 shown]
.LBB70_165:
	s_or_b32 exec_lo, exec_lo, s0
	v_lshl_add_u32 v0, v87, 3, v84
	s_barrier
	buffer_gl0_inv
	v_mov_b32_e32 v78, 10
	ds_write_b64 v0, v[56:57]
	s_waitcnt lgkmcnt(0)
	s_barrier
	buffer_gl0_inv
	ds_read_b64 v[0:1], v84 offset:80
	s_cmp_lt_i32 s7, 12
	s_cbranch_scc1 .LBB70_168
; %bb.166:
	v_add3_u32 v79, v85, 0, 0x58
	v_mov_b32_e32 v78, 10
	s_mov_b32 s0, 11
.LBB70_167:                             ; =>This Inner Loop Header: Depth=1
	ds_read_b64 v[88:89], v79
	v_add_nc_u32_e32 v79, 8, v79
	s_waitcnt lgkmcnt(0)
	v_cmp_lt_f64_e64 vcc_lo, |v[0:1]|, |v[88:89]|
	v_cndmask_b32_e32 v1, v1, v89, vcc_lo
	v_cndmask_b32_e32 v0, v0, v88, vcc_lo
	v_cndmask_b32_e64 v78, v78, s0, vcc_lo
	s_add_i32 s0, s0, 1
	s_cmp_lg_u32 s7, s0
	s_cbranch_scc1 .LBB70_167
.LBB70_168:
	s_mov_b32 s0, exec_lo
	s_waitcnt lgkmcnt(0)
	v_cmpx_eq_f64_e32 0, v[0:1]
	s_xor_b32 s0, exec_lo, s0
; %bb.169:
	v_cmp_ne_u32_e32 vcc_lo, 0, v86
	v_cndmask_b32_e32 v86, 11, v86, vcc_lo
; %bb.170:
	s_andn2_saveexec_b32 s0, s0
	s_cbranch_execz .LBB70_172
; %bb.171:
	v_div_scale_f64 v[79:80], null, v[0:1], v[0:1], 1.0
	v_rcp_f64_e32 v[88:89], v[79:80]
	v_fma_f64 v[90:91], -v[79:80], v[88:89], 1.0
	v_fma_f64 v[88:89], v[88:89], v[90:91], v[88:89]
	v_fma_f64 v[90:91], -v[79:80], v[88:89], 1.0
	v_fma_f64 v[88:89], v[88:89], v[90:91], v[88:89]
	v_div_scale_f64 v[90:91], vcc_lo, 1.0, v[0:1], 1.0
	v_mul_f64 v[92:93], v[90:91], v[88:89]
	v_fma_f64 v[79:80], -v[79:80], v[92:93], v[90:91]
	v_div_fmas_f64 v[79:80], v[79:80], v[88:89], v[92:93]
	v_div_fixup_f64 v[0:1], v[79:80], v[0:1], 1.0
.LBB70_172:
	s_or_b32 exec_lo, exec_lo, s0
	s_mov_b32 s0, exec_lo
	v_cmpx_ne_u32_e64 v87, v78
	s_xor_b32 s0, exec_lo, s0
	s_cbranch_execz .LBB70_178
; %bb.173:
	s_mov_b32 s1, exec_lo
	v_cmpx_eq_u32_e32 10, v87
	s_cbranch_execz .LBB70_177
; %bb.174:
	v_cmp_ne_u32_e32 vcc_lo, 10, v78
	s_xor_b32 s2, s6, -1
	s_and_b32 s3, s2, vcc_lo
	s_and_saveexec_b32 s2, s3
	s_cbranch_execz .LBB70_176
; %bb.175:
	v_ashrrev_i32_e32 v79, 31, v78
	v_lshlrev_b64 v[79:80], 2, v[78:79]
	v_add_co_u32 v79, vcc_lo, v4, v79
	v_add_co_ci_u32_e64 v80, null, v5, v80, vcc_lo
	s_clause 0x1
	global_load_dword v81, v[79:80], off
	global_load_dword v87, v[4:5], off offset:40
	s_waitcnt vmcnt(1)
	global_store_dword v[4:5], v81, off offset:40
	s_waitcnt vmcnt(0)
	global_store_dword v[79:80], v87, off
.LBB70_176:
	s_or_b32 exec_lo, exec_lo, s2
	v_mov_b32_e32 v81, v78
	v_mov_b32_e32 v87, v78
.LBB70_177:
	s_or_b32 exec_lo, exec_lo, s1
.LBB70_178:
	s_andn2_saveexec_b32 s0, s0
	s_cbranch_execz .LBB70_180
; %bb.179:
	v_mov_b32_e32 v87, 10
	ds_write2_b64 v84, v[52:53], v[50:51] offset0:11 offset1:12
	ds_write2_b64 v84, v[48:49], v[46:47] offset0:13 offset1:14
	;; [unrolled: 1-line block ×12, first 2 shown]
	ds_write_b64 v84, v[76:77] offset:280
.LBB70_180:
	s_or_b32 exec_lo, exec_lo, s0
	s_mov_b32 s0, exec_lo
	s_waitcnt lgkmcnt(0)
	s_waitcnt_vscnt null, 0x0
	s_barrier
	buffer_gl0_inv
	v_cmpx_lt_i32_e32 10, v87
	s_cbranch_execz .LBB70_182
; %bb.181:
	v_mul_f64 v[56:57], v[0:1], v[56:57]
	ds_read2_b64 v[88:91], v84 offset0:11 offset1:12
	ds_read2_b64 v[92:95], v84 offset0:13 offset1:14
	;; [unrolled: 1-line block ×12, first 2 shown]
	ds_read_b64 v[0:1], v84 offset:280
	s_waitcnt lgkmcnt(12)
	v_fma_f64 v[52:53], -v[56:57], v[88:89], v[52:53]
	v_fma_f64 v[50:51], -v[56:57], v[90:91], v[50:51]
	s_waitcnt lgkmcnt(11)
	v_fma_f64 v[48:49], -v[56:57], v[92:93], v[48:49]
	v_fma_f64 v[46:47], -v[56:57], v[94:95], v[46:47]
	;; [unrolled: 3-line block ×12, first 2 shown]
	s_waitcnt lgkmcnt(0)
	v_fma_f64 v[76:77], -v[56:57], v[0:1], v[76:77]
.LBB70_182:
	s_or_b32 exec_lo, exec_lo, s0
	v_lshl_add_u32 v0, v87, 3, v84
	s_barrier
	buffer_gl0_inv
	v_mov_b32_e32 v78, 11
	ds_write_b64 v0, v[52:53]
	s_waitcnt lgkmcnt(0)
	s_barrier
	buffer_gl0_inv
	ds_read_b64 v[0:1], v84 offset:88
	s_cmp_lt_i32 s7, 13
	s_cbranch_scc1 .LBB70_185
; %bb.183:
	v_add3_u32 v79, v85, 0, 0x60
	v_mov_b32_e32 v78, 11
	s_mov_b32 s0, 12
.LBB70_184:                             ; =>This Inner Loop Header: Depth=1
	ds_read_b64 v[88:89], v79
	v_add_nc_u32_e32 v79, 8, v79
	s_waitcnt lgkmcnt(0)
	v_cmp_lt_f64_e64 vcc_lo, |v[0:1]|, |v[88:89]|
	v_cndmask_b32_e32 v1, v1, v89, vcc_lo
	v_cndmask_b32_e32 v0, v0, v88, vcc_lo
	v_cndmask_b32_e64 v78, v78, s0, vcc_lo
	s_add_i32 s0, s0, 1
	s_cmp_lg_u32 s7, s0
	s_cbranch_scc1 .LBB70_184
.LBB70_185:
	s_mov_b32 s0, exec_lo
	s_waitcnt lgkmcnt(0)
	v_cmpx_eq_f64_e32 0, v[0:1]
	s_xor_b32 s0, exec_lo, s0
; %bb.186:
	v_cmp_ne_u32_e32 vcc_lo, 0, v86
	v_cndmask_b32_e32 v86, 12, v86, vcc_lo
; %bb.187:
	s_andn2_saveexec_b32 s0, s0
	s_cbranch_execz .LBB70_189
; %bb.188:
	v_div_scale_f64 v[79:80], null, v[0:1], v[0:1], 1.0
	v_rcp_f64_e32 v[88:89], v[79:80]
	v_fma_f64 v[90:91], -v[79:80], v[88:89], 1.0
	v_fma_f64 v[88:89], v[88:89], v[90:91], v[88:89]
	v_fma_f64 v[90:91], -v[79:80], v[88:89], 1.0
	v_fma_f64 v[88:89], v[88:89], v[90:91], v[88:89]
	v_div_scale_f64 v[90:91], vcc_lo, 1.0, v[0:1], 1.0
	v_mul_f64 v[92:93], v[90:91], v[88:89]
	v_fma_f64 v[79:80], -v[79:80], v[92:93], v[90:91]
	v_div_fmas_f64 v[79:80], v[79:80], v[88:89], v[92:93]
	v_div_fixup_f64 v[0:1], v[79:80], v[0:1], 1.0
.LBB70_189:
	s_or_b32 exec_lo, exec_lo, s0
	s_mov_b32 s0, exec_lo
	v_cmpx_ne_u32_e64 v87, v78
	s_xor_b32 s0, exec_lo, s0
	s_cbranch_execz .LBB70_195
; %bb.190:
	s_mov_b32 s1, exec_lo
	v_cmpx_eq_u32_e32 11, v87
	s_cbranch_execz .LBB70_194
; %bb.191:
	v_cmp_ne_u32_e32 vcc_lo, 11, v78
	s_xor_b32 s2, s6, -1
	s_and_b32 s3, s2, vcc_lo
	s_and_saveexec_b32 s2, s3
	s_cbranch_execz .LBB70_193
; %bb.192:
	v_ashrrev_i32_e32 v79, 31, v78
	v_lshlrev_b64 v[79:80], 2, v[78:79]
	v_add_co_u32 v79, vcc_lo, v4, v79
	v_add_co_ci_u32_e64 v80, null, v5, v80, vcc_lo
	s_clause 0x1
	global_load_dword v81, v[79:80], off
	global_load_dword v87, v[4:5], off offset:44
	s_waitcnt vmcnt(1)
	global_store_dword v[4:5], v81, off offset:44
	s_waitcnt vmcnt(0)
	global_store_dword v[79:80], v87, off
.LBB70_193:
	s_or_b32 exec_lo, exec_lo, s2
	v_mov_b32_e32 v81, v78
	v_mov_b32_e32 v87, v78
.LBB70_194:
	s_or_b32 exec_lo, exec_lo, s1
.LBB70_195:
	s_andn2_saveexec_b32 s0, s0
	s_cbranch_execz .LBB70_197
; %bb.196:
	v_mov_b32_e32 v78, v50
	v_mov_b32_e32 v79, v51
	;; [unrolled: 1-line block ×12, first 2 shown]
	ds_write2_b64 v84, v[78:79], v[87:88] offset0:12 offset1:13
	ds_write2_b64 v84, v[89:90], v[91:92] offset0:14 offset1:15
	;; [unrolled: 1-line block ×3, first 2 shown]
	v_mov_b32_e32 v78, v40
	v_mov_b32_e32 v79, v41
	;; [unrolled: 1-line block ×20, first 2 shown]
	ds_write2_b64 v84, v[78:79], v[87:88] offset0:18 offset1:19
	ds_write2_b64 v84, v[89:90], v[91:92] offset0:20 offset1:21
	ds_write2_b64 v84, v[93:94], v[95:96] offset0:22 offset1:23
	ds_write2_b64 v84, v[97:98], v[99:100] offset0:24 offset1:25
	ds_write2_b64 v84, v[101:102], v[103:104] offset0:26 offset1:27
	v_mov_b32_e32 v78, v20
	v_mov_b32_e32 v79, v21
	;; [unrolled: 1-line block ×15, first 2 shown]
	ds_write2_b64 v84, v[78:79], v[88:89] offset0:28 offset1:29
	ds_write2_b64 v84, v[90:91], v[92:93] offset0:30 offset1:31
	;; [unrolled: 1-line block ×4, first 2 shown]
.LBB70_197:
	s_or_b32 exec_lo, exec_lo, s0
	s_mov_b32 s0, exec_lo
	s_waitcnt lgkmcnt(0)
	s_waitcnt_vscnt null, 0x0
	s_barrier
	buffer_gl0_inv
	v_cmpx_lt_i32_e32 11, v87
	s_cbranch_execz .LBB70_199
; %bb.198:
	v_mul_f64 v[52:53], v[0:1], v[52:53]
	ds_read2_b64 v[88:91], v84 offset0:12 offset1:13
	ds_read2_b64 v[92:95], v84 offset0:14 offset1:15
	;; [unrolled: 1-line block ×12, first 2 shown]
	s_waitcnt lgkmcnt(11)
	v_fma_f64 v[50:51], -v[52:53], v[88:89], v[50:51]
	v_fma_f64 v[48:49], -v[52:53], v[90:91], v[48:49]
	s_waitcnt lgkmcnt(10)
	v_fma_f64 v[46:47], -v[52:53], v[92:93], v[46:47]
	v_fma_f64 v[44:45], -v[52:53], v[94:95], v[44:45]
	;; [unrolled: 3-line block ×12, first 2 shown]
.LBB70_199:
	s_or_b32 exec_lo, exec_lo, s0
	v_lshl_add_u32 v0, v87, 3, v84
	s_barrier
	buffer_gl0_inv
	v_mov_b32_e32 v78, 12
	ds_write_b64 v0, v[50:51]
	s_waitcnt lgkmcnt(0)
	s_barrier
	buffer_gl0_inv
	ds_read_b64 v[0:1], v84 offset:96
	s_cmp_lt_i32 s7, 14
	s_cbranch_scc1 .LBB70_202
; %bb.200:
	v_add3_u32 v79, v85, 0, 0x68
	v_mov_b32_e32 v78, 12
	s_mov_b32 s0, 13
.LBB70_201:                             ; =>This Inner Loop Header: Depth=1
	ds_read_b64 v[88:89], v79
	v_add_nc_u32_e32 v79, 8, v79
	s_waitcnt lgkmcnt(0)
	v_cmp_lt_f64_e64 vcc_lo, |v[0:1]|, |v[88:89]|
	v_cndmask_b32_e32 v1, v1, v89, vcc_lo
	v_cndmask_b32_e32 v0, v0, v88, vcc_lo
	v_cndmask_b32_e64 v78, v78, s0, vcc_lo
	s_add_i32 s0, s0, 1
	s_cmp_lg_u32 s7, s0
	s_cbranch_scc1 .LBB70_201
.LBB70_202:
	s_mov_b32 s0, exec_lo
	s_waitcnt lgkmcnt(0)
	v_cmpx_eq_f64_e32 0, v[0:1]
	s_xor_b32 s0, exec_lo, s0
; %bb.203:
	v_cmp_ne_u32_e32 vcc_lo, 0, v86
	v_cndmask_b32_e32 v86, 13, v86, vcc_lo
; %bb.204:
	s_andn2_saveexec_b32 s0, s0
	s_cbranch_execz .LBB70_206
; %bb.205:
	v_div_scale_f64 v[79:80], null, v[0:1], v[0:1], 1.0
	v_rcp_f64_e32 v[88:89], v[79:80]
	v_fma_f64 v[90:91], -v[79:80], v[88:89], 1.0
	v_fma_f64 v[88:89], v[88:89], v[90:91], v[88:89]
	v_fma_f64 v[90:91], -v[79:80], v[88:89], 1.0
	v_fma_f64 v[88:89], v[88:89], v[90:91], v[88:89]
	v_div_scale_f64 v[90:91], vcc_lo, 1.0, v[0:1], 1.0
	v_mul_f64 v[92:93], v[90:91], v[88:89]
	v_fma_f64 v[79:80], -v[79:80], v[92:93], v[90:91]
	v_div_fmas_f64 v[79:80], v[79:80], v[88:89], v[92:93]
	v_div_fixup_f64 v[0:1], v[79:80], v[0:1], 1.0
.LBB70_206:
	s_or_b32 exec_lo, exec_lo, s0
	s_mov_b32 s0, exec_lo
	v_cmpx_ne_u32_e64 v87, v78
	s_xor_b32 s0, exec_lo, s0
	s_cbranch_execz .LBB70_212
; %bb.207:
	s_mov_b32 s1, exec_lo
	v_cmpx_eq_u32_e32 12, v87
	s_cbranch_execz .LBB70_211
; %bb.208:
	v_cmp_ne_u32_e32 vcc_lo, 12, v78
	s_xor_b32 s2, s6, -1
	s_and_b32 s3, s2, vcc_lo
	s_and_saveexec_b32 s2, s3
	s_cbranch_execz .LBB70_210
; %bb.209:
	v_ashrrev_i32_e32 v79, 31, v78
	v_lshlrev_b64 v[79:80], 2, v[78:79]
	v_add_co_u32 v79, vcc_lo, v4, v79
	v_add_co_ci_u32_e64 v80, null, v5, v80, vcc_lo
	s_clause 0x1
	global_load_dword v81, v[79:80], off
	global_load_dword v87, v[4:5], off offset:48
	s_waitcnt vmcnt(1)
	global_store_dword v[4:5], v81, off offset:48
	s_waitcnt vmcnt(0)
	global_store_dword v[79:80], v87, off
.LBB70_210:
	s_or_b32 exec_lo, exec_lo, s2
	v_mov_b32_e32 v81, v78
	v_mov_b32_e32 v87, v78
.LBB70_211:
	s_or_b32 exec_lo, exec_lo, s1
.LBB70_212:
	s_andn2_saveexec_b32 s0, s0
	s_cbranch_execz .LBB70_214
; %bb.213:
	v_mov_b32_e32 v87, 12
	ds_write2_b64 v84, v[48:49], v[46:47] offset0:13 offset1:14
	ds_write2_b64 v84, v[44:45], v[42:43] offset0:15 offset1:16
	;; [unrolled: 1-line block ×11, first 2 shown]
	ds_write_b64 v84, v[76:77] offset:280
.LBB70_214:
	s_or_b32 exec_lo, exec_lo, s0
	s_mov_b32 s0, exec_lo
	s_waitcnt lgkmcnt(0)
	s_waitcnt_vscnt null, 0x0
	s_barrier
	buffer_gl0_inv
	v_cmpx_lt_i32_e32 12, v87
	s_cbranch_execz .LBB70_216
; %bb.215:
	v_mul_f64 v[50:51], v[0:1], v[50:51]
	ds_read2_b64 v[88:91], v84 offset0:13 offset1:14
	ds_read2_b64 v[92:95], v84 offset0:15 offset1:16
	;; [unrolled: 1-line block ×11, first 2 shown]
	ds_read_b64 v[0:1], v84 offset:280
	s_waitcnt lgkmcnt(11)
	v_fma_f64 v[48:49], -v[50:51], v[88:89], v[48:49]
	v_fma_f64 v[46:47], -v[50:51], v[90:91], v[46:47]
	s_waitcnt lgkmcnt(10)
	v_fma_f64 v[44:45], -v[50:51], v[92:93], v[44:45]
	v_fma_f64 v[42:43], -v[50:51], v[94:95], v[42:43]
	;; [unrolled: 3-line block ×11, first 2 shown]
	s_waitcnt lgkmcnt(0)
	v_fma_f64 v[76:77], -v[50:51], v[0:1], v[76:77]
.LBB70_216:
	s_or_b32 exec_lo, exec_lo, s0
	v_lshl_add_u32 v0, v87, 3, v84
	s_barrier
	buffer_gl0_inv
	v_mov_b32_e32 v78, 13
	ds_write_b64 v0, v[48:49]
	s_waitcnt lgkmcnt(0)
	s_barrier
	buffer_gl0_inv
	ds_read_b64 v[0:1], v84 offset:104
	s_cmp_lt_i32 s7, 15
	s_cbranch_scc1 .LBB70_219
; %bb.217:
	v_add3_u32 v79, v85, 0, 0x70
	v_mov_b32_e32 v78, 13
	s_mov_b32 s0, 14
.LBB70_218:                             ; =>This Inner Loop Header: Depth=1
	ds_read_b64 v[88:89], v79
	v_add_nc_u32_e32 v79, 8, v79
	s_waitcnt lgkmcnt(0)
	v_cmp_lt_f64_e64 vcc_lo, |v[0:1]|, |v[88:89]|
	v_cndmask_b32_e32 v1, v1, v89, vcc_lo
	v_cndmask_b32_e32 v0, v0, v88, vcc_lo
	v_cndmask_b32_e64 v78, v78, s0, vcc_lo
	s_add_i32 s0, s0, 1
	s_cmp_lg_u32 s7, s0
	s_cbranch_scc1 .LBB70_218
.LBB70_219:
	s_mov_b32 s0, exec_lo
	s_waitcnt lgkmcnt(0)
	v_cmpx_eq_f64_e32 0, v[0:1]
	s_xor_b32 s0, exec_lo, s0
; %bb.220:
	v_cmp_ne_u32_e32 vcc_lo, 0, v86
	v_cndmask_b32_e32 v86, 14, v86, vcc_lo
; %bb.221:
	s_andn2_saveexec_b32 s0, s0
	s_cbranch_execz .LBB70_223
; %bb.222:
	v_div_scale_f64 v[79:80], null, v[0:1], v[0:1], 1.0
	v_rcp_f64_e32 v[88:89], v[79:80]
	v_fma_f64 v[90:91], -v[79:80], v[88:89], 1.0
	v_fma_f64 v[88:89], v[88:89], v[90:91], v[88:89]
	v_fma_f64 v[90:91], -v[79:80], v[88:89], 1.0
	v_fma_f64 v[88:89], v[88:89], v[90:91], v[88:89]
	v_div_scale_f64 v[90:91], vcc_lo, 1.0, v[0:1], 1.0
	v_mul_f64 v[92:93], v[90:91], v[88:89]
	v_fma_f64 v[79:80], -v[79:80], v[92:93], v[90:91]
	v_div_fmas_f64 v[79:80], v[79:80], v[88:89], v[92:93]
	v_div_fixup_f64 v[0:1], v[79:80], v[0:1], 1.0
.LBB70_223:
	s_or_b32 exec_lo, exec_lo, s0
	s_mov_b32 s0, exec_lo
	v_cmpx_ne_u32_e64 v87, v78
	s_xor_b32 s0, exec_lo, s0
	s_cbranch_execz .LBB70_229
; %bb.224:
	s_mov_b32 s1, exec_lo
	v_cmpx_eq_u32_e32 13, v87
	s_cbranch_execz .LBB70_228
; %bb.225:
	v_cmp_ne_u32_e32 vcc_lo, 13, v78
	s_xor_b32 s2, s6, -1
	s_and_b32 s3, s2, vcc_lo
	s_and_saveexec_b32 s2, s3
	s_cbranch_execz .LBB70_227
; %bb.226:
	v_ashrrev_i32_e32 v79, 31, v78
	v_lshlrev_b64 v[79:80], 2, v[78:79]
	v_add_co_u32 v79, vcc_lo, v4, v79
	v_add_co_ci_u32_e64 v80, null, v5, v80, vcc_lo
	s_clause 0x1
	global_load_dword v81, v[79:80], off
	global_load_dword v87, v[4:5], off offset:52
	s_waitcnt vmcnt(1)
	global_store_dword v[4:5], v81, off offset:52
	s_waitcnt vmcnt(0)
	global_store_dword v[79:80], v87, off
.LBB70_227:
	s_or_b32 exec_lo, exec_lo, s2
	v_mov_b32_e32 v81, v78
	v_mov_b32_e32 v87, v78
.LBB70_228:
	s_or_b32 exec_lo, exec_lo, s1
.LBB70_229:
	s_andn2_saveexec_b32 s0, s0
	s_cbranch_execz .LBB70_231
; %bb.230:
	v_mov_b32_e32 v78, v46
	v_mov_b32_e32 v79, v47
	;; [unrolled: 1-line block ×8, first 2 shown]
	ds_write2_b64 v84, v[78:79], v[87:88] offset0:14 offset1:15
	ds_write2_b64 v84, v[89:90], v[91:92] offset0:16 offset1:17
	v_mov_b32_e32 v78, v40
	v_mov_b32_e32 v79, v41
	;; [unrolled: 1-line block ×20, first 2 shown]
	ds_write2_b64 v84, v[78:79], v[87:88] offset0:18 offset1:19
	ds_write2_b64 v84, v[89:90], v[91:92] offset0:20 offset1:21
	;; [unrolled: 1-line block ×5, first 2 shown]
	v_mov_b32_e32 v78, v20
	v_mov_b32_e32 v79, v21
	;; [unrolled: 1-line block ×15, first 2 shown]
	ds_write2_b64 v84, v[78:79], v[88:89] offset0:28 offset1:29
	ds_write2_b64 v84, v[90:91], v[92:93] offset0:30 offset1:31
	;; [unrolled: 1-line block ×4, first 2 shown]
.LBB70_231:
	s_or_b32 exec_lo, exec_lo, s0
	s_mov_b32 s0, exec_lo
	s_waitcnt lgkmcnt(0)
	s_waitcnt_vscnt null, 0x0
	s_barrier
	buffer_gl0_inv
	v_cmpx_lt_i32_e32 13, v87
	s_cbranch_execz .LBB70_233
; %bb.232:
	v_mul_f64 v[48:49], v[0:1], v[48:49]
	ds_read2_b64 v[88:91], v84 offset0:14 offset1:15
	ds_read2_b64 v[92:95], v84 offset0:16 offset1:17
	;; [unrolled: 1-line block ×11, first 2 shown]
	s_waitcnt lgkmcnt(10)
	v_fma_f64 v[46:47], -v[48:49], v[88:89], v[46:47]
	v_fma_f64 v[44:45], -v[48:49], v[90:91], v[44:45]
	s_waitcnt lgkmcnt(9)
	v_fma_f64 v[42:43], -v[48:49], v[92:93], v[42:43]
	v_fma_f64 v[38:39], -v[48:49], v[94:95], v[38:39]
	s_waitcnt lgkmcnt(8)
	v_fma_f64 v[40:41], -v[48:49], v[96:97], v[40:41]
	v_fma_f64 v[34:35], -v[48:49], v[98:99], v[34:35]
	s_waitcnt lgkmcnt(7)
	v_fma_f64 v[36:37], -v[48:49], v[100:101], v[36:37]
	v_fma_f64 v[32:33], -v[48:49], v[102:103], v[32:33]
	s_waitcnt lgkmcnt(6)
	v_fma_f64 v[30:31], -v[48:49], v[104:105], v[30:31]
	v_fma_f64 v[28:29], -v[48:49], v[106:107], v[28:29]
	s_waitcnt lgkmcnt(5)
	v_fma_f64 v[26:27], -v[48:49], v[108:109], v[26:27]
	v_fma_f64 v[24:25], -v[48:49], v[110:111], v[24:25]
	s_waitcnt lgkmcnt(4)
	v_fma_f64 v[22:23], -v[48:49], v[112:113], v[22:23]
	v_fma_f64 v[18:19], -v[48:49], v[114:115], v[18:19]
	s_waitcnt lgkmcnt(3)
	v_fma_f64 v[20:21], -v[48:49], v[116:117], v[20:21]
	v_fma_f64 v[16:17], -v[48:49], v[118:119], v[16:17]
	s_waitcnt lgkmcnt(2)
	v_fma_f64 v[14:15], -v[48:49], v[120:121], v[14:15]
	v_fma_f64 v[8:9], -v[48:49], v[122:123], v[8:9]
	s_waitcnt lgkmcnt(1)
	v_fma_f64 v[12:13], -v[48:49], v[124:125], v[12:13]
	v_fma_f64 v[6:7], -v[48:49], v[126:127], v[6:7]
	s_waitcnt lgkmcnt(0)
	v_fma_f64 v[10:11], -v[48:49], v[128:129], v[10:11]
	v_fma_f64 v[76:77], -v[48:49], v[130:131], v[76:77]
.LBB70_233:
	s_or_b32 exec_lo, exec_lo, s0
	v_lshl_add_u32 v0, v87, 3, v84
	s_barrier
	buffer_gl0_inv
	v_mov_b32_e32 v78, 14
	ds_write_b64 v0, v[46:47]
	s_waitcnt lgkmcnt(0)
	s_barrier
	buffer_gl0_inv
	ds_read_b64 v[0:1], v84 offset:112
	s_cmp_lt_i32 s7, 16
	s_cbranch_scc1 .LBB70_236
; %bb.234:
	v_add3_u32 v79, v85, 0, 0x78
	v_mov_b32_e32 v78, 14
	s_mov_b32 s0, 15
.LBB70_235:                             ; =>This Inner Loop Header: Depth=1
	ds_read_b64 v[88:89], v79
	v_add_nc_u32_e32 v79, 8, v79
	s_waitcnt lgkmcnt(0)
	v_cmp_lt_f64_e64 vcc_lo, |v[0:1]|, |v[88:89]|
	v_cndmask_b32_e32 v1, v1, v89, vcc_lo
	v_cndmask_b32_e32 v0, v0, v88, vcc_lo
	v_cndmask_b32_e64 v78, v78, s0, vcc_lo
	s_add_i32 s0, s0, 1
	s_cmp_lg_u32 s7, s0
	s_cbranch_scc1 .LBB70_235
.LBB70_236:
	s_mov_b32 s0, exec_lo
	s_waitcnt lgkmcnt(0)
	v_cmpx_eq_f64_e32 0, v[0:1]
	s_xor_b32 s0, exec_lo, s0
; %bb.237:
	v_cmp_ne_u32_e32 vcc_lo, 0, v86
	v_cndmask_b32_e32 v86, 15, v86, vcc_lo
; %bb.238:
	s_andn2_saveexec_b32 s0, s0
	s_cbranch_execz .LBB70_240
; %bb.239:
	v_div_scale_f64 v[79:80], null, v[0:1], v[0:1], 1.0
	v_rcp_f64_e32 v[88:89], v[79:80]
	v_fma_f64 v[90:91], -v[79:80], v[88:89], 1.0
	v_fma_f64 v[88:89], v[88:89], v[90:91], v[88:89]
	v_fma_f64 v[90:91], -v[79:80], v[88:89], 1.0
	v_fma_f64 v[88:89], v[88:89], v[90:91], v[88:89]
	v_div_scale_f64 v[90:91], vcc_lo, 1.0, v[0:1], 1.0
	v_mul_f64 v[92:93], v[90:91], v[88:89]
	v_fma_f64 v[79:80], -v[79:80], v[92:93], v[90:91]
	v_div_fmas_f64 v[79:80], v[79:80], v[88:89], v[92:93]
	v_div_fixup_f64 v[0:1], v[79:80], v[0:1], 1.0
.LBB70_240:
	s_or_b32 exec_lo, exec_lo, s0
	s_mov_b32 s0, exec_lo
	v_cmpx_ne_u32_e64 v87, v78
	s_xor_b32 s0, exec_lo, s0
	s_cbranch_execz .LBB70_246
; %bb.241:
	s_mov_b32 s1, exec_lo
	v_cmpx_eq_u32_e32 14, v87
	s_cbranch_execz .LBB70_245
; %bb.242:
	v_cmp_ne_u32_e32 vcc_lo, 14, v78
	s_xor_b32 s2, s6, -1
	s_and_b32 s3, s2, vcc_lo
	s_and_saveexec_b32 s2, s3
	s_cbranch_execz .LBB70_244
; %bb.243:
	v_ashrrev_i32_e32 v79, 31, v78
	v_lshlrev_b64 v[79:80], 2, v[78:79]
	v_add_co_u32 v79, vcc_lo, v4, v79
	v_add_co_ci_u32_e64 v80, null, v5, v80, vcc_lo
	s_clause 0x1
	global_load_dword v81, v[79:80], off
	global_load_dword v87, v[4:5], off offset:56
	s_waitcnt vmcnt(1)
	global_store_dword v[4:5], v81, off offset:56
	s_waitcnt vmcnt(0)
	global_store_dword v[79:80], v87, off
.LBB70_244:
	s_or_b32 exec_lo, exec_lo, s2
	v_mov_b32_e32 v81, v78
	v_mov_b32_e32 v87, v78
.LBB70_245:
	s_or_b32 exec_lo, exec_lo, s1
.LBB70_246:
	s_andn2_saveexec_b32 s0, s0
	s_cbranch_execz .LBB70_248
; %bb.247:
	v_mov_b32_e32 v87, 14
	ds_write2_b64 v84, v[44:45], v[42:43] offset0:15 offset1:16
	ds_write2_b64 v84, v[38:39], v[40:41] offset0:17 offset1:18
	;; [unrolled: 1-line block ×10, first 2 shown]
	ds_write_b64 v84, v[76:77] offset:280
.LBB70_248:
	s_or_b32 exec_lo, exec_lo, s0
	s_mov_b32 s0, exec_lo
	s_waitcnt lgkmcnt(0)
	s_waitcnt_vscnt null, 0x0
	s_barrier
	buffer_gl0_inv
	v_cmpx_lt_i32_e32 14, v87
	s_cbranch_execz .LBB70_250
; %bb.249:
	v_mul_f64 v[46:47], v[0:1], v[46:47]
	ds_read2_b64 v[88:91], v84 offset0:15 offset1:16
	ds_read2_b64 v[92:95], v84 offset0:17 offset1:18
	;; [unrolled: 1-line block ×10, first 2 shown]
	ds_read_b64 v[0:1], v84 offset:280
	s_waitcnt lgkmcnt(10)
	v_fma_f64 v[44:45], -v[46:47], v[88:89], v[44:45]
	v_fma_f64 v[42:43], -v[46:47], v[90:91], v[42:43]
	s_waitcnt lgkmcnt(9)
	v_fma_f64 v[38:39], -v[46:47], v[92:93], v[38:39]
	v_fma_f64 v[40:41], -v[46:47], v[94:95], v[40:41]
	;; [unrolled: 3-line block ×10, first 2 shown]
	s_waitcnt lgkmcnt(0)
	v_fma_f64 v[76:77], -v[46:47], v[0:1], v[76:77]
.LBB70_250:
	s_or_b32 exec_lo, exec_lo, s0
	v_lshl_add_u32 v0, v87, 3, v84
	s_barrier
	buffer_gl0_inv
	v_mov_b32_e32 v78, 15
	ds_write_b64 v0, v[44:45]
	s_waitcnt lgkmcnt(0)
	s_barrier
	buffer_gl0_inv
	ds_read_b64 v[0:1], v84 offset:120
	s_cmp_lt_i32 s7, 17
	s_cbranch_scc1 .LBB70_253
; %bb.251:
	v_add3_u32 v79, v85, 0, 0x80
	v_mov_b32_e32 v78, 15
	s_mov_b32 s0, 16
.LBB70_252:                             ; =>This Inner Loop Header: Depth=1
	ds_read_b64 v[88:89], v79
	v_add_nc_u32_e32 v79, 8, v79
	s_waitcnt lgkmcnt(0)
	v_cmp_lt_f64_e64 vcc_lo, |v[0:1]|, |v[88:89]|
	v_cndmask_b32_e32 v1, v1, v89, vcc_lo
	v_cndmask_b32_e32 v0, v0, v88, vcc_lo
	v_cndmask_b32_e64 v78, v78, s0, vcc_lo
	s_add_i32 s0, s0, 1
	s_cmp_lg_u32 s7, s0
	s_cbranch_scc1 .LBB70_252
.LBB70_253:
	s_mov_b32 s0, exec_lo
	s_waitcnt lgkmcnt(0)
	v_cmpx_eq_f64_e32 0, v[0:1]
	s_xor_b32 s0, exec_lo, s0
; %bb.254:
	v_cmp_ne_u32_e32 vcc_lo, 0, v86
	v_cndmask_b32_e32 v86, 16, v86, vcc_lo
; %bb.255:
	s_andn2_saveexec_b32 s0, s0
	s_cbranch_execz .LBB70_257
; %bb.256:
	v_div_scale_f64 v[79:80], null, v[0:1], v[0:1], 1.0
	v_rcp_f64_e32 v[88:89], v[79:80]
	v_fma_f64 v[90:91], -v[79:80], v[88:89], 1.0
	v_fma_f64 v[88:89], v[88:89], v[90:91], v[88:89]
	v_fma_f64 v[90:91], -v[79:80], v[88:89], 1.0
	v_fma_f64 v[88:89], v[88:89], v[90:91], v[88:89]
	v_div_scale_f64 v[90:91], vcc_lo, 1.0, v[0:1], 1.0
	v_mul_f64 v[92:93], v[90:91], v[88:89]
	v_fma_f64 v[79:80], -v[79:80], v[92:93], v[90:91]
	v_div_fmas_f64 v[79:80], v[79:80], v[88:89], v[92:93]
	v_div_fixup_f64 v[0:1], v[79:80], v[0:1], 1.0
.LBB70_257:
	s_or_b32 exec_lo, exec_lo, s0
	s_mov_b32 s0, exec_lo
	v_cmpx_ne_u32_e64 v87, v78
	s_xor_b32 s0, exec_lo, s0
	s_cbranch_execz .LBB70_263
; %bb.258:
	s_mov_b32 s1, exec_lo
	v_cmpx_eq_u32_e32 15, v87
	s_cbranch_execz .LBB70_262
; %bb.259:
	v_cmp_ne_u32_e32 vcc_lo, 15, v78
	s_xor_b32 s2, s6, -1
	s_and_b32 s3, s2, vcc_lo
	s_and_saveexec_b32 s2, s3
	s_cbranch_execz .LBB70_261
; %bb.260:
	v_ashrrev_i32_e32 v79, 31, v78
	v_lshlrev_b64 v[79:80], 2, v[78:79]
	v_add_co_u32 v79, vcc_lo, v4, v79
	v_add_co_ci_u32_e64 v80, null, v5, v80, vcc_lo
	s_clause 0x1
	global_load_dword v81, v[79:80], off
	global_load_dword v87, v[4:5], off offset:60
	s_waitcnt vmcnt(1)
	global_store_dword v[4:5], v81, off offset:60
	s_waitcnt vmcnt(0)
	global_store_dword v[79:80], v87, off
.LBB70_261:
	s_or_b32 exec_lo, exec_lo, s2
	v_mov_b32_e32 v81, v78
	v_mov_b32_e32 v87, v78
.LBB70_262:
	s_or_b32 exec_lo, exec_lo, s1
.LBB70_263:
	s_andn2_saveexec_b32 s0, s0
	s_cbranch_execz .LBB70_265
; %bb.264:
	v_mov_b32_e32 v78, v42
	v_mov_b32_e32 v79, v43
	;; [unrolled: 1-line block ×8, first 2 shown]
	ds_write2_b64 v84, v[78:79], v[87:88] offset0:16 offset1:17
	v_mov_b32_e32 v78, v34
	v_mov_b32_e32 v79, v35
	;; [unrolled: 1-line block ×16, first 2 shown]
	ds_write2_b64 v84, v[89:90], v[78:79] offset0:18 offset1:19
	ds_write2_b64 v84, v[87:88], v[91:92] offset0:20 offset1:21
	;; [unrolled: 1-line block ×5, first 2 shown]
	v_mov_b32_e32 v78, v20
	v_mov_b32_e32 v79, v21
	;; [unrolled: 1-line block ×15, first 2 shown]
	ds_write2_b64 v84, v[78:79], v[88:89] offset0:28 offset1:29
	ds_write2_b64 v84, v[90:91], v[92:93] offset0:30 offset1:31
	;; [unrolled: 1-line block ×4, first 2 shown]
.LBB70_265:
	s_or_b32 exec_lo, exec_lo, s0
	s_mov_b32 s0, exec_lo
	s_waitcnt lgkmcnt(0)
	s_waitcnt_vscnt null, 0x0
	s_barrier
	buffer_gl0_inv
	v_cmpx_lt_i32_e32 15, v87
	s_cbranch_execz .LBB70_267
; %bb.266:
	v_mul_f64 v[44:45], v[0:1], v[44:45]
	ds_read2_b64 v[88:91], v84 offset0:16 offset1:17
	ds_read2_b64 v[92:95], v84 offset0:18 offset1:19
	;; [unrolled: 1-line block ×10, first 2 shown]
	s_waitcnt lgkmcnt(9)
	v_fma_f64 v[42:43], -v[44:45], v[88:89], v[42:43]
	v_fma_f64 v[38:39], -v[44:45], v[90:91], v[38:39]
	s_waitcnt lgkmcnt(8)
	v_fma_f64 v[40:41], -v[44:45], v[92:93], v[40:41]
	v_fma_f64 v[34:35], -v[44:45], v[94:95], v[34:35]
	;; [unrolled: 3-line block ×10, first 2 shown]
.LBB70_267:
	s_or_b32 exec_lo, exec_lo, s0
	v_lshl_add_u32 v0, v87, 3, v84
	s_barrier
	buffer_gl0_inv
	v_mov_b32_e32 v78, 16
	ds_write_b64 v0, v[42:43]
	s_waitcnt lgkmcnt(0)
	s_barrier
	buffer_gl0_inv
	ds_read_b64 v[0:1], v84 offset:128
	s_cmp_lt_i32 s7, 18
	s_cbranch_scc1 .LBB70_270
; %bb.268:
	v_add3_u32 v79, v85, 0, 0x88
	v_mov_b32_e32 v78, 16
	s_mov_b32 s0, 17
.LBB70_269:                             ; =>This Inner Loop Header: Depth=1
	ds_read_b64 v[88:89], v79
	v_add_nc_u32_e32 v79, 8, v79
	s_waitcnt lgkmcnt(0)
	v_cmp_lt_f64_e64 vcc_lo, |v[0:1]|, |v[88:89]|
	v_cndmask_b32_e32 v1, v1, v89, vcc_lo
	v_cndmask_b32_e32 v0, v0, v88, vcc_lo
	v_cndmask_b32_e64 v78, v78, s0, vcc_lo
	s_add_i32 s0, s0, 1
	s_cmp_lg_u32 s7, s0
	s_cbranch_scc1 .LBB70_269
.LBB70_270:
	s_mov_b32 s0, exec_lo
	s_waitcnt lgkmcnt(0)
	v_cmpx_eq_f64_e32 0, v[0:1]
	s_xor_b32 s0, exec_lo, s0
; %bb.271:
	v_cmp_ne_u32_e32 vcc_lo, 0, v86
	v_cndmask_b32_e32 v86, 17, v86, vcc_lo
; %bb.272:
	s_andn2_saveexec_b32 s0, s0
	s_cbranch_execz .LBB70_274
; %bb.273:
	v_div_scale_f64 v[79:80], null, v[0:1], v[0:1], 1.0
	v_rcp_f64_e32 v[88:89], v[79:80]
	v_fma_f64 v[90:91], -v[79:80], v[88:89], 1.0
	v_fma_f64 v[88:89], v[88:89], v[90:91], v[88:89]
	v_fma_f64 v[90:91], -v[79:80], v[88:89], 1.0
	v_fma_f64 v[88:89], v[88:89], v[90:91], v[88:89]
	v_div_scale_f64 v[90:91], vcc_lo, 1.0, v[0:1], 1.0
	v_mul_f64 v[92:93], v[90:91], v[88:89]
	v_fma_f64 v[79:80], -v[79:80], v[92:93], v[90:91]
	v_div_fmas_f64 v[79:80], v[79:80], v[88:89], v[92:93]
	v_div_fixup_f64 v[0:1], v[79:80], v[0:1], 1.0
.LBB70_274:
	s_or_b32 exec_lo, exec_lo, s0
	s_mov_b32 s0, exec_lo
	v_cmpx_ne_u32_e64 v87, v78
	s_xor_b32 s0, exec_lo, s0
	s_cbranch_execz .LBB70_280
; %bb.275:
	s_mov_b32 s1, exec_lo
	v_cmpx_eq_u32_e32 16, v87
	s_cbranch_execz .LBB70_279
; %bb.276:
	v_cmp_ne_u32_e32 vcc_lo, 16, v78
	s_xor_b32 s2, s6, -1
	s_and_b32 s3, s2, vcc_lo
	s_and_saveexec_b32 s2, s3
	s_cbranch_execz .LBB70_278
; %bb.277:
	v_ashrrev_i32_e32 v79, 31, v78
	v_lshlrev_b64 v[79:80], 2, v[78:79]
	v_add_co_u32 v79, vcc_lo, v4, v79
	v_add_co_ci_u32_e64 v80, null, v5, v80, vcc_lo
	s_clause 0x1
	global_load_dword v81, v[79:80], off
	global_load_dword v87, v[4:5], off offset:64
	s_waitcnt vmcnt(1)
	global_store_dword v[4:5], v81, off offset:64
	s_waitcnt vmcnt(0)
	global_store_dword v[79:80], v87, off
.LBB70_278:
	s_or_b32 exec_lo, exec_lo, s2
	v_mov_b32_e32 v81, v78
	v_mov_b32_e32 v87, v78
.LBB70_279:
	s_or_b32 exec_lo, exec_lo, s1
.LBB70_280:
	s_andn2_saveexec_b32 s0, s0
	s_cbranch_execz .LBB70_282
; %bb.281:
	v_mov_b32_e32 v87, 16
	ds_write2_b64 v84, v[38:39], v[40:41] offset0:17 offset1:18
	ds_write2_b64 v84, v[34:35], v[36:37] offset0:19 offset1:20
	;; [unrolled: 1-line block ×9, first 2 shown]
	ds_write_b64 v84, v[76:77] offset:280
.LBB70_282:
	s_or_b32 exec_lo, exec_lo, s0
	s_mov_b32 s0, exec_lo
	s_waitcnt lgkmcnt(0)
	s_waitcnt_vscnt null, 0x0
	s_barrier
	buffer_gl0_inv
	v_cmpx_lt_i32_e32 16, v87
	s_cbranch_execz .LBB70_284
; %bb.283:
	v_mul_f64 v[42:43], v[0:1], v[42:43]
	ds_read2_b64 v[88:91], v84 offset0:17 offset1:18
	ds_read2_b64 v[92:95], v84 offset0:19 offset1:20
	;; [unrolled: 1-line block ×9, first 2 shown]
	ds_read_b64 v[0:1], v84 offset:280
	s_waitcnt lgkmcnt(9)
	v_fma_f64 v[38:39], -v[42:43], v[88:89], v[38:39]
	v_fma_f64 v[40:41], -v[42:43], v[90:91], v[40:41]
	s_waitcnt lgkmcnt(8)
	v_fma_f64 v[34:35], -v[42:43], v[92:93], v[34:35]
	v_fma_f64 v[36:37], -v[42:43], v[94:95], v[36:37]
	;; [unrolled: 3-line block ×9, first 2 shown]
	s_waitcnt lgkmcnt(0)
	v_fma_f64 v[76:77], -v[42:43], v[0:1], v[76:77]
.LBB70_284:
	s_or_b32 exec_lo, exec_lo, s0
	v_lshl_add_u32 v0, v87, 3, v84
	s_barrier
	buffer_gl0_inv
	v_mov_b32_e32 v78, 17
	ds_write_b64 v0, v[38:39]
	s_waitcnt lgkmcnt(0)
	s_barrier
	buffer_gl0_inv
	ds_read_b64 v[0:1], v84 offset:136
	s_cmp_lt_i32 s7, 19
	s_cbranch_scc1 .LBB70_287
; %bb.285:
	v_add3_u32 v79, v85, 0, 0x90
	v_mov_b32_e32 v78, 17
	s_mov_b32 s0, 18
.LBB70_286:                             ; =>This Inner Loop Header: Depth=1
	ds_read_b64 v[88:89], v79
	v_add_nc_u32_e32 v79, 8, v79
	s_waitcnt lgkmcnt(0)
	v_cmp_lt_f64_e64 vcc_lo, |v[0:1]|, |v[88:89]|
	v_cndmask_b32_e32 v1, v1, v89, vcc_lo
	v_cndmask_b32_e32 v0, v0, v88, vcc_lo
	v_cndmask_b32_e64 v78, v78, s0, vcc_lo
	s_add_i32 s0, s0, 1
	s_cmp_lg_u32 s7, s0
	s_cbranch_scc1 .LBB70_286
.LBB70_287:
	s_mov_b32 s0, exec_lo
	s_waitcnt lgkmcnt(0)
	v_cmpx_eq_f64_e32 0, v[0:1]
	s_xor_b32 s0, exec_lo, s0
; %bb.288:
	v_cmp_ne_u32_e32 vcc_lo, 0, v86
	v_cndmask_b32_e32 v86, 18, v86, vcc_lo
; %bb.289:
	s_andn2_saveexec_b32 s0, s0
	s_cbranch_execz .LBB70_291
; %bb.290:
	v_div_scale_f64 v[79:80], null, v[0:1], v[0:1], 1.0
	v_rcp_f64_e32 v[88:89], v[79:80]
	v_fma_f64 v[90:91], -v[79:80], v[88:89], 1.0
	v_fma_f64 v[88:89], v[88:89], v[90:91], v[88:89]
	v_fma_f64 v[90:91], -v[79:80], v[88:89], 1.0
	v_fma_f64 v[88:89], v[88:89], v[90:91], v[88:89]
	v_div_scale_f64 v[90:91], vcc_lo, 1.0, v[0:1], 1.0
	v_mul_f64 v[92:93], v[90:91], v[88:89]
	v_fma_f64 v[79:80], -v[79:80], v[92:93], v[90:91]
	v_div_fmas_f64 v[79:80], v[79:80], v[88:89], v[92:93]
	v_div_fixup_f64 v[0:1], v[79:80], v[0:1], 1.0
.LBB70_291:
	s_or_b32 exec_lo, exec_lo, s0
	s_mov_b32 s0, exec_lo
	v_cmpx_ne_u32_e64 v87, v78
	s_xor_b32 s0, exec_lo, s0
	s_cbranch_execz .LBB70_297
; %bb.292:
	s_mov_b32 s1, exec_lo
	v_cmpx_eq_u32_e32 17, v87
	s_cbranch_execz .LBB70_296
; %bb.293:
	v_cmp_ne_u32_e32 vcc_lo, 17, v78
	s_xor_b32 s2, s6, -1
	s_and_b32 s3, s2, vcc_lo
	s_and_saveexec_b32 s2, s3
	s_cbranch_execz .LBB70_295
; %bb.294:
	v_ashrrev_i32_e32 v79, 31, v78
	v_lshlrev_b64 v[79:80], 2, v[78:79]
	v_add_co_u32 v79, vcc_lo, v4, v79
	v_add_co_ci_u32_e64 v80, null, v5, v80, vcc_lo
	s_clause 0x1
	global_load_dword v81, v[79:80], off
	global_load_dword v87, v[4:5], off offset:68
	s_waitcnt vmcnt(1)
	global_store_dword v[4:5], v81, off offset:68
	s_waitcnt vmcnt(0)
	global_store_dword v[79:80], v87, off
.LBB70_295:
	s_or_b32 exec_lo, exec_lo, s2
	v_mov_b32_e32 v81, v78
	v_mov_b32_e32 v87, v78
.LBB70_296:
	s_or_b32 exec_lo, exec_lo, s1
.LBB70_297:
	s_andn2_saveexec_b32 s0, s0
	s_cbranch_execz .LBB70_299
; %bb.298:
	v_mov_b32_e32 v78, v40
	v_mov_b32_e32 v79, v41
	;; [unrolled: 1-line block ×20, first 2 shown]
	ds_write2_b64 v84, v[78:79], v[87:88] offset0:18 offset1:19
	ds_write2_b64 v84, v[89:90], v[91:92] offset0:20 offset1:21
	;; [unrolled: 1-line block ×5, first 2 shown]
	v_mov_b32_e32 v78, v20
	v_mov_b32_e32 v79, v21
	;; [unrolled: 1-line block ×15, first 2 shown]
	ds_write2_b64 v84, v[78:79], v[88:89] offset0:28 offset1:29
	ds_write2_b64 v84, v[90:91], v[92:93] offset0:30 offset1:31
	;; [unrolled: 1-line block ×4, first 2 shown]
.LBB70_299:
	s_or_b32 exec_lo, exec_lo, s0
	s_mov_b32 s0, exec_lo
	s_waitcnt lgkmcnt(0)
	s_waitcnt_vscnt null, 0x0
	s_barrier
	buffer_gl0_inv
	v_cmpx_lt_i32_e32 17, v87
	s_cbranch_execz .LBB70_301
; %bb.300:
	v_mul_f64 v[38:39], v[0:1], v[38:39]
	ds_read2_b64 v[88:91], v84 offset0:18 offset1:19
	ds_read2_b64 v[92:95], v84 offset0:20 offset1:21
	ds_read2_b64 v[96:99], v84 offset0:22 offset1:23
	ds_read2_b64 v[100:103], v84 offset0:24 offset1:25
	ds_read2_b64 v[104:107], v84 offset0:26 offset1:27
	ds_read2_b64 v[108:111], v84 offset0:28 offset1:29
	ds_read2_b64 v[112:115], v84 offset0:30 offset1:31
	ds_read2_b64 v[116:119], v84 offset0:32 offset1:33
	ds_read2_b64 v[120:123], v84 offset0:34 offset1:35
	s_waitcnt lgkmcnt(8)
	v_fma_f64 v[40:41], -v[38:39], v[88:89], v[40:41]
	v_fma_f64 v[34:35], -v[38:39], v[90:91], v[34:35]
	s_waitcnt lgkmcnt(7)
	v_fma_f64 v[36:37], -v[38:39], v[92:93], v[36:37]
	v_fma_f64 v[32:33], -v[38:39], v[94:95], v[32:33]
	;; [unrolled: 3-line block ×9, first 2 shown]
.LBB70_301:
	s_or_b32 exec_lo, exec_lo, s0
	v_lshl_add_u32 v0, v87, 3, v84
	s_barrier
	buffer_gl0_inv
	v_mov_b32_e32 v78, 18
	ds_write_b64 v0, v[40:41]
	s_waitcnt lgkmcnt(0)
	s_barrier
	buffer_gl0_inv
	ds_read_b64 v[0:1], v84 offset:144
	s_cmp_lt_i32 s7, 20
	s_cbranch_scc1 .LBB70_304
; %bb.302:
	v_add3_u32 v79, v85, 0, 0x98
	v_mov_b32_e32 v78, 18
	s_mov_b32 s0, 19
.LBB70_303:                             ; =>This Inner Loop Header: Depth=1
	ds_read_b64 v[88:89], v79
	v_add_nc_u32_e32 v79, 8, v79
	s_waitcnt lgkmcnt(0)
	v_cmp_lt_f64_e64 vcc_lo, |v[0:1]|, |v[88:89]|
	v_cndmask_b32_e32 v1, v1, v89, vcc_lo
	v_cndmask_b32_e32 v0, v0, v88, vcc_lo
	v_cndmask_b32_e64 v78, v78, s0, vcc_lo
	s_add_i32 s0, s0, 1
	s_cmp_lg_u32 s7, s0
	s_cbranch_scc1 .LBB70_303
.LBB70_304:
	s_mov_b32 s0, exec_lo
	s_waitcnt lgkmcnt(0)
	v_cmpx_eq_f64_e32 0, v[0:1]
	s_xor_b32 s0, exec_lo, s0
; %bb.305:
	v_cmp_ne_u32_e32 vcc_lo, 0, v86
	v_cndmask_b32_e32 v86, 19, v86, vcc_lo
; %bb.306:
	s_andn2_saveexec_b32 s0, s0
	s_cbranch_execz .LBB70_308
; %bb.307:
	v_div_scale_f64 v[79:80], null, v[0:1], v[0:1], 1.0
	v_rcp_f64_e32 v[88:89], v[79:80]
	v_fma_f64 v[90:91], -v[79:80], v[88:89], 1.0
	v_fma_f64 v[88:89], v[88:89], v[90:91], v[88:89]
	v_fma_f64 v[90:91], -v[79:80], v[88:89], 1.0
	v_fma_f64 v[88:89], v[88:89], v[90:91], v[88:89]
	v_div_scale_f64 v[90:91], vcc_lo, 1.0, v[0:1], 1.0
	v_mul_f64 v[92:93], v[90:91], v[88:89]
	v_fma_f64 v[79:80], -v[79:80], v[92:93], v[90:91]
	v_div_fmas_f64 v[79:80], v[79:80], v[88:89], v[92:93]
	v_div_fixup_f64 v[0:1], v[79:80], v[0:1], 1.0
.LBB70_308:
	s_or_b32 exec_lo, exec_lo, s0
	s_mov_b32 s0, exec_lo
	v_cmpx_ne_u32_e64 v87, v78
	s_xor_b32 s0, exec_lo, s0
	s_cbranch_execz .LBB70_314
; %bb.309:
	s_mov_b32 s1, exec_lo
	v_cmpx_eq_u32_e32 18, v87
	s_cbranch_execz .LBB70_313
; %bb.310:
	v_cmp_ne_u32_e32 vcc_lo, 18, v78
	s_xor_b32 s2, s6, -1
	s_and_b32 s3, s2, vcc_lo
	s_and_saveexec_b32 s2, s3
	s_cbranch_execz .LBB70_312
; %bb.311:
	v_ashrrev_i32_e32 v79, 31, v78
	v_lshlrev_b64 v[79:80], 2, v[78:79]
	v_add_co_u32 v79, vcc_lo, v4, v79
	v_add_co_ci_u32_e64 v80, null, v5, v80, vcc_lo
	s_clause 0x1
	global_load_dword v81, v[79:80], off
	global_load_dword v87, v[4:5], off offset:72
	s_waitcnt vmcnt(1)
	global_store_dword v[4:5], v81, off offset:72
	s_waitcnt vmcnt(0)
	global_store_dword v[79:80], v87, off
.LBB70_312:
	s_or_b32 exec_lo, exec_lo, s2
	v_mov_b32_e32 v81, v78
	v_mov_b32_e32 v87, v78
.LBB70_313:
	s_or_b32 exec_lo, exec_lo, s1
.LBB70_314:
	s_andn2_saveexec_b32 s0, s0
	s_cbranch_execz .LBB70_316
; %bb.315:
	v_mov_b32_e32 v87, 18
	ds_write2_b64 v84, v[34:35], v[36:37] offset0:19 offset1:20
	ds_write2_b64 v84, v[32:33], v[30:31] offset0:21 offset1:22
	;; [unrolled: 1-line block ×8, first 2 shown]
	ds_write_b64 v84, v[76:77] offset:280
.LBB70_316:
	s_or_b32 exec_lo, exec_lo, s0
	s_mov_b32 s0, exec_lo
	s_waitcnt lgkmcnt(0)
	s_waitcnt_vscnt null, 0x0
	s_barrier
	buffer_gl0_inv
	v_cmpx_lt_i32_e32 18, v87
	s_cbranch_execz .LBB70_318
; %bb.317:
	v_mul_f64 v[40:41], v[0:1], v[40:41]
	ds_read2_b64 v[88:91], v84 offset0:19 offset1:20
	ds_read2_b64 v[92:95], v84 offset0:21 offset1:22
	ds_read2_b64 v[96:99], v84 offset0:23 offset1:24
	ds_read2_b64 v[100:103], v84 offset0:25 offset1:26
	ds_read2_b64 v[104:107], v84 offset0:27 offset1:28
	ds_read2_b64 v[108:111], v84 offset0:29 offset1:30
	ds_read2_b64 v[112:115], v84 offset0:31 offset1:32
	ds_read2_b64 v[116:119], v84 offset0:33 offset1:34
	ds_read_b64 v[0:1], v84 offset:280
	s_waitcnt lgkmcnt(8)
	v_fma_f64 v[34:35], -v[40:41], v[88:89], v[34:35]
	v_fma_f64 v[36:37], -v[40:41], v[90:91], v[36:37]
	s_waitcnt lgkmcnt(7)
	v_fma_f64 v[32:33], -v[40:41], v[92:93], v[32:33]
	v_fma_f64 v[30:31], -v[40:41], v[94:95], v[30:31]
	s_waitcnt lgkmcnt(6)
	v_fma_f64 v[28:29], -v[40:41], v[96:97], v[28:29]
	v_fma_f64 v[26:27], -v[40:41], v[98:99], v[26:27]
	s_waitcnt lgkmcnt(5)
	v_fma_f64 v[24:25], -v[40:41], v[100:101], v[24:25]
	v_fma_f64 v[22:23], -v[40:41], v[102:103], v[22:23]
	s_waitcnt lgkmcnt(4)
	v_fma_f64 v[18:19], -v[40:41], v[104:105], v[18:19]
	v_fma_f64 v[20:21], -v[40:41], v[106:107], v[20:21]
	s_waitcnt lgkmcnt(3)
	v_fma_f64 v[16:17], -v[40:41], v[108:109], v[16:17]
	v_fma_f64 v[14:15], -v[40:41], v[110:111], v[14:15]
	s_waitcnt lgkmcnt(2)
	v_fma_f64 v[8:9], -v[40:41], v[112:113], v[8:9]
	v_fma_f64 v[12:13], -v[40:41], v[114:115], v[12:13]
	s_waitcnt lgkmcnt(1)
	v_fma_f64 v[6:7], -v[40:41], v[116:117], v[6:7]
	v_fma_f64 v[10:11], -v[40:41], v[118:119], v[10:11]
	s_waitcnt lgkmcnt(0)
	v_fma_f64 v[76:77], -v[40:41], v[0:1], v[76:77]
.LBB70_318:
	s_or_b32 exec_lo, exec_lo, s0
	v_lshl_add_u32 v0, v87, 3, v84
	s_barrier
	buffer_gl0_inv
	v_mov_b32_e32 v78, 19
	ds_write_b64 v0, v[34:35]
	s_waitcnt lgkmcnt(0)
	s_barrier
	buffer_gl0_inv
	ds_read_b64 v[0:1], v84 offset:152
	s_cmp_lt_i32 s7, 21
	s_cbranch_scc1 .LBB70_321
; %bb.319:
	v_add3_u32 v79, v85, 0, 0xa0
	v_mov_b32_e32 v78, 19
	s_mov_b32 s0, 20
.LBB70_320:                             ; =>This Inner Loop Header: Depth=1
	ds_read_b64 v[88:89], v79
	v_add_nc_u32_e32 v79, 8, v79
	s_waitcnt lgkmcnt(0)
	v_cmp_lt_f64_e64 vcc_lo, |v[0:1]|, |v[88:89]|
	v_cndmask_b32_e32 v1, v1, v89, vcc_lo
	v_cndmask_b32_e32 v0, v0, v88, vcc_lo
	v_cndmask_b32_e64 v78, v78, s0, vcc_lo
	s_add_i32 s0, s0, 1
	s_cmp_lg_u32 s7, s0
	s_cbranch_scc1 .LBB70_320
.LBB70_321:
	s_mov_b32 s0, exec_lo
	s_waitcnt lgkmcnt(0)
	v_cmpx_eq_f64_e32 0, v[0:1]
	s_xor_b32 s0, exec_lo, s0
; %bb.322:
	v_cmp_ne_u32_e32 vcc_lo, 0, v86
	v_cndmask_b32_e32 v86, 20, v86, vcc_lo
; %bb.323:
	s_andn2_saveexec_b32 s0, s0
	s_cbranch_execz .LBB70_325
; %bb.324:
	v_div_scale_f64 v[79:80], null, v[0:1], v[0:1], 1.0
	v_rcp_f64_e32 v[88:89], v[79:80]
	v_fma_f64 v[90:91], -v[79:80], v[88:89], 1.0
	v_fma_f64 v[88:89], v[88:89], v[90:91], v[88:89]
	v_fma_f64 v[90:91], -v[79:80], v[88:89], 1.0
	v_fma_f64 v[88:89], v[88:89], v[90:91], v[88:89]
	v_div_scale_f64 v[90:91], vcc_lo, 1.0, v[0:1], 1.0
	v_mul_f64 v[92:93], v[90:91], v[88:89]
	v_fma_f64 v[79:80], -v[79:80], v[92:93], v[90:91]
	v_div_fmas_f64 v[79:80], v[79:80], v[88:89], v[92:93]
	v_div_fixup_f64 v[0:1], v[79:80], v[0:1], 1.0
.LBB70_325:
	s_or_b32 exec_lo, exec_lo, s0
	s_mov_b32 s0, exec_lo
	v_cmpx_ne_u32_e64 v87, v78
	s_xor_b32 s0, exec_lo, s0
	s_cbranch_execz .LBB70_331
; %bb.326:
	s_mov_b32 s1, exec_lo
	v_cmpx_eq_u32_e32 19, v87
	s_cbranch_execz .LBB70_330
; %bb.327:
	v_cmp_ne_u32_e32 vcc_lo, 19, v78
	s_xor_b32 s2, s6, -1
	s_and_b32 s3, s2, vcc_lo
	s_and_saveexec_b32 s2, s3
	s_cbranch_execz .LBB70_329
; %bb.328:
	v_ashrrev_i32_e32 v79, 31, v78
	v_lshlrev_b64 v[79:80], 2, v[78:79]
	v_add_co_u32 v79, vcc_lo, v4, v79
	v_add_co_ci_u32_e64 v80, null, v5, v80, vcc_lo
	s_clause 0x1
	global_load_dword v81, v[79:80], off
	global_load_dword v87, v[4:5], off offset:76
	s_waitcnt vmcnt(1)
	global_store_dword v[4:5], v81, off offset:76
	s_waitcnt vmcnt(0)
	global_store_dword v[79:80], v87, off
.LBB70_329:
	s_or_b32 exec_lo, exec_lo, s2
	v_mov_b32_e32 v81, v78
	v_mov_b32_e32 v87, v78
.LBB70_330:
	s_or_b32 exec_lo, exec_lo, s1
.LBB70_331:
	s_andn2_saveexec_b32 s0, s0
	s_cbranch_execz .LBB70_333
; %bb.332:
	v_mov_b32_e32 v78, v36
	v_mov_b32_e32 v79, v37
	;; [unrolled: 1-line block ×16, first 2 shown]
	ds_write2_b64 v84, v[78:79], v[87:88] offset0:20 offset1:21
	ds_write2_b64 v84, v[89:90], v[91:92] offset0:22 offset1:23
	;; [unrolled: 1-line block ×4, first 2 shown]
	v_mov_b32_e32 v78, v20
	v_mov_b32_e32 v79, v21
	;; [unrolled: 1-line block ×15, first 2 shown]
	ds_write2_b64 v84, v[78:79], v[88:89] offset0:28 offset1:29
	ds_write2_b64 v84, v[90:91], v[92:93] offset0:30 offset1:31
	ds_write2_b64 v84, v[94:95], v[96:97] offset0:32 offset1:33
	ds_write2_b64 v84, v[98:99], v[76:77] offset0:34 offset1:35
.LBB70_333:
	s_or_b32 exec_lo, exec_lo, s0
	s_mov_b32 s0, exec_lo
	s_waitcnt lgkmcnt(0)
	s_waitcnt_vscnt null, 0x0
	s_barrier
	buffer_gl0_inv
	v_cmpx_lt_i32_e32 19, v87
	s_cbranch_execz .LBB70_335
; %bb.334:
	v_mul_f64 v[34:35], v[0:1], v[34:35]
	ds_read2_b64 v[88:91], v84 offset0:20 offset1:21
	ds_read2_b64 v[92:95], v84 offset0:22 offset1:23
	;; [unrolled: 1-line block ×8, first 2 shown]
	s_waitcnt lgkmcnt(7)
	v_fma_f64 v[36:37], -v[34:35], v[88:89], v[36:37]
	v_fma_f64 v[32:33], -v[34:35], v[90:91], v[32:33]
	s_waitcnt lgkmcnt(6)
	v_fma_f64 v[30:31], -v[34:35], v[92:93], v[30:31]
	v_fma_f64 v[28:29], -v[34:35], v[94:95], v[28:29]
	;; [unrolled: 3-line block ×8, first 2 shown]
.LBB70_335:
	s_or_b32 exec_lo, exec_lo, s0
	v_lshl_add_u32 v0, v87, 3, v84
	s_barrier
	buffer_gl0_inv
	v_mov_b32_e32 v78, 20
	ds_write_b64 v0, v[36:37]
	s_waitcnt lgkmcnt(0)
	s_barrier
	buffer_gl0_inv
	ds_read_b64 v[0:1], v84 offset:160
	s_cmp_lt_i32 s7, 22
	s_cbranch_scc1 .LBB70_338
; %bb.336:
	v_add3_u32 v79, v85, 0, 0xa8
	v_mov_b32_e32 v78, 20
	s_mov_b32 s0, 21
.LBB70_337:                             ; =>This Inner Loop Header: Depth=1
	ds_read_b64 v[88:89], v79
	v_add_nc_u32_e32 v79, 8, v79
	s_waitcnt lgkmcnt(0)
	v_cmp_lt_f64_e64 vcc_lo, |v[0:1]|, |v[88:89]|
	v_cndmask_b32_e32 v1, v1, v89, vcc_lo
	v_cndmask_b32_e32 v0, v0, v88, vcc_lo
	v_cndmask_b32_e64 v78, v78, s0, vcc_lo
	s_add_i32 s0, s0, 1
	s_cmp_lg_u32 s7, s0
	s_cbranch_scc1 .LBB70_337
.LBB70_338:
	s_mov_b32 s0, exec_lo
	s_waitcnt lgkmcnt(0)
	v_cmpx_eq_f64_e32 0, v[0:1]
	s_xor_b32 s0, exec_lo, s0
; %bb.339:
	v_cmp_ne_u32_e32 vcc_lo, 0, v86
	v_cndmask_b32_e32 v86, 21, v86, vcc_lo
; %bb.340:
	s_andn2_saveexec_b32 s0, s0
	s_cbranch_execz .LBB70_342
; %bb.341:
	v_div_scale_f64 v[79:80], null, v[0:1], v[0:1], 1.0
	v_rcp_f64_e32 v[88:89], v[79:80]
	v_fma_f64 v[90:91], -v[79:80], v[88:89], 1.0
	v_fma_f64 v[88:89], v[88:89], v[90:91], v[88:89]
	v_fma_f64 v[90:91], -v[79:80], v[88:89], 1.0
	v_fma_f64 v[88:89], v[88:89], v[90:91], v[88:89]
	v_div_scale_f64 v[90:91], vcc_lo, 1.0, v[0:1], 1.0
	v_mul_f64 v[92:93], v[90:91], v[88:89]
	v_fma_f64 v[79:80], -v[79:80], v[92:93], v[90:91]
	v_div_fmas_f64 v[79:80], v[79:80], v[88:89], v[92:93]
	v_div_fixup_f64 v[0:1], v[79:80], v[0:1], 1.0
.LBB70_342:
	s_or_b32 exec_lo, exec_lo, s0
	s_mov_b32 s0, exec_lo
	v_cmpx_ne_u32_e64 v87, v78
	s_xor_b32 s0, exec_lo, s0
	s_cbranch_execz .LBB70_348
; %bb.343:
	s_mov_b32 s1, exec_lo
	v_cmpx_eq_u32_e32 20, v87
	s_cbranch_execz .LBB70_347
; %bb.344:
	v_cmp_ne_u32_e32 vcc_lo, 20, v78
	s_xor_b32 s2, s6, -1
	s_and_b32 s3, s2, vcc_lo
	s_and_saveexec_b32 s2, s3
	s_cbranch_execz .LBB70_346
; %bb.345:
	v_ashrrev_i32_e32 v79, 31, v78
	v_lshlrev_b64 v[79:80], 2, v[78:79]
	v_add_co_u32 v79, vcc_lo, v4, v79
	v_add_co_ci_u32_e64 v80, null, v5, v80, vcc_lo
	s_clause 0x1
	global_load_dword v81, v[79:80], off
	global_load_dword v87, v[4:5], off offset:80
	s_waitcnt vmcnt(1)
	global_store_dword v[4:5], v81, off offset:80
	s_waitcnt vmcnt(0)
	global_store_dword v[79:80], v87, off
.LBB70_346:
	s_or_b32 exec_lo, exec_lo, s2
	v_mov_b32_e32 v81, v78
	v_mov_b32_e32 v87, v78
.LBB70_347:
	s_or_b32 exec_lo, exec_lo, s1
.LBB70_348:
	s_andn2_saveexec_b32 s0, s0
	s_cbranch_execz .LBB70_350
; %bb.349:
	v_mov_b32_e32 v87, 20
	ds_write2_b64 v84, v[32:33], v[30:31] offset0:21 offset1:22
	ds_write2_b64 v84, v[28:29], v[26:27] offset0:23 offset1:24
	;; [unrolled: 1-line block ×7, first 2 shown]
	ds_write_b64 v84, v[76:77] offset:280
.LBB70_350:
	s_or_b32 exec_lo, exec_lo, s0
	s_mov_b32 s0, exec_lo
	s_waitcnt lgkmcnt(0)
	s_waitcnt_vscnt null, 0x0
	s_barrier
	buffer_gl0_inv
	v_cmpx_lt_i32_e32 20, v87
	s_cbranch_execz .LBB70_352
; %bb.351:
	v_mul_f64 v[36:37], v[0:1], v[36:37]
	ds_read2_b64 v[88:91], v84 offset0:21 offset1:22
	ds_read2_b64 v[92:95], v84 offset0:23 offset1:24
	;; [unrolled: 1-line block ×7, first 2 shown]
	ds_read_b64 v[0:1], v84 offset:280
	s_waitcnt lgkmcnt(7)
	v_fma_f64 v[32:33], -v[36:37], v[88:89], v[32:33]
	v_fma_f64 v[30:31], -v[36:37], v[90:91], v[30:31]
	s_waitcnt lgkmcnt(6)
	v_fma_f64 v[28:29], -v[36:37], v[92:93], v[28:29]
	v_fma_f64 v[26:27], -v[36:37], v[94:95], v[26:27]
	;; [unrolled: 3-line block ×7, first 2 shown]
	s_waitcnt lgkmcnt(0)
	v_fma_f64 v[76:77], -v[36:37], v[0:1], v[76:77]
.LBB70_352:
	s_or_b32 exec_lo, exec_lo, s0
	v_lshl_add_u32 v0, v87, 3, v84
	s_barrier
	buffer_gl0_inv
	v_mov_b32_e32 v78, 21
	ds_write_b64 v0, v[32:33]
	s_waitcnt lgkmcnt(0)
	s_barrier
	buffer_gl0_inv
	ds_read_b64 v[0:1], v84 offset:168
	s_cmp_lt_i32 s7, 23
	s_cbranch_scc1 .LBB70_355
; %bb.353:
	v_add3_u32 v79, v85, 0, 0xb0
	v_mov_b32_e32 v78, 21
	s_mov_b32 s0, 22
.LBB70_354:                             ; =>This Inner Loop Header: Depth=1
	ds_read_b64 v[88:89], v79
	v_add_nc_u32_e32 v79, 8, v79
	s_waitcnt lgkmcnt(0)
	v_cmp_lt_f64_e64 vcc_lo, |v[0:1]|, |v[88:89]|
	v_cndmask_b32_e32 v1, v1, v89, vcc_lo
	v_cndmask_b32_e32 v0, v0, v88, vcc_lo
	v_cndmask_b32_e64 v78, v78, s0, vcc_lo
	s_add_i32 s0, s0, 1
	s_cmp_lg_u32 s7, s0
	s_cbranch_scc1 .LBB70_354
.LBB70_355:
	s_mov_b32 s0, exec_lo
	s_waitcnt lgkmcnt(0)
	v_cmpx_eq_f64_e32 0, v[0:1]
	s_xor_b32 s0, exec_lo, s0
; %bb.356:
	v_cmp_ne_u32_e32 vcc_lo, 0, v86
	v_cndmask_b32_e32 v86, 22, v86, vcc_lo
; %bb.357:
	s_andn2_saveexec_b32 s0, s0
	s_cbranch_execz .LBB70_359
; %bb.358:
	v_div_scale_f64 v[79:80], null, v[0:1], v[0:1], 1.0
	v_rcp_f64_e32 v[88:89], v[79:80]
	v_fma_f64 v[90:91], -v[79:80], v[88:89], 1.0
	v_fma_f64 v[88:89], v[88:89], v[90:91], v[88:89]
	v_fma_f64 v[90:91], -v[79:80], v[88:89], 1.0
	v_fma_f64 v[88:89], v[88:89], v[90:91], v[88:89]
	v_div_scale_f64 v[90:91], vcc_lo, 1.0, v[0:1], 1.0
	v_mul_f64 v[92:93], v[90:91], v[88:89]
	v_fma_f64 v[79:80], -v[79:80], v[92:93], v[90:91]
	v_div_fmas_f64 v[79:80], v[79:80], v[88:89], v[92:93]
	v_div_fixup_f64 v[0:1], v[79:80], v[0:1], 1.0
.LBB70_359:
	s_or_b32 exec_lo, exec_lo, s0
	s_mov_b32 s0, exec_lo
	v_cmpx_ne_u32_e64 v87, v78
	s_xor_b32 s0, exec_lo, s0
	s_cbranch_execz .LBB70_365
; %bb.360:
	s_mov_b32 s1, exec_lo
	v_cmpx_eq_u32_e32 21, v87
	s_cbranch_execz .LBB70_364
; %bb.361:
	v_cmp_ne_u32_e32 vcc_lo, 21, v78
	s_xor_b32 s2, s6, -1
	s_and_b32 s3, s2, vcc_lo
	s_and_saveexec_b32 s2, s3
	s_cbranch_execz .LBB70_363
; %bb.362:
	v_ashrrev_i32_e32 v79, 31, v78
	v_lshlrev_b64 v[79:80], 2, v[78:79]
	v_add_co_u32 v79, vcc_lo, v4, v79
	v_add_co_ci_u32_e64 v80, null, v5, v80, vcc_lo
	s_clause 0x1
	global_load_dword v81, v[79:80], off
	global_load_dword v87, v[4:5], off offset:84
	s_waitcnt vmcnt(1)
	global_store_dword v[4:5], v81, off offset:84
	s_waitcnt vmcnt(0)
	global_store_dword v[79:80], v87, off
.LBB70_363:
	s_or_b32 exec_lo, exec_lo, s2
	v_mov_b32_e32 v81, v78
	v_mov_b32_e32 v87, v78
.LBB70_364:
	s_or_b32 exec_lo, exec_lo, s1
.LBB70_365:
	s_andn2_saveexec_b32 s0, s0
	s_cbranch_execz .LBB70_367
; %bb.366:
	v_mov_b32_e32 v78, v30
	v_mov_b32_e32 v79, v31
	v_mov_b32_e32 v87, v28
	v_mov_b32_e32 v88, v29
	v_mov_b32_e32 v89, v26
	v_mov_b32_e32 v90, v27
	v_mov_b32_e32 v91, v24
	v_mov_b32_e32 v92, v25
	v_mov_b32_e32 v93, v22
	v_mov_b32_e32 v94, v23
	v_mov_b32_e32 v95, v18
	v_mov_b32_e32 v96, v19
	ds_write2_b64 v84, v[78:79], v[87:88] offset0:22 offset1:23
	ds_write2_b64 v84, v[89:90], v[91:92] offset0:24 offset1:25
	ds_write2_b64 v84, v[93:94], v[95:96] offset0:26 offset1:27
	v_mov_b32_e32 v78, v20
	v_mov_b32_e32 v79, v21
	;; [unrolled: 1-line block ×15, first 2 shown]
	ds_write2_b64 v84, v[78:79], v[88:89] offset0:28 offset1:29
	ds_write2_b64 v84, v[90:91], v[92:93] offset0:30 offset1:31
	ds_write2_b64 v84, v[94:95], v[96:97] offset0:32 offset1:33
	ds_write2_b64 v84, v[98:99], v[76:77] offset0:34 offset1:35
.LBB70_367:
	s_or_b32 exec_lo, exec_lo, s0
	s_mov_b32 s0, exec_lo
	s_waitcnt lgkmcnt(0)
	s_waitcnt_vscnt null, 0x0
	s_barrier
	buffer_gl0_inv
	v_cmpx_lt_i32_e32 21, v87
	s_cbranch_execz .LBB70_369
; %bb.368:
	v_mul_f64 v[32:33], v[0:1], v[32:33]
	ds_read2_b64 v[88:91], v84 offset0:22 offset1:23
	ds_read2_b64 v[92:95], v84 offset0:24 offset1:25
	;; [unrolled: 1-line block ×7, first 2 shown]
	s_waitcnt lgkmcnt(6)
	v_fma_f64 v[30:31], -v[32:33], v[88:89], v[30:31]
	v_fma_f64 v[28:29], -v[32:33], v[90:91], v[28:29]
	s_waitcnt lgkmcnt(5)
	v_fma_f64 v[26:27], -v[32:33], v[92:93], v[26:27]
	v_fma_f64 v[24:25], -v[32:33], v[94:95], v[24:25]
	;; [unrolled: 3-line block ×7, first 2 shown]
.LBB70_369:
	s_or_b32 exec_lo, exec_lo, s0
	v_lshl_add_u32 v0, v87, 3, v84
	s_barrier
	buffer_gl0_inv
	v_mov_b32_e32 v78, 22
	ds_write_b64 v0, v[30:31]
	s_waitcnt lgkmcnt(0)
	s_barrier
	buffer_gl0_inv
	ds_read_b64 v[0:1], v84 offset:176
	s_cmp_lt_i32 s7, 24
	s_cbranch_scc1 .LBB70_372
; %bb.370:
	v_add3_u32 v79, v85, 0, 0xb8
	v_mov_b32_e32 v78, 22
	s_mov_b32 s0, 23
.LBB70_371:                             ; =>This Inner Loop Header: Depth=1
	ds_read_b64 v[88:89], v79
	v_add_nc_u32_e32 v79, 8, v79
	s_waitcnt lgkmcnt(0)
	v_cmp_lt_f64_e64 vcc_lo, |v[0:1]|, |v[88:89]|
	v_cndmask_b32_e32 v1, v1, v89, vcc_lo
	v_cndmask_b32_e32 v0, v0, v88, vcc_lo
	v_cndmask_b32_e64 v78, v78, s0, vcc_lo
	s_add_i32 s0, s0, 1
	s_cmp_lg_u32 s7, s0
	s_cbranch_scc1 .LBB70_371
.LBB70_372:
	s_mov_b32 s0, exec_lo
	s_waitcnt lgkmcnt(0)
	v_cmpx_eq_f64_e32 0, v[0:1]
	s_xor_b32 s0, exec_lo, s0
; %bb.373:
	v_cmp_ne_u32_e32 vcc_lo, 0, v86
	v_cndmask_b32_e32 v86, 23, v86, vcc_lo
; %bb.374:
	s_andn2_saveexec_b32 s0, s0
	s_cbranch_execz .LBB70_376
; %bb.375:
	v_div_scale_f64 v[79:80], null, v[0:1], v[0:1], 1.0
	v_rcp_f64_e32 v[88:89], v[79:80]
	v_fma_f64 v[90:91], -v[79:80], v[88:89], 1.0
	v_fma_f64 v[88:89], v[88:89], v[90:91], v[88:89]
	v_fma_f64 v[90:91], -v[79:80], v[88:89], 1.0
	v_fma_f64 v[88:89], v[88:89], v[90:91], v[88:89]
	v_div_scale_f64 v[90:91], vcc_lo, 1.0, v[0:1], 1.0
	v_mul_f64 v[92:93], v[90:91], v[88:89]
	v_fma_f64 v[79:80], -v[79:80], v[92:93], v[90:91]
	v_div_fmas_f64 v[79:80], v[79:80], v[88:89], v[92:93]
	v_div_fixup_f64 v[0:1], v[79:80], v[0:1], 1.0
.LBB70_376:
	s_or_b32 exec_lo, exec_lo, s0
	s_mov_b32 s0, exec_lo
	v_cmpx_ne_u32_e64 v87, v78
	s_xor_b32 s0, exec_lo, s0
	s_cbranch_execz .LBB70_382
; %bb.377:
	s_mov_b32 s1, exec_lo
	v_cmpx_eq_u32_e32 22, v87
	s_cbranch_execz .LBB70_381
; %bb.378:
	v_cmp_ne_u32_e32 vcc_lo, 22, v78
	s_xor_b32 s2, s6, -1
	s_and_b32 s3, s2, vcc_lo
	s_and_saveexec_b32 s2, s3
	s_cbranch_execz .LBB70_380
; %bb.379:
	v_ashrrev_i32_e32 v79, 31, v78
	v_lshlrev_b64 v[79:80], 2, v[78:79]
	v_add_co_u32 v79, vcc_lo, v4, v79
	v_add_co_ci_u32_e64 v80, null, v5, v80, vcc_lo
	s_clause 0x1
	global_load_dword v81, v[79:80], off
	global_load_dword v87, v[4:5], off offset:88
	s_waitcnt vmcnt(1)
	global_store_dword v[4:5], v81, off offset:88
	s_waitcnt vmcnt(0)
	global_store_dword v[79:80], v87, off
.LBB70_380:
	s_or_b32 exec_lo, exec_lo, s2
	v_mov_b32_e32 v81, v78
	v_mov_b32_e32 v87, v78
.LBB70_381:
	s_or_b32 exec_lo, exec_lo, s1
.LBB70_382:
	s_andn2_saveexec_b32 s0, s0
	s_cbranch_execz .LBB70_384
; %bb.383:
	v_mov_b32_e32 v87, 22
	ds_write2_b64 v84, v[28:29], v[26:27] offset0:23 offset1:24
	ds_write2_b64 v84, v[24:25], v[22:23] offset0:25 offset1:26
	;; [unrolled: 1-line block ×6, first 2 shown]
	ds_write_b64 v84, v[76:77] offset:280
.LBB70_384:
	s_or_b32 exec_lo, exec_lo, s0
	s_mov_b32 s0, exec_lo
	s_waitcnt lgkmcnt(0)
	s_waitcnt_vscnt null, 0x0
	s_barrier
	buffer_gl0_inv
	v_cmpx_lt_i32_e32 22, v87
	s_cbranch_execz .LBB70_386
; %bb.385:
	v_mul_f64 v[30:31], v[0:1], v[30:31]
	ds_read2_b64 v[88:91], v84 offset0:23 offset1:24
	ds_read2_b64 v[92:95], v84 offset0:25 offset1:26
	;; [unrolled: 1-line block ×6, first 2 shown]
	ds_read_b64 v[0:1], v84 offset:280
	s_waitcnt lgkmcnt(6)
	v_fma_f64 v[28:29], -v[30:31], v[88:89], v[28:29]
	v_fma_f64 v[26:27], -v[30:31], v[90:91], v[26:27]
	s_waitcnt lgkmcnt(5)
	v_fma_f64 v[24:25], -v[30:31], v[92:93], v[24:25]
	v_fma_f64 v[22:23], -v[30:31], v[94:95], v[22:23]
	;; [unrolled: 3-line block ×6, first 2 shown]
	s_waitcnt lgkmcnt(0)
	v_fma_f64 v[76:77], -v[30:31], v[0:1], v[76:77]
.LBB70_386:
	s_or_b32 exec_lo, exec_lo, s0
	v_lshl_add_u32 v0, v87, 3, v84
	s_barrier
	buffer_gl0_inv
	v_mov_b32_e32 v78, 23
	ds_write_b64 v0, v[28:29]
	s_waitcnt lgkmcnt(0)
	s_barrier
	buffer_gl0_inv
	ds_read_b64 v[0:1], v84 offset:184
	s_cmp_lt_i32 s7, 25
	s_cbranch_scc1 .LBB70_389
; %bb.387:
	v_add3_u32 v79, v85, 0, 0xc0
	v_mov_b32_e32 v78, 23
	s_mov_b32 s0, 24
.LBB70_388:                             ; =>This Inner Loop Header: Depth=1
	ds_read_b64 v[88:89], v79
	v_add_nc_u32_e32 v79, 8, v79
	s_waitcnt lgkmcnt(0)
	v_cmp_lt_f64_e64 vcc_lo, |v[0:1]|, |v[88:89]|
	v_cndmask_b32_e32 v1, v1, v89, vcc_lo
	v_cndmask_b32_e32 v0, v0, v88, vcc_lo
	v_cndmask_b32_e64 v78, v78, s0, vcc_lo
	s_add_i32 s0, s0, 1
	s_cmp_lg_u32 s7, s0
	s_cbranch_scc1 .LBB70_388
.LBB70_389:
	s_mov_b32 s0, exec_lo
	s_waitcnt lgkmcnt(0)
	v_cmpx_eq_f64_e32 0, v[0:1]
	s_xor_b32 s0, exec_lo, s0
; %bb.390:
	v_cmp_ne_u32_e32 vcc_lo, 0, v86
	v_cndmask_b32_e32 v86, 24, v86, vcc_lo
; %bb.391:
	s_andn2_saveexec_b32 s0, s0
	s_cbranch_execz .LBB70_393
; %bb.392:
	v_div_scale_f64 v[79:80], null, v[0:1], v[0:1], 1.0
	v_rcp_f64_e32 v[88:89], v[79:80]
	v_fma_f64 v[90:91], -v[79:80], v[88:89], 1.0
	v_fma_f64 v[88:89], v[88:89], v[90:91], v[88:89]
	v_fma_f64 v[90:91], -v[79:80], v[88:89], 1.0
	v_fma_f64 v[88:89], v[88:89], v[90:91], v[88:89]
	v_div_scale_f64 v[90:91], vcc_lo, 1.0, v[0:1], 1.0
	v_mul_f64 v[92:93], v[90:91], v[88:89]
	v_fma_f64 v[79:80], -v[79:80], v[92:93], v[90:91]
	v_div_fmas_f64 v[79:80], v[79:80], v[88:89], v[92:93]
	v_div_fixup_f64 v[0:1], v[79:80], v[0:1], 1.0
.LBB70_393:
	s_or_b32 exec_lo, exec_lo, s0
	s_mov_b32 s0, exec_lo
	v_cmpx_ne_u32_e64 v87, v78
	s_xor_b32 s0, exec_lo, s0
	s_cbranch_execz .LBB70_399
; %bb.394:
	s_mov_b32 s1, exec_lo
	v_cmpx_eq_u32_e32 23, v87
	s_cbranch_execz .LBB70_398
; %bb.395:
	v_cmp_ne_u32_e32 vcc_lo, 23, v78
	s_xor_b32 s2, s6, -1
	s_and_b32 s3, s2, vcc_lo
	s_and_saveexec_b32 s2, s3
	s_cbranch_execz .LBB70_397
; %bb.396:
	v_ashrrev_i32_e32 v79, 31, v78
	v_lshlrev_b64 v[79:80], 2, v[78:79]
	v_add_co_u32 v79, vcc_lo, v4, v79
	v_add_co_ci_u32_e64 v80, null, v5, v80, vcc_lo
	s_clause 0x1
	global_load_dword v81, v[79:80], off
	global_load_dword v87, v[4:5], off offset:92
	s_waitcnt vmcnt(1)
	global_store_dword v[4:5], v81, off offset:92
	s_waitcnt vmcnt(0)
	global_store_dword v[79:80], v87, off
.LBB70_397:
	s_or_b32 exec_lo, exec_lo, s2
	v_mov_b32_e32 v81, v78
	v_mov_b32_e32 v87, v78
.LBB70_398:
	s_or_b32 exec_lo, exec_lo, s1
.LBB70_399:
	s_andn2_saveexec_b32 s0, s0
	s_cbranch_execz .LBB70_401
; %bb.400:
	v_mov_b32_e32 v78, v26
	v_mov_b32_e32 v79, v27
	;; [unrolled: 1-line block ×8, first 2 shown]
	ds_write2_b64 v84, v[78:79], v[87:88] offset0:24 offset1:25
	ds_write2_b64 v84, v[89:90], v[91:92] offset0:26 offset1:27
	v_mov_b32_e32 v78, v20
	v_mov_b32_e32 v79, v21
	;; [unrolled: 1-line block ×15, first 2 shown]
	ds_write2_b64 v84, v[78:79], v[88:89] offset0:28 offset1:29
	ds_write2_b64 v84, v[90:91], v[92:93] offset0:30 offset1:31
	;; [unrolled: 1-line block ×4, first 2 shown]
.LBB70_401:
	s_or_b32 exec_lo, exec_lo, s0
	s_mov_b32 s0, exec_lo
	s_waitcnt lgkmcnt(0)
	s_waitcnt_vscnt null, 0x0
	s_barrier
	buffer_gl0_inv
	v_cmpx_lt_i32_e32 23, v87
	s_cbranch_execz .LBB70_403
; %bb.402:
	v_mul_f64 v[28:29], v[0:1], v[28:29]
	ds_read2_b64 v[88:91], v84 offset0:24 offset1:25
	ds_read2_b64 v[92:95], v84 offset0:26 offset1:27
	;; [unrolled: 1-line block ×6, first 2 shown]
	s_waitcnt lgkmcnt(5)
	v_fma_f64 v[26:27], -v[28:29], v[88:89], v[26:27]
	v_fma_f64 v[24:25], -v[28:29], v[90:91], v[24:25]
	s_waitcnt lgkmcnt(4)
	v_fma_f64 v[22:23], -v[28:29], v[92:93], v[22:23]
	v_fma_f64 v[18:19], -v[28:29], v[94:95], v[18:19]
	;; [unrolled: 3-line block ×6, first 2 shown]
.LBB70_403:
	s_or_b32 exec_lo, exec_lo, s0
	v_lshl_add_u32 v0, v87, 3, v84
	s_barrier
	buffer_gl0_inv
	v_mov_b32_e32 v78, 24
	ds_write_b64 v0, v[26:27]
	s_waitcnt lgkmcnt(0)
	s_barrier
	buffer_gl0_inv
	ds_read_b64 v[0:1], v84 offset:192
	s_cmp_lt_i32 s7, 26
	s_cbranch_scc1 .LBB70_406
; %bb.404:
	v_add3_u32 v79, v85, 0, 0xc8
	v_mov_b32_e32 v78, 24
	s_mov_b32 s0, 25
.LBB70_405:                             ; =>This Inner Loop Header: Depth=1
	ds_read_b64 v[88:89], v79
	v_add_nc_u32_e32 v79, 8, v79
	s_waitcnt lgkmcnt(0)
	v_cmp_lt_f64_e64 vcc_lo, |v[0:1]|, |v[88:89]|
	v_cndmask_b32_e32 v1, v1, v89, vcc_lo
	v_cndmask_b32_e32 v0, v0, v88, vcc_lo
	v_cndmask_b32_e64 v78, v78, s0, vcc_lo
	s_add_i32 s0, s0, 1
	s_cmp_lg_u32 s7, s0
	s_cbranch_scc1 .LBB70_405
.LBB70_406:
	s_mov_b32 s0, exec_lo
	s_waitcnt lgkmcnt(0)
	v_cmpx_eq_f64_e32 0, v[0:1]
	s_xor_b32 s0, exec_lo, s0
; %bb.407:
	v_cmp_ne_u32_e32 vcc_lo, 0, v86
	v_cndmask_b32_e32 v86, 25, v86, vcc_lo
; %bb.408:
	s_andn2_saveexec_b32 s0, s0
	s_cbranch_execz .LBB70_410
; %bb.409:
	v_div_scale_f64 v[79:80], null, v[0:1], v[0:1], 1.0
	v_rcp_f64_e32 v[88:89], v[79:80]
	v_fma_f64 v[90:91], -v[79:80], v[88:89], 1.0
	v_fma_f64 v[88:89], v[88:89], v[90:91], v[88:89]
	v_fma_f64 v[90:91], -v[79:80], v[88:89], 1.0
	v_fma_f64 v[88:89], v[88:89], v[90:91], v[88:89]
	v_div_scale_f64 v[90:91], vcc_lo, 1.0, v[0:1], 1.0
	v_mul_f64 v[92:93], v[90:91], v[88:89]
	v_fma_f64 v[79:80], -v[79:80], v[92:93], v[90:91]
	v_div_fmas_f64 v[79:80], v[79:80], v[88:89], v[92:93]
	v_div_fixup_f64 v[0:1], v[79:80], v[0:1], 1.0
.LBB70_410:
	s_or_b32 exec_lo, exec_lo, s0
	s_mov_b32 s0, exec_lo
	v_cmpx_ne_u32_e64 v87, v78
	s_xor_b32 s0, exec_lo, s0
	s_cbranch_execz .LBB70_416
; %bb.411:
	s_mov_b32 s1, exec_lo
	v_cmpx_eq_u32_e32 24, v87
	s_cbranch_execz .LBB70_415
; %bb.412:
	v_cmp_ne_u32_e32 vcc_lo, 24, v78
	s_xor_b32 s2, s6, -1
	s_and_b32 s3, s2, vcc_lo
	s_and_saveexec_b32 s2, s3
	s_cbranch_execz .LBB70_414
; %bb.413:
	v_ashrrev_i32_e32 v79, 31, v78
	v_lshlrev_b64 v[79:80], 2, v[78:79]
	v_add_co_u32 v79, vcc_lo, v4, v79
	v_add_co_ci_u32_e64 v80, null, v5, v80, vcc_lo
	s_clause 0x1
	global_load_dword v81, v[79:80], off
	global_load_dword v87, v[4:5], off offset:96
	s_waitcnt vmcnt(1)
	global_store_dword v[4:5], v81, off offset:96
	s_waitcnt vmcnt(0)
	global_store_dword v[79:80], v87, off
.LBB70_414:
	s_or_b32 exec_lo, exec_lo, s2
	v_mov_b32_e32 v81, v78
	v_mov_b32_e32 v87, v78
.LBB70_415:
	s_or_b32 exec_lo, exec_lo, s1
.LBB70_416:
	s_andn2_saveexec_b32 s0, s0
	s_cbranch_execz .LBB70_418
; %bb.417:
	v_mov_b32_e32 v87, 24
	ds_write2_b64 v84, v[24:25], v[22:23] offset0:25 offset1:26
	ds_write2_b64 v84, v[18:19], v[20:21] offset0:27 offset1:28
	ds_write2_b64 v84, v[16:17], v[14:15] offset0:29 offset1:30
	ds_write2_b64 v84, v[8:9], v[12:13] offset0:31 offset1:32
	ds_write2_b64 v84, v[6:7], v[10:11] offset0:33 offset1:34
	ds_write_b64 v84, v[76:77] offset:280
.LBB70_418:
	s_or_b32 exec_lo, exec_lo, s0
	s_mov_b32 s0, exec_lo
	s_waitcnt lgkmcnt(0)
	s_waitcnt_vscnt null, 0x0
	s_barrier
	buffer_gl0_inv
	v_cmpx_lt_i32_e32 24, v87
	s_cbranch_execz .LBB70_420
; %bb.419:
	v_mul_f64 v[26:27], v[0:1], v[26:27]
	ds_read2_b64 v[88:91], v84 offset0:25 offset1:26
	ds_read2_b64 v[92:95], v84 offset0:27 offset1:28
	;; [unrolled: 1-line block ×5, first 2 shown]
	ds_read_b64 v[0:1], v84 offset:280
	s_waitcnt lgkmcnt(5)
	v_fma_f64 v[24:25], -v[26:27], v[88:89], v[24:25]
	v_fma_f64 v[22:23], -v[26:27], v[90:91], v[22:23]
	s_waitcnt lgkmcnt(4)
	v_fma_f64 v[18:19], -v[26:27], v[92:93], v[18:19]
	v_fma_f64 v[20:21], -v[26:27], v[94:95], v[20:21]
	;; [unrolled: 3-line block ×5, first 2 shown]
	s_waitcnt lgkmcnt(0)
	v_fma_f64 v[76:77], -v[26:27], v[0:1], v[76:77]
.LBB70_420:
	s_or_b32 exec_lo, exec_lo, s0
	v_lshl_add_u32 v0, v87, 3, v84
	s_barrier
	buffer_gl0_inv
	v_mov_b32_e32 v78, 25
	ds_write_b64 v0, v[24:25]
	s_waitcnt lgkmcnt(0)
	s_barrier
	buffer_gl0_inv
	ds_read_b64 v[0:1], v84 offset:200
	s_cmp_lt_i32 s7, 27
	s_cbranch_scc1 .LBB70_423
; %bb.421:
	v_add3_u32 v79, v85, 0, 0xd0
	v_mov_b32_e32 v78, 25
	s_mov_b32 s0, 26
.LBB70_422:                             ; =>This Inner Loop Header: Depth=1
	ds_read_b64 v[88:89], v79
	v_add_nc_u32_e32 v79, 8, v79
	s_waitcnt lgkmcnt(0)
	v_cmp_lt_f64_e64 vcc_lo, |v[0:1]|, |v[88:89]|
	v_cndmask_b32_e32 v1, v1, v89, vcc_lo
	v_cndmask_b32_e32 v0, v0, v88, vcc_lo
	v_cndmask_b32_e64 v78, v78, s0, vcc_lo
	s_add_i32 s0, s0, 1
	s_cmp_lg_u32 s7, s0
	s_cbranch_scc1 .LBB70_422
.LBB70_423:
	s_mov_b32 s0, exec_lo
	s_waitcnt lgkmcnt(0)
	v_cmpx_eq_f64_e32 0, v[0:1]
	s_xor_b32 s0, exec_lo, s0
; %bb.424:
	v_cmp_ne_u32_e32 vcc_lo, 0, v86
	v_cndmask_b32_e32 v86, 26, v86, vcc_lo
; %bb.425:
	s_andn2_saveexec_b32 s0, s0
	s_cbranch_execz .LBB70_427
; %bb.426:
	v_div_scale_f64 v[79:80], null, v[0:1], v[0:1], 1.0
	v_rcp_f64_e32 v[88:89], v[79:80]
	v_fma_f64 v[90:91], -v[79:80], v[88:89], 1.0
	v_fma_f64 v[88:89], v[88:89], v[90:91], v[88:89]
	v_fma_f64 v[90:91], -v[79:80], v[88:89], 1.0
	v_fma_f64 v[88:89], v[88:89], v[90:91], v[88:89]
	v_div_scale_f64 v[90:91], vcc_lo, 1.0, v[0:1], 1.0
	v_mul_f64 v[92:93], v[90:91], v[88:89]
	v_fma_f64 v[79:80], -v[79:80], v[92:93], v[90:91]
	v_div_fmas_f64 v[79:80], v[79:80], v[88:89], v[92:93]
	v_div_fixup_f64 v[0:1], v[79:80], v[0:1], 1.0
.LBB70_427:
	s_or_b32 exec_lo, exec_lo, s0
	s_mov_b32 s0, exec_lo
	v_cmpx_ne_u32_e64 v87, v78
	s_xor_b32 s0, exec_lo, s0
	s_cbranch_execz .LBB70_433
; %bb.428:
	s_mov_b32 s1, exec_lo
	v_cmpx_eq_u32_e32 25, v87
	s_cbranch_execz .LBB70_432
; %bb.429:
	v_cmp_ne_u32_e32 vcc_lo, 25, v78
	s_xor_b32 s2, s6, -1
	s_and_b32 s3, s2, vcc_lo
	s_and_saveexec_b32 s2, s3
	s_cbranch_execz .LBB70_431
; %bb.430:
	v_ashrrev_i32_e32 v79, 31, v78
	v_lshlrev_b64 v[79:80], 2, v[78:79]
	v_add_co_u32 v79, vcc_lo, v4, v79
	v_add_co_ci_u32_e64 v80, null, v5, v80, vcc_lo
	s_clause 0x1
	global_load_dword v81, v[79:80], off
	global_load_dword v87, v[4:5], off offset:100
	s_waitcnt vmcnt(1)
	global_store_dword v[4:5], v81, off offset:100
	s_waitcnt vmcnt(0)
	global_store_dword v[79:80], v87, off
.LBB70_431:
	s_or_b32 exec_lo, exec_lo, s2
	v_mov_b32_e32 v81, v78
	v_mov_b32_e32 v87, v78
.LBB70_432:
	s_or_b32 exec_lo, exec_lo, s1
.LBB70_433:
	s_andn2_saveexec_b32 s0, s0
	s_cbranch_execz .LBB70_435
; %bb.434:
	v_mov_b32_e32 v78, v22
	v_mov_b32_e32 v79, v23
	;; [unrolled: 1-line block ×8, first 2 shown]
	ds_write2_b64 v84, v[78:79], v[87:88] offset0:26 offset1:27
	v_mov_b32_e32 v78, v16
	v_mov_b32_e32 v79, v17
	;; [unrolled: 1-line block ×11, first 2 shown]
	ds_write2_b64 v84, v[89:90], v[78:79] offset0:28 offset1:29
	ds_write2_b64 v84, v[91:92], v[93:94] offset0:30 offset1:31
	ds_write2_b64 v84, v[95:96], v[97:98] offset0:32 offset1:33
	ds_write2_b64 v84, v[99:100], v[76:77] offset0:34 offset1:35
.LBB70_435:
	s_or_b32 exec_lo, exec_lo, s0
	s_mov_b32 s0, exec_lo
	s_waitcnt lgkmcnt(0)
	s_waitcnt_vscnt null, 0x0
	s_barrier
	buffer_gl0_inv
	v_cmpx_lt_i32_e32 25, v87
	s_cbranch_execz .LBB70_437
; %bb.436:
	v_mul_f64 v[24:25], v[0:1], v[24:25]
	ds_read2_b64 v[88:91], v84 offset0:26 offset1:27
	ds_read2_b64 v[92:95], v84 offset0:28 offset1:29
	;; [unrolled: 1-line block ×5, first 2 shown]
	s_waitcnt lgkmcnt(4)
	v_fma_f64 v[22:23], -v[24:25], v[88:89], v[22:23]
	v_fma_f64 v[18:19], -v[24:25], v[90:91], v[18:19]
	s_waitcnt lgkmcnt(3)
	v_fma_f64 v[20:21], -v[24:25], v[92:93], v[20:21]
	v_fma_f64 v[16:17], -v[24:25], v[94:95], v[16:17]
	;; [unrolled: 3-line block ×5, first 2 shown]
.LBB70_437:
	s_or_b32 exec_lo, exec_lo, s0
	v_lshl_add_u32 v0, v87, 3, v84
	s_barrier
	buffer_gl0_inv
	v_mov_b32_e32 v78, 26
	ds_write_b64 v0, v[22:23]
	s_waitcnt lgkmcnt(0)
	s_barrier
	buffer_gl0_inv
	ds_read_b64 v[0:1], v84 offset:208
	s_cmp_lt_i32 s7, 28
	s_cbranch_scc1 .LBB70_440
; %bb.438:
	v_add3_u32 v79, v85, 0, 0xd8
	v_mov_b32_e32 v78, 26
	s_mov_b32 s0, 27
.LBB70_439:                             ; =>This Inner Loop Header: Depth=1
	ds_read_b64 v[88:89], v79
	v_add_nc_u32_e32 v79, 8, v79
	s_waitcnt lgkmcnt(0)
	v_cmp_lt_f64_e64 vcc_lo, |v[0:1]|, |v[88:89]|
	v_cndmask_b32_e32 v1, v1, v89, vcc_lo
	v_cndmask_b32_e32 v0, v0, v88, vcc_lo
	v_cndmask_b32_e64 v78, v78, s0, vcc_lo
	s_add_i32 s0, s0, 1
	s_cmp_lg_u32 s7, s0
	s_cbranch_scc1 .LBB70_439
.LBB70_440:
	s_mov_b32 s0, exec_lo
	s_waitcnt lgkmcnt(0)
	v_cmpx_eq_f64_e32 0, v[0:1]
	s_xor_b32 s0, exec_lo, s0
; %bb.441:
	v_cmp_ne_u32_e32 vcc_lo, 0, v86
	v_cndmask_b32_e32 v86, 27, v86, vcc_lo
; %bb.442:
	s_andn2_saveexec_b32 s0, s0
	s_cbranch_execz .LBB70_444
; %bb.443:
	v_div_scale_f64 v[79:80], null, v[0:1], v[0:1], 1.0
	v_rcp_f64_e32 v[88:89], v[79:80]
	v_fma_f64 v[90:91], -v[79:80], v[88:89], 1.0
	v_fma_f64 v[88:89], v[88:89], v[90:91], v[88:89]
	v_fma_f64 v[90:91], -v[79:80], v[88:89], 1.0
	v_fma_f64 v[88:89], v[88:89], v[90:91], v[88:89]
	v_div_scale_f64 v[90:91], vcc_lo, 1.0, v[0:1], 1.0
	v_mul_f64 v[92:93], v[90:91], v[88:89]
	v_fma_f64 v[79:80], -v[79:80], v[92:93], v[90:91]
	v_div_fmas_f64 v[79:80], v[79:80], v[88:89], v[92:93]
	v_div_fixup_f64 v[0:1], v[79:80], v[0:1], 1.0
.LBB70_444:
	s_or_b32 exec_lo, exec_lo, s0
	s_mov_b32 s0, exec_lo
	v_cmpx_ne_u32_e64 v87, v78
	s_xor_b32 s0, exec_lo, s0
	s_cbranch_execz .LBB70_450
; %bb.445:
	s_mov_b32 s1, exec_lo
	v_cmpx_eq_u32_e32 26, v87
	s_cbranch_execz .LBB70_449
; %bb.446:
	v_cmp_ne_u32_e32 vcc_lo, 26, v78
	s_xor_b32 s2, s6, -1
	s_and_b32 s3, s2, vcc_lo
	s_and_saveexec_b32 s2, s3
	s_cbranch_execz .LBB70_448
; %bb.447:
	v_ashrrev_i32_e32 v79, 31, v78
	v_lshlrev_b64 v[79:80], 2, v[78:79]
	v_add_co_u32 v79, vcc_lo, v4, v79
	v_add_co_ci_u32_e64 v80, null, v5, v80, vcc_lo
	s_clause 0x1
	global_load_dword v81, v[79:80], off
	global_load_dword v87, v[4:5], off offset:104
	s_waitcnt vmcnt(1)
	global_store_dword v[4:5], v81, off offset:104
	s_waitcnt vmcnt(0)
	global_store_dword v[79:80], v87, off
.LBB70_448:
	s_or_b32 exec_lo, exec_lo, s2
	v_mov_b32_e32 v81, v78
	v_mov_b32_e32 v87, v78
.LBB70_449:
	s_or_b32 exec_lo, exec_lo, s1
.LBB70_450:
	s_andn2_saveexec_b32 s0, s0
	s_cbranch_execz .LBB70_452
; %bb.451:
	v_mov_b32_e32 v87, 26
	ds_write2_b64 v84, v[18:19], v[20:21] offset0:27 offset1:28
	ds_write2_b64 v84, v[16:17], v[14:15] offset0:29 offset1:30
	;; [unrolled: 1-line block ×4, first 2 shown]
	ds_write_b64 v84, v[76:77] offset:280
.LBB70_452:
	s_or_b32 exec_lo, exec_lo, s0
	s_mov_b32 s0, exec_lo
	s_waitcnt lgkmcnt(0)
	s_waitcnt_vscnt null, 0x0
	s_barrier
	buffer_gl0_inv
	v_cmpx_lt_i32_e32 26, v87
	s_cbranch_execz .LBB70_454
; %bb.453:
	v_mul_f64 v[22:23], v[0:1], v[22:23]
	ds_read2_b64 v[88:91], v84 offset0:27 offset1:28
	ds_read2_b64 v[92:95], v84 offset0:29 offset1:30
	ds_read2_b64 v[96:99], v84 offset0:31 offset1:32
	ds_read2_b64 v[100:103], v84 offset0:33 offset1:34
	ds_read_b64 v[0:1], v84 offset:280
	s_waitcnt lgkmcnt(4)
	v_fma_f64 v[18:19], -v[22:23], v[88:89], v[18:19]
	v_fma_f64 v[20:21], -v[22:23], v[90:91], v[20:21]
	s_waitcnt lgkmcnt(3)
	v_fma_f64 v[16:17], -v[22:23], v[92:93], v[16:17]
	v_fma_f64 v[14:15], -v[22:23], v[94:95], v[14:15]
	;; [unrolled: 3-line block ×4, first 2 shown]
	s_waitcnt lgkmcnt(0)
	v_fma_f64 v[76:77], -v[22:23], v[0:1], v[76:77]
.LBB70_454:
	s_or_b32 exec_lo, exec_lo, s0
	v_lshl_add_u32 v0, v87, 3, v84
	s_barrier
	buffer_gl0_inv
	v_mov_b32_e32 v78, 27
	ds_write_b64 v0, v[18:19]
	s_waitcnt lgkmcnt(0)
	s_barrier
	buffer_gl0_inv
	ds_read_b64 v[0:1], v84 offset:216
	s_cmp_lt_i32 s7, 29
	s_cbranch_scc1 .LBB70_457
; %bb.455:
	v_add3_u32 v79, v85, 0, 0xe0
	v_mov_b32_e32 v78, 27
	s_mov_b32 s0, 28
.LBB70_456:                             ; =>This Inner Loop Header: Depth=1
	ds_read_b64 v[88:89], v79
	v_add_nc_u32_e32 v79, 8, v79
	s_waitcnt lgkmcnt(0)
	v_cmp_lt_f64_e64 vcc_lo, |v[0:1]|, |v[88:89]|
	v_cndmask_b32_e32 v1, v1, v89, vcc_lo
	v_cndmask_b32_e32 v0, v0, v88, vcc_lo
	v_cndmask_b32_e64 v78, v78, s0, vcc_lo
	s_add_i32 s0, s0, 1
	s_cmp_lg_u32 s7, s0
	s_cbranch_scc1 .LBB70_456
.LBB70_457:
	s_mov_b32 s0, exec_lo
	s_waitcnt lgkmcnt(0)
	v_cmpx_eq_f64_e32 0, v[0:1]
	s_xor_b32 s0, exec_lo, s0
; %bb.458:
	v_cmp_ne_u32_e32 vcc_lo, 0, v86
	v_cndmask_b32_e32 v86, 28, v86, vcc_lo
; %bb.459:
	s_andn2_saveexec_b32 s0, s0
	s_cbranch_execz .LBB70_461
; %bb.460:
	v_div_scale_f64 v[79:80], null, v[0:1], v[0:1], 1.0
	v_rcp_f64_e32 v[88:89], v[79:80]
	v_fma_f64 v[90:91], -v[79:80], v[88:89], 1.0
	v_fma_f64 v[88:89], v[88:89], v[90:91], v[88:89]
	v_fma_f64 v[90:91], -v[79:80], v[88:89], 1.0
	v_fma_f64 v[88:89], v[88:89], v[90:91], v[88:89]
	v_div_scale_f64 v[90:91], vcc_lo, 1.0, v[0:1], 1.0
	v_mul_f64 v[92:93], v[90:91], v[88:89]
	v_fma_f64 v[79:80], -v[79:80], v[92:93], v[90:91]
	v_div_fmas_f64 v[79:80], v[79:80], v[88:89], v[92:93]
	v_div_fixup_f64 v[0:1], v[79:80], v[0:1], 1.0
.LBB70_461:
	s_or_b32 exec_lo, exec_lo, s0
	s_mov_b32 s0, exec_lo
	v_cmpx_ne_u32_e64 v87, v78
	s_xor_b32 s0, exec_lo, s0
	s_cbranch_execz .LBB70_467
; %bb.462:
	s_mov_b32 s1, exec_lo
	v_cmpx_eq_u32_e32 27, v87
	s_cbranch_execz .LBB70_466
; %bb.463:
	v_cmp_ne_u32_e32 vcc_lo, 27, v78
	s_xor_b32 s2, s6, -1
	s_and_b32 s3, s2, vcc_lo
	s_and_saveexec_b32 s2, s3
	s_cbranch_execz .LBB70_465
; %bb.464:
	v_ashrrev_i32_e32 v79, 31, v78
	v_lshlrev_b64 v[79:80], 2, v[78:79]
	v_add_co_u32 v79, vcc_lo, v4, v79
	v_add_co_ci_u32_e64 v80, null, v5, v80, vcc_lo
	s_clause 0x1
	global_load_dword v81, v[79:80], off
	global_load_dword v87, v[4:5], off offset:108
	s_waitcnt vmcnt(1)
	global_store_dword v[4:5], v81, off offset:108
	s_waitcnt vmcnt(0)
	global_store_dword v[79:80], v87, off
.LBB70_465:
	s_or_b32 exec_lo, exec_lo, s2
	v_mov_b32_e32 v81, v78
	v_mov_b32_e32 v87, v78
.LBB70_466:
	s_or_b32 exec_lo, exec_lo, s1
.LBB70_467:
	s_andn2_saveexec_b32 s0, s0
	s_cbranch_execz .LBB70_469
; %bb.468:
	v_mov_b32_e32 v78, v20
	v_mov_b32_e32 v79, v21
	;; [unrolled: 1-line block ×15, first 2 shown]
	ds_write2_b64 v84, v[78:79], v[88:89] offset0:28 offset1:29
	ds_write2_b64 v84, v[90:91], v[92:93] offset0:30 offset1:31
	;; [unrolled: 1-line block ×4, first 2 shown]
.LBB70_469:
	s_or_b32 exec_lo, exec_lo, s0
	s_mov_b32 s0, exec_lo
	s_waitcnt lgkmcnt(0)
	s_waitcnt_vscnt null, 0x0
	s_barrier
	buffer_gl0_inv
	v_cmpx_lt_i32_e32 27, v87
	s_cbranch_execz .LBB70_471
; %bb.470:
	v_mul_f64 v[18:19], v[0:1], v[18:19]
	ds_read2_b64 v[88:91], v84 offset0:28 offset1:29
	ds_read2_b64 v[92:95], v84 offset0:30 offset1:31
	;; [unrolled: 1-line block ×4, first 2 shown]
	s_waitcnt lgkmcnt(3)
	v_fma_f64 v[20:21], -v[18:19], v[88:89], v[20:21]
	v_fma_f64 v[16:17], -v[18:19], v[90:91], v[16:17]
	s_waitcnt lgkmcnt(2)
	v_fma_f64 v[14:15], -v[18:19], v[92:93], v[14:15]
	v_fma_f64 v[8:9], -v[18:19], v[94:95], v[8:9]
	;; [unrolled: 3-line block ×4, first 2 shown]
.LBB70_471:
	s_or_b32 exec_lo, exec_lo, s0
	v_lshl_add_u32 v0, v87, 3, v84
	s_barrier
	buffer_gl0_inv
	v_mov_b32_e32 v78, 28
	ds_write_b64 v0, v[20:21]
	s_waitcnt lgkmcnt(0)
	s_barrier
	buffer_gl0_inv
	ds_read_b64 v[0:1], v84 offset:224
	s_cmp_lt_i32 s7, 30
	s_cbranch_scc1 .LBB70_474
; %bb.472:
	v_add3_u32 v79, v85, 0, 0xe8
	v_mov_b32_e32 v78, 28
	s_mov_b32 s0, 29
.LBB70_473:                             ; =>This Inner Loop Header: Depth=1
	ds_read_b64 v[88:89], v79
	v_add_nc_u32_e32 v79, 8, v79
	s_waitcnt lgkmcnt(0)
	v_cmp_lt_f64_e64 vcc_lo, |v[0:1]|, |v[88:89]|
	v_cndmask_b32_e32 v1, v1, v89, vcc_lo
	v_cndmask_b32_e32 v0, v0, v88, vcc_lo
	v_cndmask_b32_e64 v78, v78, s0, vcc_lo
	s_add_i32 s0, s0, 1
	s_cmp_lg_u32 s7, s0
	s_cbranch_scc1 .LBB70_473
.LBB70_474:
	s_mov_b32 s0, exec_lo
	s_waitcnt lgkmcnt(0)
	v_cmpx_eq_f64_e32 0, v[0:1]
	s_xor_b32 s0, exec_lo, s0
; %bb.475:
	v_cmp_ne_u32_e32 vcc_lo, 0, v86
	v_cndmask_b32_e32 v86, 29, v86, vcc_lo
; %bb.476:
	s_andn2_saveexec_b32 s0, s0
	s_cbranch_execz .LBB70_478
; %bb.477:
	v_div_scale_f64 v[79:80], null, v[0:1], v[0:1], 1.0
	v_rcp_f64_e32 v[88:89], v[79:80]
	v_fma_f64 v[90:91], -v[79:80], v[88:89], 1.0
	v_fma_f64 v[88:89], v[88:89], v[90:91], v[88:89]
	v_fma_f64 v[90:91], -v[79:80], v[88:89], 1.0
	v_fma_f64 v[88:89], v[88:89], v[90:91], v[88:89]
	v_div_scale_f64 v[90:91], vcc_lo, 1.0, v[0:1], 1.0
	v_mul_f64 v[92:93], v[90:91], v[88:89]
	v_fma_f64 v[79:80], -v[79:80], v[92:93], v[90:91]
	v_div_fmas_f64 v[79:80], v[79:80], v[88:89], v[92:93]
	v_div_fixup_f64 v[0:1], v[79:80], v[0:1], 1.0
.LBB70_478:
	s_or_b32 exec_lo, exec_lo, s0
	s_mov_b32 s0, exec_lo
	v_cmpx_ne_u32_e64 v87, v78
	s_xor_b32 s0, exec_lo, s0
	s_cbranch_execz .LBB70_484
; %bb.479:
	s_mov_b32 s1, exec_lo
	v_cmpx_eq_u32_e32 28, v87
	s_cbranch_execz .LBB70_483
; %bb.480:
	v_cmp_ne_u32_e32 vcc_lo, 28, v78
	s_xor_b32 s2, s6, -1
	s_and_b32 s3, s2, vcc_lo
	s_and_saveexec_b32 s2, s3
	s_cbranch_execz .LBB70_482
; %bb.481:
	v_ashrrev_i32_e32 v79, 31, v78
	v_lshlrev_b64 v[79:80], 2, v[78:79]
	v_add_co_u32 v79, vcc_lo, v4, v79
	v_add_co_ci_u32_e64 v80, null, v5, v80, vcc_lo
	s_clause 0x1
	global_load_dword v81, v[79:80], off
	global_load_dword v87, v[4:5], off offset:112
	s_waitcnt vmcnt(1)
	global_store_dword v[4:5], v81, off offset:112
	s_waitcnt vmcnt(0)
	global_store_dword v[79:80], v87, off
.LBB70_482:
	s_or_b32 exec_lo, exec_lo, s2
	v_mov_b32_e32 v81, v78
	v_mov_b32_e32 v87, v78
.LBB70_483:
	s_or_b32 exec_lo, exec_lo, s1
.LBB70_484:
	s_andn2_saveexec_b32 s0, s0
	s_cbranch_execz .LBB70_486
; %bb.485:
	v_mov_b32_e32 v87, 28
	ds_write2_b64 v84, v[16:17], v[14:15] offset0:29 offset1:30
	ds_write2_b64 v84, v[8:9], v[12:13] offset0:31 offset1:32
	ds_write2_b64 v84, v[6:7], v[10:11] offset0:33 offset1:34
	ds_write_b64 v84, v[76:77] offset:280
.LBB70_486:
	s_or_b32 exec_lo, exec_lo, s0
	s_mov_b32 s0, exec_lo
	s_waitcnt lgkmcnt(0)
	s_waitcnt_vscnt null, 0x0
	s_barrier
	buffer_gl0_inv
	v_cmpx_lt_i32_e32 28, v87
	s_cbranch_execz .LBB70_488
; %bb.487:
	v_mul_f64 v[20:21], v[0:1], v[20:21]
	ds_read2_b64 v[88:91], v84 offset0:29 offset1:30
	ds_read2_b64 v[92:95], v84 offset0:31 offset1:32
	;; [unrolled: 1-line block ×3, first 2 shown]
	ds_read_b64 v[0:1], v84 offset:280
	s_waitcnt lgkmcnt(3)
	v_fma_f64 v[16:17], -v[20:21], v[88:89], v[16:17]
	v_fma_f64 v[14:15], -v[20:21], v[90:91], v[14:15]
	s_waitcnt lgkmcnt(2)
	v_fma_f64 v[8:9], -v[20:21], v[92:93], v[8:9]
	v_fma_f64 v[12:13], -v[20:21], v[94:95], v[12:13]
	;; [unrolled: 3-line block ×3, first 2 shown]
	s_waitcnt lgkmcnt(0)
	v_fma_f64 v[76:77], -v[20:21], v[0:1], v[76:77]
.LBB70_488:
	s_or_b32 exec_lo, exec_lo, s0
	v_lshl_add_u32 v0, v87, 3, v84
	s_barrier
	buffer_gl0_inv
	v_mov_b32_e32 v78, 29
	ds_write_b64 v0, v[16:17]
	s_waitcnt lgkmcnt(0)
	s_barrier
	buffer_gl0_inv
	ds_read_b64 v[0:1], v84 offset:232
	s_cmp_lt_i32 s7, 31
	s_cbranch_scc1 .LBB70_491
; %bb.489:
	v_add3_u32 v79, v85, 0, 0xf0
	v_mov_b32_e32 v78, 29
	s_mov_b32 s0, 30
.LBB70_490:                             ; =>This Inner Loop Header: Depth=1
	ds_read_b64 v[88:89], v79
	v_add_nc_u32_e32 v79, 8, v79
	s_waitcnt lgkmcnt(0)
	v_cmp_lt_f64_e64 vcc_lo, |v[0:1]|, |v[88:89]|
	v_cndmask_b32_e32 v1, v1, v89, vcc_lo
	v_cndmask_b32_e32 v0, v0, v88, vcc_lo
	v_cndmask_b32_e64 v78, v78, s0, vcc_lo
	s_add_i32 s0, s0, 1
	s_cmp_lg_u32 s7, s0
	s_cbranch_scc1 .LBB70_490
.LBB70_491:
	s_mov_b32 s0, exec_lo
	s_waitcnt lgkmcnt(0)
	v_cmpx_eq_f64_e32 0, v[0:1]
	s_xor_b32 s0, exec_lo, s0
; %bb.492:
	v_cmp_ne_u32_e32 vcc_lo, 0, v86
	v_cndmask_b32_e32 v86, 30, v86, vcc_lo
; %bb.493:
	s_andn2_saveexec_b32 s0, s0
	s_cbranch_execz .LBB70_495
; %bb.494:
	v_div_scale_f64 v[79:80], null, v[0:1], v[0:1], 1.0
	v_rcp_f64_e32 v[88:89], v[79:80]
	v_fma_f64 v[90:91], -v[79:80], v[88:89], 1.0
	v_fma_f64 v[88:89], v[88:89], v[90:91], v[88:89]
	v_fma_f64 v[90:91], -v[79:80], v[88:89], 1.0
	v_fma_f64 v[88:89], v[88:89], v[90:91], v[88:89]
	v_div_scale_f64 v[90:91], vcc_lo, 1.0, v[0:1], 1.0
	v_mul_f64 v[92:93], v[90:91], v[88:89]
	v_fma_f64 v[79:80], -v[79:80], v[92:93], v[90:91]
	v_div_fmas_f64 v[79:80], v[79:80], v[88:89], v[92:93]
	v_div_fixup_f64 v[0:1], v[79:80], v[0:1], 1.0
.LBB70_495:
	s_or_b32 exec_lo, exec_lo, s0
	s_mov_b32 s0, exec_lo
	v_cmpx_ne_u32_e64 v87, v78
	s_xor_b32 s0, exec_lo, s0
	s_cbranch_execz .LBB70_501
; %bb.496:
	s_mov_b32 s1, exec_lo
	v_cmpx_eq_u32_e32 29, v87
	s_cbranch_execz .LBB70_500
; %bb.497:
	v_cmp_ne_u32_e32 vcc_lo, 29, v78
	s_xor_b32 s2, s6, -1
	s_and_b32 s3, s2, vcc_lo
	s_and_saveexec_b32 s2, s3
	s_cbranch_execz .LBB70_499
; %bb.498:
	v_ashrrev_i32_e32 v79, 31, v78
	v_lshlrev_b64 v[79:80], 2, v[78:79]
	v_add_co_u32 v79, vcc_lo, v4, v79
	v_add_co_ci_u32_e64 v80, null, v5, v80, vcc_lo
	s_clause 0x1
	global_load_dword v81, v[79:80], off
	global_load_dword v87, v[4:5], off offset:116
	s_waitcnt vmcnt(1)
	global_store_dword v[4:5], v81, off offset:116
	s_waitcnt vmcnt(0)
	global_store_dword v[79:80], v87, off
.LBB70_499:
	s_or_b32 exec_lo, exec_lo, s2
	v_mov_b32_e32 v81, v78
	v_mov_b32_e32 v87, v78
.LBB70_500:
	s_or_b32 exec_lo, exec_lo, s1
.LBB70_501:
	s_andn2_saveexec_b32 s0, s0
	s_cbranch_execz .LBB70_503
; %bb.502:
	v_mov_b32_e32 v78, v14
	v_mov_b32_e32 v79, v15
	v_mov_b32_e32 v88, v8
	v_mov_b32_e32 v89, v9
	v_mov_b32_e32 v87, 29
	v_mov_b32_e32 v90, v12
	v_mov_b32_e32 v91, v13
	v_mov_b32_e32 v92, v6
	v_mov_b32_e32 v93, v7
	v_mov_b32_e32 v94, v10
	v_mov_b32_e32 v95, v11
	ds_write2_b64 v84, v[78:79], v[88:89] offset0:30 offset1:31
	ds_write2_b64 v84, v[90:91], v[92:93] offset0:32 offset1:33
	;; [unrolled: 1-line block ×3, first 2 shown]
.LBB70_503:
	s_or_b32 exec_lo, exec_lo, s0
	s_mov_b32 s0, exec_lo
	s_waitcnt lgkmcnt(0)
	s_waitcnt_vscnt null, 0x0
	s_barrier
	buffer_gl0_inv
	v_cmpx_lt_i32_e32 29, v87
	s_cbranch_execz .LBB70_505
; %bb.504:
	v_mul_f64 v[16:17], v[0:1], v[16:17]
	ds_read2_b64 v[88:91], v84 offset0:30 offset1:31
	ds_read2_b64 v[92:95], v84 offset0:32 offset1:33
	;; [unrolled: 1-line block ×3, first 2 shown]
	s_waitcnt lgkmcnt(2)
	v_fma_f64 v[14:15], -v[16:17], v[88:89], v[14:15]
	v_fma_f64 v[8:9], -v[16:17], v[90:91], v[8:9]
	s_waitcnt lgkmcnt(1)
	v_fma_f64 v[12:13], -v[16:17], v[92:93], v[12:13]
	v_fma_f64 v[6:7], -v[16:17], v[94:95], v[6:7]
	;; [unrolled: 3-line block ×3, first 2 shown]
.LBB70_505:
	s_or_b32 exec_lo, exec_lo, s0
	v_lshl_add_u32 v0, v87, 3, v84
	s_barrier
	buffer_gl0_inv
	v_mov_b32_e32 v78, 30
	ds_write_b64 v0, v[14:15]
	s_waitcnt lgkmcnt(0)
	s_barrier
	buffer_gl0_inv
	ds_read_b64 v[0:1], v84 offset:240
	s_cmp_lt_i32 s7, 32
	s_cbranch_scc1 .LBB70_508
; %bb.506:
	v_add3_u32 v79, v85, 0, 0xf8
	v_mov_b32_e32 v78, 30
	s_mov_b32 s0, 31
.LBB70_507:                             ; =>This Inner Loop Header: Depth=1
	ds_read_b64 v[88:89], v79
	v_add_nc_u32_e32 v79, 8, v79
	s_waitcnt lgkmcnt(0)
	v_cmp_lt_f64_e64 vcc_lo, |v[0:1]|, |v[88:89]|
	v_cndmask_b32_e32 v1, v1, v89, vcc_lo
	v_cndmask_b32_e32 v0, v0, v88, vcc_lo
	v_cndmask_b32_e64 v78, v78, s0, vcc_lo
	s_add_i32 s0, s0, 1
	s_cmp_lg_u32 s7, s0
	s_cbranch_scc1 .LBB70_507
.LBB70_508:
	s_mov_b32 s0, exec_lo
	s_waitcnt lgkmcnt(0)
	v_cmpx_eq_f64_e32 0, v[0:1]
	s_xor_b32 s0, exec_lo, s0
; %bb.509:
	v_cmp_ne_u32_e32 vcc_lo, 0, v86
	v_cndmask_b32_e32 v86, 31, v86, vcc_lo
; %bb.510:
	s_andn2_saveexec_b32 s0, s0
	s_cbranch_execz .LBB70_512
; %bb.511:
	v_div_scale_f64 v[79:80], null, v[0:1], v[0:1], 1.0
	v_rcp_f64_e32 v[88:89], v[79:80]
	v_fma_f64 v[90:91], -v[79:80], v[88:89], 1.0
	v_fma_f64 v[88:89], v[88:89], v[90:91], v[88:89]
	v_fma_f64 v[90:91], -v[79:80], v[88:89], 1.0
	v_fma_f64 v[88:89], v[88:89], v[90:91], v[88:89]
	v_div_scale_f64 v[90:91], vcc_lo, 1.0, v[0:1], 1.0
	v_mul_f64 v[92:93], v[90:91], v[88:89]
	v_fma_f64 v[79:80], -v[79:80], v[92:93], v[90:91]
	v_div_fmas_f64 v[79:80], v[79:80], v[88:89], v[92:93]
	v_div_fixup_f64 v[0:1], v[79:80], v[0:1], 1.0
.LBB70_512:
	s_or_b32 exec_lo, exec_lo, s0
	s_mov_b32 s0, exec_lo
	v_cmpx_ne_u32_e64 v87, v78
	s_xor_b32 s0, exec_lo, s0
	s_cbranch_execz .LBB70_518
; %bb.513:
	s_mov_b32 s1, exec_lo
	v_cmpx_eq_u32_e32 30, v87
	s_cbranch_execz .LBB70_517
; %bb.514:
	v_cmp_ne_u32_e32 vcc_lo, 30, v78
	s_xor_b32 s2, s6, -1
	s_and_b32 s3, s2, vcc_lo
	s_and_saveexec_b32 s2, s3
	s_cbranch_execz .LBB70_516
; %bb.515:
	v_ashrrev_i32_e32 v79, 31, v78
	v_lshlrev_b64 v[79:80], 2, v[78:79]
	v_add_co_u32 v79, vcc_lo, v4, v79
	v_add_co_ci_u32_e64 v80, null, v5, v80, vcc_lo
	s_clause 0x1
	global_load_dword v81, v[79:80], off
	global_load_dword v87, v[4:5], off offset:120
	s_waitcnt vmcnt(1)
	global_store_dword v[4:5], v81, off offset:120
	s_waitcnt vmcnt(0)
	global_store_dword v[79:80], v87, off
.LBB70_516:
	s_or_b32 exec_lo, exec_lo, s2
	v_mov_b32_e32 v81, v78
	v_mov_b32_e32 v87, v78
.LBB70_517:
	s_or_b32 exec_lo, exec_lo, s1
.LBB70_518:
	s_andn2_saveexec_b32 s0, s0
	s_cbranch_execz .LBB70_520
; %bb.519:
	v_mov_b32_e32 v87, 30
	ds_write2_b64 v84, v[8:9], v[12:13] offset0:31 offset1:32
	ds_write2_b64 v84, v[6:7], v[10:11] offset0:33 offset1:34
	ds_write_b64 v84, v[76:77] offset:280
.LBB70_520:
	s_or_b32 exec_lo, exec_lo, s0
	s_mov_b32 s0, exec_lo
	s_waitcnt lgkmcnt(0)
	s_waitcnt_vscnt null, 0x0
	s_barrier
	buffer_gl0_inv
	v_cmpx_lt_i32_e32 30, v87
	s_cbranch_execz .LBB70_522
; %bb.521:
	v_mul_f64 v[14:15], v[0:1], v[14:15]
	ds_read2_b64 v[88:91], v84 offset0:31 offset1:32
	ds_read2_b64 v[92:95], v84 offset0:33 offset1:34
	ds_read_b64 v[0:1], v84 offset:280
	s_waitcnt lgkmcnt(2)
	v_fma_f64 v[8:9], -v[14:15], v[88:89], v[8:9]
	v_fma_f64 v[12:13], -v[14:15], v[90:91], v[12:13]
	s_waitcnt lgkmcnt(1)
	v_fma_f64 v[6:7], -v[14:15], v[92:93], v[6:7]
	v_fma_f64 v[10:11], -v[14:15], v[94:95], v[10:11]
	s_waitcnt lgkmcnt(0)
	v_fma_f64 v[76:77], -v[14:15], v[0:1], v[76:77]
.LBB70_522:
	s_or_b32 exec_lo, exec_lo, s0
	v_lshl_add_u32 v0, v87, 3, v84
	s_barrier
	buffer_gl0_inv
	v_mov_b32_e32 v78, 31
	ds_write_b64 v0, v[8:9]
	s_waitcnt lgkmcnt(0)
	s_barrier
	buffer_gl0_inv
	ds_read_b64 v[0:1], v84 offset:248
	s_cmp_lt_i32 s7, 33
	s_cbranch_scc1 .LBB70_525
; %bb.523:
	v_add3_u32 v79, v85, 0, 0x100
	v_mov_b32_e32 v78, 31
	s_mov_b32 s0, 32
.LBB70_524:                             ; =>This Inner Loop Header: Depth=1
	ds_read_b64 v[88:89], v79
	v_add_nc_u32_e32 v79, 8, v79
	s_waitcnt lgkmcnt(0)
	v_cmp_lt_f64_e64 vcc_lo, |v[0:1]|, |v[88:89]|
	v_cndmask_b32_e32 v1, v1, v89, vcc_lo
	v_cndmask_b32_e32 v0, v0, v88, vcc_lo
	v_cndmask_b32_e64 v78, v78, s0, vcc_lo
	s_add_i32 s0, s0, 1
	s_cmp_lg_u32 s7, s0
	s_cbranch_scc1 .LBB70_524
.LBB70_525:
	s_mov_b32 s0, exec_lo
	s_waitcnt lgkmcnt(0)
	v_cmpx_eq_f64_e32 0, v[0:1]
	s_xor_b32 s0, exec_lo, s0
; %bb.526:
	v_cmp_ne_u32_e32 vcc_lo, 0, v86
	v_cndmask_b32_e32 v86, 32, v86, vcc_lo
; %bb.527:
	s_andn2_saveexec_b32 s0, s0
	s_cbranch_execz .LBB70_529
; %bb.528:
	v_div_scale_f64 v[79:80], null, v[0:1], v[0:1], 1.0
	v_rcp_f64_e32 v[88:89], v[79:80]
	v_fma_f64 v[90:91], -v[79:80], v[88:89], 1.0
	v_fma_f64 v[88:89], v[88:89], v[90:91], v[88:89]
	v_fma_f64 v[90:91], -v[79:80], v[88:89], 1.0
	v_fma_f64 v[88:89], v[88:89], v[90:91], v[88:89]
	v_div_scale_f64 v[90:91], vcc_lo, 1.0, v[0:1], 1.0
	v_mul_f64 v[92:93], v[90:91], v[88:89]
	v_fma_f64 v[79:80], -v[79:80], v[92:93], v[90:91]
	v_div_fmas_f64 v[79:80], v[79:80], v[88:89], v[92:93]
	v_div_fixup_f64 v[0:1], v[79:80], v[0:1], 1.0
.LBB70_529:
	s_or_b32 exec_lo, exec_lo, s0
	s_mov_b32 s0, exec_lo
	v_cmpx_ne_u32_e64 v87, v78
	s_xor_b32 s0, exec_lo, s0
	s_cbranch_execz .LBB70_535
; %bb.530:
	s_mov_b32 s1, exec_lo
	v_cmpx_eq_u32_e32 31, v87
	s_cbranch_execz .LBB70_534
; %bb.531:
	v_cmp_ne_u32_e32 vcc_lo, 31, v78
	s_xor_b32 s2, s6, -1
	s_and_b32 s3, s2, vcc_lo
	s_and_saveexec_b32 s2, s3
	s_cbranch_execz .LBB70_533
; %bb.532:
	v_ashrrev_i32_e32 v79, 31, v78
	v_lshlrev_b64 v[79:80], 2, v[78:79]
	v_add_co_u32 v79, vcc_lo, v4, v79
	v_add_co_ci_u32_e64 v80, null, v5, v80, vcc_lo
	s_clause 0x1
	global_load_dword v81, v[79:80], off
	global_load_dword v87, v[4:5], off offset:124
	s_waitcnt vmcnt(1)
	global_store_dword v[4:5], v81, off offset:124
	s_waitcnt vmcnt(0)
	global_store_dword v[79:80], v87, off
.LBB70_533:
	s_or_b32 exec_lo, exec_lo, s2
	v_mov_b32_e32 v81, v78
	v_mov_b32_e32 v87, v78
.LBB70_534:
	s_or_b32 exec_lo, exec_lo, s1
.LBB70_535:
	s_andn2_saveexec_b32 s0, s0
	s_cbranch_execz .LBB70_537
; %bb.536:
	v_mov_b32_e32 v78, v12
	v_mov_b32_e32 v79, v13
	;; [unrolled: 1-line block ×7, first 2 shown]
	ds_write2_b64 v84, v[78:79], v[88:89] offset0:32 offset1:33
	ds_write2_b64 v84, v[90:91], v[76:77] offset0:34 offset1:35
.LBB70_537:
	s_or_b32 exec_lo, exec_lo, s0
	s_mov_b32 s0, exec_lo
	s_waitcnt lgkmcnt(0)
	s_waitcnt_vscnt null, 0x0
	s_barrier
	buffer_gl0_inv
	v_cmpx_lt_i32_e32 31, v87
	s_cbranch_execz .LBB70_539
; %bb.538:
	v_mul_f64 v[8:9], v[0:1], v[8:9]
	ds_read2_b64 v[88:91], v84 offset0:32 offset1:33
	ds_read2_b64 v[92:95], v84 offset0:34 offset1:35
	s_waitcnt lgkmcnt(1)
	v_fma_f64 v[12:13], -v[8:9], v[88:89], v[12:13]
	v_fma_f64 v[6:7], -v[8:9], v[90:91], v[6:7]
	s_waitcnt lgkmcnt(0)
	v_fma_f64 v[10:11], -v[8:9], v[92:93], v[10:11]
	v_fma_f64 v[76:77], -v[8:9], v[94:95], v[76:77]
.LBB70_539:
	s_or_b32 exec_lo, exec_lo, s0
	v_lshl_add_u32 v0, v87, 3, v84
	s_barrier
	buffer_gl0_inv
	v_mov_b32_e32 v78, 32
	ds_write_b64 v0, v[12:13]
	s_waitcnt lgkmcnt(0)
	s_barrier
	buffer_gl0_inv
	ds_read_b64 v[0:1], v84 offset:256
	s_cmp_lt_i32 s7, 34
	s_cbranch_scc1 .LBB70_542
; %bb.540:
	v_add3_u32 v79, v85, 0, 0x108
	v_mov_b32_e32 v78, 32
	s_mov_b32 s0, 33
.LBB70_541:                             ; =>This Inner Loop Header: Depth=1
	ds_read_b64 v[88:89], v79
	v_add_nc_u32_e32 v79, 8, v79
	s_waitcnt lgkmcnt(0)
	v_cmp_lt_f64_e64 vcc_lo, |v[0:1]|, |v[88:89]|
	v_cndmask_b32_e32 v1, v1, v89, vcc_lo
	v_cndmask_b32_e32 v0, v0, v88, vcc_lo
	v_cndmask_b32_e64 v78, v78, s0, vcc_lo
	s_add_i32 s0, s0, 1
	s_cmp_lg_u32 s7, s0
	s_cbranch_scc1 .LBB70_541
.LBB70_542:
	s_mov_b32 s0, exec_lo
	s_waitcnt lgkmcnt(0)
	v_cmpx_eq_f64_e32 0, v[0:1]
	s_xor_b32 s0, exec_lo, s0
; %bb.543:
	v_cmp_ne_u32_e32 vcc_lo, 0, v86
	v_cndmask_b32_e32 v86, 33, v86, vcc_lo
; %bb.544:
	s_andn2_saveexec_b32 s0, s0
	s_cbranch_execz .LBB70_546
; %bb.545:
	v_div_scale_f64 v[79:80], null, v[0:1], v[0:1], 1.0
	v_rcp_f64_e32 v[88:89], v[79:80]
	v_fma_f64 v[90:91], -v[79:80], v[88:89], 1.0
	v_fma_f64 v[88:89], v[88:89], v[90:91], v[88:89]
	v_fma_f64 v[90:91], -v[79:80], v[88:89], 1.0
	v_fma_f64 v[88:89], v[88:89], v[90:91], v[88:89]
	v_div_scale_f64 v[90:91], vcc_lo, 1.0, v[0:1], 1.0
	v_mul_f64 v[92:93], v[90:91], v[88:89]
	v_fma_f64 v[79:80], -v[79:80], v[92:93], v[90:91]
	v_div_fmas_f64 v[79:80], v[79:80], v[88:89], v[92:93]
	v_div_fixup_f64 v[0:1], v[79:80], v[0:1], 1.0
.LBB70_546:
	s_or_b32 exec_lo, exec_lo, s0
	s_mov_b32 s0, exec_lo
	v_cmpx_ne_u32_e64 v87, v78
	s_xor_b32 s0, exec_lo, s0
	s_cbranch_execz .LBB70_552
; %bb.547:
	s_mov_b32 s1, exec_lo
	v_cmpx_eq_u32_e32 32, v87
	s_cbranch_execz .LBB70_551
; %bb.548:
	v_cmp_ne_u32_e32 vcc_lo, 32, v78
	s_xor_b32 s2, s6, -1
	s_and_b32 s3, s2, vcc_lo
	s_and_saveexec_b32 s2, s3
	s_cbranch_execz .LBB70_550
; %bb.549:
	v_ashrrev_i32_e32 v79, 31, v78
	v_lshlrev_b64 v[79:80], 2, v[78:79]
	v_add_co_u32 v79, vcc_lo, v4, v79
	v_add_co_ci_u32_e64 v80, null, v5, v80, vcc_lo
	s_clause 0x1
	global_load_dword v81, v[79:80], off
	global_load_dword v87, v[4:5], off offset:128
	s_waitcnt vmcnt(1)
	global_store_dword v[4:5], v81, off offset:128
	s_waitcnt vmcnt(0)
	global_store_dword v[79:80], v87, off
.LBB70_550:
	s_or_b32 exec_lo, exec_lo, s2
	v_mov_b32_e32 v81, v78
	v_mov_b32_e32 v87, v78
.LBB70_551:
	s_or_b32 exec_lo, exec_lo, s1
.LBB70_552:
	s_andn2_saveexec_b32 s0, s0
	s_cbranch_execz .LBB70_554
; %bb.553:
	v_mov_b32_e32 v87, 32
	ds_write2_b64 v84, v[6:7], v[10:11] offset0:33 offset1:34
	ds_write_b64 v84, v[76:77] offset:280
.LBB70_554:
	s_or_b32 exec_lo, exec_lo, s0
	s_mov_b32 s0, exec_lo
	s_waitcnt lgkmcnt(0)
	s_waitcnt_vscnt null, 0x0
	s_barrier
	buffer_gl0_inv
	v_cmpx_lt_i32_e32 32, v87
	s_cbranch_execz .LBB70_556
; %bb.555:
	v_mul_f64 v[12:13], v[0:1], v[12:13]
	ds_read2_b64 v[88:91], v84 offset0:33 offset1:34
	ds_read_b64 v[0:1], v84 offset:280
	s_waitcnt lgkmcnt(1)
	v_fma_f64 v[6:7], -v[12:13], v[88:89], v[6:7]
	v_fma_f64 v[10:11], -v[12:13], v[90:91], v[10:11]
	s_waitcnt lgkmcnt(0)
	v_fma_f64 v[76:77], -v[12:13], v[0:1], v[76:77]
.LBB70_556:
	s_or_b32 exec_lo, exec_lo, s0
	v_lshl_add_u32 v0, v87, 3, v84
	s_barrier
	buffer_gl0_inv
	v_mov_b32_e32 v78, 33
	ds_write_b64 v0, v[6:7]
	s_waitcnt lgkmcnt(0)
	s_barrier
	buffer_gl0_inv
	ds_read_b64 v[0:1], v84 offset:264
	s_cmp_lt_i32 s7, 35
	s_cbranch_scc1 .LBB70_559
; %bb.557:
	v_add3_u32 v79, v85, 0, 0x110
	v_mov_b32_e32 v78, 33
	s_mov_b32 s0, 34
.LBB70_558:                             ; =>This Inner Loop Header: Depth=1
	ds_read_b64 v[88:89], v79
	v_add_nc_u32_e32 v79, 8, v79
	s_waitcnt lgkmcnt(0)
	v_cmp_lt_f64_e64 vcc_lo, |v[0:1]|, |v[88:89]|
	v_cndmask_b32_e32 v1, v1, v89, vcc_lo
	v_cndmask_b32_e32 v0, v0, v88, vcc_lo
	v_cndmask_b32_e64 v78, v78, s0, vcc_lo
	s_add_i32 s0, s0, 1
	s_cmp_lg_u32 s7, s0
	s_cbranch_scc1 .LBB70_558
.LBB70_559:
	s_mov_b32 s0, exec_lo
	s_waitcnt lgkmcnt(0)
	v_cmpx_eq_f64_e32 0, v[0:1]
	s_xor_b32 s0, exec_lo, s0
; %bb.560:
	v_cmp_ne_u32_e32 vcc_lo, 0, v86
	v_cndmask_b32_e32 v86, 34, v86, vcc_lo
; %bb.561:
	s_andn2_saveexec_b32 s0, s0
	s_cbranch_execz .LBB70_563
; %bb.562:
	v_div_scale_f64 v[79:80], null, v[0:1], v[0:1], 1.0
	v_rcp_f64_e32 v[88:89], v[79:80]
	v_fma_f64 v[90:91], -v[79:80], v[88:89], 1.0
	v_fma_f64 v[88:89], v[88:89], v[90:91], v[88:89]
	v_fma_f64 v[90:91], -v[79:80], v[88:89], 1.0
	v_fma_f64 v[88:89], v[88:89], v[90:91], v[88:89]
	v_div_scale_f64 v[90:91], vcc_lo, 1.0, v[0:1], 1.0
	v_mul_f64 v[92:93], v[90:91], v[88:89]
	v_fma_f64 v[79:80], -v[79:80], v[92:93], v[90:91]
	v_div_fmas_f64 v[79:80], v[79:80], v[88:89], v[92:93]
	v_div_fixup_f64 v[0:1], v[79:80], v[0:1], 1.0
.LBB70_563:
	s_or_b32 exec_lo, exec_lo, s0
	s_mov_b32 s0, exec_lo
	v_cmpx_ne_u32_e64 v87, v78
	s_xor_b32 s0, exec_lo, s0
	s_cbranch_execz .LBB70_569
; %bb.564:
	s_mov_b32 s1, exec_lo
	v_cmpx_eq_u32_e32 33, v87
	s_cbranch_execz .LBB70_568
; %bb.565:
	v_cmp_ne_u32_e32 vcc_lo, 33, v78
	s_xor_b32 s2, s6, -1
	s_and_b32 s3, s2, vcc_lo
	s_and_saveexec_b32 s2, s3
	s_cbranch_execz .LBB70_567
; %bb.566:
	v_ashrrev_i32_e32 v79, 31, v78
	v_lshlrev_b64 v[79:80], 2, v[78:79]
	v_add_co_u32 v79, vcc_lo, v4, v79
	v_add_co_ci_u32_e64 v80, null, v5, v80, vcc_lo
	s_clause 0x1
	global_load_dword v81, v[79:80], off
	global_load_dword v87, v[4:5], off offset:132
	s_waitcnt vmcnt(1)
	global_store_dword v[4:5], v81, off offset:132
	s_waitcnt vmcnt(0)
	global_store_dword v[79:80], v87, off
.LBB70_567:
	s_or_b32 exec_lo, exec_lo, s2
	v_mov_b32_e32 v81, v78
	v_mov_b32_e32 v87, v78
.LBB70_568:
	s_or_b32 exec_lo, exec_lo, s1
.LBB70_569:
	s_andn2_saveexec_b32 s0, s0
	s_cbranch_execz .LBB70_571
; %bb.570:
	v_mov_b32_e32 v78, v10
	v_mov_b32_e32 v79, v11
	;; [unrolled: 1-line block ×3, first 2 shown]
	ds_write2_b64 v84, v[78:79], v[76:77] offset0:34 offset1:35
.LBB70_571:
	s_or_b32 exec_lo, exec_lo, s0
	s_mov_b32 s0, exec_lo
	s_waitcnt lgkmcnt(0)
	s_waitcnt_vscnt null, 0x0
	s_barrier
	buffer_gl0_inv
	v_cmpx_lt_i32_e32 33, v87
	s_cbranch_execz .LBB70_573
; %bb.572:
	v_mul_f64 v[6:7], v[0:1], v[6:7]
	ds_read2_b64 v[88:91], v84 offset0:34 offset1:35
	s_waitcnt lgkmcnt(0)
	v_fma_f64 v[10:11], -v[6:7], v[88:89], v[10:11]
	v_fma_f64 v[76:77], -v[6:7], v[90:91], v[76:77]
.LBB70_573:
	s_or_b32 exec_lo, exec_lo, s0
	v_lshl_add_u32 v0, v87, 3, v84
	s_barrier
	buffer_gl0_inv
	v_mov_b32_e32 v78, 34
	ds_write_b64 v0, v[10:11]
	s_waitcnt lgkmcnt(0)
	s_barrier
	buffer_gl0_inv
	ds_read_b64 v[0:1], v84 offset:272
	s_cmp_lt_i32 s7, 36
	s_cbranch_scc1 .LBB70_576
; %bb.574:
	v_add3_u32 v79, v85, 0, 0x118
	v_mov_b32_e32 v78, 34
	s_mov_b32 s0, 35
.LBB70_575:                             ; =>This Inner Loop Header: Depth=1
	ds_read_b64 v[88:89], v79
	v_add_nc_u32_e32 v79, 8, v79
	s_waitcnt lgkmcnt(0)
	v_cmp_lt_f64_e64 vcc_lo, |v[0:1]|, |v[88:89]|
	v_cndmask_b32_e32 v1, v1, v89, vcc_lo
	v_cndmask_b32_e32 v0, v0, v88, vcc_lo
	v_cndmask_b32_e64 v78, v78, s0, vcc_lo
	s_add_i32 s0, s0, 1
	s_cmp_lg_u32 s7, s0
	s_cbranch_scc1 .LBB70_575
.LBB70_576:
	s_mov_b32 s0, exec_lo
	s_waitcnt lgkmcnt(0)
	v_cmpx_eq_f64_e32 0, v[0:1]
	s_xor_b32 s0, exec_lo, s0
; %bb.577:
	v_cmp_ne_u32_e32 vcc_lo, 0, v86
	v_cndmask_b32_e32 v86, 35, v86, vcc_lo
; %bb.578:
	s_andn2_saveexec_b32 s0, s0
	s_cbranch_execz .LBB70_580
; %bb.579:
	v_div_scale_f64 v[79:80], null, v[0:1], v[0:1], 1.0
	v_rcp_f64_e32 v[88:89], v[79:80]
	v_fma_f64 v[90:91], -v[79:80], v[88:89], 1.0
	v_fma_f64 v[88:89], v[88:89], v[90:91], v[88:89]
	v_fma_f64 v[90:91], -v[79:80], v[88:89], 1.0
	v_fma_f64 v[88:89], v[88:89], v[90:91], v[88:89]
	v_div_scale_f64 v[90:91], vcc_lo, 1.0, v[0:1], 1.0
	v_mul_f64 v[92:93], v[90:91], v[88:89]
	v_fma_f64 v[79:80], -v[79:80], v[92:93], v[90:91]
	v_div_fmas_f64 v[79:80], v[79:80], v[88:89], v[92:93]
	v_div_fixup_f64 v[0:1], v[79:80], v[0:1], 1.0
.LBB70_580:
	s_or_b32 exec_lo, exec_lo, s0
	s_mov_b32 s0, exec_lo
	v_cmpx_ne_u32_e64 v87, v78
	s_xor_b32 s0, exec_lo, s0
	s_cbranch_execz .LBB70_586
; %bb.581:
	s_mov_b32 s1, exec_lo
	v_cmpx_eq_u32_e32 34, v87
	s_cbranch_execz .LBB70_585
; %bb.582:
	v_cmp_ne_u32_e32 vcc_lo, 34, v78
	s_xor_b32 s2, s6, -1
	s_and_b32 s3, s2, vcc_lo
	s_and_saveexec_b32 s2, s3
	s_cbranch_execz .LBB70_584
; %bb.583:
	v_ashrrev_i32_e32 v79, 31, v78
	v_lshlrev_b64 v[79:80], 2, v[78:79]
	v_add_co_u32 v79, vcc_lo, v4, v79
	v_add_co_ci_u32_e64 v80, null, v5, v80, vcc_lo
	s_clause 0x1
	global_load_dword v81, v[79:80], off
	global_load_dword v87, v[4:5], off offset:136
	s_waitcnt vmcnt(1)
	global_store_dword v[4:5], v81, off offset:136
	s_waitcnt vmcnt(0)
	global_store_dword v[79:80], v87, off
.LBB70_584:
	s_or_b32 exec_lo, exec_lo, s2
	v_mov_b32_e32 v81, v78
	v_mov_b32_e32 v87, v78
.LBB70_585:
	s_or_b32 exec_lo, exec_lo, s1
.LBB70_586:
	s_andn2_saveexec_b32 s0, s0
; %bb.587:
	v_mov_b32_e32 v87, 34
	ds_write_b64 v84, v[76:77] offset:280
; %bb.588:
	s_or_b32 exec_lo, exec_lo, s0
	s_mov_b32 s0, exec_lo
	s_waitcnt lgkmcnt(0)
	s_waitcnt_vscnt null, 0x0
	s_barrier
	buffer_gl0_inv
	v_cmpx_lt_i32_e32 34, v87
	s_cbranch_execz .LBB70_590
; %bb.589:
	v_mul_f64 v[10:11], v[0:1], v[10:11]
	ds_read_b64 v[0:1], v84 offset:280
	s_waitcnt lgkmcnt(0)
	v_fma_f64 v[76:77], -v[10:11], v[0:1], v[76:77]
.LBB70_590:
	s_or_b32 exec_lo, exec_lo, s0
	v_lshl_add_u32 v0, v87, 3, v84
	s_barrier
	buffer_gl0_inv
	v_mov_b32_e32 v78, 35
	ds_write_b64 v0, v[76:77]
	s_waitcnt lgkmcnt(0)
	s_barrier
	buffer_gl0_inv
	ds_read_b64 v[0:1], v84 offset:280
	s_cmp_lt_i32 s7, 37
	s_cbranch_scc1 .LBB70_593
; %bb.591:
	v_add3_u32 v79, v85, 0, 0x120
	v_mov_b32_e32 v78, 35
	s_mov_b32 s0, 36
.LBB70_592:                             ; =>This Inner Loop Header: Depth=1
	ds_read_b64 v[84:85], v79
	v_add_nc_u32_e32 v79, 8, v79
	s_waitcnt lgkmcnt(0)
	v_cmp_lt_f64_e64 vcc_lo, |v[0:1]|, |v[84:85]|
	v_cndmask_b32_e32 v1, v1, v85, vcc_lo
	v_cndmask_b32_e32 v0, v0, v84, vcc_lo
	v_cndmask_b32_e64 v78, v78, s0, vcc_lo
	s_add_i32 s0, s0, 1
	s_cmp_lg_u32 s7, s0
	s_cbranch_scc1 .LBB70_592
.LBB70_593:
	s_mov_b32 s0, exec_lo
	s_waitcnt lgkmcnt(0)
	v_cmpx_eq_f64_e32 0, v[0:1]
	s_xor_b32 s0, exec_lo, s0
; %bb.594:
	v_cmp_ne_u32_e32 vcc_lo, 0, v86
	v_cndmask_b32_e32 v86, 36, v86, vcc_lo
; %bb.595:
	s_andn2_saveexec_b32 s0, s0
	s_cbranch_execz .LBB70_597
; %bb.596:
	v_div_scale_f64 v[79:80], null, v[0:1], v[0:1], 1.0
	v_rcp_f64_e32 v[84:85], v[79:80]
	v_fma_f64 v[88:89], -v[79:80], v[84:85], 1.0
	v_fma_f64 v[84:85], v[84:85], v[88:89], v[84:85]
	v_fma_f64 v[88:89], -v[79:80], v[84:85], 1.0
	v_fma_f64 v[84:85], v[84:85], v[88:89], v[84:85]
	v_div_scale_f64 v[88:89], vcc_lo, 1.0, v[0:1], 1.0
	v_mul_f64 v[90:91], v[88:89], v[84:85]
	v_fma_f64 v[79:80], -v[79:80], v[90:91], v[88:89]
	v_div_fmas_f64 v[79:80], v[79:80], v[84:85], v[90:91]
	v_div_fixup_f64 v[0:1], v[79:80], v[0:1], 1.0
.LBB70_597:
	s_or_b32 exec_lo, exec_lo, s0
	v_mov_b32_e32 v79, 35
	s_mov_b32 s0, exec_lo
	v_cmpx_ne_u32_e64 v87, v78
	s_cbranch_execz .LBB70_603
; %bb.598:
	s_mov_b32 s1, exec_lo
	v_cmpx_eq_u32_e32 35, v87
	s_cbranch_execz .LBB70_602
; %bb.599:
	v_cmp_ne_u32_e32 vcc_lo, 35, v78
	s_xor_b32 s2, s6, -1
	s_and_b32 s3, s2, vcc_lo
	s_and_saveexec_b32 s2, s3
	s_cbranch_execz .LBB70_601
; %bb.600:
	v_ashrrev_i32_e32 v79, 31, v78
	v_lshlrev_b64 v[79:80], 2, v[78:79]
	v_add_co_u32 v79, vcc_lo, v4, v79
	v_add_co_ci_u32_e64 v80, null, v5, v80, vcc_lo
	s_clause 0x1
	global_load_dword v81, v[79:80], off
	global_load_dword v84, v[4:5], off offset:140
	s_waitcnt vmcnt(1)
	global_store_dword v[4:5], v81, off offset:140
	s_waitcnt vmcnt(0)
	global_store_dword v[79:80], v84, off
.LBB70_601:
	s_or_b32 exec_lo, exec_lo, s2
	v_mov_b32_e32 v81, v78
	v_mov_b32_e32 v87, v78
.LBB70_602:
	s_or_b32 exec_lo, exec_lo, s1
	v_mov_b32_e32 v79, v87
.LBB70_603:
	s_or_b32 exec_lo, exec_lo, s0
	s_load_dwordx8 s[0:7], s[4:5], 0x28
	v_ashrrev_i32_e32 v80, 31, v79
	s_mov_b32 s9, exec_lo
	s_waitcnt lgkmcnt(0)
	s_waitcnt_vscnt null, 0x0
	s_barrier
	buffer_gl0_inv
	s_barrier
	buffer_gl0_inv
	v_cmpx_gt_i32_e32 36, v79
	s_cbranch_execz .LBB70_605
; %bb.604:
	v_mul_lo_u32 v78, s5, v2
	v_mul_lo_u32 v84, s4, v3
	v_mad_u64_u32 v[4:5], null, s4, v2, 0
	s_lshl_b64 s[2:3], s[2:3], 2
	v_add3_u32 v5, v5, v84, v78
	v_lshlrev_b64 v[4:5], 2, v[4:5]
	v_add_co_u32 v78, vcc_lo, s0, v4
	v_add_co_ci_u32_e64 v84, null, s1, v5, vcc_lo
	v_lshlrev_b64 v[4:5], 2, v[79:80]
	v_add_co_u32 v78, vcc_lo, v78, s2
	v_add_co_ci_u32_e64 v84, null, s3, v84, vcc_lo
	v_add_co_u32 v4, vcc_lo, v78, v4
	v_add_co_ci_u32_e64 v5, null, v84, v5, vcc_lo
	v_add3_u32 v78, v81, s13, 1
	global_store_dword v[4:5], v78, off
.LBB70_605:
	s_or_b32 exec_lo, exec_lo, s9
	s_mov_b32 s1, exec_lo
	v_cmpx_eq_u32_e32 0, v79
	s_cbranch_execz .LBB70_608
; %bb.606:
	v_lshlrev_b64 v[2:3], 2, v[2:3]
	v_cmp_ne_u32_e64 s0, 0, v86
	v_add_co_u32 v2, vcc_lo, s6, v2
	v_add_co_ci_u32_e64 v3, null, s7, v3, vcc_lo
	global_load_dword v4, v[2:3], off
	s_waitcnt vmcnt(0)
	v_cmp_eq_u32_e32 vcc_lo, 0, v4
	s_and_b32 s0, vcc_lo, s0
	s_and_b32 exec_lo, exec_lo, s0
	s_cbranch_execz .LBB70_608
; %bb.607:
	v_add_nc_u32_e32 v4, s13, v86
	global_store_dword v[2:3], v4, off
.LBB70_608:
	s_or_b32 exec_lo, exec_lo, s1
	v_mul_f64 v[0:1], v[0:1], v[76:77]
	v_add3_u32 v2, s8, s8, v79
	v_lshlrev_b64 v[4:5], 3, v[79:80]
	v_add_nc_u32_e32 v78, s8, v2
	v_ashrrev_i32_e32 v3, 31, v2
	v_add_co_u32 v4, vcc_lo, v82, v4
	v_add_co_ci_u32_e64 v5, null, v83, v5, vcc_lo
	v_cmp_lt_i32_e32 vcc_lo, 35, v79
	v_ashrrev_i32_e32 v79, 31, v78
	v_lshlrev_b64 v[2:3], 3, v[2:3]
	flat_store_dwordx2 v[4:5], v[74:75]
	v_add_nc_u32_e32 v80, s8, v78
	v_add_co_u32 v4, s0, v4, s10
	v_lshlrev_b64 v[74:75], 3, v[78:79]
	v_add_co_ci_u32_e64 v5, null, s11, v5, s0
	v_cndmask_b32_e32 v1, v77, v1, vcc_lo
	v_cndmask_b32_e32 v0, v76, v0, vcc_lo
	v_add_co_u32 v2, vcc_lo, v82, v2
	v_add_co_ci_u32_e64 v3, null, v83, v3, vcc_lo
	v_add_co_u32 v74, vcc_lo, v82, v74
	v_add_nc_u32_e32 v76, s8, v80
	v_add_co_ci_u32_e64 v75, null, v83, v75, vcc_lo
	v_ashrrev_i32_e32 v81, 31, v80
	flat_store_dwordx2 v[4:5], v[72:73]
	flat_store_dwordx2 v[2:3], v[70:71]
	flat_store_dwordx2 v[74:75], v[68:69]
	v_add_nc_u32_e32 v68, s8, v76
	v_ashrrev_i32_e32 v77, 31, v76
	v_lshlrev_b64 v[4:5], 3, v[80:81]
	v_add_nc_u32_e32 v70, s8, v68
	v_lshlrev_b64 v[2:3], 3, v[76:77]
	v_ashrrev_i32_e32 v69, 31, v68
	v_add_co_u32 v4, vcc_lo, v82, v4
	v_add_nc_u32_e32 v72, s8, v70
	v_add_co_ci_u32_e64 v5, null, v83, v5, vcc_lo
	v_add_co_u32 v2, vcc_lo, v82, v2
	v_ashrrev_i32_e32 v71, 31, v70
	v_add_co_ci_u32_e64 v3, null, v83, v3, vcc_lo
	v_ashrrev_i32_e32 v73, 31, v72
	v_lshlrev_b64 v[68:69], 3, v[68:69]
	flat_store_dwordx2 v[4:5], v[66:67]
	flat_store_dwordx2 v[2:3], v[64:65]
	v_lshlrev_b64 v[2:3], 3, v[70:71]
	v_add_nc_u32_e32 v66, s8, v72
	v_lshlrev_b64 v[64:65], 3, v[72:73]
	v_add_co_u32 v4, vcc_lo, v82, v68
	v_add_co_ci_u32_e64 v5, null, v83, v69, vcc_lo
	v_add_co_u32 v2, vcc_lo, v82, v2
	v_add_co_ci_u32_e64 v3, null, v83, v3, vcc_lo
	v_add_co_u32 v64, vcc_lo, v82, v64
	v_add_nc_u32_e32 v68, s8, v66
	v_add_co_ci_u32_e64 v65, null, v83, v65, vcc_lo
	v_ashrrev_i32_e32 v67, 31, v66
	flat_store_dwordx2 v[4:5], v[62:63]
	flat_store_dwordx2 v[2:3], v[58:59]
	flat_store_dwordx2 v[64:65], v[60:61]
	v_add_nc_u32_e32 v58, s8, v68
	v_ashrrev_i32_e32 v69, 31, v68
	v_lshlrev_b64 v[4:5], 3, v[66:67]
	v_add_nc_u32_e32 v60, s8, v58
	v_lshlrev_b64 v[2:3], 3, v[68:69]
	v_ashrrev_i32_e32 v59, 31, v58
	v_add_co_u32 v4, vcc_lo, v82, v4
	v_add_nc_u32_e32 v62, s8, v60
	v_add_co_ci_u32_e64 v5, null, v83, v5, vcc_lo
	v_add_co_u32 v2, vcc_lo, v82, v2
	v_ashrrev_i32_e32 v61, 31, v60
	v_add_co_ci_u32_e64 v3, null, v83, v3, vcc_lo
	v_ashrrev_i32_e32 v63, 31, v62
	v_lshlrev_b64 v[58:59], 3, v[58:59]
	flat_store_dwordx2 v[4:5], v[54:55]
	flat_store_dwordx2 v[2:3], v[56:57]
	v_lshlrev_b64 v[2:3], 3, v[60:61]
	v_add_nc_u32_e32 v56, s8, v62
	v_lshlrev_b64 v[54:55], 3, v[62:63]
	v_add_co_u32 v4, vcc_lo, v82, v58
	v_add_co_ci_u32_e64 v5, null, v83, v59, vcc_lo
	;; [unrolled: 30-line block ×5, first 2 shown]
	v_add_co_u32 v2, vcc_lo, v82, v2
	v_add_nc_u32_e32 v28, s8, v26
	v_add_co_ci_u32_e64 v3, null, v83, v3, vcc_lo
	v_add_co_u32 v24, vcc_lo, v82, v24
	v_ashrrev_i32_e32 v27, 31, v26
	v_add_co_ci_u32_e64 v25, null, v83, v25, vcc_lo
	v_ashrrev_i32_e32 v29, 31, v28
	flat_store_dwordx2 v[4:5], v[22:23]
	v_lshlrev_b64 v[4:5], 3, v[26:27]
	flat_store_dwordx2 v[2:3], v[18:19]
	flat_store_dwordx2 v[24:25], v[20:21]
	v_add_nc_u32_e32 v18, s8, v28
	v_lshlrev_b64 v[2:3], 3, v[28:29]
	v_add_co_u32 v4, vcc_lo, v82, v4
	v_add_nc_u32_e32 v20, s8, v18
	v_add_co_ci_u32_e64 v5, null, v83, v5, vcc_lo
	v_add_co_u32 v2, vcc_lo, v82, v2
	v_add_co_ci_u32_e64 v3, null, v83, v3, vcc_lo
	v_add_nc_u32_e32 v22, s8, v20
	v_ashrrev_i32_e32 v19, 31, v18
	flat_store_dwordx2 v[4:5], v[16:17]
	flat_store_dwordx2 v[2:3], v[14:15]
	v_ashrrev_i32_e32 v21, 31, v20
	v_add_nc_u32_e32 v14, s8, v22
	v_lshlrev_b64 v[4:5], 3, v[18:19]
	v_ashrrev_i32_e32 v23, 31, v22
	v_lshlrev_b64 v[2:3], 3, v[20:21]
	v_add_nc_u32_e32 v18, s8, v14
	v_ashrrev_i32_e32 v15, 31, v14
	v_lshlrev_b64 v[16:17], 3, v[22:23]
	v_add_co_u32 v4, vcc_lo, v82, v4
	v_ashrrev_i32_e32 v19, 31, v18
	v_lshlrev_b64 v[14:15], 3, v[14:15]
	v_add_co_ci_u32_e64 v5, null, v83, v5, vcc_lo
	v_add_co_u32 v2, vcc_lo, v82, v2
	v_lshlrev_b64 v[18:19], 3, v[18:19]
	v_add_co_ci_u32_e64 v3, null, v83, v3, vcc_lo
	v_add_co_u32 v16, vcc_lo, v82, v16
	v_add_co_ci_u32_e64 v17, null, v83, v17, vcc_lo
	v_add_co_u32 v14, vcc_lo, v82, v14
	v_add_co_ci_u32_e64 v15, null, v83, v15, vcc_lo
	v_add_co_u32 v18, vcc_lo, v82, v18
	v_add_co_ci_u32_e64 v19, null, v83, v19, vcc_lo
	flat_store_dwordx2 v[4:5], v[8:9]
	flat_store_dwordx2 v[2:3], v[12:13]
	;; [unrolled: 1-line block ×5, first 2 shown]
.LBB70_609:
	s_endpgm
	.section	.rodata,"a",@progbits
	.p2align	6, 0x0
	.amdhsa_kernel _ZN9rocsolver6v33100L18getf2_small_kernelILi36EdiiPKPdEEvT1_T3_lS5_lPS5_llPT2_S5_S5_S7_l
		.amdhsa_group_segment_fixed_size 0
		.amdhsa_private_segment_fixed_size 0
		.amdhsa_kernarg_size 352
		.amdhsa_user_sgpr_count 6
		.amdhsa_user_sgpr_private_segment_buffer 1
		.amdhsa_user_sgpr_dispatch_ptr 0
		.amdhsa_user_sgpr_queue_ptr 0
		.amdhsa_user_sgpr_kernarg_segment_ptr 1
		.amdhsa_user_sgpr_dispatch_id 0
		.amdhsa_user_sgpr_flat_scratch_init 0
		.amdhsa_user_sgpr_private_segment_size 0
		.amdhsa_wavefront_size32 1
		.amdhsa_uses_dynamic_stack 0
		.amdhsa_system_sgpr_private_segment_wavefront_offset 0
		.amdhsa_system_sgpr_workgroup_id_x 1
		.amdhsa_system_sgpr_workgroup_id_y 1
		.amdhsa_system_sgpr_workgroup_id_z 0
		.amdhsa_system_sgpr_workgroup_info 0
		.amdhsa_system_vgpr_workitem_id 1
		.amdhsa_next_free_vgpr 156
		.amdhsa_next_free_sgpr 14
		.amdhsa_reserve_vcc 1
		.amdhsa_reserve_flat_scratch 1
		.amdhsa_float_round_mode_32 0
		.amdhsa_float_round_mode_16_64 0
		.amdhsa_float_denorm_mode_32 3
		.amdhsa_float_denorm_mode_16_64 3
		.amdhsa_dx10_clamp 1
		.amdhsa_ieee_mode 1
		.amdhsa_fp16_overflow 0
		.amdhsa_workgroup_processor_mode 1
		.amdhsa_memory_ordered 1
		.amdhsa_forward_progress 1
		.amdhsa_shared_vgpr_count 0
		.amdhsa_exception_fp_ieee_invalid_op 0
		.amdhsa_exception_fp_denorm_src 0
		.amdhsa_exception_fp_ieee_div_zero 0
		.amdhsa_exception_fp_ieee_overflow 0
		.amdhsa_exception_fp_ieee_underflow 0
		.amdhsa_exception_fp_ieee_inexact 0
		.amdhsa_exception_int_div_zero 0
	.end_amdhsa_kernel
	.section	.text._ZN9rocsolver6v33100L18getf2_small_kernelILi36EdiiPKPdEEvT1_T3_lS5_lPS5_llPT2_S5_S5_S7_l,"axG",@progbits,_ZN9rocsolver6v33100L18getf2_small_kernelILi36EdiiPKPdEEvT1_T3_lS5_lPS5_llPT2_S5_S5_S7_l,comdat
.Lfunc_end70:
	.size	_ZN9rocsolver6v33100L18getf2_small_kernelILi36EdiiPKPdEEvT1_T3_lS5_lPS5_llPT2_S5_S5_S7_l, .Lfunc_end70-_ZN9rocsolver6v33100L18getf2_small_kernelILi36EdiiPKPdEEvT1_T3_lS5_lPS5_llPT2_S5_S5_S7_l
                                        ; -- End function
	.set _ZN9rocsolver6v33100L18getf2_small_kernelILi36EdiiPKPdEEvT1_T3_lS5_lPS5_llPT2_S5_S5_S7_l.num_vgpr, 156
	.set _ZN9rocsolver6v33100L18getf2_small_kernelILi36EdiiPKPdEEvT1_T3_lS5_lPS5_llPT2_S5_S5_S7_l.num_agpr, 0
	.set _ZN9rocsolver6v33100L18getf2_small_kernelILi36EdiiPKPdEEvT1_T3_lS5_lPS5_llPT2_S5_S5_S7_l.numbered_sgpr, 14
	.set _ZN9rocsolver6v33100L18getf2_small_kernelILi36EdiiPKPdEEvT1_T3_lS5_lPS5_llPT2_S5_S5_S7_l.num_named_barrier, 0
	.set _ZN9rocsolver6v33100L18getf2_small_kernelILi36EdiiPKPdEEvT1_T3_lS5_lPS5_llPT2_S5_S5_S7_l.private_seg_size, 0
	.set _ZN9rocsolver6v33100L18getf2_small_kernelILi36EdiiPKPdEEvT1_T3_lS5_lPS5_llPT2_S5_S5_S7_l.uses_vcc, 1
	.set _ZN9rocsolver6v33100L18getf2_small_kernelILi36EdiiPKPdEEvT1_T3_lS5_lPS5_llPT2_S5_S5_S7_l.uses_flat_scratch, 1
	.set _ZN9rocsolver6v33100L18getf2_small_kernelILi36EdiiPKPdEEvT1_T3_lS5_lPS5_llPT2_S5_S5_S7_l.has_dyn_sized_stack, 0
	.set _ZN9rocsolver6v33100L18getf2_small_kernelILi36EdiiPKPdEEvT1_T3_lS5_lPS5_llPT2_S5_S5_S7_l.has_recursion, 0
	.set _ZN9rocsolver6v33100L18getf2_small_kernelILi36EdiiPKPdEEvT1_T3_lS5_lPS5_llPT2_S5_S5_S7_l.has_indirect_call, 0
	.section	.AMDGPU.csdata,"",@progbits
; Kernel info:
; codeLenInByte = 33552
; TotalNumSgprs: 16
; NumVgprs: 156
; ScratchSize: 0
; MemoryBound: 0
; FloatMode: 240
; IeeeMode: 1
; LDSByteSize: 0 bytes/workgroup (compile time only)
; SGPRBlocks: 0
; VGPRBlocks: 19
; NumSGPRsForWavesPerEU: 16
; NumVGPRsForWavesPerEU: 156
; Occupancy: 6
; WaveLimiterHint : 1
; COMPUTE_PGM_RSRC2:SCRATCH_EN: 0
; COMPUTE_PGM_RSRC2:USER_SGPR: 6
; COMPUTE_PGM_RSRC2:TRAP_HANDLER: 0
; COMPUTE_PGM_RSRC2:TGID_X_EN: 1
; COMPUTE_PGM_RSRC2:TGID_Y_EN: 1
; COMPUTE_PGM_RSRC2:TGID_Z_EN: 0
; COMPUTE_PGM_RSRC2:TIDIG_COMP_CNT: 1
	.section	.text._ZN9rocsolver6v33100L23getf2_npvt_small_kernelILi36EdiiPKPdEEvT1_T3_lS5_lPT2_S5_S5_,"axG",@progbits,_ZN9rocsolver6v33100L23getf2_npvt_small_kernelILi36EdiiPKPdEEvT1_T3_lS5_lPT2_S5_S5_,comdat
	.globl	_ZN9rocsolver6v33100L23getf2_npvt_small_kernelILi36EdiiPKPdEEvT1_T3_lS5_lPT2_S5_S5_ ; -- Begin function _ZN9rocsolver6v33100L23getf2_npvt_small_kernelILi36EdiiPKPdEEvT1_T3_lS5_lPT2_S5_S5_
	.p2align	8
	.type	_ZN9rocsolver6v33100L23getf2_npvt_small_kernelILi36EdiiPKPdEEvT1_T3_lS5_lPT2_S5_S5_,@function
_ZN9rocsolver6v33100L23getf2_npvt_small_kernelILi36EdiiPKPdEEvT1_T3_lS5_lPT2_S5_S5_: ; @_ZN9rocsolver6v33100L23getf2_npvt_small_kernelILi36EdiiPKPdEEvT1_T3_lS5_lPT2_S5_S5_
; %bb.0:
	s_clause 0x1
	s_load_dword s0, s[4:5], 0x44
	s_load_dwordx2 s[8:9], s[4:5], 0x30
	s_waitcnt lgkmcnt(0)
	s_lshr_b32 s10, s0, 16
	s_mov_b32 s0, exec_lo
	v_mad_u64_u32 v[2:3], null, s7, s10, v[1:2]
	v_cmpx_gt_i32_e64 s8, v2
	s_cbranch_execz .LBB71_183
; %bb.1:
	s_clause 0x1
	s_load_dwordx4 s[0:3], s[4:5], 0x8
	s_load_dword s6, s[4:5], 0x18
	v_ashrrev_i32_e32 v3, 31, v2
	v_lshlrev_b32_e32 v76, 3, v0
	v_lshlrev_b32_e32 v148, 3, v1
	s_mulk_i32 s10, 0x120
	v_mad_u32_u24 v218, 0x120, v1, 0
	v_lshlrev_b64 v[4:5], 3, v[2:3]
	v_add3_u32 v1, 0, s10, v148
	s_waitcnt lgkmcnt(0)
	v_add_co_u32 v4, vcc_lo, s0, v4
	v_add_co_ci_u32_e64 v5, null, s1, v5, vcc_lo
	v_add3_u32 v6, s6, s6, v0
	s_lshl_b64 s[2:3], s[2:3], 3
	s_ashr_i32 s7, s6, 31
	global_load_dwordx2 v[4:5], v[4:5], off
	s_lshl_b64 s[0:1], s[6:7], 3
	v_add_nc_u32_e32 v8, s6, v6
	v_ashrrev_i32_e32 v7, 31, v6
	v_add_nc_u32_e32 v10, s6, v8
	v_ashrrev_i32_e32 v9, 31, v8
	v_lshlrev_b64 v[6:7], 3, v[6:7]
	v_add_nc_u32_e32 v12, s6, v10
	v_ashrrev_i32_e32 v11, 31, v10
	v_lshlrev_b64 v[8:9], 3, v[8:9]
	;; [unrolled: 3-line block ×31, first 2 shown]
	v_ashrrev_i32_e32 v71, 31, v70
	v_add_nc_u32_e32 v72, s6, v70
	v_lshlrev_b64 v[68:69], 3, v[68:69]
	v_lshlrev_b64 v[70:71], 3, v[70:71]
	v_ashrrev_i32_e32 v73, 31, v72
	v_lshlrev_b64 v[74:75], 3, v[72:73]
	s_waitcnt vmcnt(0)
	v_add_co_u32 v77, vcc_lo, v4, s2
	v_add_co_ci_u32_e64 v78, null, s3, v5, vcc_lo
	v_add_co_u32 v4, vcc_lo, v77, v6
	v_add_co_ci_u32_e64 v5, null, v78, v7, vcc_lo
	;; [unrolled: 2-line block ×37, first 2 shown]
	s_clause 0x23
	flat_load_dwordx2 v[128:129], v[8:9]
	flat_load_dwordx2 v[112:113], v[10:11]
	;; [unrolled: 1-line block ×36, first 2 shown]
	v_cmp_ne_u32_e64 s1, 0, v0
	v_cmp_eq_u32_e64 s0, 0, v0
	s_and_saveexec_b32 s2, s0
	s_cbranch_execz .LBB71_4
; %bb.2:
	s_waitcnt vmcnt(7) lgkmcnt(7)
	ds_write_b64 v1, v[140:141]
	s_waitcnt vmcnt(5) lgkmcnt(6)
	ds_write2_b64 v218, v[144:145], v[146:147] offset0:1 offset1:2
	s_waitcnt vmcnt(4) lgkmcnt(6)
	ds_write2_b64 v218, v[142:143], v[128:129] offset0:3 offset1:4
	ds_write2_b64 v218, v[112:113], v[126:127] offset0:5 offset1:6
	;; [unrolled: 1-line block ×14, first 2 shown]
	s_waitcnt vmcnt(3) lgkmcnt(19)
	ds_write2_b64 v218, v[74:75], v[136:137] offset0:31 offset1:32
	s_waitcnt vmcnt(1) lgkmcnt(18)
	ds_write2_b64 v218, v[132:133], v[134:135] offset0:33 offset1:34
	s_waitcnt vmcnt(0) lgkmcnt(18)
	ds_write_b64 v218, v[138:139] offset:280
	ds_read_b64 v[148:149], v1
	s_waitcnt lgkmcnt(0)
	v_cmp_neq_f64_e32 vcc_lo, 0, v[148:149]
	s_and_b32 exec_lo, exec_lo, vcc_lo
	s_cbranch_execz .LBB71_4
; %bb.3:
	v_div_scale_f64 v[150:151], null, v[148:149], v[148:149], 1.0
	v_rcp_f64_e32 v[152:153], v[150:151]
	v_fma_f64 v[154:155], -v[150:151], v[152:153], 1.0
	v_fma_f64 v[152:153], v[152:153], v[154:155], v[152:153]
	v_fma_f64 v[154:155], -v[150:151], v[152:153], 1.0
	v_fma_f64 v[152:153], v[152:153], v[154:155], v[152:153]
	v_div_scale_f64 v[154:155], vcc_lo, 1.0, v[148:149], 1.0
	v_mul_f64 v[156:157], v[154:155], v[152:153]
	v_fma_f64 v[150:151], -v[150:151], v[156:157], v[154:155]
	v_div_fmas_f64 v[150:151], v[150:151], v[152:153], v[156:157]
	v_div_fixup_f64 v[148:149], v[150:151], v[148:149], 1.0
	ds_write_b64 v1, v[148:149]
.LBB71_4:
	s_or_b32 exec_lo, exec_lo, s2
	s_waitcnt vmcnt(0) lgkmcnt(0)
	s_barrier
	buffer_gl0_inv
	ds_read_b64 v[148:149], v1
	s_and_saveexec_b32 s2, s1
	s_cbranch_execz .LBB71_6
; %bb.5:
	s_waitcnt lgkmcnt(0)
	v_mul_f64 v[140:141], v[148:149], v[140:141]
	ds_read2_b64 v[150:153], v218 offset0:1 offset1:2
	ds_read2_b64 v[154:157], v218 offset0:3 offset1:4
	;; [unrolled: 1-line block ×12, first 2 shown]
	s_waitcnt lgkmcnt(11)
	v_fma_f64 v[144:145], -v[140:141], v[150:151], v[144:145]
	v_fma_f64 v[146:147], -v[140:141], v[152:153], v[146:147]
	s_waitcnt lgkmcnt(10)
	v_fma_f64 v[142:143], -v[140:141], v[154:155], v[142:143]
	v_fma_f64 v[128:129], -v[140:141], v[156:157], v[128:129]
	;; [unrolled: 3-line block ×5, first 2 shown]
	ds_read2_b64 v[150:153], v218 offset0:25 offset1:26
	ds_read2_b64 v[154:157], v218 offset0:27 offset1:28
	s_waitcnt lgkmcnt(8)
	v_fma_f64 v[106:107], -v[140:141], v[170:171], v[106:107]
	ds_read2_b64 v[158:161], v218 offset0:29 offset1:30
	ds_read2_b64 v[162:165], v218 offset0:31 offset1:32
	;; [unrolled: 1-line block ×3, first 2 shown]
	ds_read_b64 v[170:171], v218 offset:280
	v_fma_f64 v[120:121], -v[140:141], v[172:173], v[120:121]
	s_waitcnt lgkmcnt(11)
	v_fma_f64 v[104:105], -v[140:141], v[174:175], v[104:105]
	v_fma_f64 v[118:119], -v[140:141], v[176:177], v[118:119]
	s_waitcnt lgkmcnt(10)
	v_fma_f64 v[102:103], -v[140:141], v[178:179], v[102:103]
	v_fma_f64 v[116:117], -v[140:141], v[180:181], v[116:117]
	s_waitcnt lgkmcnt(9)
	v_fma_f64 v[100:101], -v[140:141], v[182:183], v[100:101]
	v_fma_f64 v[114:115], -v[140:141], v[184:185], v[114:115]
	s_waitcnt lgkmcnt(8)
	v_fma_f64 v[86:87], -v[140:141], v[186:187], v[86:87]
	v_fma_f64 v[98:99], -v[140:141], v[188:189], v[98:99]
	s_waitcnt lgkmcnt(7)
	v_fma_f64 v[84:85], -v[140:141], v[190:191], v[84:85]
	v_fma_f64 v[96:97], -v[140:141], v[192:193], v[96:97]
	s_waitcnt lgkmcnt(6)
	v_fma_f64 v[82:83], -v[140:141], v[194:195], v[82:83]
	v_fma_f64 v[94:95], -v[140:141], v[196:197], v[94:95]
	s_waitcnt lgkmcnt(5)
	v_fma_f64 v[80:81], -v[140:141], v[150:151], v[80:81]
	v_fma_f64 v[92:93], -v[140:141], v[152:153], v[92:93]
	s_waitcnt lgkmcnt(4)
	v_fma_f64 v[78:79], -v[140:141], v[154:155], v[78:79]
	v_fma_f64 v[90:91], -v[140:141], v[156:157], v[90:91]
	s_waitcnt lgkmcnt(3)
	v_fma_f64 v[76:77], -v[140:141], v[158:159], v[76:77]
	v_fma_f64 v[88:89], -v[140:141], v[160:161], v[88:89]
	s_waitcnt lgkmcnt(2)
	v_fma_f64 v[74:75], -v[140:141], v[162:163], v[74:75]
	v_fma_f64 v[136:137], -v[140:141], v[164:165], v[136:137]
	s_waitcnt lgkmcnt(1)
	v_fma_f64 v[132:133], -v[140:141], v[166:167], v[132:133]
	v_fma_f64 v[134:135], -v[140:141], v[168:169], v[134:135]
	s_waitcnt lgkmcnt(0)
	v_fma_f64 v[138:139], -v[140:141], v[170:171], v[138:139]
.LBB71_6:
	s_or_b32 exec_lo, exec_lo, s2
	s_mov_b32 s1, exec_lo
	s_waitcnt lgkmcnt(0)
	s_barrier
	buffer_gl0_inv
	v_cmpx_eq_u32_e32 1, v0
	s_cbranch_execz .LBB71_9
; %bb.7:
	v_mov_b32_e32 v150, v146
	v_mov_b32_e32 v151, v147
	;; [unrolled: 1-line block ×8, first 2 shown]
	ds_write_b64 v1, v[144:145]
	ds_write2_b64 v218, v[150:151], v[152:153] offset0:2 offset1:3
	ds_write2_b64 v218, v[154:155], v[156:157] offset0:4 offset1:5
	v_mov_b32_e32 v150, v126
	v_mov_b32_e32 v151, v127
	v_mov_b32_e32 v152, v110
	v_mov_b32_e32 v153, v111
	v_mov_b32_e32 v154, v124
	v_mov_b32_e32 v155, v125
	v_mov_b32_e32 v156, v108
	v_mov_b32_e32 v157, v109
	v_mov_b32_e32 v158, v122
	v_mov_b32_e32 v159, v123
	v_mov_b32_e32 v160, v106
	v_mov_b32_e32 v161, v107
	v_mov_b32_e32 v162, v120
	v_mov_b32_e32 v163, v121
	v_mov_b32_e32 v164, v104
	v_mov_b32_e32 v165, v105
	v_mov_b32_e32 v166, v118
	v_mov_b32_e32 v167, v119
	v_mov_b32_e32 v168, v102
	v_mov_b32_e32 v169, v103
	ds_write2_b64 v218, v[150:151], v[152:153] offset0:6 offset1:7
	ds_write2_b64 v218, v[154:155], v[156:157] offset0:8 offset1:9
	ds_write2_b64 v218, v[158:159], v[160:161] offset0:10 offset1:11
	ds_write2_b64 v218, v[162:163], v[164:165] offset0:12 offset1:13
	ds_write2_b64 v218, v[166:167], v[168:169] offset0:14 offset1:15
	v_mov_b32_e32 v150, v116
	v_mov_b32_e32 v151, v117
	;; [unrolled: 1-line block ×20, first 2 shown]
	ds_write2_b64 v218, v[150:151], v[152:153] offset0:16 offset1:17
	ds_write2_b64 v218, v[154:155], v[156:157] offset0:18 offset1:19
	;; [unrolled: 1-line block ×5, first 2 shown]
	v_mov_b32_e32 v150, v92
	v_mov_b32_e32 v151, v93
	;; [unrolled: 1-line block ×18, first 2 shown]
	ds_write2_b64 v218, v[150:151], v[152:153] offset0:26 offset1:27
	ds_write2_b64 v218, v[154:155], v[156:157] offset0:28 offset1:29
	;; [unrolled: 1-line block ×5, first 2 shown]
	ds_read_b64 v[150:151], v1
	s_waitcnt lgkmcnt(0)
	v_cmp_neq_f64_e32 vcc_lo, 0, v[150:151]
	s_and_b32 exec_lo, exec_lo, vcc_lo
	s_cbranch_execz .LBB71_9
; %bb.8:
	v_div_scale_f64 v[152:153], null, v[150:151], v[150:151], 1.0
	v_rcp_f64_e32 v[154:155], v[152:153]
	v_fma_f64 v[156:157], -v[152:153], v[154:155], 1.0
	v_fma_f64 v[154:155], v[154:155], v[156:157], v[154:155]
	v_fma_f64 v[156:157], -v[152:153], v[154:155], 1.0
	v_fma_f64 v[154:155], v[154:155], v[156:157], v[154:155]
	v_div_scale_f64 v[156:157], vcc_lo, 1.0, v[150:151], 1.0
	v_mul_f64 v[158:159], v[156:157], v[154:155]
	v_fma_f64 v[152:153], -v[152:153], v[158:159], v[156:157]
	v_div_fmas_f64 v[152:153], v[152:153], v[154:155], v[158:159]
	v_div_fixup_f64 v[150:151], v[152:153], v[150:151], 1.0
	ds_write_b64 v1, v[150:151]
.LBB71_9:
	s_or_b32 exec_lo, exec_lo, s1
	s_waitcnt lgkmcnt(0)
	s_barrier
	buffer_gl0_inv
	ds_read_b64 v[150:151], v1
	s_mov_b32 s1, exec_lo
	v_cmpx_lt_u32_e32 1, v0
	s_cbranch_execz .LBB71_11
; %bb.10:
	s_waitcnt lgkmcnt(0)
	v_mul_f64 v[144:145], v[150:151], v[144:145]
	ds_read2_b64 v[152:155], v218 offset0:2 offset1:3
	ds_read2_b64 v[156:159], v218 offset0:4 offset1:5
	;; [unrolled: 1-line block ×13, first 2 shown]
	s_waitcnt lgkmcnt(12)
	v_fma_f64 v[146:147], -v[144:145], v[152:153], v[146:147]
	v_fma_f64 v[142:143], -v[144:145], v[154:155], v[142:143]
	s_waitcnt lgkmcnt(11)
	v_fma_f64 v[128:129], -v[144:145], v[156:157], v[128:129]
	v_fma_f64 v[112:113], -v[144:145], v[158:159], v[112:113]
	;; [unrolled: 3-line block ×4, first 2 shown]
	ds_read2_b64 v[152:155], v218 offset0:28 offset1:29
	ds_read2_b64 v[156:159], v218 offset0:30 offset1:31
	;; [unrolled: 1-line block ×4, first 2 shown]
	s_waitcnt lgkmcnt(12)
	v_fma_f64 v[122:123], -v[144:145], v[168:169], v[122:123]
	v_fma_f64 v[106:107], -v[144:145], v[170:171], v[106:107]
	s_waitcnt lgkmcnt(11)
	v_fma_f64 v[120:121], -v[144:145], v[172:173], v[120:121]
	v_fma_f64 v[104:105], -v[144:145], v[174:175], v[104:105]
	;; [unrolled: 3-line block ×13, first 2 shown]
.LBB71_11:
	s_or_b32 exec_lo, exec_lo, s1
	s_mov_b32 s1, exec_lo
	s_waitcnt lgkmcnt(0)
	s_barrier
	buffer_gl0_inv
	v_cmpx_eq_u32_e32 2, v0
	s_cbranch_execz .LBB71_14
; %bb.12:
	ds_write_b64 v1, v[146:147]
	ds_write2_b64 v218, v[142:143], v[128:129] offset0:3 offset1:4
	ds_write2_b64 v218, v[112:113], v[126:127] offset0:5 offset1:6
	ds_write2_b64 v218, v[110:111], v[124:125] offset0:7 offset1:8
	ds_write2_b64 v218, v[108:109], v[122:123] offset0:9 offset1:10
	ds_write2_b64 v218, v[106:107], v[120:121] offset0:11 offset1:12
	ds_write2_b64 v218, v[104:105], v[118:119] offset0:13 offset1:14
	ds_write2_b64 v218, v[102:103], v[116:117] offset0:15 offset1:16
	ds_write2_b64 v218, v[100:101], v[114:115] offset0:17 offset1:18
	ds_write2_b64 v218, v[86:87], v[98:99] offset0:19 offset1:20
	ds_write2_b64 v218, v[84:85], v[96:97] offset0:21 offset1:22
	ds_write2_b64 v218, v[82:83], v[94:95] offset0:23 offset1:24
	ds_write2_b64 v218, v[80:81], v[92:93] offset0:25 offset1:26
	ds_write2_b64 v218, v[78:79], v[90:91] offset0:27 offset1:28
	ds_write2_b64 v218, v[76:77], v[88:89] offset0:29 offset1:30
	ds_write2_b64 v218, v[74:75], v[136:137] offset0:31 offset1:32
	ds_write2_b64 v218, v[132:133], v[134:135] offset0:33 offset1:34
	ds_write_b64 v218, v[138:139] offset:280
	ds_read_b64 v[152:153], v1
	s_waitcnt lgkmcnt(0)
	v_cmp_neq_f64_e32 vcc_lo, 0, v[152:153]
	s_and_b32 exec_lo, exec_lo, vcc_lo
	s_cbranch_execz .LBB71_14
; %bb.13:
	v_div_scale_f64 v[154:155], null, v[152:153], v[152:153], 1.0
	v_rcp_f64_e32 v[156:157], v[154:155]
	v_fma_f64 v[158:159], -v[154:155], v[156:157], 1.0
	v_fma_f64 v[156:157], v[156:157], v[158:159], v[156:157]
	v_fma_f64 v[158:159], -v[154:155], v[156:157], 1.0
	v_fma_f64 v[156:157], v[156:157], v[158:159], v[156:157]
	v_div_scale_f64 v[158:159], vcc_lo, 1.0, v[152:153], 1.0
	v_mul_f64 v[160:161], v[158:159], v[156:157]
	v_fma_f64 v[154:155], -v[154:155], v[160:161], v[158:159]
	v_div_fmas_f64 v[154:155], v[154:155], v[156:157], v[160:161]
	v_div_fixup_f64 v[152:153], v[154:155], v[152:153], 1.0
	ds_write_b64 v1, v[152:153]
.LBB71_14:
	s_or_b32 exec_lo, exec_lo, s1
	s_waitcnt lgkmcnt(0)
	s_barrier
	buffer_gl0_inv
	ds_read_b64 v[152:153], v1
	s_mov_b32 s1, exec_lo
	v_cmpx_lt_u32_e32 2, v0
	s_cbranch_execz .LBB71_16
; %bb.15:
	s_waitcnt lgkmcnt(0)
	v_mul_f64 v[146:147], v[152:153], v[146:147]
	ds_read2_b64 v[154:157], v218 offset0:3 offset1:4
	ds_read2_b64 v[158:161], v218 offset0:5 offset1:6
	;; [unrolled: 1-line block ×13, first 2 shown]
	s_waitcnt lgkmcnt(12)
	v_fma_f64 v[142:143], -v[146:147], v[154:155], v[142:143]
	v_fma_f64 v[128:129], -v[146:147], v[156:157], v[128:129]
	s_waitcnt lgkmcnt(11)
	v_fma_f64 v[112:113], -v[146:147], v[158:159], v[112:113]
	v_fma_f64 v[126:127], -v[146:147], v[160:161], v[126:127]
	;; [unrolled: 3-line block ×3, first 2 shown]
	s_waitcnt lgkmcnt(9)
	v_fma_f64 v[108:109], -v[146:147], v[166:167], v[108:109]
	ds_read2_b64 v[154:157], v218 offset0:29 offset1:30
	ds_read2_b64 v[158:161], v218 offset0:31 offset1:32
	ds_read2_b64 v[162:165], v218 offset0:33 offset1:34
	ds_read_b64 v[166:167], v218 offset:280
	v_fma_f64 v[122:123], -v[146:147], v[168:169], v[122:123]
	s_waitcnt lgkmcnt(12)
	v_fma_f64 v[106:107], -v[146:147], v[170:171], v[106:107]
	v_fma_f64 v[120:121], -v[146:147], v[172:173], v[120:121]
	s_waitcnt lgkmcnt(11)
	v_fma_f64 v[104:105], -v[146:147], v[174:175], v[104:105]
	;; [unrolled: 3-line block ×13, first 2 shown]
.LBB71_16:
	s_or_b32 exec_lo, exec_lo, s1
	s_mov_b32 s1, exec_lo
	s_waitcnt lgkmcnt(0)
	s_barrier
	buffer_gl0_inv
	v_cmpx_eq_u32_e32 3, v0
	s_cbranch_execz .LBB71_19
; %bb.17:
	v_mov_b32_e32 v154, v128
	v_mov_b32_e32 v155, v129
	;; [unrolled: 1-line block ×4, first 2 shown]
	ds_write_b64 v1, v[142:143]
	ds_write2_b64 v218, v[154:155], v[156:157] offset0:4 offset1:5
	v_mov_b32_e32 v154, v126
	v_mov_b32_e32 v155, v127
	;; [unrolled: 1-line block ×20, first 2 shown]
	ds_write2_b64 v218, v[154:155], v[156:157] offset0:6 offset1:7
	ds_write2_b64 v218, v[158:159], v[160:161] offset0:8 offset1:9
	;; [unrolled: 1-line block ×5, first 2 shown]
	v_mov_b32_e32 v154, v116
	v_mov_b32_e32 v155, v117
	;; [unrolled: 1-line block ×20, first 2 shown]
	ds_write2_b64 v218, v[154:155], v[156:157] offset0:16 offset1:17
	ds_write2_b64 v218, v[158:159], v[160:161] offset0:18 offset1:19
	;; [unrolled: 1-line block ×5, first 2 shown]
	v_mov_b32_e32 v154, v92
	v_mov_b32_e32 v155, v93
	;; [unrolled: 1-line block ×18, first 2 shown]
	ds_write2_b64 v218, v[154:155], v[156:157] offset0:26 offset1:27
	ds_write2_b64 v218, v[158:159], v[160:161] offset0:28 offset1:29
	;; [unrolled: 1-line block ×5, first 2 shown]
	ds_read_b64 v[154:155], v1
	s_waitcnt lgkmcnt(0)
	v_cmp_neq_f64_e32 vcc_lo, 0, v[154:155]
	s_and_b32 exec_lo, exec_lo, vcc_lo
	s_cbranch_execz .LBB71_19
; %bb.18:
	v_div_scale_f64 v[156:157], null, v[154:155], v[154:155], 1.0
	v_rcp_f64_e32 v[158:159], v[156:157]
	v_fma_f64 v[160:161], -v[156:157], v[158:159], 1.0
	v_fma_f64 v[158:159], v[158:159], v[160:161], v[158:159]
	v_fma_f64 v[160:161], -v[156:157], v[158:159], 1.0
	v_fma_f64 v[158:159], v[158:159], v[160:161], v[158:159]
	v_div_scale_f64 v[160:161], vcc_lo, 1.0, v[154:155], 1.0
	v_mul_f64 v[162:163], v[160:161], v[158:159]
	v_fma_f64 v[156:157], -v[156:157], v[162:163], v[160:161]
	v_div_fmas_f64 v[156:157], v[156:157], v[158:159], v[162:163]
	v_div_fixup_f64 v[154:155], v[156:157], v[154:155], 1.0
	ds_write_b64 v1, v[154:155]
.LBB71_19:
	s_or_b32 exec_lo, exec_lo, s1
	s_waitcnt lgkmcnt(0)
	s_barrier
	buffer_gl0_inv
	ds_read_b64 v[154:155], v1
	s_mov_b32 s1, exec_lo
	v_cmpx_lt_u32_e32 3, v0
	s_cbranch_execz .LBB71_21
; %bb.20:
	s_waitcnt lgkmcnt(0)
	v_mul_f64 v[142:143], v[154:155], v[142:143]
	ds_read2_b64 v[156:159], v218 offset0:4 offset1:5
	ds_read2_b64 v[160:163], v218 offset0:6 offset1:7
	;; [unrolled: 1-line block ×13, first 2 shown]
	s_waitcnt lgkmcnt(12)
	v_fma_f64 v[128:129], -v[142:143], v[156:157], v[128:129]
	v_fma_f64 v[112:113], -v[142:143], v[158:159], v[112:113]
	s_waitcnt lgkmcnt(11)
	v_fma_f64 v[126:127], -v[142:143], v[160:161], v[126:127]
	v_fma_f64 v[110:111], -v[142:143], v[162:163], v[110:111]
	;; [unrolled: 3-line block ×3, first 2 shown]
	ds_read2_b64 v[156:159], v218 offset0:30 offset1:31
	ds_read2_b64 v[160:163], v218 offset0:32 offset1:33
	;; [unrolled: 1-line block ×3, first 2 shown]
	s_waitcnt lgkmcnt(12)
	v_fma_f64 v[122:123], -v[142:143], v[168:169], v[122:123]
	v_fma_f64 v[106:107], -v[142:143], v[170:171], v[106:107]
	s_waitcnt lgkmcnt(11)
	v_fma_f64 v[120:121], -v[142:143], v[172:173], v[120:121]
	v_fma_f64 v[104:105], -v[142:143], v[174:175], v[104:105]
	;; [unrolled: 3-line block ×13, first 2 shown]
.LBB71_21:
	s_or_b32 exec_lo, exec_lo, s1
	s_mov_b32 s1, exec_lo
	s_waitcnt lgkmcnt(0)
	s_barrier
	buffer_gl0_inv
	v_cmpx_eq_u32_e32 4, v0
	s_cbranch_execz .LBB71_24
; %bb.22:
	ds_write_b64 v1, v[128:129]
	ds_write2_b64 v218, v[112:113], v[126:127] offset0:5 offset1:6
	ds_write2_b64 v218, v[110:111], v[124:125] offset0:7 offset1:8
	;; [unrolled: 1-line block ×15, first 2 shown]
	ds_write_b64 v218, v[138:139] offset:280
	ds_read_b64 v[156:157], v1
	s_waitcnt lgkmcnt(0)
	v_cmp_neq_f64_e32 vcc_lo, 0, v[156:157]
	s_and_b32 exec_lo, exec_lo, vcc_lo
	s_cbranch_execz .LBB71_24
; %bb.23:
	v_div_scale_f64 v[158:159], null, v[156:157], v[156:157], 1.0
	v_rcp_f64_e32 v[160:161], v[158:159]
	v_fma_f64 v[162:163], -v[158:159], v[160:161], 1.0
	v_fma_f64 v[160:161], v[160:161], v[162:163], v[160:161]
	v_fma_f64 v[162:163], -v[158:159], v[160:161], 1.0
	v_fma_f64 v[160:161], v[160:161], v[162:163], v[160:161]
	v_div_scale_f64 v[162:163], vcc_lo, 1.0, v[156:157], 1.0
	v_mul_f64 v[164:165], v[162:163], v[160:161]
	v_fma_f64 v[158:159], -v[158:159], v[164:165], v[162:163]
	v_div_fmas_f64 v[158:159], v[158:159], v[160:161], v[164:165]
	v_div_fixup_f64 v[156:157], v[158:159], v[156:157], 1.0
	ds_write_b64 v1, v[156:157]
.LBB71_24:
	s_or_b32 exec_lo, exec_lo, s1
	s_waitcnt lgkmcnt(0)
	s_barrier
	buffer_gl0_inv
	ds_read_b64 v[156:157], v1
	s_mov_b32 s1, exec_lo
	v_cmpx_lt_u32_e32 4, v0
	s_cbranch_execz .LBB71_26
; %bb.25:
	s_waitcnt lgkmcnt(0)
	v_mul_f64 v[128:129], v[156:157], v[128:129]
	ds_read2_b64 v[158:161], v218 offset0:5 offset1:6
	ds_read2_b64 v[162:165], v218 offset0:7 offset1:8
	;; [unrolled: 1-line block ×13, first 2 shown]
	s_waitcnt lgkmcnt(12)
	v_fma_f64 v[112:113], -v[128:129], v[158:159], v[112:113]
	v_fma_f64 v[126:127], -v[128:129], v[160:161], v[126:127]
	s_waitcnt lgkmcnt(11)
	v_fma_f64 v[110:111], -v[128:129], v[162:163], v[110:111]
	v_fma_f64 v[124:125], -v[128:129], v[164:165], v[124:125]
	s_waitcnt lgkmcnt(10)
	v_fma_f64 v[108:109], -v[128:129], v[166:167], v[108:109]
	ds_read2_b64 v[158:161], v218 offset0:31 offset1:32
	ds_read2_b64 v[162:165], v218 offset0:33 offset1:34
	ds_read_b64 v[166:167], v218 offset:280
	v_fma_f64 v[122:123], -v[128:129], v[168:169], v[122:123]
	s_waitcnt lgkmcnt(12)
	v_fma_f64 v[106:107], -v[128:129], v[170:171], v[106:107]
	v_fma_f64 v[120:121], -v[128:129], v[172:173], v[120:121]
	s_waitcnt lgkmcnt(11)
	v_fma_f64 v[104:105], -v[128:129], v[174:175], v[104:105]
	;; [unrolled: 3-line block ×13, first 2 shown]
.LBB71_26:
	s_or_b32 exec_lo, exec_lo, s1
	s_mov_b32 s1, exec_lo
	s_waitcnt lgkmcnt(0)
	s_barrier
	buffer_gl0_inv
	v_cmpx_eq_u32_e32 5, v0
	s_cbranch_execz .LBB71_29
; %bb.27:
	v_mov_b32_e32 v158, v126
	v_mov_b32_e32 v159, v127
	;; [unrolled: 1-line block ×20, first 2 shown]
	ds_write_b64 v1, v[112:113]
	ds_write2_b64 v218, v[158:159], v[160:161] offset0:6 offset1:7
	ds_write2_b64 v218, v[162:163], v[164:165] offset0:8 offset1:9
	;; [unrolled: 1-line block ×5, first 2 shown]
	v_mov_b32_e32 v158, v116
	v_mov_b32_e32 v159, v117
	;; [unrolled: 1-line block ×20, first 2 shown]
	ds_write2_b64 v218, v[158:159], v[160:161] offset0:16 offset1:17
	ds_write2_b64 v218, v[162:163], v[164:165] offset0:18 offset1:19
	;; [unrolled: 1-line block ×5, first 2 shown]
	v_mov_b32_e32 v158, v92
	v_mov_b32_e32 v159, v93
	;; [unrolled: 1-line block ×18, first 2 shown]
	ds_write2_b64 v218, v[158:159], v[160:161] offset0:26 offset1:27
	ds_write2_b64 v218, v[162:163], v[164:165] offset0:28 offset1:29
	;; [unrolled: 1-line block ×5, first 2 shown]
	ds_read_b64 v[158:159], v1
	s_waitcnt lgkmcnt(0)
	v_cmp_neq_f64_e32 vcc_lo, 0, v[158:159]
	s_and_b32 exec_lo, exec_lo, vcc_lo
	s_cbranch_execz .LBB71_29
; %bb.28:
	v_div_scale_f64 v[160:161], null, v[158:159], v[158:159], 1.0
	v_rcp_f64_e32 v[162:163], v[160:161]
	v_fma_f64 v[164:165], -v[160:161], v[162:163], 1.0
	v_fma_f64 v[162:163], v[162:163], v[164:165], v[162:163]
	v_fma_f64 v[164:165], -v[160:161], v[162:163], 1.0
	v_fma_f64 v[162:163], v[162:163], v[164:165], v[162:163]
	v_div_scale_f64 v[164:165], vcc_lo, 1.0, v[158:159], 1.0
	v_mul_f64 v[166:167], v[164:165], v[162:163]
	v_fma_f64 v[160:161], -v[160:161], v[166:167], v[164:165]
	v_div_fmas_f64 v[160:161], v[160:161], v[162:163], v[166:167]
	v_div_fixup_f64 v[158:159], v[160:161], v[158:159], 1.0
	ds_write_b64 v1, v[158:159]
.LBB71_29:
	s_or_b32 exec_lo, exec_lo, s1
	s_waitcnt lgkmcnt(0)
	s_barrier
	buffer_gl0_inv
	ds_read_b64 v[158:159], v1
	s_mov_b32 s1, exec_lo
	v_cmpx_lt_u32_e32 5, v0
	s_cbranch_execz .LBB71_31
; %bb.30:
	s_waitcnt lgkmcnt(0)
	v_mul_f64 v[112:113], v[158:159], v[112:113]
	ds_read2_b64 v[160:163], v218 offset0:6 offset1:7
	ds_read2_b64 v[164:167], v218 offset0:8 offset1:9
	;; [unrolled: 1-line block ×14, first 2 shown]
	s_waitcnt lgkmcnt(13)
	v_fma_f64 v[126:127], -v[112:113], v[160:161], v[126:127]
	v_fma_f64 v[110:111], -v[112:113], v[162:163], v[110:111]
	ds_read2_b64 v[160:163], v218 offset0:34 offset1:35
	s_waitcnt lgkmcnt(13)
	v_fma_f64 v[124:125], -v[112:113], v[164:165], v[124:125]
	v_fma_f64 v[108:109], -v[112:113], v[166:167], v[108:109]
	s_waitcnt lgkmcnt(12)
	v_fma_f64 v[122:123], -v[112:113], v[168:169], v[122:123]
	v_fma_f64 v[106:107], -v[112:113], v[170:171], v[106:107]
	;; [unrolled: 3-line block ×14, first 2 shown]
.LBB71_31:
	s_or_b32 exec_lo, exec_lo, s1
	s_mov_b32 s1, exec_lo
	s_waitcnt lgkmcnt(0)
	s_barrier
	buffer_gl0_inv
	v_cmpx_eq_u32_e32 6, v0
	s_cbranch_execz .LBB71_34
; %bb.32:
	ds_write_b64 v1, v[126:127]
	ds_write2_b64 v218, v[110:111], v[124:125] offset0:7 offset1:8
	ds_write2_b64 v218, v[108:109], v[122:123] offset0:9 offset1:10
	;; [unrolled: 1-line block ×14, first 2 shown]
	ds_write_b64 v218, v[138:139] offset:280
	ds_read_b64 v[160:161], v1
	s_waitcnt lgkmcnt(0)
	v_cmp_neq_f64_e32 vcc_lo, 0, v[160:161]
	s_and_b32 exec_lo, exec_lo, vcc_lo
	s_cbranch_execz .LBB71_34
; %bb.33:
	v_div_scale_f64 v[162:163], null, v[160:161], v[160:161], 1.0
	v_rcp_f64_e32 v[164:165], v[162:163]
	v_fma_f64 v[166:167], -v[162:163], v[164:165], 1.0
	v_fma_f64 v[164:165], v[164:165], v[166:167], v[164:165]
	v_fma_f64 v[166:167], -v[162:163], v[164:165], 1.0
	v_fma_f64 v[164:165], v[164:165], v[166:167], v[164:165]
	v_div_scale_f64 v[166:167], vcc_lo, 1.0, v[160:161], 1.0
	v_mul_f64 v[168:169], v[166:167], v[164:165]
	v_fma_f64 v[162:163], -v[162:163], v[168:169], v[166:167]
	v_div_fmas_f64 v[162:163], v[162:163], v[164:165], v[168:169]
	v_div_fixup_f64 v[160:161], v[162:163], v[160:161], 1.0
	ds_write_b64 v1, v[160:161]
.LBB71_34:
	s_or_b32 exec_lo, exec_lo, s1
	s_waitcnt lgkmcnt(0)
	s_barrier
	buffer_gl0_inv
	ds_read_b64 v[160:161], v1
	s_mov_b32 s1, exec_lo
	v_cmpx_lt_u32_e32 6, v0
	s_cbranch_execz .LBB71_36
; %bb.35:
	s_waitcnt lgkmcnt(0)
	v_mul_f64 v[126:127], v[160:161], v[126:127]
	ds_read2_b64 v[162:165], v218 offset0:7 offset1:8
	ds_read2_b64 v[166:169], v218 offset0:9 offset1:10
	;; [unrolled: 1-line block ×14, first 2 shown]
	s_waitcnt lgkmcnt(13)
	v_fma_f64 v[110:111], -v[126:127], v[162:163], v[110:111]
	ds_read_b64 v[162:163], v218 offset:280
	v_fma_f64 v[124:125], -v[126:127], v[164:165], v[124:125]
	s_waitcnt lgkmcnt(13)
	v_fma_f64 v[108:109], -v[126:127], v[166:167], v[108:109]
	v_fma_f64 v[122:123], -v[126:127], v[168:169], v[122:123]
	s_waitcnt lgkmcnt(12)
	v_fma_f64 v[106:107], -v[126:127], v[170:171], v[106:107]
	;; [unrolled: 3-line block ×14, first 2 shown]
.LBB71_36:
	s_or_b32 exec_lo, exec_lo, s1
	s_mov_b32 s1, exec_lo
	s_waitcnt lgkmcnt(0)
	s_barrier
	buffer_gl0_inv
	v_cmpx_eq_u32_e32 7, v0
	s_cbranch_execz .LBB71_39
; %bb.37:
	v_mov_b32_e32 v162, v124
	v_mov_b32_e32 v163, v125
	;; [unrolled: 1-line block ×16, first 2 shown]
	ds_write_b64 v1, v[110:111]
	ds_write2_b64 v218, v[162:163], v[164:165] offset0:8 offset1:9
	ds_write2_b64 v218, v[166:167], v[168:169] offset0:10 offset1:11
	;; [unrolled: 1-line block ×4, first 2 shown]
	v_mov_b32_e32 v162, v116
	v_mov_b32_e32 v163, v117
	;; [unrolled: 1-line block ×20, first 2 shown]
	ds_write2_b64 v218, v[162:163], v[164:165] offset0:16 offset1:17
	ds_write2_b64 v218, v[166:167], v[168:169] offset0:18 offset1:19
	;; [unrolled: 1-line block ×5, first 2 shown]
	v_mov_b32_e32 v162, v92
	v_mov_b32_e32 v163, v93
	;; [unrolled: 1-line block ×18, first 2 shown]
	ds_write2_b64 v218, v[162:163], v[164:165] offset0:26 offset1:27
	ds_write2_b64 v218, v[166:167], v[168:169] offset0:28 offset1:29
	;; [unrolled: 1-line block ×5, first 2 shown]
	ds_read_b64 v[162:163], v1
	s_waitcnt lgkmcnt(0)
	v_cmp_neq_f64_e32 vcc_lo, 0, v[162:163]
	s_and_b32 exec_lo, exec_lo, vcc_lo
	s_cbranch_execz .LBB71_39
; %bb.38:
	v_div_scale_f64 v[164:165], null, v[162:163], v[162:163], 1.0
	v_rcp_f64_e32 v[166:167], v[164:165]
	v_fma_f64 v[168:169], -v[164:165], v[166:167], 1.0
	v_fma_f64 v[166:167], v[166:167], v[168:169], v[166:167]
	v_fma_f64 v[168:169], -v[164:165], v[166:167], 1.0
	v_fma_f64 v[166:167], v[166:167], v[168:169], v[166:167]
	v_div_scale_f64 v[168:169], vcc_lo, 1.0, v[162:163], 1.0
	v_mul_f64 v[170:171], v[168:169], v[166:167]
	v_fma_f64 v[164:165], -v[164:165], v[170:171], v[168:169]
	v_div_fmas_f64 v[164:165], v[164:165], v[166:167], v[170:171]
	v_div_fixup_f64 v[162:163], v[164:165], v[162:163], 1.0
	ds_write_b64 v1, v[162:163]
.LBB71_39:
	s_or_b32 exec_lo, exec_lo, s1
	s_waitcnt lgkmcnt(0)
	s_barrier
	buffer_gl0_inv
	ds_read_b64 v[162:163], v1
	s_mov_b32 s1, exec_lo
	v_cmpx_lt_u32_e32 7, v0
	s_cbranch_execz .LBB71_41
; %bb.40:
	s_waitcnt lgkmcnt(0)
	v_mul_f64 v[110:111], v[162:163], v[110:111]
	ds_read2_b64 v[164:167], v218 offset0:8 offset1:9
	ds_read2_b64 v[168:171], v218 offset0:10 offset1:11
	;; [unrolled: 1-line block ×14, first 2 shown]
	s_waitcnt lgkmcnt(13)
	v_fma_f64 v[124:125], -v[110:111], v[164:165], v[124:125]
	v_fma_f64 v[108:109], -v[110:111], v[166:167], v[108:109]
	s_waitcnt lgkmcnt(12)
	v_fma_f64 v[122:123], -v[110:111], v[168:169], v[122:123]
	v_fma_f64 v[106:107], -v[110:111], v[170:171], v[106:107]
	;; [unrolled: 3-line block ×14, first 2 shown]
.LBB71_41:
	s_or_b32 exec_lo, exec_lo, s1
	s_mov_b32 s1, exec_lo
	s_waitcnt lgkmcnt(0)
	s_barrier
	buffer_gl0_inv
	v_cmpx_eq_u32_e32 8, v0
	s_cbranch_execz .LBB71_44
; %bb.42:
	ds_write_b64 v1, v[124:125]
	ds_write2_b64 v218, v[108:109], v[122:123] offset0:9 offset1:10
	ds_write2_b64 v218, v[106:107], v[120:121] offset0:11 offset1:12
	;; [unrolled: 1-line block ×13, first 2 shown]
	ds_write_b64 v218, v[138:139] offset:280
	ds_read_b64 v[164:165], v1
	s_waitcnt lgkmcnt(0)
	v_cmp_neq_f64_e32 vcc_lo, 0, v[164:165]
	s_and_b32 exec_lo, exec_lo, vcc_lo
	s_cbranch_execz .LBB71_44
; %bb.43:
	v_div_scale_f64 v[166:167], null, v[164:165], v[164:165], 1.0
	v_rcp_f64_e32 v[168:169], v[166:167]
	v_fma_f64 v[170:171], -v[166:167], v[168:169], 1.0
	v_fma_f64 v[168:169], v[168:169], v[170:171], v[168:169]
	v_fma_f64 v[170:171], -v[166:167], v[168:169], 1.0
	v_fma_f64 v[168:169], v[168:169], v[170:171], v[168:169]
	v_div_scale_f64 v[170:171], vcc_lo, 1.0, v[164:165], 1.0
	v_mul_f64 v[172:173], v[170:171], v[168:169]
	v_fma_f64 v[166:167], -v[166:167], v[172:173], v[170:171]
	v_div_fmas_f64 v[166:167], v[166:167], v[168:169], v[172:173]
	v_div_fixup_f64 v[164:165], v[166:167], v[164:165], 1.0
	ds_write_b64 v1, v[164:165]
.LBB71_44:
	s_or_b32 exec_lo, exec_lo, s1
	s_waitcnt lgkmcnt(0)
	s_barrier
	buffer_gl0_inv
	ds_read_b64 v[164:165], v1
	s_mov_b32 s1, exec_lo
	v_cmpx_lt_u32_e32 8, v0
	s_cbranch_execz .LBB71_46
; %bb.45:
	s_waitcnt lgkmcnt(0)
	v_mul_f64 v[124:125], v[164:165], v[124:125]
	ds_read2_b64 v[166:169], v218 offset0:9 offset1:10
	ds_read2_b64 v[170:173], v218 offset0:11 offset1:12
	;; [unrolled: 1-line block ×13, first 2 shown]
	ds_read_b64 v[219:220], v218 offset:280
	s_waitcnt lgkmcnt(13)
	v_fma_f64 v[108:109], -v[124:125], v[166:167], v[108:109]
	v_fma_f64 v[122:123], -v[124:125], v[168:169], v[122:123]
	s_waitcnt lgkmcnt(12)
	v_fma_f64 v[106:107], -v[124:125], v[170:171], v[106:107]
	v_fma_f64 v[120:121], -v[124:125], v[172:173], v[120:121]
	;; [unrolled: 3-line block ×13, first 2 shown]
	s_waitcnt lgkmcnt(0)
	v_fma_f64 v[138:139], -v[124:125], v[219:220], v[138:139]
.LBB71_46:
	s_or_b32 exec_lo, exec_lo, s1
	s_mov_b32 s1, exec_lo
	s_waitcnt lgkmcnt(0)
	s_barrier
	buffer_gl0_inv
	v_cmpx_eq_u32_e32 9, v0
	s_cbranch_execz .LBB71_49
; %bb.47:
	v_mov_b32_e32 v166, v122
	v_mov_b32_e32 v167, v123
	;; [unrolled: 1-line block ×12, first 2 shown]
	ds_write_b64 v1, v[108:109]
	ds_write2_b64 v218, v[166:167], v[168:169] offset0:10 offset1:11
	ds_write2_b64 v218, v[170:171], v[172:173] offset0:12 offset1:13
	;; [unrolled: 1-line block ×3, first 2 shown]
	v_mov_b32_e32 v166, v116
	v_mov_b32_e32 v167, v117
	;; [unrolled: 1-line block ×20, first 2 shown]
	ds_write2_b64 v218, v[166:167], v[168:169] offset0:16 offset1:17
	ds_write2_b64 v218, v[170:171], v[172:173] offset0:18 offset1:19
	;; [unrolled: 1-line block ×5, first 2 shown]
	v_mov_b32_e32 v166, v92
	v_mov_b32_e32 v167, v93
	v_mov_b32_e32 v168, v78
	v_mov_b32_e32 v169, v79
	v_mov_b32_e32 v170, v90
	v_mov_b32_e32 v171, v91
	v_mov_b32_e32 v172, v76
	v_mov_b32_e32 v173, v77
	v_mov_b32_e32 v174, v88
	v_mov_b32_e32 v175, v89
	v_mov_b32_e32 v176, v74
	v_mov_b32_e32 v177, v75
	v_mov_b32_e32 v178, v136
	v_mov_b32_e32 v179, v137
	v_mov_b32_e32 v180, v132
	v_mov_b32_e32 v181, v133
	v_mov_b32_e32 v182, v134
	v_mov_b32_e32 v183, v135
	ds_write2_b64 v218, v[166:167], v[168:169] offset0:26 offset1:27
	ds_write2_b64 v218, v[170:171], v[172:173] offset0:28 offset1:29
	;; [unrolled: 1-line block ×5, first 2 shown]
	ds_read_b64 v[166:167], v1
	s_waitcnt lgkmcnt(0)
	v_cmp_neq_f64_e32 vcc_lo, 0, v[166:167]
	s_and_b32 exec_lo, exec_lo, vcc_lo
	s_cbranch_execz .LBB71_49
; %bb.48:
	v_div_scale_f64 v[168:169], null, v[166:167], v[166:167], 1.0
	v_rcp_f64_e32 v[170:171], v[168:169]
	v_fma_f64 v[172:173], -v[168:169], v[170:171], 1.0
	v_fma_f64 v[170:171], v[170:171], v[172:173], v[170:171]
	v_fma_f64 v[172:173], -v[168:169], v[170:171], 1.0
	v_fma_f64 v[170:171], v[170:171], v[172:173], v[170:171]
	v_div_scale_f64 v[172:173], vcc_lo, 1.0, v[166:167], 1.0
	v_mul_f64 v[174:175], v[172:173], v[170:171]
	v_fma_f64 v[168:169], -v[168:169], v[174:175], v[172:173]
	v_div_fmas_f64 v[168:169], v[168:169], v[170:171], v[174:175]
	v_div_fixup_f64 v[166:167], v[168:169], v[166:167], 1.0
	ds_write_b64 v1, v[166:167]
.LBB71_49:
	s_or_b32 exec_lo, exec_lo, s1
	s_waitcnt lgkmcnt(0)
	s_barrier
	buffer_gl0_inv
	ds_read_b64 v[166:167], v1
	s_mov_b32 s1, exec_lo
	v_cmpx_lt_u32_e32 9, v0
	s_cbranch_execz .LBB71_51
; %bb.50:
	s_waitcnt lgkmcnt(0)
	v_mul_f64 v[108:109], v[166:167], v[108:109]
	ds_read2_b64 v[168:171], v218 offset0:10 offset1:11
	ds_read2_b64 v[172:175], v218 offset0:12 offset1:13
	;; [unrolled: 1-line block ×13, first 2 shown]
	s_waitcnt lgkmcnt(12)
	v_fma_f64 v[122:123], -v[108:109], v[168:169], v[122:123]
	v_fma_f64 v[106:107], -v[108:109], v[170:171], v[106:107]
	s_waitcnt lgkmcnt(11)
	v_fma_f64 v[120:121], -v[108:109], v[172:173], v[120:121]
	v_fma_f64 v[104:105], -v[108:109], v[174:175], v[104:105]
	s_waitcnt lgkmcnt(10)
	v_fma_f64 v[118:119], -v[108:109], v[176:177], v[118:119]
	v_fma_f64 v[102:103], -v[108:109], v[178:179], v[102:103]
	s_waitcnt lgkmcnt(9)
	v_fma_f64 v[116:117], -v[108:109], v[180:181], v[116:117]
	v_fma_f64 v[100:101], -v[108:109], v[182:183], v[100:101]
	s_waitcnt lgkmcnt(8)
	v_fma_f64 v[114:115], -v[108:109], v[184:185], v[114:115]
	v_fma_f64 v[86:87], -v[108:109], v[186:187], v[86:87]
	s_waitcnt lgkmcnt(7)
	v_fma_f64 v[98:99], -v[108:109], v[188:189], v[98:99]
	v_fma_f64 v[84:85], -v[108:109], v[190:191], v[84:85]
	s_waitcnt lgkmcnt(6)
	v_fma_f64 v[96:97], -v[108:109], v[192:193], v[96:97]
	v_fma_f64 v[82:83], -v[108:109], v[194:195], v[82:83]
	s_waitcnt lgkmcnt(5)
	v_fma_f64 v[94:95], -v[108:109], v[196:197], v[94:95]
	v_fma_f64 v[80:81], -v[108:109], v[198:199], v[80:81]
	s_waitcnt lgkmcnt(4)
	v_fma_f64 v[92:93], -v[108:109], v[200:201], v[92:93]
	v_fma_f64 v[78:79], -v[108:109], v[202:203], v[78:79]
	s_waitcnt lgkmcnt(3)
	v_fma_f64 v[90:91], -v[108:109], v[204:205], v[90:91]
	v_fma_f64 v[76:77], -v[108:109], v[206:207], v[76:77]
	s_waitcnt lgkmcnt(2)
	v_fma_f64 v[88:89], -v[108:109], v[208:209], v[88:89]
	v_fma_f64 v[74:75], -v[108:109], v[210:211], v[74:75]
	s_waitcnt lgkmcnt(1)
	v_fma_f64 v[136:137], -v[108:109], v[212:213], v[136:137]
	v_fma_f64 v[132:133], -v[108:109], v[214:215], v[132:133]
	s_waitcnt lgkmcnt(0)
	v_fma_f64 v[134:135], -v[108:109], v[219:220], v[134:135]
	v_fma_f64 v[138:139], -v[108:109], v[221:222], v[138:139]
.LBB71_51:
	s_or_b32 exec_lo, exec_lo, s1
	s_mov_b32 s1, exec_lo
	s_waitcnt lgkmcnt(0)
	s_barrier
	buffer_gl0_inv
	v_cmpx_eq_u32_e32 10, v0
	s_cbranch_execz .LBB71_54
; %bb.52:
	ds_write_b64 v1, v[122:123]
	ds_write2_b64 v218, v[106:107], v[120:121] offset0:11 offset1:12
	ds_write2_b64 v218, v[104:105], v[118:119] offset0:13 offset1:14
	;; [unrolled: 1-line block ×12, first 2 shown]
	ds_write_b64 v218, v[138:139] offset:280
	ds_read_b64 v[168:169], v1
	s_waitcnt lgkmcnt(0)
	v_cmp_neq_f64_e32 vcc_lo, 0, v[168:169]
	s_and_b32 exec_lo, exec_lo, vcc_lo
	s_cbranch_execz .LBB71_54
; %bb.53:
	v_div_scale_f64 v[170:171], null, v[168:169], v[168:169], 1.0
	v_rcp_f64_e32 v[172:173], v[170:171]
	v_fma_f64 v[174:175], -v[170:171], v[172:173], 1.0
	v_fma_f64 v[172:173], v[172:173], v[174:175], v[172:173]
	v_fma_f64 v[174:175], -v[170:171], v[172:173], 1.0
	v_fma_f64 v[172:173], v[172:173], v[174:175], v[172:173]
	v_div_scale_f64 v[174:175], vcc_lo, 1.0, v[168:169], 1.0
	v_mul_f64 v[176:177], v[174:175], v[172:173]
	v_fma_f64 v[170:171], -v[170:171], v[176:177], v[174:175]
	v_div_fmas_f64 v[170:171], v[170:171], v[172:173], v[176:177]
	v_div_fixup_f64 v[168:169], v[170:171], v[168:169], 1.0
	ds_write_b64 v1, v[168:169]
.LBB71_54:
	s_or_b32 exec_lo, exec_lo, s1
	s_waitcnt lgkmcnt(0)
	s_barrier
	buffer_gl0_inv
	ds_read_b64 v[168:169], v1
	s_mov_b32 s1, exec_lo
	v_cmpx_lt_u32_e32 10, v0
	s_cbranch_execz .LBB71_56
; %bb.55:
	s_waitcnt lgkmcnt(0)
	v_mul_f64 v[122:123], v[168:169], v[122:123]
	ds_read2_b64 v[170:173], v218 offset0:11 offset1:12
	ds_read2_b64 v[174:177], v218 offset0:13 offset1:14
	;; [unrolled: 1-line block ×12, first 2 shown]
	ds_read_b64 v[219:220], v218 offset:280
	s_waitcnt lgkmcnt(12)
	v_fma_f64 v[106:107], -v[122:123], v[170:171], v[106:107]
	v_fma_f64 v[120:121], -v[122:123], v[172:173], v[120:121]
	s_waitcnt lgkmcnt(11)
	v_fma_f64 v[104:105], -v[122:123], v[174:175], v[104:105]
	v_fma_f64 v[118:119], -v[122:123], v[176:177], v[118:119]
	;; [unrolled: 3-line block ×12, first 2 shown]
	s_waitcnt lgkmcnt(0)
	v_fma_f64 v[138:139], -v[122:123], v[219:220], v[138:139]
.LBB71_56:
	s_or_b32 exec_lo, exec_lo, s1
	s_mov_b32 s1, exec_lo
	s_waitcnt lgkmcnt(0)
	s_barrier
	buffer_gl0_inv
	v_cmpx_eq_u32_e32 11, v0
	s_cbranch_execz .LBB71_59
; %bb.57:
	v_mov_b32_e32 v170, v120
	v_mov_b32_e32 v171, v121
	;; [unrolled: 1-line block ×8, first 2 shown]
	ds_write_b64 v1, v[106:107]
	ds_write2_b64 v218, v[170:171], v[172:173] offset0:12 offset1:13
	ds_write2_b64 v218, v[174:175], v[176:177] offset0:14 offset1:15
	v_mov_b32_e32 v170, v116
	v_mov_b32_e32 v171, v117
	v_mov_b32_e32 v172, v100
	v_mov_b32_e32 v173, v101
	v_mov_b32_e32 v174, v114
	v_mov_b32_e32 v175, v115
	v_mov_b32_e32 v176, v86
	v_mov_b32_e32 v177, v87
	v_mov_b32_e32 v178, v98
	v_mov_b32_e32 v179, v99
	v_mov_b32_e32 v180, v84
	v_mov_b32_e32 v181, v85
	v_mov_b32_e32 v182, v96
	v_mov_b32_e32 v183, v97
	v_mov_b32_e32 v184, v82
	v_mov_b32_e32 v185, v83
	v_mov_b32_e32 v186, v94
	v_mov_b32_e32 v187, v95
	v_mov_b32_e32 v188, v80
	v_mov_b32_e32 v189, v81
	ds_write2_b64 v218, v[170:171], v[172:173] offset0:16 offset1:17
	ds_write2_b64 v218, v[174:175], v[176:177] offset0:18 offset1:19
	;; [unrolled: 1-line block ×5, first 2 shown]
	v_mov_b32_e32 v170, v92
	v_mov_b32_e32 v171, v93
	v_mov_b32_e32 v172, v78
	v_mov_b32_e32 v173, v79
	v_mov_b32_e32 v174, v90
	v_mov_b32_e32 v175, v91
	v_mov_b32_e32 v176, v76
	v_mov_b32_e32 v177, v77
	v_mov_b32_e32 v178, v88
	v_mov_b32_e32 v179, v89
	v_mov_b32_e32 v180, v74
	v_mov_b32_e32 v181, v75
	v_mov_b32_e32 v182, v136
	v_mov_b32_e32 v183, v137
	v_mov_b32_e32 v184, v132
	v_mov_b32_e32 v185, v133
	v_mov_b32_e32 v186, v134
	v_mov_b32_e32 v187, v135
	ds_write2_b64 v218, v[170:171], v[172:173] offset0:26 offset1:27
	ds_write2_b64 v218, v[174:175], v[176:177] offset0:28 offset1:29
	;; [unrolled: 1-line block ×5, first 2 shown]
	ds_read_b64 v[170:171], v1
	s_waitcnt lgkmcnt(0)
	v_cmp_neq_f64_e32 vcc_lo, 0, v[170:171]
	s_and_b32 exec_lo, exec_lo, vcc_lo
	s_cbranch_execz .LBB71_59
; %bb.58:
	v_div_scale_f64 v[172:173], null, v[170:171], v[170:171], 1.0
	v_rcp_f64_e32 v[174:175], v[172:173]
	v_fma_f64 v[176:177], -v[172:173], v[174:175], 1.0
	v_fma_f64 v[174:175], v[174:175], v[176:177], v[174:175]
	v_fma_f64 v[176:177], -v[172:173], v[174:175], 1.0
	v_fma_f64 v[174:175], v[174:175], v[176:177], v[174:175]
	v_div_scale_f64 v[176:177], vcc_lo, 1.0, v[170:171], 1.0
	v_mul_f64 v[178:179], v[176:177], v[174:175]
	v_fma_f64 v[172:173], -v[172:173], v[178:179], v[176:177]
	v_div_fmas_f64 v[172:173], v[172:173], v[174:175], v[178:179]
	v_div_fixup_f64 v[170:171], v[172:173], v[170:171], 1.0
	ds_write_b64 v1, v[170:171]
.LBB71_59:
	s_or_b32 exec_lo, exec_lo, s1
	s_waitcnt lgkmcnt(0)
	s_barrier
	buffer_gl0_inv
	ds_read_b64 v[170:171], v1
	s_mov_b32 s1, exec_lo
	v_cmpx_lt_u32_e32 11, v0
	s_cbranch_execz .LBB71_61
; %bb.60:
	s_waitcnt lgkmcnt(0)
	v_mul_f64 v[106:107], v[170:171], v[106:107]
	ds_read2_b64 v[172:175], v218 offset0:12 offset1:13
	ds_read2_b64 v[176:179], v218 offset0:14 offset1:15
	;; [unrolled: 1-line block ×12, first 2 shown]
	s_waitcnt lgkmcnt(11)
	v_fma_f64 v[120:121], -v[106:107], v[172:173], v[120:121]
	v_fma_f64 v[104:105], -v[106:107], v[174:175], v[104:105]
	s_waitcnt lgkmcnt(10)
	v_fma_f64 v[118:119], -v[106:107], v[176:177], v[118:119]
	v_fma_f64 v[102:103], -v[106:107], v[178:179], v[102:103]
	;; [unrolled: 3-line block ×12, first 2 shown]
.LBB71_61:
	s_or_b32 exec_lo, exec_lo, s1
	s_mov_b32 s1, exec_lo
	s_waitcnt lgkmcnt(0)
	s_barrier
	buffer_gl0_inv
	v_cmpx_eq_u32_e32 12, v0
	s_cbranch_execz .LBB71_64
; %bb.62:
	ds_write_b64 v1, v[120:121]
	ds_write2_b64 v218, v[104:105], v[118:119] offset0:13 offset1:14
	ds_write2_b64 v218, v[102:103], v[116:117] offset0:15 offset1:16
	;; [unrolled: 1-line block ×11, first 2 shown]
	ds_write_b64 v218, v[138:139] offset:280
	ds_read_b64 v[172:173], v1
	s_waitcnt lgkmcnt(0)
	v_cmp_neq_f64_e32 vcc_lo, 0, v[172:173]
	s_and_b32 exec_lo, exec_lo, vcc_lo
	s_cbranch_execz .LBB71_64
; %bb.63:
	v_div_scale_f64 v[174:175], null, v[172:173], v[172:173], 1.0
	v_rcp_f64_e32 v[176:177], v[174:175]
	v_fma_f64 v[178:179], -v[174:175], v[176:177], 1.0
	v_fma_f64 v[176:177], v[176:177], v[178:179], v[176:177]
	v_fma_f64 v[178:179], -v[174:175], v[176:177], 1.0
	v_fma_f64 v[176:177], v[176:177], v[178:179], v[176:177]
	v_div_scale_f64 v[178:179], vcc_lo, 1.0, v[172:173], 1.0
	v_mul_f64 v[180:181], v[178:179], v[176:177]
	v_fma_f64 v[174:175], -v[174:175], v[180:181], v[178:179]
	v_div_fmas_f64 v[174:175], v[174:175], v[176:177], v[180:181]
	v_div_fixup_f64 v[172:173], v[174:175], v[172:173], 1.0
	ds_write_b64 v1, v[172:173]
.LBB71_64:
	s_or_b32 exec_lo, exec_lo, s1
	s_waitcnt lgkmcnt(0)
	s_barrier
	buffer_gl0_inv
	ds_read_b64 v[172:173], v1
	s_mov_b32 s1, exec_lo
	v_cmpx_lt_u32_e32 12, v0
	s_cbranch_execz .LBB71_66
; %bb.65:
	s_waitcnt lgkmcnt(0)
	v_mul_f64 v[120:121], v[172:173], v[120:121]
	ds_read2_b64 v[174:177], v218 offset0:13 offset1:14
	ds_read2_b64 v[178:181], v218 offset0:15 offset1:16
	;; [unrolled: 1-line block ×11, first 2 shown]
	ds_read_b64 v[219:220], v218 offset:280
	s_waitcnt lgkmcnt(11)
	v_fma_f64 v[104:105], -v[120:121], v[174:175], v[104:105]
	v_fma_f64 v[118:119], -v[120:121], v[176:177], v[118:119]
	s_waitcnt lgkmcnt(10)
	v_fma_f64 v[102:103], -v[120:121], v[178:179], v[102:103]
	v_fma_f64 v[116:117], -v[120:121], v[180:181], v[116:117]
	;; [unrolled: 3-line block ×11, first 2 shown]
	s_waitcnt lgkmcnt(0)
	v_fma_f64 v[138:139], -v[120:121], v[219:220], v[138:139]
.LBB71_66:
	s_or_b32 exec_lo, exec_lo, s1
	s_mov_b32 s1, exec_lo
	s_waitcnt lgkmcnt(0)
	s_barrier
	buffer_gl0_inv
	v_cmpx_eq_u32_e32 13, v0
	s_cbranch_execz .LBB71_69
; %bb.67:
	v_mov_b32_e32 v174, v118
	v_mov_b32_e32 v175, v119
	;; [unrolled: 1-line block ×4, first 2 shown]
	ds_write_b64 v1, v[104:105]
	ds_write2_b64 v218, v[174:175], v[176:177] offset0:14 offset1:15
	v_mov_b32_e32 v174, v116
	v_mov_b32_e32 v175, v117
	;; [unrolled: 1-line block ×20, first 2 shown]
	ds_write2_b64 v218, v[174:175], v[176:177] offset0:16 offset1:17
	ds_write2_b64 v218, v[178:179], v[180:181] offset0:18 offset1:19
	;; [unrolled: 1-line block ×5, first 2 shown]
	v_mov_b32_e32 v174, v92
	v_mov_b32_e32 v175, v93
	;; [unrolled: 1-line block ×18, first 2 shown]
	ds_write2_b64 v218, v[174:175], v[176:177] offset0:26 offset1:27
	ds_write2_b64 v218, v[178:179], v[180:181] offset0:28 offset1:29
	;; [unrolled: 1-line block ×5, first 2 shown]
	ds_read_b64 v[174:175], v1
	s_waitcnt lgkmcnt(0)
	v_cmp_neq_f64_e32 vcc_lo, 0, v[174:175]
	s_and_b32 exec_lo, exec_lo, vcc_lo
	s_cbranch_execz .LBB71_69
; %bb.68:
	v_div_scale_f64 v[176:177], null, v[174:175], v[174:175], 1.0
	v_rcp_f64_e32 v[178:179], v[176:177]
	v_fma_f64 v[180:181], -v[176:177], v[178:179], 1.0
	v_fma_f64 v[178:179], v[178:179], v[180:181], v[178:179]
	v_fma_f64 v[180:181], -v[176:177], v[178:179], 1.0
	v_fma_f64 v[178:179], v[178:179], v[180:181], v[178:179]
	v_div_scale_f64 v[180:181], vcc_lo, 1.0, v[174:175], 1.0
	v_mul_f64 v[182:183], v[180:181], v[178:179]
	v_fma_f64 v[176:177], -v[176:177], v[182:183], v[180:181]
	v_div_fmas_f64 v[176:177], v[176:177], v[178:179], v[182:183]
	v_div_fixup_f64 v[174:175], v[176:177], v[174:175], 1.0
	ds_write_b64 v1, v[174:175]
.LBB71_69:
	s_or_b32 exec_lo, exec_lo, s1
	s_waitcnt lgkmcnt(0)
	s_barrier
	buffer_gl0_inv
	ds_read_b64 v[174:175], v1
	s_mov_b32 s1, exec_lo
	v_cmpx_lt_u32_e32 13, v0
	s_cbranch_execz .LBB71_71
; %bb.70:
	s_waitcnt lgkmcnt(0)
	v_mul_f64 v[104:105], v[174:175], v[104:105]
	ds_read2_b64 v[176:179], v218 offset0:14 offset1:15
	ds_read2_b64 v[180:183], v218 offset0:16 offset1:17
	;; [unrolled: 1-line block ×11, first 2 shown]
	s_waitcnt lgkmcnt(10)
	v_fma_f64 v[118:119], -v[104:105], v[176:177], v[118:119]
	v_fma_f64 v[102:103], -v[104:105], v[178:179], v[102:103]
	s_waitcnt lgkmcnt(9)
	v_fma_f64 v[116:117], -v[104:105], v[180:181], v[116:117]
	v_fma_f64 v[100:101], -v[104:105], v[182:183], v[100:101]
	;; [unrolled: 3-line block ×11, first 2 shown]
.LBB71_71:
	s_or_b32 exec_lo, exec_lo, s1
	s_mov_b32 s1, exec_lo
	s_waitcnt lgkmcnt(0)
	s_barrier
	buffer_gl0_inv
	v_cmpx_eq_u32_e32 14, v0
	s_cbranch_execz .LBB71_74
; %bb.72:
	ds_write_b64 v1, v[118:119]
	ds_write2_b64 v218, v[102:103], v[116:117] offset0:15 offset1:16
	ds_write2_b64 v218, v[100:101], v[114:115] offset0:17 offset1:18
	;; [unrolled: 1-line block ×10, first 2 shown]
	ds_write_b64 v218, v[138:139] offset:280
	ds_read_b64 v[176:177], v1
	s_waitcnt lgkmcnt(0)
	v_cmp_neq_f64_e32 vcc_lo, 0, v[176:177]
	s_and_b32 exec_lo, exec_lo, vcc_lo
	s_cbranch_execz .LBB71_74
; %bb.73:
	v_div_scale_f64 v[178:179], null, v[176:177], v[176:177], 1.0
	v_rcp_f64_e32 v[180:181], v[178:179]
	v_fma_f64 v[182:183], -v[178:179], v[180:181], 1.0
	v_fma_f64 v[180:181], v[180:181], v[182:183], v[180:181]
	v_fma_f64 v[182:183], -v[178:179], v[180:181], 1.0
	v_fma_f64 v[180:181], v[180:181], v[182:183], v[180:181]
	v_div_scale_f64 v[182:183], vcc_lo, 1.0, v[176:177], 1.0
	v_mul_f64 v[184:185], v[182:183], v[180:181]
	v_fma_f64 v[178:179], -v[178:179], v[184:185], v[182:183]
	v_div_fmas_f64 v[178:179], v[178:179], v[180:181], v[184:185]
	v_div_fixup_f64 v[176:177], v[178:179], v[176:177], 1.0
	ds_write_b64 v1, v[176:177]
.LBB71_74:
	s_or_b32 exec_lo, exec_lo, s1
	s_waitcnt lgkmcnt(0)
	s_barrier
	buffer_gl0_inv
	ds_read_b64 v[176:177], v1
	s_mov_b32 s1, exec_lo
	v_cmpx_lt_u32_e32 14, v0
	s_cbranch_execz .LBB71_76
; %bb.75:
	s_waitcnt lgkmcnt(0)
	v_mul_f64 v[118:119], v[176:177], v[118:119]
	ds_read2_b64 v[178:181], v218 offset0:15 offset1:16
	ds_read2_b64 v[182:185], v218 offset0:17 offset1:18
	;; [unrolled: 1-line block ×10, first 2 shown]
	ds_read_b64 v[219:220], v218 offset:280
	s_waitcnt lgkmcnt(10)
	v_fma_f64 v[102:103], -v[118:119], v[178:179], v[102:103]
	v_fma_f64 v[116:117], -v[118:119], v[180:181], v[116:117]
	s_waitcnt lgkmcnt(9)
	v_fma_f64 v[100:101], -v[118:119], v[182:183], v[100:101]
	v_fma_f64 v[114:115], -v[118:119], v[184:185], v[114:115]
	;; [unrolled: 3-line block ×10, first 2 shown]
	s_waitcnt lgkmcnt(0)
	v_fma_f64 v[138:139], -v[118:119], v[219:220], v[138:139]
.LBB71_76:
	s_or_b32 exec_lo, exec_lo, s1
	s_mov_b32 s1, exec_lo
	s_waitcnt lgkmcnt(0)
	s_barrier
	buffer_gl0_inv
	v_cmpx_eq_u32_e32 15, v0
	s_cbranch_execz .LBB71_79
; %bb.77:
	v_mov_b32_e32 v178, v116
	v_mov_b32_e32 v179, v117
	;; [unrolled: 1-line block ×20, first 2 shown]
	ds_write_b64 v1, v[102:103]
	ds_write2_b64 v218, v[178:179], v[180:181] offset0:16 offset1:17
	ds_write2_b64 v218, v[182:183], v[184:185] offset0:18 offset1:19
	;; [unrolled: 1-line block ×5, first 2 shown]
	v_mov_b32_e32 v178, v92
	v_mov_b32_e32 v179, v93
	;; [unrolled: 1-line block ×18, first 2 shown]
	ds_write2_b64 v218, v[178:179], v[180:181] offset0:26 offset1:27
	ds_write2_b64 v218, v[182:183], v[184:185] offset0:28 offset1:29
	;; [unrolled: 1-line block ×5, first 2 shown]
	ds_read_b64 v[178:179], v1
	s_waitcnt lgkmcnt(0)
	v_cmp_neq_f64_e32 vcc_lo, 0, v[178:179]
	s_and_b32 exec_lo, exec_lo, vcc_lo
	s_cbranch_execz .LBB71_79
; %bb.78:
	v_div_scale_f64 v[180:181], null, v[178:179], v[178:179], 1.0
	v_rcp_f64_e32 v[182:183], v[180:181]
	v_fma_f64 v[184:185], -v[180:181], v[182:183], 1.0
	v_fma_f64 v[182:183], v[182:183], v[184:185], v[182:183]
	v_fma_f64 v[184:185], -v[180:181], v[182:183], 1.0
	v_fma_f64 v[182:183], v[182:183], v[184:185], v[182:183]
	v_div_scale_f64 v[184:185], vcc_lo, 1.0, v[178:179], 1.0
	v_mul_f64 v[186:187], v[184:185], v[182:183]
	v_fma_f64 v[180:181], -v[180:181], v[186:187], v[184:185]
	v_div_fmas_f64 v[180:181], v[180:181], v[182:183], v[186:187]
	v_div_fixup_f64 v[178:179], v[180:181], v[178:179], 1.0
	ds_write_b64 v1, v[178:179]
.LBB71_79:
	s_or_b32 exec_lo, exec_lo, s1
	s_waitcnt lgkmcnt(0)
	s_barrier
	buffer_gl0_inv
	ds_read_b64 v[178:179], v1
	s_mov_b32 s1, exec_lo
	v_cmpx_lt_u32_e32 15, v0
	s_cbranch_execz .LBB71_81
; %bb.80:
	s_waitcnt lgkmcnt(0)
	v_mul_f64 v[102:103], v[178:179], v[102:103]
	ds_read2_b64 v[180:183], v218 offset0:16 offset1:17
	ds_read2_b64 v[184:187], v218 offset0:18 offset1:19
	;; [unrolled: 1-line block ×10, first 2 shown]
	s_waitcnt lgkmcnt(9)
	v_fma_f64 v[116:117], -v[102:103], v[180:181], v[116:117]
	v_fma_f64 v[100:101], -v[102:103], v[182:183], v[100:101]
	s_waitcnt lgkmcnt(8)
	v_fma_f64 v[114:115], -v[102:103], v[184:185], v[114:115]
	v_fma_f64 v[86:87], -v[102:103], v[186:187], v[86:87]
	;; [unrolled: 3-line block ×10, first 2 shown]
.LBB71_81:
	s_or_b32 exec_lo, exec_lo, s1
	s_mov_b32 s1, exec_lo
	s_waitcnt lgkmcnt(0)
	s_barrier
	buffer_gl0_inv
	v_cmpx_eq_u32_e32 16, v0
	s_cbranch_execz .LBB71_84
; %bb.82:
	ds_write_b64 v1, v[116:117]
	ds_write2_b64 v218, v[100:101], v[114:115] offset0:17 offset1:18
	ds_write2_b64 v218, v[86:87], v[98:99] offset0:19 offset1:20
	ds_write2_b64 v218, v[84:85], v[96:97] offset0:21 offset1:22
	ds_write2_b64 v218, v[82:83], v[94:95] offset0:23 offset1:24
	ds_write2_b64 v218, v[80:81], v[92:93] offset0:25 offset1:26
	ds_write2_b64 v218, v[78:79], v[90:91] offset0:27 offset1:28
	ds_write2_b64 v218, v[76:77], v[88:89] offset0:29 offset1:30
	ds_write2_b64 v218, v[74:75], v[136:137] offset0:31 offset1:32
	ds_write2_b64 v218, v[132:133], v[134:135] offset0:33 offset1:34
	ds_write_b64 v218, v[138:139] offset:280
	ds_read_b64 v[180:181], v1
	s_waitcnt lgkmcnt(0)
	v_cmp_neq_f64_e32 vcc_lo, 0, v[180:181]
	s_and_b32 exec_lo, exec_lo, vcc_lo
	s_cbranch_execz .LBB71_84
; %bb.83:
	v_div_scale_f64 v[182:183], null, v[180:181], v[180:181], 1.0
	v_rcp_f64_e32 v[184:185], v[182:183]
	v_fma_f64 v[186:187], -v[182:183], v[184:185], 1.0
	v_fma_f64 v[184:185], v[184:185], v[186:187], v[184:185]
	v_fma_f64 v[186:187], -v[182:183], v[184:185], 1.0
	v_fma_f64 v[184:185], v[184:185], v[186:187], v[184:185]
	v_div_scale_f64 v[186:187], vcc_lo, 1.0, v[180:181], 1.0
	v_mul_f64 v[188:189], v[186:187], v[184:185]
	v_fma_f64 v[182:183], -v[182:183], v[188:189], v[186:187]
	v_div_fmas_f64 v[182:183], v[182:183], v[184:185], v[188:189]
	v_div_fixup_f64 v[180:181], v[182:183], v[180:181], 1.0
	ds_write_b64 v1, v[180:181]
.LBB71_84:
	s_or_b32 exec_lo, exec_lo, s1
	s_waitcnt lgkmcnt(0)
	s_barrier
	buffer_gl0_inv
	ds_read_b64 v[180:181], v1
	s_mov_b32 s1, exec_lo
	v_cmpx_lt_u32_e32 16, v0
	s_cbranch_execz .LBB71_86
; %bb.85:
	s_waitcnt lgkmcnt(0)
	v_mul_f64 v[116:117], v[180:181], v[116:117]
	ds_read2_b64 v[182:185], v218 offset0:17 offset1:18
	ds_read2_b64 v[186:189], v218 offset0:19 offset1:20
	;; [unrolled: 1-line block ×9, first 2 shown]
	ds_read_b64 v[219:220], v218 offset:280
	s_waitcnt lgkmcnt(9)
	v_fma_f64 v[100:101], -v[116:117], v[182:183], v[100:101]
	v_fma_f64 v[114:115], -v[116:117], v[184:185], v[114:115]
	s_waitcnt lgkmcnt(8)
	v_fma_f64 v[86:87], -v[116:117], v[186:187], v[86:87]
	v_fma_f64 v[98:99], -v[116:117], v[188:189], v[98:99]
	;; [unrolled: 3-line block ×9, first 2 shown]
	s_waitcnt lgkmcnt(0)
	v_fma_f64 v[138:139], -v[116:117], v[219:220], v[138:139]
.LBB71_86:
	s_or_b32 exec_lo, exec_lo, s1
	s_mov_b32 s1, exec_lo
	s_waitcnt lgkmcnt(0)
	s_barrier
	buffer_gl0_inv
	v_cmpx_eq_u32_e32 17, v0
	s_cbranch_execz .LBB71_89
; %bb.87:
	v_mov_b32_e32 v182, v114
	v_mov_b32_e32 v183, v115
	;; [unrolled: 1-line block ×16, first 2 shown]
	ds_write_b64 v1, v[100:101]
	ds_write2_b64 v218, v[182:183], v[184:185] offset0:18 offset1:19
	ds_write2_b64 v218, v[186:187], v[188:189] offset0:20 offset1:21
	;; [unrolled: 1-line block ×4, first 2 shown]
	v_mov_b32_e32 v182, v92
	v_mov_b32_e32 v183, v93
	v_mov_b32_e32 v184, v78
	v_mov_b32_e32 v185, v79
	v_mov_b32_e32 v186, v90
	v_mov_b32_e32 v187, v91
	v_mov_b32_e32 v188, v76
	v_mov_b32_e32 v189, v77
	v_mov_b32_e32 v190, v88
	v_mov_b32_e32 v191, v89
	v_mov_b32_e32 v192, v74
	v_mov_b32_e32 v193, v75
	v_mov_b32_e32 v194, v136
	v_mov_b32_e32 v195, v137
	v_mov_b32_e32 v196, v132
	v_mov_b32_e32 v197, v133
	v_mov_b32_e32 v198, v134
	v_mov_b32_e32 v199, v135
	ds_write2_b64 v218, v[182:183], v[184:185] offset0:26 offset1:27
	ds_write2_b64 v218, v[186:187], v[188:189] offset0:28 offset1:29
	;; [unrolled: 1-line block ×5, first 2 shown]
	ds_read_b64 v[182:183], v1
	s_waitcnt lgkmcnt(0)
	v_cmp_neq_f64_e32 vcc_lo, 0, v[182:183]
	s_and_b32 exec_lo, exec_lo, vcc_lo
	s_cbranch_execz .LBB71_89
; %bb.88:
	v_div_scale_f64 v[184:185], null, v[182:183], v[182:183], 1.0
	v_rcp_f64_e32 v[186:187], v[184:185]
	v_fma_f64 v[188:189], -v[184:185], v[186:187], 1.0
	v_fma_f64 v[186:187], v[186:187], v[188:189], v[186:187]
	v_fma_f64 v[188:189], -v[184:185], v[186:187], 1.0
	v_fma_f64 v[186:187], v[186:187], v[188:189], v[186:187]
	v_div_scale_f64 v[188:189], vcc_lo, 1.0, v[182:183], 1.0
	v_mul_f64 v[190:191], v[188:189], v[186:187]
	v_fma_f64 v[184:185], -v[184:185], v[190:191], v[188:189]
	v_div_fmas_f64 v[184:185], v[184:185], v[186:187], v[190:191]
	v_div_fixup_f64 v[182:183], v[184:185], v[182:183], 1.0
	ds_write_b64 v1, v[182:183]
.LBB71_89:
	s_or_b32 exec_lo, exec_lo, s1
	s_waitcnt lgkmcnt(0)
	s_barrier
	buffer_gl0_inv
	ds_read_b64 v[182:183], v1
	s_mov_b32 s1, exec_lo
	v_cmpx_lt_u32_e32 17, v0
	s_cbranch_execz .LBB71_91
; %bb.90:
	s_waitcnt lgkmcnt(0)
	v_mul_f64 v[100:101], v[182:183], v[100:101]
	ds_read2_b64 v[184:187], v218 offset0:18 offset1:19
	ds_read2_b64 v[188:191], v218 offset0:20 offset1:21
	ds_read2_b64 v[192:195], v218 offset0:22 offset1:23
	ds_read2_b64 v[196:199], v218 offset0:24 offset1:25
	ds_read2_b64 v[200:203], v218 offset0:26 offset1:27
	ds_read2_b64 v[204:207], v218 offset0:28 offset1:29
	ds_read2_b64 v[208:211], v218 offset0:30 offset1:31
	ds_read2_b64 v[212:215], v218 offset0:32 offset1:33
	ds_read2_b64 v[219:222], v218 offset0:34 offset1:35
	s_waitcnt lgkmcnt(8)
	v_fma_f64 v[114:115], -v[100:101], v[184:185], v[114:115]
	v_fma_f64 v[86:87], -v[100:101], v[186:187], v[86:87]
	s_waitcnt lgkmcnt(7)
	v_fma_f64 v[98:99], -v[100:101], v[188:189], v[98:99]
	v_fma_f64 v[84:85], -v[100:101], v[190:191], v[84:85]
	;; [unrolled: 3-line block ×9, first 2 shown]
.LBB71_91:
	s_or_b32 exec_lo, exec_lo, s1
	s_mov_b32 s1, exec_lo
	s_waitcnt lgkmcnt(0)
	s_barrier
	buffer_gl0_inv
	v_cmpx_eq_u32_e32 18, v0
	s_cbranch_execz .LBB71_94
; %bb.92:
	ds_write_b64 v1, v[114:115]
	ds_write2_b64 v218, v[86:87], v[98:99] offset0:19 offset1:20
	ds_write2_b64 v218, v[84:85], v[96:97] offset0:21 offset1:22
	;; [unrolled: 1-line block ×8, first 2 shown]
	ds_write_b64 v218, v[138:139] offset:280
	ds_read_b64 v[184:185], v1
	s_waitcnt lgkmcnt(0)
	v_cmp_neq_f64_e32 vcc_lo, 0, v[184:185]
	s_and_b32 exec_lo, exec_lo, vcc_lo
	s_cbranch_execz .LBB71_94
; %bb.93:
	v_div_scale_f64 v[186:187], null, v[184:185], v[184:185], 1.0
	v_rcp_f64_e32 v[188:189], v[186:187]
	v_fma_f64 v[190:191], -v[186:187], v[188:189], 1.0
	v_fma_f64 v[188:189], v[188:189], v[190:191], v[188:189]
	v_fma_f64 v[190:191], -v[186:187], v[188:189], 1.0
	v_fma_f64 v[188:189], v[188:189], v[190:191], v[188:189]
	v_div_scale_f64 v[190:191], vcc_lo, 1.0, v[184:185], 1.0
	v_mul_f64 v[192:193], v[190:191], v[188:189]
	v_fma_f64 v[186:187], -v[186:187], v[192:193], v[190:191]
	v_div_fmas_f64 v[186:187], v[186:187], v[188:189], v[192:193]
	v_div_fixup_f64 v[184:185], v[186:187], v[184:185], 1.0
	ds_write_b64 v1, v[184:185]
.LBB71_94:
	s_or_b32 exec_lo, exec_lo, s1
	s_waitcnt lgkmcnt(0)
	s_barrier
	buffer_gl0_inv
	ds_read_b64 v[184:185], v1
	s_mov_b32 s1, exec_lo
	v_cmpx_lt_u32_e32 18, v0
	s_cbranch_execz .LBB71_96
; %bb.95:
	s_waitcnt lgkmcnt(0)
	v_mul_f64 v[114:115], v[184:185], v[114:115]
	ds_read2_b64 v[186:189], v218 offset0:19 offset1:20
	ds_read2_b64 v[190:193], v218 offset0:21 offset1:22
	;; [unrolled: 1-line block ×8, first 2 shown]
	ds_read_b64 v[219:220], v218 offset:280
	s_waitcnt lgkmcnt(8)
	v_fma_f64 v[86:87], -v[114:115], v[186:187], v[86:87]
	v_fma_f64 v[98:99], -v[114:115], v[188:189], v[98:99]
	s_waitcnt lgkmcnt(7)
	v_fma_f64 v[84:85], -v[114:115], v[190:191], v[84:85]
	v_fma_f64 v[96:97], -v[114:115], v[192:193], v[96:97]
	;; [unrolled: 3-line block ×8, first 2 shown]
	s_waitcnt lgkmcnt(0)
	v_fma_f64 v[138:139], -v[114:115], v[219:220], v[138:139]
.LBB71_96:
	s_or_b32 exec_lo, exec_lo, s1
	s_mov_b32 s1, exec_lo
	s_waitcnt lgkmcnt(0)
	s_barrier
	buffer_gl0_inv
	v_cmpx_eq_u32_e32 19, v0
	s_cbranch_execz .LBB71_99
; %bb.97:
	v_mov_b32_e32 v186, v98
	v_mov_b32_e32 v187, v99
	;; [unrolled: 1-line block ×12, first 2 shown]
	ds_write_b64 v1, v[86:87]
	ds_write2_b64 v218, v[186:187], v[188:189] offset0:20 offset1:21
	ds_write2_b64 v218, v[190:191], v[192:193] offset0:22 offset1:23
	;; [unrolled: 1-line block ×3, first 2 shown]
	v_mov_b32_e32 v186, v92
	v_mov_b32_e32 v187, v93
	;; [unrolled: 1-line block ×18, first 2 shown]
	ds_write2_b64 v218, v[186:187], v[188:189] offset0:26 offset1:27
	ds_write2_b64 v218, v[190:191], v[192:193] offset0:28 offset1:29
	ds_write2_b64 v218, v[194:195], v[196:197] offset0:30 offset1:31
	ds_write2_b64 v218, v[198:199], v[200:201] offset0:32 offset1:33
	ds_write2_b64 v218, v[202:203], v[138:139] offset0:34 offset1:35
	ds_read_b64 v[186:187], v1
	s_waitcnt lgkmcnt(0)
	v_cmp_neq_f64_e32 vcc_lo, 0, v[186:187]
	s_and_b32 exec_lo, exec_lo, vcc_lo
	s_cbranch_execz .LBB71_99
; %bb.98:
	v_div_scale_f64 v[188:189], null, v[186:187], v[186:187], 1.0
	v_rcp_f64_e32 v[190:191], v[188:189]
	v_fma_f64 v[192:193], -v[188:189], v[190:191], 1.0
	v_fma_f64 v[190:191], v[190:191], v[192:193], v[190:191]
	v_fma_f64 v[192:193], -v[188:189], v[190:191], 1.0
	v_fma_f64 v[190:191], v[190:191], v[192:193], v[190:191]
	v_div_scale_f64 v[192:193], vcc_lo, 1.0, v[186:187], 1.0
	v_mul_f64 v[194:195], v[192:193], v[190:191]
	v_fma_f64 v[188:189], -v[188:189], v[194:195], v[192:193]
	v_div_fmas_f64 v[188:189], v[188:189], v[190:191], v[194:195]
	v_div_fixup_f64 v[186:187], v[188:189], v[186:187], 1.0
	ds_write_b64 v1, v[186:187]
.LBB71_99:
	s_or_b32 exec_lo, exec_lo, s1
	s_waitcnt lgkmcnt(0)
	s_barrier
	buffer_gl0_inv
	ds_read_b64 v[186:187], v1
	s_mov_b32 s1, exec_lo
	v_cmpx_lt_u32_e32 19, v0
	s_cbranch_execz .LBB71_101
; %bb.100:
	s_waitcnt lgkmcnt(0)
	v_mul_f64 v[86:87], v[186:187], v[86:87]
	ds_read2_b64 v[188:191], v218 offset0:20 offset1:21
	ds_read2_b64 v[192:195], v218 offset0:22 offset1:23
	;; [unrolled: 1-line block ×8, first 2 shown]
	s_waitcnt lgkmcnt(7)
	v_fma_f64 v[98:99], -v[86:87], v[188:189], v[98:99]
	v_fma_f64 v[84:85], -v[86:87], v[190:191], v[84:85]
	s_waitcnt lgkmcnt(6)
	v_fma_f64 v[96:97], -v[86:87], v[192:193], v[96:97]
	v_fma_f64 v[82:83], -v[86:87], v[194:195], v[82:83]
	;; [unrolled: 3-line block ×8, first 2 shown]
.LBB71_101:
	s_or_b32 exec_lo, exec_lo, s1
	s_mov_b32 s1, exec_lo
	s_waitcnt lgkmcnt(0)
	s_barrier
	buffer_gl0_inv
	v_cmpx_eq_u32_e32 20, v0
	s_cbranch_execz .LBB71_104
; %bb.102:
	ds_write_b64 v1, v[98:99]
	ds_write2_b64 v218, v[84:85], v[96:97] offset0:21 offset1:22
	ds_write2_b64 v218, v[82:83], v[94:95] offset0:23 offset1:24
	;; [unrolled: 1-line block ×7, first 2 shown]
	ds_write_b64 v218, v[138:139] offset:280
	ds_read_b64 v[188:189], v1
	s_waitcnt lgkmcnt(0)
	v_cmp_neq_f64_e32 vcc_lo, 0, v[188:189]
	s_and_b32 exec_lo, exec_lo, vcc_lo
	s_cbranch_execz .LBB71_104
; %bb.103:
	v_div_scale_f64 v[190:191], null, v[188:189], v[188:189], 1.0
	v_rcp_f64_e32 v[192:193], v[190:191]
	v_fma_f64 v[194:195], -v[190:191], v[192:193], 1.0
	v_fma_f64 v[192:193], v[192:193], v[194:195], v[192:193]
	v_fma_f64 v[194:195], -v[190:191], v[192:193], 1.0
	v_fma_f64 v[192:193], v[192:193], v[194:195], v[192:193]
	v_div_scale_f64 v[194:195], vcc_lo, 1.0, v[188:189], 1.0
	v_mul_f64 v[196:197], v[194:195], v[192:193]
	v_fma_f64 v[190:191], -v[190:191], v[196:197], v[194:195]
	v_div_fmas_f64 v[190:191], v[190:191], v[192:193], v[196:197]
	v_div_fixup_f64 v[188:189], v[190:191], v[188:189], 1.0
	ds_write_b64 v1, v[188:189]
.LBB71_104:
	s_or_b32 exec_lo, exec_lo, s1
	s_waitcnt lgkmcnt(0)
	s_barrier
	buffer_gl0_inv
	ds_read_b64 v[188:189], v1
	s_mov_b32 s1, exec_lo
	v_cmpx_lt_u32_e32 20, v0
	s_cbranch_execz .LBB71_106
; %bb.105:
	s_waitcnt lgkmcnt(0)
	v_mul_f64 v[98:99], v[188:189], v[98:99]
	ds_read2_b64 v[190:193], v218 offset0:21 offset1:22
	ds_read2_b64 v[194:197], v218 offset0:23 offset1:24
	;; [unrolled: 1-line block ×7, first 2 shown]
	ds_read_b64 v[219:220], v218 offset:280
	s_waitcnt lgkmcnt(7)
	v_fma_f64 v[84:85], -v[98:99], v[190:191], v[84:85]
	v_fma_f64 v[96:97], -v[98:99], v[192:193], v[96:97]
	s_waitcnt lgkmcnt(6)
	v_fma_f64 v[82:83], -v[98:99], v[194:195], v[82:83]
	v_fma_f64 v[94:95], -v[98:99], v[196:197], v[94:95]
	;; [unrolled: 3-line block ×7, first 2 shown]
	s_waitcnt lgkmcnt(0)
	v_fma_f64 v[138:139], -v[98:99], v[219:220], v[138:139]
.LBB71_106:
	s_or_b32 exec_lo, exec_lo, s1
	s_mov_b32 s1, exec_lo
	s_waitcnt lgkmcnt(0)
	s_barrier
	buffer_gl0_inv
	v_cmpx_eq_u32_e32 21, v0
	s_cbranch_execz .LBB71_109
; %bb.107:
	v_mov_b32_e32 v190, v96
	v_mov_b32_e32 v191, v97
	;; [unrolled: 1-line block ×8, first 2 shown]
	ds_write_b64 v1, v[84:85]
	ds_write2_b64 v218, v[190:191], v[192:193] offset0:22 offset1:23
	ds_write2_b64 v218, v[194:195], v[196:197] offset0:24 offset1:25
	v_mov_b32_e32 v190, v92
	v_mov_b32_e32 v191, v93
	;; [unrolled: 1-line block ×18, first 2 shown]
	ds_write2_b64 v218, v[190:191], v[192:193] offset0:26 offset1:27
	ds_write2_b64 v218, v[194:195], v[196:197] offset0:28 offset1:29
	;; [unrolled: 1-line block ×5, first 2 shown]
	ds_read_b64 v[190:191], v1
	s_waitcnt lgkmcnt(0)
	v_cmp_neq_f64_e32 vcc_lo, 0, v[190:191]
	s_and_b32 exec_lo, exec_lo, vcc_lo
	s_cbranch_execz .LBB71_109
; %bb.108:
	v_div_scale_f64 v[192:193], null, v[190:191], v[190:191], 1.0
	v_rcp_f64_e32 v[194:195], v[192:193]
	v_fma_f64 v[196:197], -v[192:193], v[194:195], 1.0
	v_fma_f64 v[194:195], v[194:195], v[196:197], v[194:195]
	v_fma_f64 v[196:197], -v[192:193], v[194:195], 1.0
	v_fma_f64 v[194:195], v[194:195], v[196:197], v[194:195]
	v_div_scale_f64 v[196:197], vcc_lo, 1.0, v[190:191], 1.0
	v_mul_f64 v[198:199], v[196:197], v[194:195]
	v_fma_f64 v[192:193], -v[192:193], v[198:199], v[196:197]
	v_div_fmas_f64 v[192:193], v[192:193], v[194:195], v[198:199]
	v_div_fixup_f64 v[190:191], v[192:193], v[190:191], 1.0
	ds_write_b64 v1, v[190:191]
.LBB71_109:
	s_or_b32 exec_lo, exec_lo, s1
	s_waitcnt lgkmcnt(0)
	s_barrier
	buffer_gl0_inv
	ds_read_b64 v[190:191], v1
	s_mov_b32 s1, exec_lo
	v_cmpx_lt_u32_e32 21, v0
	s_cbranch_execz .LBB71_111
; %bb.110:
	s_waitcnt lgkmcnt(0)
	v_mul_f64 v[84:85], v[190:191], v[84:85]
	ds_read2_b64 v[192:195], v218 offset0:22 offset1:23
	ds_read2_b64 v[196:199], v218 offset0:24 offset1:25
	;; [unrolled: 1-line block ×7, first 2 shown]
	s_waitcnt lgkmcnt(6)
	v_fma_f64 v[96:97], -v[84:85], v[192:193], v[96:97]
	v_fma_f64 v[82:83], -v[84:85], v[194:195], v[82:83]
	s_waitcnt lgkmcnt(5)
	v_fma_f64 v[94:95], -v[84:85], v[196:197], v[94:95]
	v_fma_f64 v[80:81], -v[84:85], v[198:199], v[80:81]
	;; [unrolled: 3-line block ×7, first 2 shown]
.LBB71_111:
	s_or_b32 exec_lo, exec_lo, s1
	s_mov_b32 s1, exec_lo
	s_waitcnt lgkmcnt(0)
	s_barrier
	buffer_gl0_inv
	v_cmpx_eq_u32_e32 22, v0
	s_cbranch_execz .LBB71_114
; %bb.112:
	ds_write_b64 v1, v[96:97]
	ds_write2_b64 v218, v[82:83], v[94:95] offset0:23 offset1:24
	ds_write2_b64 v218, v[80:81], v[92:93] offset0:25 offset1:26
	ds_write2_b64 v218, v[78:79], v[90:91] offset0:27 offset1:28
	ds_write2_b64 v218, v[76:77], v[88:89] offset0:29 offset1:30
	ds_write2_b64 v218, v[74:75], v[136:137] offset0:31 offset1:32
	ds_write2_b64 v218, v[132:133], v[134:135] offset0:33 offset1:34
	ds_write_b64 v218, v[138:139] offset:280
	ds_read_b64 v[192:193], v1
	s_waitcnt lgkmcnt(0)
	v_cmp_neq_f64_e32 vcc_lo, 0, v[192:193]
	s_and_b32 exec_lo, exec_lo, vcc_lo
	s_cbranch_execz .LBB71_114
; %bb.113:
	v_div_scale_f64 v[194:195], null, v[192:193], v[192:193], 1.0
	v_rcp_f64_e32 v[196:197], v[194:195]
	v_fma_f64 v[198:199], -v[194:195], v[196:197], 1.0
	v_fma_f64 v[196:197], v[196:197], v[198:199], v[196:197]
	v_fma_f64 v[198:199], -v[194:195], v[196:197], 1.0
	v_fma_f64 v[196:197], v[196:197], v[198:199], v[196:197]
	v_div_scale_f64 v[198:199], vcc_lo, 1.0, v[192:193], 1.0
	v_mul_f64 v[200:201], v[198:199], v[196:197]
	v_fma_f64 v[194:195], -v[194:195], v[200:201], v[198:199]
	v_div_fmas_f64 v[194:195], v[194:195], v[196:197], v[200:201]
	v_div_fixup_f64 v[192:193], v[194:195], v[192:193], 1.0
	ds_write_b64 v1, v[192:193]
.LBB71_114:
	s_or_b32 exec_lo, exec_lo, s1
	s_waitcnt lgkmcnt(0)
	s_barrier
	buffer_gl0_inv
	ds_read_b64 v[192:193], v1
	s_mov_b32 s1, exec_lo
	v_cmpx_lt_u32_e32 22, v0
	s_cbranch_execz .LBB71_116
; %bb.115:
	s_waitcnt lgkmcnt(0)
	v_mul_f64 v[96:97], v[192:193], v[96:97]
	ds_read2_b64 v[194:197], v218 offset0:23 offset1:24
	ds_read2_b64 v[198:201], v218 offset0:25 offset1:26
	;; [unrolled: 1-line block ×6, first 2 shown]
	ds_read_b64 v[219:220], v218 offset:280
	s_waitcnt lgkmcnt(6)
	v_fma_f64 v[82:83], -v[96:97], v[194:195], v[82:83]
	v_fma_f64 v[94:95], -v[96:97], v[196:197], v[94:95]
	s_waitcnt lgkmcnt(5)
	v_fma_f64 v[80:81], -v[96:97], v[198:199], v[80:81]
	v_fma_f64 v[92:93], -v[96:97], v[200:201], v[92:93]
	;; [unrolled: 3-line block ×6, first 2 shown]
	s_waitcnt lgkmcnt(0)
	v_fma_f64 v[138:139], -v[96:97], v[219:220], v[138:139]
.LBB71_116:
	s_or_b32 exec_lo, exec_lo, s1
	s_mov_b32 s1, exec_lo
	s_waitcnt lgkmcnt(0)
	s_barrier
	buffer_gl0_inv
	v_cmpx_eq_u32_e32 23, v0
	s_cbranch_execz .LBB71_119
; %bb.117:
	v_mov_b32_e32 v194, v94
	v_mov_b32_e32 v195, v95
	;; [unrolled: 1-line block ×4, first 2 shown]
	ds_write_b64 v1, v[82:83]
	ds_write2_b64 v218, v[194:195], v[196:197] offset0:24 offset1:25
	v_mov_b32_e32 v194, v92
	v_mov_b32_e32 v195, v93
	;; [unrolled: 1-line block ×18, first 2 shown]
	ds_write2_b64 v218, v[194:195], v[196:197] offset0:26 offset1:27
	ds_write2_b64 v218, v[198:199], v[200:201] offset0:28 offset1:29
	ds_write2_b64 v218, v[202:203], v[204:205] offset0:30 offset1:31
	ds_write2_b64 v218, v[206:207], v[208:209] offset0:32 offset1:33
	ds_write2_b64 v218, v[210:211], v[138:139] offset0:34 offset1:35
	ds_read_b64 v[194:195], v1
	s_waitcnt lgkmcnt(0)
	v_cmp_neq_f64_e32 vcc_lo, 0, v[194:195]
	s_and_b32 exec_lo, exec_lo, vcc_lo
	s_cbranch_execz .LBB71_119
; %bb.118:
	v_div_scale_f64 v[196:197], null, v[194:195], v[194:195], 1.0
	v_rcp_f64_e32 v[198:199], v[196:197]
	v_fma_f64 v[200:201], -v[196:197], v[198:199], 1.0
	v_fma_f64 v[198:199], v[198:199], v[200:201], v[198:199]
	v_fma_f64 v[200:201], -v[196:197], v[198:199], 1.0
	v_fma_f64 v[198:199], v[198:199], v[200:201], v[198:199]
	v_div_scale_f64 v[200:201], vcc_lo, 1.0, v[194:195], 1.0
	v_mul_f64 v[202:203], v[200:201], v[198:199]
	v_fma_f64 v[196:197], -v[196:197], v[202:203], v[200:201]
	v_div_fmas_f64 v[196:197], v[196:197], v[198:199], v[202:203]
	v_div_fixup_f64 v[194:195], v[196:197], v[194:195], 1.0
	ds_write_b64 v1, v[194:195]
.LBB71_119:
	s_or_b32 exec_lo, exec_lo, s1
	s_waitcnt lgkmcnt(0)
	s_barrier
	buffer_gl0_inv
	ds_read_b64 v[194:195], v1
	s_mov_b32 s1, exec_lo
	v_cmpx_lt_u32_e32 23, v0
	s_cbranch_execz .LBB71_121
; %bb.120:
	s_waitcnt lgkmcnt(0)
	v_mul_f64 v[82:83], v[194:195], v[82:83]
	ds_read2_b64 v[196:199], v218 offset0:24 offset1:25
	ds_read2_b64 v[200:203], v218 offset0:26 offset1:27
	;; [unrolled: 1-line block ×6, first 2 shown]
	s_waitcnt lgkmcnt(5)
	v_fma_f64 v[94:95], -v[82:83], v[196:197], v[94:95]
	v_fma_f64 v[80:81], -v[82:83], v[198:199], v[80:81]
	s_waitcnt lgkmcnt(4)
	v_fma_f64 v[92:93], -v[82:83], v[200:201], v[92:93]
	v_fma_f64 v[78:79], -v[82:83], v[202:203], v[78:79]
	;; [unrolled: 3-line block ×6, first 2 shown]
.LBB71_121:
	s_or_b32 exec_lo, exec_lo, s1
	s_mov_b32 s1, exec_lo
	s_waitcnt lgkmcnt(0)
	s_barrier
	buffer_gl0_inv
	v_cmpx_eq_u32_e32 24, v0
	s_cbranch_execz .LBB71_124
; %bb.122:
	ds_write_b64 v1, v[94:95]
	ds_write2_b64 v218, v[80:81], v[92:93] offset0:25 offset1:26
	ds_write2_b64 v218, v[78:79], v[90:91] offset0:27 offset1:28
	;; [unrolled: 1-line block ×5, first 2 shown]
	ds_write_b64 v218, v[138:139] offset:280
	ds_read_b64 v[196:197], v1
	s_waitcnt lgkmcnt(0)
	v_cmp_neq_f64_e32 vcc_lo, 0, v[196:197]
	s_and_b32 exec_lo, exec_lo, vcc_lo
	s_cbranch_execz .LBB71_124
; %bb.123:
	v_div_scale_f64 v[198:199], null, v[196:197], v[196:197], 1.0
	v_rcp_f64_e32 v[200:201], v[198:199]
	v_fma_f64 v[202:203], -v[198:199], v[200:201], 1.0
	v_fma_f64 v[200:201], v[200:201], v[202:203], v[200:201]
	v_fma_f64 v[202:203], -v[198:199], v[200:201], 1.0
	v_fma_f64 v[200:201], v[200:201], v[202:203], v[200:201]
	v_div_scale_f64 v[202:203], vcc_lo, 1.0, v[196:197], 1.0
	v_mul_f64 v[204:205], v[202:203], v[200:201]
	v_fma_f64 v[198:199], -v[198:199], v[204:205], v[202:203]
	v_div_fmas_f64 v[198:199], v[198:199], v[200:201], v[204:205]
	v_div_fixup_f64 v[196:197], v[198:199], v[196:197], 1.0
	ds_write_b64 v1, v[196:197]
.LBB71_124:
	s_or_b32 exec_lo, exec_lo, s1
	s_waitcnt lgkmcnt(0)
	s_barrier
	buffer_gl0_inv
	ds_read_b64 v[196:197], v1
	s_mov_b32 s1, exec_lo
	v_cmpx_lt_u32_e32 24, v0
	s_cbranch_execz .LBB71_126
; %bb.125:
	s_waitcnt lgkmcnt(0)
	v_mul_f64 v[94:95], v[196:197], v[94:95]
	ds_read2_b64 v[198:201], v218 offset0:25 offset1:26
	ds_read2_b64 v[202:205], v218 offset0:27 offset1:28
	;; [unrolled: 1-line block ×5, first 2 shown]
	ds_read_b64 v[219:220], v218 offset:280
	s_waitcnt lgkmcnt(5)
	v_fma_f64 v[80:81], -v[94:95], v[198:199], v[80:81]
	v_fma_f64 v[92:93], -v[94:95], v[200:201], v[92:93]
	s_waitcnt lgkmcnt(4)
	v_fma_f64 v[78:79], -v[94:95], v[202:203], v[78:79]
	v_fma_f64 v[90:91], -v[94:95], v[204:205], v[90:91]
	;; [unrolled: 3-line block ×5, first 2 shown]
	s_waitcnt lgkmcnt(0)
	v_fma_f64 v[138:139], -v[94:95], v[219:220], v[138:139]
.LBB71_126:
	s_or_b32 exec_lo, exec_lo, s1
	s_mov_b32 s1, exec_lo
	s_waitcnt lgkmcnt(0)
	s_barrier
	buffer_gl0_inv
	v_cmpx_eq_u32_e32 25, v0
	s_cbranch_execz .LBB71_129
; %bb.127:
	v_mov_b32_e32 v198, v92
	v_mov_b32_e32 v199, v93
	;; [unrolled: 1-line block ×18, first 2 shown]
	ds_write_b64 v1, v[80:81]
	ds_write2_b64 v218, v[198:199], v[200:201] offset0:26 offset1:27
	ds_write2_b64 v218, v[202:203], v[204:205] offset0:28 offset1:29
	;; [unrolled: 1-line block ×5, first 2 shown]
	ds_read_b64 v[198:199], v1
	s_waitcnt lgkmcnt(0)
	v_cmp_neq_f64_e32 vcc_lo, 0, v[198:199]
	s_and_b32 exec_lo, exec_lo, vcc_lo
	s_cbranch_execz .LBB71_129
; %bb.128:
	v_div_scale_f64 v[200:201], null, v[198:199], v[198:199], 1.0
	v_rcp_f64_e32 v[202:203], v[200:201]
	v_fma_f64 v[204:205], -v[200:201], v[202:203], 1.0
	v_fma_f64 v[202:203], v[202:203], v[204:205], v[202:203]
	v_fma_f64 v[204:205], -v[200:201], v[202:203], 1.0
	v_fma_f64 v[202:203], v[202:203], v[204:205], v[202:203]
	v_div_scale_f64 v[204:205], vcc_lo, 1.0, v[198:199], 1.0
	v_mul_f64 v[206:207], v[204:205], v[202:203]
	v_fma_f64 v[200:201], -v[200:201], v[206:207], v[204:205]
	v_div_fmas_f64 v[200:201], v[200:201], v[202:203], v[206:207]
	v_div_fixup_f64 v[198:199], v[200:201], v[198:199], 1.0
	ds_write_b64 v1, v[198:199]
.LBB71_129:
	s_or_b32 exec_lo, exec_lo, s1
	s_waitcnt lgkmcnt(0)
	s_barrier
	buffer_gl0_inv
	ds_read_b64 v[198:199], v1
	s_mov_b32 s1, exec_lo
	v_cmpx_lt_u32_e32 25, v0
	s_cbranch_execz .LBB71_131
; %bb.130:
	s_waitcnt lgkmcnt(0)
	v_mul_f64 v[80:81], v[198:199], v[80:81]
	ds_read2_b64 v[200:203], v218 offset0:26 offset1:27
	ds_read2_b64 v[204:207], v218 offset0:28 offset1:29
	ds_read2_b64 v[208:211], v218 offset0:30 offset1:31
	ds_read2_b64 v[212:215], v218 offset0:32 offset1:33
	ds_read2_b64 v[219:222], v218 offset0:34 offset1:35
	s_waitcnt lgkmcnt(4)
	v_fma_f64 v[92:93], -v[80:81], v[200:201], v[92:93]
	v_fma_f64 v[78:79], -v[80:81], v[202:203], v[78:79]
	s_waitcnt lgkmcnt(3)
	v_fma_f64 v[90:91], -v[80:81], v[204:205], v[90:91]
	v_fma_f64 v[76:77], -v[80:81], v[206:207], v[76:77]
	;; [unrolled: 3-line block ×5, first 2 shown]
.LBB71_131:
	s_or_b32 exec_lo, exec_lo, s1
	s_mov_b32 s1, exec_lo
	s_waitcnt lgkmcnt(0)
	s_barrier
	buffer_gl0_inv
	v_cmpx_eq_u32_e32 26, v0
	s_cbranch_execz .LBB71_134
; %bb.132:
	ds_write_b64 v1, v[92:93]
	ds_write2_b64 v218, v[78:79], v[90:91] offset0:27 offset1:28
	ds_write2_b64 v218, v[76:77], v[88:89] offset0:29 offset1:30
	;; [unrolled: 1-line block ×4, first 2 shown]
	ds_write_b64 v218, v[138:139] offset:280
	ds_read_b64 v[200:201], v1
	s_waitcnt lgkmcnt(0)
	v_cmp_neq_f64_e32 vcc_lo, 0, v[200:201]
	s_and_b32 exec_lo, exec_lo, vcc_lo
	s_cbranch_execz .LBB71_134
; %bb.133:
	v_div_scale_f64 v[202:203], null, v[200:201], v[200:201], 1.0
	v_rcp_f64_e32 v[204:205], v[202:203]
	v_fma_f64 v[206:207], -v[202:203], v[204:205], 1.0
	v_fma_f64 v[204:205], v[204:205], v[206:207], v[204:205]
	v_fma_f64 v[206:207], -v[202:203], v[204:205], 1.0
	v_fma_f64 v[204:205], v[204:205], v[206:207], v[204:205]
	v_div_scale_f64 v[206:207], vcc_lo, 1.0, v[200:201], 1.0
	v_mul_f64 v[208:209], v[206:207], v[204:205]
	v_fma_f64 v[202:203], -v[202:203], v[208:209], v[206:207]
	v_div_fmas_f64 v[202:203], v[202:203], v[204:205], v[208:209]
	v_div_fixup_f64 v[200:201], v[202:203], v[200:201], 1.0
	ds_write_b64 v1, v[200:201]
.LBB71_134:
	s_or_b32 exec_lo, exec_lo, s1
	s_waitcnt lgkmcnt(0)
	s_barrier
	buffer_gl0_inv
	ds_read_b64 v[200:201], v1
	s_mov_b32 s1, exec_lo
	v_cmpx_lt_u32_e32 26, v0
	s_cbranch_execz .LBB71_136
; %bb.135:
	s_waitcnt lgkmcnt(0)
	v_mul_f64 v[92:93], v[200:201], v[92:93]
	ds_read2_b64 v[202:205], v218 offset0:27 offset1:28
	ds_read2_b64 v[206:209], v218 offset0:29 offset1:30
	;; [unrolled: 1-line block ×4, first 2 shown]
	ds_read_b64 v[219:220], v218 offset:280
	s_waitcnt lgkmcnt(4)
	v_fma_f64 v[78:79], -v[92:93], v[202:203], v[78:79]
	v_fma_f64 v[90:91], -v[92:93], v[204:205], v[90:91]
	s_waitcnt lgkmcnt(3)
	v_fma_f64 v[76:77], -v[92:93], v[206:207], v[76:77]
	v_fma_f64 v[88:89], -v[92:93], v[208:209], v[88:89]
	;; [unrolled: 3-line block ×4, first 2 shown]
	s_waitcnt lgkmcnt(0)
	v_fma_f64 v[138:139], -v[92:93], v[219:220], v[138:139]
.LBB71_136:
	s_or_b32 exec_lo, exec_lo, s1
	s_mov_b32 s1, exec_lo
	s_waitcnt lgkmcnt(0)
	s_barrier
	buffer_gl0_inv
	v_cmpx_eq_u32_e32 27, v0
	s_cbranch_execz .LBB71_139
; %bb.137:
	v_mov_b32_e32 v202, v90
	v_mov_b32_e32 v203, v91
	;; [unrolled: 1-line block ×14, first 2 shown]
	ds_write_b64 v1, v[78:79]
	ds_write2_b64 v218, v[202:203], v[204:205] offset0:28 offset1:29
	ds_write2_b64 v218, v[206:207], v[208:209] offset0:30 offset1:31
	;; [unrolled: 1-line block ×4, first 2 shown]
	ds_read_b64 v[202:203], v1
	s_waitcnt lgkmcnt(0)
	v_cmp_neq_f64_e32 vcc_lo, 0, v[202:203]
	s_and_b32 exec_lo, exec_lo, vcc_lo
	s_cbranch_execz .LBB71_139
; %bb.138:
	v_div_scale_f64 v[204:205], null, v[202:203], v[202:203], 1.0
	v_rcp_f64_e32 v[206:207], v[204:205]
	v_fma_f64 v[208:209], -v[204:205], v[206:207], 1.0
	v_fma_f64 v[206:207], v[206:207], v[208:209], v[206:207]
	v_fma_f64 v[208:209], -v[204:205], v[206:207], 1.0
	v_fma_f64 v[206:207], v[206:207], v[208:209], v[206:207]
	v_div_scale_f64 v[208:209], vcc_lo, 1.0, v[202:203], 1.0
	v_mul_f64 v[210:211], v[208:209], v[206:207]
	v_fma_f64 v[204:205], -v[204:205], v[210:211], v[208:209]
	v_div_fmas_f64 v[204:205], v[204:205], v[206:207], v[210:211]
	v_div_fixup_f64 v[202:203], v[204:205], v[202:203], 1.0
	ds_write_b64 v1, v[202:203]
.LBB71_139:
	s_or_b32 exec_lo, exec_lo, s1
	s_waitcnt lgkmcnt(0)
	s_barrier
	buffer_gl0_inv
	ds_read_b64 v[202:203], v1
	s_mov_b32 s1, exec_lo
	v_cmpx_lt_u32_e32 27, v0
	s_cbranch_execz .LBB71_141
; %bb.140:
	s_waitcnt lgkmcnt(0)
	v_mul_f64 v[78:79], v[202:203], v[78:79]
	ds_read2_b64 v[204:207], v218 offset0:28 offset1:29
	ds_read2_b64 v[208:211], v218 offset0:30 offset1:31
	;; [unrolled: 1-line block ×4, first 2 shown]
	s_waitcnt lgkmcnt(3)
	v_fma_f64 v[90:91], -v[78:79], v[204:205], v[90:91]
	v_fma_f64 v[76:77], -v[78:79], v[206:207], v[76:77]
	s_waitcnt lgkmcnt(2)
	v_fma_f64 v[88:89], -v[78:79], v[208:209], v[88:89]
	v_fma_f64 v[74:75], -v[78:79], v[210:211], v[74:75]
	;; [unrolled: 3-line block ×4, first 2 shown]
.LBB71_141:
	s_or_b32 exec_lo, exec_lo, s1
	s_mov_b32 s1, exec_lo
	s_waitcnt lgkmcnt(0)
	s_barrier
	buffer_gl0_inv
	v_cmpx_eq_u32_e32 28, v0
	s_cbranch_execz .LBB71_144
; %bb.142:
	ds_write_b64 v1, v[90:91]
	ds_write2_b64 v218, v[76:77], v[88:89] offset0:29 offset1:30
	ds_write2_b64 v218, v[74:75], v[136:137] offset0:31 offset1:32
	;; [unrolled: 1-line block ×3, first 2 shown]
	ds_write_b64 v218, v[138:139] offset:280
	ds_read_b64 v[204:205], v1
	s_waitcnt lgkmcnt(0)
	v_cmp_neq_f64_e32 vcc_lo, 0, v[204:205]
	s_and_b32 exec_lo, exec_lo, vcc_lo
	s_cbranch_execz .LBB71_144
; %bb.143:
	v_div_scale_f64 v[206:207], null, v[204:205], v[204:205], 1.0
	v_rcp_f64_e32 v[208:209], v[206:207]
	v_fma_f64 v[210:211], -v[206:207], v[208:209], 1.0
	v_fma_f64 v[208:209], v[208:209], v[210:211], v[208:209]
	v_fma_f64 v[210:211], -v[206:207], v[208:209], 1.0
	v_fma_f64 v[208:209], v[208:209], v[210:211], v[208:209]
	v_div_scale_f64 v[210:211], vcc_lo, 1.0, v[204:205], 1.0
	v_mul_f64 v[212:213], v[210:211], v[208:209]
	v_fma_f64 v[206:207], -v[206:207], v[212:213], v[210:211]
	v_div_fmas_f64 v[206:207], v[206:207], v[208:209], v[212:213]
	v_div_fixup_f64 v[204:205], v[206:207], v[204:205], 1.0
	ds_write_b64 v1, v[204:205]
.LBB71_144:
	s_or_b32 exec_lo, exec_lo, s1
	s_waitcnt lgkmcnt(0)
	s_barrier
	buffer_gl0_inv
	ds_read_b64 v[204:205], v1
	s_mov_b32 s1, exec_lo
	v_cmpx_lt_u32_e32 28, v0
	s_cbranch_execz .LBB71_146
; %bb.145:
	s_waitcnt lgkmcnt(0)
	v_mul_f64 v[90:91], v[204:205], v[90:91]
	ds_read2_b64 v[206:209], v218 offset0:29 offset1:30
	ds_read2_b64 v[210:213], v218 offset0:31 offset1:32
	;; [unrolled: 1-line block ×3, first 2 shown]
	ds_read_b64 v[219:220], v218 offset:280
	s_waitcnt lgkmcnt(3)
	v_fma_f64 v[76:77], -v[90:91], v[206:207], v[76:77]
	v_fma_f64 v[88:89], -v[90:91], v[208:209], v[88:89]
	s_waitcnt lgkmcnt(2)
	v_fma_f64 v[74:75], -v[90:91], v[210:211], v[74:75]
	v_fma_f64 v[136:137], -v[90:91], v[212:213], v[136:137]
	;; [unrolled: 3-line block ×3, first 2 shown]
	s_waitcnt lgkmcnt(0)
	v_fma_f64 v[138:139], -v[90:91], v[219:220], v[138:139]
.LBB71_146:
	s_or_b32 exec_lo, exec_lo, s1
	s_mov_b32 s1, exec_lo
	s_waitcnt lgkmcnt(0)
	s_barrier
	buffer_gl0_inv
	v_cmpx_eq_u32_e32 29, v0
	s_cbranch_execz .LBB71_149
; %bb.147:
	v_mov_b32_e32 v206, v88
	v_mov_b32_e32 v207, v89
	;; [unrolled: 1-line block ×10, first 2 shown]
	ds_write_b64 v1, v[76:77]
	ds_write2_b64 v218, v[206:207], v[208:209] offset0:30 offset1:31
	ds_write2_b64 v218, v[210:211], v[212:213] offset0:32 offset1:33
	;; [unrolled: 1-line block ×3, first 2 shown]
	ds_read_b64 v[206:207], v1
	s_waitcnt lgkmcnt(0)
	v_cmp_neq_f64_e32 vcc_lo, 0, v[206:207]
	s_and_b32 exec_lo, exec_lo, vcc_lo
	s_cbranch_execz .LBB71_149
; %bb.148:
	v_div_scale_f64 v[208:209], null, v[206:207], v[206:207], 1.0
	v_rcp_f64_e32 v[210:211], v[208:209]
	v_fma_f64 v[212:213], -v[208:209], v[210:211], 1.0
	v_fma_f64 v[210:211], v[210:211], v[212:213], v[210:211]
	v_fma_f64 v[212:213], -v[208:209], v[210:211], 1.0
	v_fma_f64 v[210:211], v[210:211], v[212:213], v[210:211]
	v_div_scale_f64 v[212:213], vcc_lo, 1.0, v[206:207], 1.0
	v_mul_f64 v[214:215], v[212:213], v[210:211]
	v_fma_f64 v[208:209], -v[208:209], v[214:215], v[212:213]
	v_div_fmas_f64 v[208:209], v[208:209], v[210:211], v[214:215]
	v_div_fixup_f64 v[206:207], v[208:209], v[206:207], 1.0
	ds_write_b64 v1, v[206:207]
.LBB71_149:
	s_or_b32 exec_lo, exec_lo, s1
	s_waitcnt lgkmcnt(0)
	s_barrier
	buffer_gl0_inv
	ds_read_b64 v[206:207], v1
	s_mov_b32 s1, exec_lo
	v_cmpx_lt_u32_e32 29, v0
	s_cbranch_execz .LBB71_151
; %bb.150:
	s_waitcnt lgkmcnt(0)
	v_mul_f64 v[76:77], v[206:207], v[76:77]
	ds_read2_b64 v[208:211], v218 offset0:30 offset1:31
	ds_read2_b64 v[212:215], v218 offset0:32 offset1:33
	;; [unrolled: 1-line block ×3, first 2 shown]
	s_waitcnt lgkmcnt(2)
	v_fma_f64 v[88:89], -v[76:77], v[208:209], v[88:89]
	v_fma_f64 v[74:75], -v[76:77], v[210:211], v[74:75]
	s_waitcnt lgkmcnt(1)
	v_fma_f64 v[136:137], -v[76:77], v[212:213], v[136:137]
	v_fma_f64 v[132:133], -v[76:77], v[214:215], v[132:133]
	;; [unrolled: 3-line block ×3, first 2 shown]
.LBB71_151:
	s_or_b32 exec_lo, exec_lo, s1
	s_mov_b32 s1, exec_lo
	s_waitcnt lgkmcnt(0)
	s_barrier
	buffer_gl0_inv
	v_cmpx_eq_u32_e32 30, v0
	s_cbranch_execz .LBB71_154
; %bb.152:
	ds_write_b64 v1, v[88:89]
	ds_write2_b64 v218, v[74:75], v[136:137] offset0:31 offset1:32
	ds_write2_b64 v218, v[132:133], v[134:135] offset0:33 offset1:34
	ds_write_b64 v218, v[138:139] offset:280
	ds_read_b64 v[208:209], v1
	s_waitcnt lgkmcnt(0)
	v_cmp_neq_f64_e32 vcc_lo, 0, v[208:209]
	s_and_b32 exec_lo, exec_lo, vcc_lo
	s_cbranch_execz .LBB71_154
; %bb.153:
	v_div_scale_f64 v[210:211], null, v[208:209], v[208:209], 1.0
	v_rcp_f64_e32 v[212:213], v[210:211]
	v_fma_f64 v[214:215], -v[210:211], v[212:213], 1.0
	v_fma_f64 v[212:213], v[212:213], v[214:215], v[212:213]
	v_fma_f64 v[214:215], -v[210:211], v[212:213], 1.0
	v_fma_f64 v[212:213], v[212:213], v[214:215], v[212:213]
	v_div_scale_f64 v[214:215], vcc_lo, 1.0, v[208:209], 1.0
	v_mul_f64 v[216:217], v[214:215], v[212:213]
	v_fma_f64 v[210:211], -v[210:211], v[216:217], v[214:215]
	v_div_fmas_f64 v[210:211], v[210:211], v[212:213], v[216:217]
	v_div_fixup_f64 v[208:209], v[210:211], v[208:209], 1.0
	ds_write_b64 v1, v[208:209]
.LBB71_154:
	s_or_b32 exec_lo, exec_lo, s1
	s_waitcnt lgkmcnt(0)
	s_barrier
	buffer_gl0_inv
	ds_read_b64 v[208:209], v1
	s_mov_b32 s1, exec_lo
	v_cmpx_lt_u32_e32 30, v0
	s_cbranch_execz .LBB71_156
; %bb.155:
	s_waitcnt lgkmcnt(0)
	v_mul_f64 v[88:89], v[208:209], v[88:89]
	ds_read2_b64 v[210:213], v218 offset0:31 offset1:32
	ds_read2_b64 v[214:217], v218 offset0:33 offset1:34
	ds_read_b64 v[219:220], v218 offset:280
	s_waitcnt lgkmcnt(2)
	v_fma_f64 v[74:75], -v[88:89], v[210:211], v[74:75]
	v_fma_f64 v[136:137], -v[88:89], v[212:213], v[136:137]
	s_waitcnt lgkmcnt(1)
	v_fma_f64 v[132:133], -v[88:89], v[214:215], v[132:133]
	v_fma_f64 v[134:135], -v[88:89], v[216:217], v[134:135]
	s_waitcnt lgkmcnt(0)
	v_fma_f64 v[138:139], -v[88:89], v[219:220], v[138:139]
.LBB71_156:
	s_or_b32 exec_lo, exec_lo, s1
	s_mov_b32 s1, exec_lo
	s_waitcnt lgkmcnt(0)
	s_barrier
	buffer_gl0_inv
	v_cmpx_eq_u32_e32 31, v0
	s_cbranch_execz .LBB71_159
; %bb.157:
	v_mov_b32_e32 v210, v136
	v_mov_b32_e32 v211, v137
	;; [unrolled: 1-line block ×6, first 2 shown]
	ds_write_b64 v1, v[74:75]
	ds_write2_b64 v218, v[210:211], v[212:213] offset0:32 offset1:33
	ds_write2_b64 v218, v[214:215], v[138:139] offset0:34 offset1:35
	ds_read_b64 v[210:211], v1
	s_waitcnt lgkmcnt(0)
	v_cmp_neq_f64_e32 vcc_lo, 0, v[210:211]
	s_and_b32 exec_lo, exec_lo, vcc_lo
	s_cbranch_execz .LBB71_159
; %bb.158:
	v_div_scale_f64 v[212:213], null, v[210:211], v[210:211], 1.0
	v_rcp_f64_e32 v[214:215], v[212:213]
	v_fma_f64 v[216:217], -v[212:213], v[214:215], 1.0
	v_fma_f64 v[214:215], v[214:215], v[216:217], v[214:215]
	v_fma_f64 v[216:217], -v[212:213], v[214:215], 1.0
	v_fma_f64 v[214:215], v[214:215], v[216:217], v[214:215]
	v_div_scale_f64 v[216:217], vcc_lo, 1.0, v[210:211], 1.0
	v_mul_f64 v[219:220], v[216:217], v[214:215]
	v_fma_f64 v[212:213], -v[212:213], v[219:220], v[216:217]
	v_div_fmas_f64 v[212:213], v[212:213], v[214:215], v[219:220]
	v_div_fixup_f64 v[210:211], v[212:213], v[210:211], 1.0
	ds_write_b64 v1, v[210:211]
.LBB71_159:
	s_or_b32 exec_lo, exec_lo, s1
	s_waitcnt lgkmcnt(0)
	s_barrier
	buffer_gl0_inv
	ds_read_b64 v[210:211], v1
	s_mov_b32 s1, exec_lo
	v_cmpx_lt_u32_e32 31, v0
	s_cbranch_execz .LBB71_161
; %bb.160:
	s_waitcnt lgkmcnt(0)
	v_mul_f64 v[74:75], v[210:211], v[74:75]
	ds_read2_b64 v[212:215], v218 offset0:32 offset1:33
	ds_read2_b64 v[219:222], v218 offset0:34 offset1:35
	s_waitcnt lgkmcnt(1)
	v_fma_f64 v[136:137], -v[74:75], v[212:213], v[136:137]
	v_fma_f64 v[132:133], -v[74:75], v[214:215], v[132:133]
	s_waitcnt lgkmcnt(0)
	v_fma_f64 v[134:135], -v[74:75], v[219:220], v[134:135]
	v_fma_f64 v[138:139], -v[74:75], v[221:222], v[138:139]
.LBB71_161:
	s_or_b32 exec_lo, exec_lo, s1
	s_mov_b32 s1, exec_lo
	s_waitcnt lgkmcnt(0)
	s_barrier
	buffer_gl0_inv
	v_cmpx_eq_u32_e32 32, v0
	s_cbranch_execz .LBB71_164
; %bb.162:
	ds_write_b64 v1, v[136:137]
	ds_write2_b64 v218, v[132:133], v[134:135] offset0:33 offset1:34
	ds_write_b64 v218, v[138:139] offset:280
	ds_read_b64 v[212:213], v1
	s_waitcnt lgkmcnt(0)
	v_cmp_neq_f64_e32 vcc_lo, 0, v[212:213]
	s_and_b32 exec_lo, exec_lo, vcc_lo
	s_cbranch_execz .LBB71_164
; %bb.163:
	v_div_scale_f64 v[214:215], null, v[212:213], v[212:213], 1.0
	v_rcp_f64_e32 v[216:217], v[214:215]
	v_fma_f64 v[219:220], -v[214:215], v[216:217], 1.0
	v_fma_f64 v[216:217], v[216:217], v[219:220], v[216:217]
	v_fma_f64 v[219:220], -v[214:215], v[216:217], 1.0
	v_fma_f64 v[216:217], v[216:217], v[219:220], v[216:217]
	v_div_scale_f64 v[219:220], vcc_lo, 1.0, v[212:213], 1.0
	v_mul_f64 v[221:222], v[219:220], v[216:217]
	v_fma_f64 v[214:215], -v[214:215], v[221:222], v[219:220]
	v_div_fmas_f64 v[214:215], v[214:215], v[216:217], v[221:222]
	v_div_fixup_f64 v[212:213], v[214:215], v[212:213], 1.0
	ds_write_b64 v1, v[212:213]
.LBB71_164:
	s_or_b32 exec_lo, exec_lo, s1
	s_waitcnt lgkmcnt(0)
	s_barrier
	buffer_gl0_inv
	ds_read_b64 v[212:213], v1
	s_mov_b32 s1, exec_lo
	v_cmpx_lt_u32_e32 32, v0
	s_cbranch_execz .LBB71_166
; %bb.165:
	s_waitcnt lgkmcnt(0)
	v_mul_f64 v[136:137], v[212:213], v[136:137]
	ds_read2_b64 v[214:217], v218 offset0:33 offset1:34
	ds_read_b64 v[219:220], v218 offset:280
	s_waitcnt lgkmcnt(1)
	v_fma_f64 v[132:133], -v[136:137], v[214:215], v[132:133]
	v_fma_f64 v[134:135], -v[136:137], v[216:217], v[134:135]
	s_waitcnt lgkmcnt(0)
	v_fma_f64 v[138:139], -v[136:137], v[219:220], v[138:139]
.LBB71_166:
	s_or_b32 exec_lo, exec_lo, s1
	s_mov_b32 s1, exec_lo
	s_waitcnt lgkmcnt(0)
	s_barrier
	buffer_gl0_inv
	v_cmpx_eq_u32_e32 33, v0
	s_cbranch_execz .LBB71_169
; %bb.167:
	v_mov_b32_e32 v214, v134
	v_mov_b32_e32 v215, v135
	ds_write_b64 v1, v[132:133]
	ds_write2_b64 v218, v[214:215], v[138:139] offset0:34 offset1:35
	ds_read_b64 v[214:215], v1
	s_waitcnt lgkmcnt(0)
	v_cmp_neq_f64_e32 vcc_lo, 0, v[214:215]
	s_and_b32 exec_lo, exec_lo, vcc_lo
	s_cbranch_execz .LBB71_169
; %bb.168:
	v_div_scale_f64 v[216:217], null, v[214:215], v[214:215], 1.0
	v_rcp_f64_e32 v[219:220], v[216:217]
	v_fma_f64 v[221:222], -v[216:217], v[219:220], 1.0
	v_fma_f64 v[219:220], v[219:220], v[221:222], v[219:220]
	v_fma_f64 v[221:222], -v[216:217], v[219:220], 1.0
	v_fma_f64 v[219:220], v[219:220], v[221:222], v[219:220]
	v_div_scale_f64 v[221:222], vcc_lo, 1.0, v[214:215], 1.0
	v_mul_f64 v[223:224], v[221:222], v[219:220]
	v_fma_f64 v[216:217], -v[216:217], v[223:224], v[221:222]
	v_div_fmas_f64 v[216:217], v[216:217], v[219:220], v[223:224]
	v_div_fixup_f64 v[214:215], v[216:217], v[214:215], 1.0
	ds_write_b64 v1, v[214:215]
.LBB71_169:
	s_or_b32 exec_lo, exec_lo, s1
	s_waitcnt lgkmcnt(0)
	s_barrier
	buffer_gl0_inv
	ds_read_b64 v[214:215], v1
	s_mov_b32 s1, exec_lo
	v_cmpx_lt_u32_e32 33, v0
	s_cbranch_execz .LBB71_171
; %bb.170:
	s_waitcnt lgkmcnt(0)
	v_mul_f64 v[132:133], v[214:215], v[132:133]
	ds_read2_b64 v[219:222], v218 offset0:34 offset1:35
	s_waitcnt lgkmcnt(0)
	v_fma_f64 v[134:135], -v[132:133], v[219:220], v[134:135]
	v_fma_f64 v[138:139], -v[132:133], v[221:222], v[138:139]
.LBB71_171:
	s_or_b32 exec_lo, exec_lo, s1
	s_mov_b32 s1, exec_lo
	s_waitcnt lgkmcnt(0)
	s_barrier
	buffer_gl0_inv
	v_cmpx_eq_u32_e32 34, v0
	s_cbranch_execz .LBB71_174
; %bb.172:
	ds_write_b64 v1, v[134:135]
	ds_write_b64 v218, v[138:139] offset:280
	ds_read_b64 v[216:217], v1
	s_waitcnt lgkmcnt(0)
	v_cmp_neq_f64_e32 vcc_lo, 0, v[216:217]
	s_and_b32 exec_lo, exec_lo, vcc_lo
	s_cbranch_execz .LBB71_174
; %bb.173:
	v_div_scale_f64 v[219:220], null, v[216:217], v[216:217], 1.0
	v_rcp_f64_e32 v[221:222], v[219:220]
	v_fma_f64 v[223:224], -v[219:220], v[221:222], 1.0
	v_fma_f64 v[221:222], v[221:222], v[223:224], v[221:222]
	v_fma_f64 v[223:224], -v[219:220], v[221:222], 1.0
	v_fma_f64 v[221:222], v[221:222], v[223:224], v[221:222]
	v_div_scale_f64 v[223:224], vcc_lo, 1.0, v[216:217], 1.0
	v_mul_f64 v[225:226], v[223:224], v[221:222]
	v_fma_f64 v[219:220], -v[219:220], v[225:226], v[223:224]
	v_div_fmas_f64 v[219:220], v[219:220], v[221:222], v[225:226]
	v_div_fixup_f64 v[216:217], v[219:220], v[216:217], 1.0
	ds_write_b64 v1, v[216:217]
.LBB71_174:
	s_or_b32 exec_lo, exec_lo, s1
	s_waitcnt lgkmcnt(0)
	s_barrier
	buffer_gl0_inv
	ds_read_b64 v[216:217], v1
	s_mov_b32 s1, exec_lo
	v_cmpx_lt_u32_e32 34, v0
	s_cbranch_execz .LBB71_176
; %bb.175:
	s_waitcnt lgkmcnt(0)
	v_mul_f64 v[134:135], v[216:217], v[134:135]
	ds_read_b64 v[218:219], v218 offset:280
	s_waitcnt lgkmcnt(0)
	v_fma_f64 v[138:139], -v[134:135], v[218:219], v[138:139]
.LBB71_176:
	s_or_b32 exec_lo, exec_lo, s1
	s_mov_b32 s1, exec_lo
	s_waitcnt lgkmcnt(0)
	s_barrier
	buffer_gl0_inv
	v_cmpx_eq_u32_e32 35, v0
	s_cbranch_execz .LBB71_179
; %bb.177:
	v_cmp_neq_f64_e32 vcc_lo, 0, v[138:139]
	ds_write_b64 v1, v[138:139]
	s_and_b32 exec_lo, exec_lo, vcc_lo
	s_cbranch_execz .LBB71_179
; %bb.178:
	v_div_scale_f64 v[218:219], null, v[138:139], v[138:139], 1.0
	v_rcp_f64_e32 v[220:221], v[218:219]
	v_fma_f64 v[222:223], -v[218:219], v[220:221], 1.0
	v_fma_f64 v[220:221], v[220:221], v[222:223], v[220:221]
	v_fma_f64 v[222:223], -v[218:219], v[220:221], 1.0
	v_fma_f64 v[220:221], v[220:221], v[222:223], v[220:221]
	v_div_scale_f64 v[222:223], vcc_lo, 1.0, v[138:139], 1.0
	v_mul_f64 v[224:225], v[222:223], v[220:221]
	v_fma_f64 v[218:219], -v[218:219], v[224:225], v[222:223]
	v_div_fmas_f64 v[218:219], v[218:219], v[220:221], v[224:225]
	v_div_fixup_f64 v[218:219], v[218:219], v[138:139], 1.0
	ds_write_b64 v1, v[218:219]
.LBB71_179:
	s_or_b32 exec_lo, exec_lo, s1
	s_waitcnt lgkmcnt(0)
	s_barrier
	buffer_gl0_inv
	ds_read_b64 v[218:219], v1
	s_waitcnt lgkmcnt(0)
	s_barrier
	buffer_gl0_inv
	s_and_saveexec_b32 s6, s0
	s_cbranch_execz .LBB71_182
; %bb.180:
	v_cmp_eq_f64_e32 vcc_lo, 0, v[148:149]
	v_cmp_neq_f64_e64 s0, 0, v[150:151]
	v_cmp_eq_f64_e64 s1, 0, v[152:153]
	v_cmp_eq_f64_e64 s2, 0, v[154:155]
	s_load_dwordx2 s[4:5], s[4:5], 0x28
	v_cndmask_b32_e64 v1, 0, 1, vcc_lo
	s_or_b32 vcc_lo, s0, vcc_lo
	v_cmp_eq_f64_e64 s0, 0, v[156:157]
	v_cndmask_b32_e32 v1, 2, v1, vcc_lo
	v_cmp_eq_u32_e32 vcc_lo, 0, v1
	s_and_b32 s1, s1, vcc_lo
	v_cndmask_b32_e64 v1, v1, 3, s1
	v_cmp_eq_f64_e64 s1, 0, v[158:159]
	v_cmp_eq_u32_e32 vcc_lo, 0, v1
	s_and_b32 s2, s2, vcc_lo
	v_cndmask_b32_e64 v1, v1, 4, s2
	v_cmp_eq_f64_e64 s2, 0, v[160:161]
	;; [unrolled: 4-line block ×3, first 2 shown]
	v_cmp_eq_u32_e32 vcc_lo, 0, v1
	s_and_b32 s1, s1, vcc_lo
	v_cmp_eq_f64_e32 vcc_lo, 0, v[164:165]
	v_cndmask_b32_e64 v148, v1, 6, s1
	v_lshlrev_b64 v[1:2], 2, v[2:3]
	v_cmp_eq_u32_e64 s1, 0, v148
	s_waitcnt lgkmcnt(0)
	v_add_co_u32 v1, s3, s4, v1
	v_add_co_ci_u32_e64 v2, null, s5, v2, s3
	s_and_b32 s1, s2, s1
	v_cmp_eq_f64_e64 s2, 0, v[166:167]
	v_cndmask_b32_e64 v3, v148, 7, s1
	global_load_dword v148, v[1:2], off
	v_cmp_eq_u32_e64 s1, 0, v3
	s_and_b32 s0, s0, s1
	v_cmp_eq_f64_e64 s1, 0, v[168:169]
	v_cndmask_b32_e64 v3, v3, 8, s0
	v_cmp_eq_u32_e64 s0, 0, v3
	s_and_b32 s0, vcc_lo, s0
	v_cndmask_b32_e64 v3, v3, 9, s0
	v_cmp_eq_f64_e64 s0, 0, v[170:171]
	v_cmp_eq_u32_e32 vcc_lo, 0, v3
	s_and_b32 s2, s2, vcc_lo
	v_cndmask_b32_e64 v3, v3, 10, s2
	v_cmp_eq_f64_e64 s2, 0, v[172:173]
	v_cmp_eq_u32_e32 vcc_lo, 0, v3
	s_and_b32 s1, s1, vcc_lo
	;; [unrolled: 4-line block ×25, first 2 shown]
	v_cndmask_b32_e64 v3, v3, 34, s2
	v_cmp_eq_u32_e32 vcc_lo, 0, v3
	s_and_b32 s1, s1, vcc_lo
	v_cndmask_b32_e64 v3, v3, 35, s1
	v_cmp_eq_u32_e32 vcc_lo, 0, v3
	s_and_b32 s0, s0, vcc_lo
	s_waitcnt vmcnt(0)
	v_cmp_eq_u32_e32 vcc_lo, 0, v148
	v_cndmask_b32_e64 v3, v3, 36, s0
	v_cmp_ne_u32_e64 s0, 0, v3
	s_and_b32 s0, vcc_lo, s0
	s_and_b32 exec_lo, exec_lo, s0
	s_cbranch_execz .LBB71_182
; %bb.181:
	v_add_nc_u32_e32 v3, s9, v3
	global_store_dword v[1:2], v3, off
.LBB71_182:
	s_or_b32 exec_lo, exec_lo, s6
	v_mul_f64 v[1:2], v[218:219], v[138:139]
	v_cmp_lt_u32_e32 vcc_lo, 35, v0
	flat_store_dwordx2 v[72:73], v[140:141]
	flat_store_dwordx2 v[130:131], v[144:145]
	;; [unrolled: 1-line block ×19, first 2 shown]
	v_cndmask_b32_e32 v2, v139, v2, vcc_lo
	v_cndmask_b32_e32 v1, v138, v1, vcc_lo
	flat_store_dwordx2 v[36:37], v[86:87]
	flat_store_dwordx2 v[40:41], v[98:99]
	;; [unrolled: 1-line block ×17, first 2 shown]
.LBB71_183:
	s_endpgm
	.section	.rodata,"a",@progbits
	.p2align	6, 0x0
	.amdhsa_kernel _ZN9rocsolver6v33100L23getf2_npvt_small_kernelILi36EdiiPKPdEEvT1_T3_lS5_lPT2_S5_S5_
		.amdhsa_group_segment_fixed_size 0
		.amdhsa_private_segment_fixed_size 0
		.amdhsa_kernarg_size 312
		.amdhsa_user_sgpr_count 6
		.amdhsa_user_sgpr_private_segment_buffer 1
		.amdhsa_user_sgpr_dispatch_ptr 0
		.amdhsa_user_sgpr_queue_ptr 0
		.amdhsa_user_sgpr_kernarg_segment_ptr 1
		.amdhsa_user_sgpr_dispatch_id 0
		.amdhsa_user_sgpr_flat_scratch_init 0
		.amdhsa_user_sgpr_private_segment_size 0
		.amdhsa_wavefront_size32 1
		.amdhsa_uses_dynamic_stack 0
		.amdhsa_system_sgpr_private_segment_wavefront_offset 0
		.amdhsa_system_sgpr_workgroup_id_x 1
		.amdhsa_system_sgpr_workgroup_id_y 1
		.amdhsa_system_sgpr_workgroup_id_z 0
		.amdhsa_system_sgpr_workgroup_info 0
		.amdhsa_system_vgpr_workitem_id 1
		.amdhsa_next_free_vgpr 227
		.amdhsa_next_free_sgpr 11
		.amdhsa_reserve_vcc 1
		.amdhsa_reserve_flat_scratch 1
		.amdhsa_float_round_mode_32 0
		.amdhsa_float_round_mode_16_64 0
		.amdhsa_float_denorm_mode_32 3
		.amdhsa_float_denorm_mode_16_64 3
		.amdhsa_dx10_clamp 1
		.amdhsa_ieee_mode 1
		.amdhsa_fp16_overflow 0
		.amdhsa_workgroup_processor_mode 1
		.amdhsa_memory_ordered 1
		.amdhsa_forward_progress 1
		.amdhsa_shared_vgpr_count 0
		.amdhsa_exception_fp_ieee_invalid_op 0
		.amdhsa_exception_fp_denorm_src 0
		.amdhsa_exception_fp_ieee_div_zero 0
		.amdhsa_exception_fp_ieee_overflow 0
		.amdhsa_exception_fp_ieee_underflow 0
		.amdhsa_exception_fp_ieee_inexact 0
		.amdhsa_exception_int_div_zero 0
	.end_amdhsa_kernel
	.section	.text._ZN9rocsolver6v33100L23getf2_npvt_small_kernelILi36EdiiPKPdEEvT1_T3_lS5_lPT2_S5_S5_,"axG",@progbits,_ZN9rocsolver6v33100L23getf2_npvt_small_kernelILi36EdiiPKPdEEvT1_T3_lS5_lPT2_S5_S5_,comdat
.Lfunc_end71:
	.size	_ZN9rocsolver6v33100L23getf2_npvt_small_kernelILi36EdiiPKPdEEvT1_T3_lS5_lPT2_S5_S5_, .Lfunc_end71-_ZN9rocsolver6v33100L23getf2_npvt_small_kernelILi36EdiiPKPdEEvT1_T3_lS5_lPT2_S5_S5_
                                        ; -- End function
	.set _ZN9rocsolver6v33100L23getf2_npvt_small_kernelILi36EdiiPKPdEEvT1_T3_lS5_lPT2_S5_S5_.num_vgpr, 227
	.set _ZN9rocsolver6v33100L23getf2_npvt_small_kernelILi36EdiiPKPdEEvT1_T3_lS5_lPT2_S5_S5_.num_agpr, 0
	.set _ZN9rocsolver6v33100L23getf2_npvt_small_kernelILi36EdiiPKPdEEvT1_T3_lS5_lPT2_S5_S5_.numbered_sgpr, 11
	.set _ZN9rocsolver6v33100L23getf2_npvt_small_kernelILi36EdiiPKPdEEvT1_T3_lS5_lPT2_S5_S5_.num_named_barrier, 0
	.set _ZN9rocsolver6v33100L23getf2_npvt_small_kernelILi36EdiiPKPdEEvT1_T3_lS5_lPT2_S5_S5_.private_seg_size, 0
	.set _ZN9rocsolver6v33100L23getf2_npvt_small_kernelILi36EdiiPKPdEEvT1_T3_lS5_lPT2_S5_S5_.uses_vcc, 1
	.set _ZN9rocsolver6v33100L23getf2_npvt_small_kernelILi36EdiiPKPdEEvT1_T3_lS5_lPT2_S5_S5_.uses_flat_scratch, 1
	.set _ZN9rocsolver6v33100L23getf2_npvt_small_kernelILi36EdiiPKPdEEvT1_T3_lS5_lPT2_S5_S5_.has_dyn_sized_stack, 0
	.set _ZN9rocsolver6v33100L23getf2_npvt_small_kernelILi36EdiiPKPdEEvT1_T3_lS5_lPT2_S5_S5_.has_recursion, 0
	.set _ZN9rocsolver6v33100L23getf2_npvt_small_kernelILi36EdiiPKPdEEvT1_T3_lS5_lPT2_S5_S5_.has_indirect_call, 0
	.section	.AMDGPU.csdata,"",@progbits
; Kernel info:
; codeLenInByte = 24164
; TotalNumSgprs: 13
; NumVgprs: 227
; ScratchSize: 0
; MemoryBound: 0
; FloatMode: 240
; IeeeMode: 1
; LDSByteSize: 0 bytes/workgroup (compile time only)
; SGPRBlocks: 0
; VGPRBlocks: 28
; NumSGPRsForWavesPerEU: 13
; NumVGPRsForWavesPerEU: 227
; Occupancy: 4
; WaveLimiterHint : 1
; COMPUTE_PGM_RSRC2:SCRATCH_EN: 0
; COMPUTE_PGM_RSRC2:USER_SGPR: 6
; COMPUTE_PGM_RSRC2:TRAP_HANDLER: 0
; COMPUTE_PGM_RSRC2:TGID_X_EN: 1
; COMPUTE_PGM_RSRC2:TGID_Y_EN: 1
; COMPUTE_PGM_RSRC2:TGID_Z_EN: 0
; COMPUTE_PGM_RSRC2:TIDIG_COMP_CNT: 1
	.section	.text._ZN9rocsolver6v33100L18getf2_small_kernelILi37EdiiPKPdEEvT1_T3_lS5_lPS5_llPT2_S5_S5_S7_l,"axG",@progbits,_ZN9rocsolver6v33100L18getf2_small_kernelILi37EdiiPKPdEEvT1_T3_lS5_lPS5_llPT2_S5_S5_S7_l,comdat
	.globl	_ZN9rocsolver6v33100L18getf2_small_kernelILi37EdiiPKPdEEvT1_T3_lS5_lPS5_llPT2_S5_S5_S7_l ; -- Begin function _ZN9rocsolver6v33100L18getf2_small_kernelILi37EdiiPKPdEEvT1_T3_lS5_lPS5_llPT2_S5_S5_S7_l
	.p2align	8
	.type	_ZN9rocsolver6v33100L18getf2_small_kernelILi37EdiiPKPdEEvT1_T3_lS5_lPS5_llPT2_S5_S5_S7_l,@function
_ZN9rocsolver6v33100L18getf2_small_kernelILi37EdiiPKPdEEvT1_T3_lS5_lPS5_llPT2_S5_S5_S7_l: ; @_ZN9rocsolver6v33100L18getf2_small_kernelILi37EdiiPKPdEEvT1_T3_lS5_lPS5_llPT2_S5_S5_S7_l
; %bb.0:
	s_clause 0x1
	s_load_dword s0, s[4:5], 0x6c
	s_load_dwordx2 s[12:13], s[4:5], 0x48
	s_waitcnt lgkmcnt(0)
	s_lshr_b32 s0, s0, 16
	v_mad_u64_u32 v[2:3], null, s7, s0, v[1:2]
	s_mov_b32 s0, exec_lo
	v_cmpx_gt_i32_e64 s12, v2
	s_cbranch_execz .LBB72_626
; %bb.1:
	s_clause 0x1
	s_load_dwordx4 s[0:3], s[4:5], 0x8
	s_load_dwordx4 s[8:11], s[4:5], 0x50
	v_ashrrev_i32_e32 v3, 31, v2
	v_lshlrev_b64 v[4:5], 3, v[2:3]
	s_waitcnt lgkmcnt(0)
	v_add_co_u32 v4, vcc_lo, s0, v4
	v_add_co_ci_u32_e64 v5, null, s1, v5, vcc_lo
	s_cmp_eq_u64 s[8:9], 0
	s_cselect_b32 s6, -1, 0
	global_load_dwordx2 v[6:7], v[4:5], off
	v_mov_b32_e32 v4, 0
	v_mov_b32_e32 v5, 0
	s_and_b32 vcc_lo, exec_lo, s6
	s_cbranch_vccnz .LBB72_3
; %bb.2:
	v_mul_lo_u32 v8, s11, v2
	v_mul_lo_u32 v9, s10, v3
	v_mad_u64_u32 v[4:5], null, s10, v2, 0
	v_add3_u32 v5, v5, v9, v8
	v_lshlrev_b64 v[4:5], 2, v[4:5]
	v_add_co_u32 v4, vcc_lo, s8, v4
	v_add_co_ci_u32_e64 v5, null, s9, v5, vcc_lo
.LBB72_3:
	s_clause 0x1
	s_load_dword s8, s[4:5], 0x18
	s_load_dword s7, s[4:5], 0x0
	s_lshl_b64 s[0:1], s[2:3], 3
	v_lshlrev_b32_e32 v116, 3, v0
	s_waitcnt vmcnt(0)
	v_add_co_u32 v84, vcc_lo, v6, s0
	v_add_co_ci_u32_e64 v85, null, s1, v7, vcc_lo
	s_waitcnt lgkmcnt(0)
	v_add3_u32 v8, s8, s8, v0
	s_ashr_i32 s9, s8, 31
	s_max_i32 s0, s7, 37
	s_lshl_b64 s[10:11], s[8:9], 3
	v_mul_lo_u32 v1, s0, v1
	v_add_nc_u32_e32 v10, s8, v8
	v_ashrrev_i32_e32 v9, 31, v8
	s_cmp_lt_i32 s7, 2
	v_ashrrev_i32_e32 v11, 31, v10
	v_add_nc_u32_e32 v12, s8, v10
	v_lshlrev_b64 v[8:9], 3, v[8:9]
	v_lshlrev_b64 v[6:7], 3, v[10:11]
	v_add_nc_u32_e32 v10, s8, v12
	v_ashrrev_i32_e32 v13, 31, v12
	v_add_co_u32 v8, vcc_lo, v84, v8
	v_add_co_ci_u32_e64 v9, null, v85, v9, vcc_lo
	v_add_nc_u32_e32 v14, s8, v10
	v_ashrrev_i32_e32 v11, 31, v10
	v_lshlrev_b64 v[12:13], 3, v[12:13]
	v_add_co_u32 v6, vcc_lo, v84, v6
	v_add_nc_u32_e32 v16, s8, v14
	v_ashrrev_i32_e32 v15, 31, v14
	v_lshlrev_b64 v[10:11], 3, v[10:11]
	v_add_co_ci_u32_e64 v7, null, v85, v7, vcc_lo
	v_add_nc_u32_e32 v18, s8, v16
	v_ashrrev_i32_e32 v17, 31, v16
	v_lshlrev_b64 v[14:15], 3, v[14:15]
	v_add_co_u32 v12, vcc_lo, v84, v12
	v_add_nc_u32_e32 v20, s8, v18
	v_ashrrev_i32_e32 v19, 31, v18
	v_lshlrev_b64 v[16:17], 3, v[16:17]
	v_add_co_ci_u32_e64 v13, null, v85, v13, vcc_lo
	v_add_nc_u32_e32 v22, s8, v20
	v_ashrrev_i32_e32 v21, 31, v20
	v_add_co_u32 v10, vcc_lo, v84, v10
	v_lshlrev_b64 v[18:19], 3, v[18:19]
	v_add_nc_u32_e32 v24, s8, v22
	v_ashrrev_i32_e32 v23, 31, v22
	v_add_co_ci_u32_e64 v11, null, v85, v11, vcc_lo
	v_add_co_u32 v14, vcc_lo, v84, v14
	v_add_nc_u32_e32 v26, s8, v24
	v_ashrrev_i32_e32 v25, 31, v24
	v_lshlrev_b64 v[20:21], 3, v[20:21]
	v_add_co_ci_u32_e64 v15, null, v85, v15, vcc_lo
	v_add_nc_u32_e32 v28, s8, v26
	v_ashrrev_i32_e32 v27, 31, v26
	v_add_co_u32 v16, vcc_lo, v84, v16
	v_lshlrev_b64 v[22:23], 3, v[22:23]
	v_add_nc_u32_e32 v30, s8, v28
	v_ashrrev_i32_e32 v29, 31, v28
	v_add_co_ci_u32_e64 v17, null, v85, v17, vcc_lo
	v_add_co_u32 v18, vcc_lo, v84, v18
	v_add_nc_u32_e32 v32, s8, v30
	v_lshlrev_b64 v[24:25], 3, v[24:25]
	v_ashrrev_i32_e32 v31, 31, v30
	v_add_co_ci_u32_e64 v19, null, v85, v19, vcc_lo
	v_add_nc_u32_e32 v34, s8, v32
	v_add_co_u32 v20, vcc_lo, v84, v20
	v_lshlrev_b64 v[26:27], 3, v[26:27]
	v_ashrrev_i32_e32 v33, 31, v32
	v_add_nc_u32_e32 v36, s8, v34
	v_add_co_ci_u32_e64 v21, null, v85, v21, vcc_lo
	v_add_co_u32 v22, vcc_lo, v84, v22
	v_add_nc_u32_e32 v38, s8, v36
	v_lshlrev_b64 v[28:29], 3, v[28:29]
	v_ashrrev_i32_e32 v35, 31, v34
	v_add_co_ci_u32_e64 v23, null, v85, v23, vcc_lo
	v_add_nc_u32_e32 v40, s8, v38
	v_add_co_u32 v24, vcc_lo, v84, v24
	v_lshlrev_b64 v[30:31], 3, v[30:31]
	v_ashrrev_i32_e32 v37, 31, v36
	v_add_co_ci_u32_e64 v25, null, v85, v25, vcc_lo
	v_add_co_u32 v26, vcc_lo, v84, v26
	v_lshlrev_b64 v[32:33], 3, v[32:33]
	v_ashrrev_i32_e32 v39, 31, v38
	v_add_nc_u32_e32 v42, s8, v40
	v_add_co_ci_u32_e64 v27, null, v85, v27, vcc_lo
	v_add_co_u32 v28, vcc_lo, v84, v28
	v_lshlrev_b64 v[34:35], 3, v[34:35]
	v_ashrrev_i32_e32 v41, 31, v40
	v_add_co_ci_u32_e64 v29, null, v85, v29, vcc_lo
	v_add_co_u32 v30, vcc_lo, v84, v30
	v_lshlrev_b64 v[36:37], 3, v[36:37]
	v_add_co_ci_u32_e64 v31, null, v85, v31, vcc_lo
	v_add_co_u32 v32, vcc_lo, v84, v32
	v_lshlrev_b64 v[38:39], 3, v[38:39]
	v_add_nc_u32_e32 v44, s8, v42
	v_add_co_ci_u32_e64 v33, null, v85, v33, vcc_lo
	v_add_co_u32 v34, vcc_lo, v84, v34
	v_lshlrev_b64 v[40:41], 3, v[40:41]
	v_ashrrev_i32_e32 v43, 31, v42
	v_add_co_ci_u32_e64 v35, null, v85, v35, vcc_lo
	v_add_co_u32 v36, vcc_lo, v84, v36
	v_ashrrev_i32_e32 v45, 31, v44
	v_add_nc_u32_e32 v46, s8, v44
	v_add_co_ci_u32_e64 v37, null, v85, v37, vcc_lo
	v_add_co_u32 v38, vcc_lo, v84, v38
	v_lshlrev_b64 v[42:43], 3, v[42:43]
	v_add_co_ci_u32_e64 v39, null, v85, v39, vcc_lo
	v_add_co_u32 v78, vcc_lo, v84, v40
	v_add_co_ci_u32_e64 v79, null, v85, v41, vcc_lo
	v_lshlrev_b64 v[40:41], 3, v[44:45]
	v_ashrrev_i32_e32 v47, 31, v46
	v_add_nc_u32_e32 v44, s8, v46
	v_add_co_u32 v80, vcc_lo, v84, v42
	v_add_co_ci_u32_e64 v81, null, v85, v43, vcc_lo
	v_lshlrev_b64 v[42:43], 3, v[46:47]
	v_ashrrev_i32_e32 v45, 31, v44
	v_add_nc_u32_e32 v46, s8, v44
	;; [unrolled: 5-line block ×12, first 2 shown]
	v_add_co_u32 v104, vcc_lo, v84, v40
	v_add_co_ci_u32_e64 v105, null, v85, v41, vcc_lo
	v_lshlrev_b64 v[40:41], 3, v[44:45]
	v_add_nc_u32_e32 v44, s8, v46
	v_ashrrev_i32_e32 v47, 31, v46
	v_add_co_u32 v106, vcc_lo, v84, v42
	v_add_co_ci_u32_e64 v107, null, v85, v43, vcc_lo
	v_ashrrev_i32_e32 v45, 31, v44
	v_lshlrev_b64 v[42:43], 3, v[46:47]
	v_add_co_u32 v108, vcc_lo, v84, v40
	v_add_co_ci_u32_e64 v109, null, v85, v41, vcc_lo
	v_lshlrev_b64 v[40:41], 3, v[44:45]
	v_add_nc_u32_e32 v44, s8, v44
	v_add_co_u32 v110, vcc_lo, v84, v42
	v_add_co_ci_u32_e64 v111, null, v85, v43, vcc_lo
	v_ashrrev_i32_e32 v45, 31, v44
	v_add_co_u32 v112, vcc_lo, v84, v40
	v_add_co_ci_u32_e64 v113, null, v85, v41, vcc_lo
	v_add_co_u32 v42, vcc_lo, v84, v116
	v_add_co_ci_u32_e64 v43, null, 0, v85, vcc_lo
	v_lshlrev_b64 v[40:41], 3, v[44:45]
	v_add_co_u32 v44, vcc_lo, v42, s10
	v_add_co_ci_u32_e64 v45, null, s11, v43, vcc_lo
	v_add_co_u32 v114, vcc_lo, v84, v40
	v_add_co_ci_u32_e64 v115, null, v85, v41, vcc_lo
	s_clause 0x24
	flat_load_dwordx2 v[76:77], v[42:43]
	flat_load_dwordx2 v[74:75], v[44:45]
	;; [unrolled: 1-line block ×37, first 2 shown]
	v_lshl_add_u32 v86, v1, 3, 0
	v_lshlrev_b32_e32 v87, 3, v1
	v_mov_b32_e32 v82, 0
	v_add_nc_u32_e32 v80, v86, v116
	s_waitcnt vmcnt(36) lgkmcnt(36)
	ds_write_b64 v80, v[76:77]
	s_waitcnt vmcnt(0) lgkmcnt(0)
	s_barrier
	buffer_gl0_inv
	ds_read_b64 v[80:81], v86
	s_cbranch_scc1 .LBB72_6
; %bb.4:
	v_add3_u32 v1, v87, 0, 8
	v_mov_b32_e32 v82, 0
	s_mov_b32 s0, 1
.LBB72_5:                               ; =>This Inner Loop Header: Depth=1
	ds_read_b64 v[88:89], v1
	v_add_nc_u32_e32 v1, 8, v1
	s_waitcnt lgkmcnt(0)
	v_cmp_lt_f64_e64 vcc_lo, |v[80:81]|, |v[88:89]|
	v_cndmask_b32_e32 v81, v81, v89, vcc_lo
	v_cndmask_b32_e32 v80, v80, v88, vcc_lo
	v_cndmask_b32_e64 v82, v82, s0, vcc_lo
	s_add_i32 s0, s0, 1
	s_cmp_eq_u32 s7, s0
	s_cbranch_scc0 .LBB72_5
.LBB72_6:
	s_mov_b32 s0, exec_lo
                                        ; implicit-def: $vgpr89
	v_cmpx_ne_u32_e64 v0, v82
	s_xor_b32 s0, exec_lo, s0
	s_cbranch_execz .LBB72_12
; %bb.7:
	s_mov_b32 s1, exec_lo
	v_cmpx_eq_u32_e32 0, v0
	s_cbranch_execz .LBB72_11
; %bb.8:
	v_cmp_ne_u32_e32 vcc_lo, 0, v82
	s_xor_b32 s2, s6, -1
	s_and_b32 s3, s2, vcc_lo
	s_and_saveexec_b32 s2, s3
	s_cbranch_execz .LBB72_10
; %bb.9:
	v_ashrrev_i32_e32 v83, 31, v82
	v_lshlrev_b64 v[0:1], 2, v[82:83]
	v_add_co_u32 v0, vcc_lo, v4, v0
	v_add_co_ci_u32_e64 v1, null, v5, v1, vcc_lo
	s_clause 0x1
	global_load_dword v83, v[0:1], off
	global_load_dword v88, v[4:5], off
	s_waitcnt vmcnt(1)
	global_store_dword v[4:5], v83, off
	s_waitcnt vmcnt(0)
	global_store_dword v[0:1], v88, off
.LBB72_10:
	s_or_b32 exec_lo, exec_lo, s2
	v_mov_b32_e32 v0, v82
.LBB72_11:
	s_or_b32 exec_lo, exec_lo, s1
	v_mov_b32_e32 v89, v0
                                        ; implicit-def: $vgpr0
.LBB72_12:
	s_or_saveexec_b32 s0, s0
	v_mov_b32_e32 v83, v89
	s_xor_b32 exec_lo, exec_lo, s0
	s_cbranch_execz .LBB72_14
; %bb.13:
	v_mov_b32_e32 v89, 0
	v_mov_b32_e32 v83, v0
	ds_write2_b64 v86, v[74:75], v[72:73] offset0:1 offset1:2
	ds_write2_b64 v86, v[68:69], v[70:71] offset0:3 offset1:4
	;; [unrolled: 1-line block ×18, first 2 shown]
.LBB72_14:
	s_or_b32 exec_lo, exec_lo, s0
	s_waitcnt lgkmcnt(0)
	v_cmp_eq_f64_e64 s0, 0, v[80:81]
	s_mov_b32 s1, exec_lo
	s_waitcnt_vscnt null, 0x0
	s_barrier
	buffer_gl0_inv
	v_cmpx_lt_i32_e32 0, v89
	s_cbranch_execz .LBB72_16
; %bb.15:
	v_div_scale_f64 v[0:1], null, v[80:81], v[80:81], 1.0
	v_div_scale_f64 v[94:95], vcc_lo, 1.0, v[80:81], 1.0
	v_rcp_f64_e32 v[90:91], v[0:1]
	v_fma_f64 v[92:93], -v[0:1], v[90:91], 1.0
	v_fma_f64 v[90:91], v[90:91], v[92:93], v[90:91]
	v_fma_f64 v[92:93], -v[0:1], v[90:91], 1.0
	v_fma_f64 v[90:91], v[90:91], v[92:93], v[90:91]
	v_mul_f64 v[92:93], v[94:95], v[90:91]
	v_fma_f64 v[0:1], -v[0:1], v[92:93], v[94:95]
	v_div_fmas_f64 v[0:1], v[0:1], v[90:91], v[92:93]
	ds_read2_b64 v[90:93], v86 offset0:1 offset1:2
	ds_read2_b64 v[94:97], v86 offset0:3 offset1:4
	;; [unrolled: 1-line block ×16, first 2 shown]
	v_div_fixup_f64 v[0:1], v[0:1], v[80:81], 1.0
	v_cndmask_b32_e64 v1, v1, v81, s0
	v_cndmask_b32_e64 v0, v0, v80, s0
	v_mul_f64 v[76:77], v[0:1], v[76:77]
	s_waitcnt lgkmcnt(15)
	v_fma_f64 v[74:75], -v[76:77], v[90:91], v[74:75]
	v_fma_f64 v[72:73], -v[76:77], v[92:93], v[72:73]
	s_waitcnt lgkmcnt(14)
	v_fma_f64 v[68:69], -v[76:77], v[94:95], v[68:69]
	v_fma_f64 v[70:71], -v[76:77], v[96:97], v[70:71]
	ds_read2_b64 v[90:93], v86 offset0:33 offset1:34
	ds_read2_b64 v[94:97], v86 offset0:35 offset1:36
	s_waitcnt lgkmcnt(15)
	v_fma_f64 v[64:65], -v[76:77], v[98:99], v[64:65]
	v_fma_f64 v[66:67], -v[76:77], v[100:101], v[66:67]
	s_waitcnt lgkmcnt(14)
	v_fma_f64 v[62:63], -v[76:77], v[102:103], v[62:63]
	v_fma_f64 v[60:61], -v[76:77], v[104:105], v[60:61]
	;; [unrolled: 3-line block ×16, first 2 shown]
.LBB72_16:
	s_or_b32 exec_lo, exec_lo, s1
	v_lshl_add_u32 v0, v89, 3, v86
	s_barrier
	buffer_gl0_inv
	v_mov_b32_e32 v80, 1
	ds_write_b64 v0, v[74:75]
	s_waitcnt lgkmcnt(0)
	s_barrier
	buffer_gl0_inv
	ds_read_b64 v[0:1], v86 offset:8
	s_cmp_lt_i32 s7, 3
	s_cbranch_scc1 .LBB72_19
; %bb.17:
	v_add3_u32 v81, v87, 0, 16
	v_mov_b32_e32 v80, 1
	s_mov_b32 s1, 2
.LBB72_18:                              ; =>This Inner Loop Header: Depth=1
	ds_read_b64 v[90:91], v81
	v_add_nc_u32_e32 v81, 8, v81
	s_waitcnt lgkmcnt(0)
	v_cmp_lt_f64_e64 vcc_lo, |v[0:1]|, |v[90:91]|
	v_cndmask_b32_e32 v1, v1, v91, vcc_lo
	v_cndmask_b32_e32 v0, v0, v90, vcc_lo
	v_cndmask_b32_e64 v80, v80, s1, vcc_lo
	s_add_i32 s1, s1, 1
	s_cmp_lg_u32 s7, s1
	s_cbranch_scc1 .LBB72_18
.LBB72_19:
	s_mov_b32 s1, exec_lo
	v_cmpx_ne_u32_e64 v89, v80
	s_xor_b32 s1, exec_lo, s1
	s_cbranch_execz .LBB72_25
; %bb.20:
	s_mov_b32 s2, exec_lo
	v_cmpx_eq_u32_e32 1, v89
	s_cbranch_execz .LBB72_24
; %bb.21:
	v_cmp_ne_u32_e32 vcc_lo, 1, v80
	s_xor_b32 s3, s6, -1
	s_and_b32 s9, s3, vcc_lo
	s_and_saveexec_b32 s3, s9
	s_cbranch_execz .LBB72_23
; %bb.22:
	v_ashrrev_i32_e32 v81, 31, v80
	v_lshlrev_b64 v[81:82], 2, v[80:81]
	v_add_co_u32 v81, vcc_lo, v4, v81
	v_add_co_ci_u32_e64 v82, null, v5, v82, vcc_lo
	s_clause 0x1
	global_load_dword v83, v[81:82], off
	global_load_dword v88, v[4:5], off offset:4
	s_waitcnt vmcnt(1)
	global_store_dword v[4:5], v83, off offset:4
	s_waitcnt vmcnt(0)
	global_store_dword v[81:82], v88, off
.LBB72_23:
	s_or_b32 exec_lo, exec_lo, s3
	v_mov_b32_e32 v83, v80
	v_mov_b32_e32 v89, v80
.LBB72_24:
	s_or_b32 exec_lo, exec_lo, s2
.LBB72_25:
	s_andn2_saveexec_b32 s1, s1
	s_cbranch_execz .LBB72_27
; %bb.26:
	v_mov_b32_e32 v80, v72
	v_mov_b32_e32 v81, v73
	;; [unrolled: 1-line block ×12, first 2 shown]
	ds_write2_b64 v86, v[80:81], v[88:89] offset0:2 offset1:3
	ds_write2_b64 v86, v[90:91], v[92:93] offset0:4 offset1:5
	;; [unrolled: 1-line block ×3, first 2 shown]
	v_mov_b32_e32 v80, v60
	v_mov_b32_e32 v81, v61
	;; [unrolled: 1-line block ×20, first 2 shown]
	ds_write2_b64 v86, v[80:81], v[88:89] offset0:8 offset1:9
	ds_write2_b64 v86, v[90:91], v[92:93] offset0:10 offset1:11
	;; [unrolled: 1-line block ×5, first 2 shown]
	v_mov_b32_e32 v80, v40
	v_mov_b32_e32 v81, v41
	;; [unrolled: 1-line block ×20, first 2 shown]
	ds_write2_b64 v86, v[80:81], v[88:89] offset0:18 offset1:19
	ds_write2_b64 v86, v[90:91], v[92:93] offset0:20 offset1:21
	;; [unrolled: 1-line block ×5, first 2 shown]
	v_mov_b32_e32 v80, v20
	v_mov_b32_e32 v81, v21
	;; [unrolled: 1-line block ×8, first 2 shown]
	ds_write2_b64 v86, v[80:81], v[88:89] offset0:28 offset1:29
	v_mov_b32_e32 v89, 1
	v_mov_b32_e32 v94, v12
	;; [unrolled: 1-line block ×9, first 2 shown]
	ds_write2_b64 v86, v[90:91], v[92:93] offset0:30 offset1:31
	ds_write2_b64 v86, v[94:95], v[96:97] offset0:32 offset1:33
	ds_write2_b64 v86, v[98:99], v[100:101] offset0:34 offset1:35
	ds_write_b64 v86, v[78:79] offset:288
.LBB72_27:
	s_or_b32 exec_lo, exec_lo, s1
	s_waitcnt lgkmcnt(0)
	v_cmp_neq_f64_e64 s1, 0, v[0:1]
	s_mov_b32 s2, exec_lo
	s_waitcnt_vscnt null, 0x0
	s_barrier
	buffer_gl0_inv
	v_cmpx_lt_i32_e32 1, v89
	s_cbranch_execz .LBB72_29
; %bb.28:
	v_div_scale_f64 v[80:81], null, v[0:1], v[0:1], 1.0
	v_div_scale_f64 v[94:95], vcc_lo, 1.0, v[0:1], 1.0
	v_rcp_f64_e32 v[90:91], v[80:81]
	v_fma_f64 v[92:93], -v[80:81], v[90:91], 1.0
	v_fma_f64 v[90:91], v[90:91], v[92:93], v[90:91]
	v_fma_f64 v[92:93], -v[80:81], v[90:91], 1.0
	v_fma_f64 v[90:91], v[90:91], v[92:93], v[90:91]
	v_mul_f64 v[92:93], v[94:95], v[90:91]
	v_fma_f64 v[80:81], -v[80:81], v[92:93], v[94:95]
	v_div_fmas_f64 v[80:81], v[80:81], v[90:91], v[92:93]
	v_div_fixup_f64 v[80:81], v[80:81], v[0:1], 1.0
	v_cndmask_b32_e64 v1, v1, v81, s1
	v_cndmask_b32_e64 v0, v0, v80, s1
	v_mul_f64 v[74:75], v[0:1], v[74:75]
	ds_read2_b64 v[90:93], v86 offset0:2 offset1:3
	ds_read2_b64 v[94:97], v86 offset0:4 offset1:5
	ds_read2_b64 v[98:101], v86 offset0:6 offset1:7
	ds_read2_b64 v[102:105], v86 offset0:8 offset1:9
	ds_read2_b64 v[106:109], v86 offset0:10 offset1:11
	ds_read2_b64 v[110:113], v86 offset0:12 offset1:13
	ds_read2_b64 v[114:117], v86 offset0:14 offset1:15
	ds_read2_b64 v[118:121], v86 offset0:16 offset1:17
	ds_read2_b64 v[122:125], v86 offset0:18 offset1:19
	ds_read2_b64 v[126:129], v86 offset0:20 offset1:21
	ds_read2_b64 v[130:133], v86 offset0:22 offset1:23
	ds_read2_b64 v[134:137], v86 offset0:24 offset1:25
	ds_read2_b64 v[138:141], v86 offset0:26 offset1:27
	ds_read2_b64 v[142:145], v86 offset0:28 offset1:29
	ds_read2_b64 v[146:149], v86 offset0:30 offset1:31
	ds_read2_b64 v[150:153], v86 offset0:32 offset1:33
	ds_read2_b64 v[154:157], v86 offset0:34 offset1:35
	ds_read_b64 v[0:1], v86 offset:288
	s_waitcnt lgkmcnt(17)
	v_fma_f64 v[72:73], -v[74:75], v[90:91], v[72:73]
	v_fma_f64 v[68:69], -v[74:75], v[92:93], v[68:69]
	s_waitcnt lgkmcnt(16)
	v_fma_f64 v[70:71], -v[74:75], v[94:95], v[70:71]
	v_fma_f64 v[64:65], -v[74:75], v[96:97], v[64:65]
	;; [unrolled: 3-line block ×17, first 2 shown]
	s_waitcnt lgkmcnt(0)
	v_fma_f64 v[78:79], -v[74:75], v[0:1], v[78:79]
.LBB72_29:
	s_or_b32 exec_lo, exec_lo, s2
	v_lshl_add_u32 v0, v89, 3, v86
	s_barrier
	buffer_gl0_inv
	v_mov_b32_e32 v80, 2
	ds_write_b64 v0, v[72:73]
	s_waitcnt lgkmcnt(0)
	s_barrier
	buffer_gl0_inv
	ds_read_b64 v[0:1], v86 offset:16
	s_cmp_lt_i32 s7, 4
	s_mov_b32 s2, 3
	s_cbranch_scc1 .LBB72_32
; %bb.30:
	v_add3_u32 v81, v87, 0, 24
	v_mov_b32_e32 v80, 2
.LBB72_31:                              ; =>This Inner Loop Header: Depth=1
	ds_read_b64 v[90:91], v81
	v_add_nc_u32_e32 v81, 8, v81
	s_waitcnt lgkmcnt(0)
	v_cmp_lt_f64_e64 vcc_lo, |v[0:1]|, |v[90:91]|
	v_cndmask_b32_e32 v1, v1, v91, vcc_lo
	v_cndmask_b32_e32 v0, v0, v90, vcc_lo
	v_cndmask_b32_e64 v80, v80, s2, vcc_lo
	s_add_i32 s2, s2, 1
	s_cmp_lg_u32 s7, s2
	s_cbranch_scc1 .LBB72_31
.LBB72_32:
	v_cndmask_b32_e64 v81, 2, 1, s0
	v_cndmask_b32_e64 v82, 0, 1, s0
	s_mov_b32 s0, exec_lo
	v_cndmask_b32_e64 v88, v81, v82, s1
	s_waitcnt lgkmcnt(0)
	v_cmpx_eq_f64_e32 0, v[0:1]
	s_xor_b32 s0, exec_lo, s0
; %bb.33:
	v_cmp_ne_u32_e32 vcc_lo, 0, v88
	v_cndmask_b32_e32 v88, 3, v88, vcc_lo
; %bb.34:
	s_andn2_saveexec_b32 s0, s0
	s_cbranch_execz .LBB72_36
; %bb.35:
	v_div_scale_f64 v[81:82], null, v[0:1], v[0:1], 1.0
	v_rcp_f64_e32 v[90:91], v[81:82]
	v_fma_f64 v[92:93], -v[81:82], v[90:91], 1.0
	v_fma_f64 v[90:91], v[90:91], v[92:93], v[90:91]
	v_fma_f64 v[92:93], -v[81:82], v[90:91], 1.0
	v_fma_f64 v[90:91], v[90:91], v[92:93], v[90:91]
	v_div_scale_f64 v[92:93], vcc_lo, 1.0, v[0:1], 1.0
	v_mul_f64 v[94:95], v[92:93], v[90:91]
	v_fma_f64 v[81:82], -v[81:82], v[94:95], v[92:93]
	v_div_fmas_f64 v[81:82], v[81:82], v[90:91], v[94:95]
	v_div_fixup_f64 v[0:1], v[81:82], v[0:1], 1.0
.LBB72_36:
	s_or_b32 exec_lo, exec_lo, s0
	s_mov_b32 s0, exec_lo
	v_cmpx_ne_u32_e64 v89, v80
	s_xor_b32 s0, exec_lo, s0
	s_cbranch_execz .LBB72_42
; %bb.37:
	s_mov_b32 s1, exec_lo
	v_cmpx_eq_u32_e32 2, v89
	s_cbranch_execz .LBB72_41
; %bb.38:
	v_cmp_ne_u32_e32 vcc_lo, 2, v80
	s_xor_b32 s2, s6, -1
	s_and_b32 s3, s2, vcc_lo
	s_and_saveexec_b32 s2, s3
	s_cbranch_execz .LBB72_40
; %bb.39:
	v_ashrrev_i32_e32 v81, 31, v80
	v_lshlrev_b64 v[81:82], 2, v[80:81]
	v_add_co_u32 v81, vcc_lo, v4, v81
	v_add_co_ci_u32_e64 v82, null, v5, v82, vcc_lo
	s_clause 0x1
	global_load_dword v83, v[81:82], off
	global_load_dword v89, v[4:5], off offset:8
	s_waitcnt vmcnt(1)
	global_store_dword v[4:5], v83, off offset:8
	s_waitcnt vmcnt(0)
	global_store_dword v[81:82], v89, off
.LBB72_40:
	s_or_b32 exec_lo, exec_lo, s2
	v_mov_b32_e32 v83, v80
	v_mov_b32_e32 v89, v80
.LBB72_41:
	s_or_b32 exec_lo, exec_lo, s1
.LBB72_42:
	s_andn2_saveexec_b32 s0, s0
	s_cbranch_execz .LBB72_44
; %bb.43:
	v_mov_b32_e32 v89, 2
	ds_write2_b64 v86, v[68:69], v[70:71] offset0:3 offset1:4
	ds_write2_b64 v86, v[64:65], v[66:67] offset0:5 offset1:6
	;; [unrolled: 1-line block ×17, first 2 shown]
.LBB72_44:
	s_or_b32 exec_lo, exec_lo, s0
	s_mov_b32 s0, exec_lo
	s_waitcnt lgkmcnt(0)
	s_waitcnt_vscnt null, 0x0
	s_barrier
	buffer_gl0_inv
	v_cmpx_lt_i32_e32 2, v89
	s_cbranch_execz .LBB72_46
; %bb.45:
	v_mul_f64 v[72:73], v[0:1], v[72:73]
	ds_read2_b64 v[90:93], v86 offset0:3 offset1:4
	ds_read2_b64 v[94:97], v86 offset0:5 offset1:6
	;; [unrolled: 1-line block ×13, first 2 shown]
	s_waitcnt lgkmcnt(12)
	v_fma_f64 v[68:69], -v[72:73], v[90:91], v[68:69]
	v_fma_f64 v[70:71], -v[72:73], v[92:93], v[70:71]
	s_waitcnt lgkmcnt(11)
	v_fma_f64 v[64:65], -v[72:73], v[94:95], v[64:65]
	v_fma_f64 v[66:67], -v[72:73], v[96:97], v[66:67]
	;; [unrolled: 3-line block ×4, first 2 shown]
	ds_read2_b64 v[90:93], v86 offset0:29 offset1:30
	ds_read2_b64 v[94:97], v86 offset0:31 offset1:32
	;; [unrolled: 1-line block ×4, first 2 shown]
	s_waitcnt lgkmcnt(12)
	v_fma_f64 v[54:55], -v[72:73], v[106:107], v[54:55]
	v_fma_f64 v[52:53], -v[72:73], v[108:109], v[52:53]
	s_waitcnt lgkmcnt(11)
	v_fma_f64 v[48:49], -v[72:73], v[110:111], v[48:49]
	v_fma_f64 v[50:51], -v[72:73], v[112:113], v[50:51]
	;; [unrolled: 3-line block ×13, first 2 shown]
.LBB72_46:
	s_or_b32 exec_lo, exec_lo, s0
	v_lshl_add_u32 v0, v89, 3, v86
	s_barrier
	buffer_gl0_inv
	v_mov_b32_e32 v80, 3
	ds_write_b64 v0, v[68:69]
	s_waitcnt lgkmcnt(0)
	s_barrier
	buffer_gl0_inv
	ds_read_b64 v[0:1], v86 offset:24
	s_cmp_lt_i32 s7, 5
	s_cbranch_scc1 .LBB72_49
; %bb.47:
	v_mov_b32_e32 v80, 3
	v_add3_u32 v81, v87, 0, 32
	s_mov_b32 s0, 4
.LBB72_48:                              ; =>This Inner Loop Header: Depth=1
	ds_read_b64 v[90:91], v81
	v_add_nc_u32_e32 v81, 8, v81
	s_waitcnt lgkmcnt(0)
	v_cmp_lt_f64_e64 vcc_lo, |v[0:1]|, |v[90:91]|
	v_cndmask_b32_e32 v1, v1, v91, vcc_lo
	v_cndmask_b32_e32 v0, v0, v90, vcc_lo
	v_cndmask_b32_e64 v80, v80, s0, vcc_lo
	s_add_i32 s0, s0, 1
	s_cmp_lg_u32 s7, s0
	s_cbranch_scc1 .LBB72_48
.LBB72_49:
	s_mov_b32 s0, exec_lo
	s_waitcnt lgkmcnt(0)
	v_cmpx_eq_f64_e32 0, v[0:1]
	s_xor_b32 s0, exec_lo, s0
; %bb.50:
	v_cmp_ne_u32_e32 vcc_lo, 0, v88
	v_cndmask_b32_e32 v88, 4, v88, vcc_lo
; %bb.51:
	s_andn2_saveexec_b32 s0, s0
	s_cbranch_execz .LBB72_53
; %bb.52:
	v_div_scale_f64 v[81:82], null, v[0:1], v[0:1], 1.0
	v_rcp_f64_e32 v[90:91], v[81:82]
	v_fma_f64 v[92:93], -v[81:82], v[90:91], 1.0
	v_fma_f64 v[90:91], v[90:91], v[92:93], v[90:91]
	v_fma_f64 v[92:93], -v[81:82], v[90:91], 1.0
	v_fma_f64 v[90:91], v[90:91], v[92:93], v[90:91]
	v_div_scale_f64 v[92:93], vcc_lo, 1.0, v[0:1], 1.0
	v_mul_f64 v[94:95], v[92:93], v[90:91]
	v_fma_f64 v[81:82], -v[81:82], v[94:95], v[92:93]
	v_div_fmas_f64 v[81:82], v[81:82], v[90:91], v[94:95]
	v_div_fixup_f64 v[0:1], v[81:82], v[0:1], 1.0
.LBB72_53:
	s_or_b32 exec_lo, exec_lo, s0
	s_mov_b32 s0, exec_lo
	v_cmpx_ne_u32_e64 v89, v80
	s_xor_b32 s0, exec_lo, s0
	s_cbranch_execz .LBB72_59
; %bb.54:
	s_mov_b32 s1, exec_lo
	v_cmpx_eq_u32_e32 3, v89
	s_cbranch_execz .LBB72_58
; %bb.55:
	v_cmp_ne_u32_e32 vcc_lo, 3, v80
	s_xor_b32 s2, s6, -1
	s_and_b32 s3, s2, vcc_lo
	s_and_saveexec_b32 s2, s3
	s_cbranch_execz .LBB72_57
; %bb.56:
	v_ashrrev_i32_e32 v81, 31, v80
	v_lshlrev_b64 v[81:82], 2, v[80:81]
	v_add_co_u32 v81, vcc_lo, v4, v81
	v_add_co_ci_u32_e64 v82, null, v5, v82, vcc_lo
	s_clause 0x1
	global_load_dword v83, v[81:82], off
	global_load_dword v89, v[4:5], off offset:12
	s_waitcnt vmcnt(1)
	global_store_dword v[4:5], v83, off offset:12
	s_waitcnt vmcnt(0)
	global_store_dword v[81:82], v89, off
.LBB72_57:
	s_or_b32 exec_lo, exec_lo, s2
	v_mov_b32_e32 v83, v80
	v_mov_b32_e32 v89, v80
.LBB72_58:
	s_or_b32 exec_lo, exec_lo, s1
.LBB72_59:
	s_andn2_saveexec_b32 s0, s0
	s_cbranch_execz .LBB72_61
; %bb.60:
	v_mov_b32_e32 v80, v70
	v_mov_b32_e32 v81, v71
	;; [unrolled: 1-line block ×8, first 2 shown]
	ds_write2_b64 v86, v[80:81], v[89:90] offset0:4 offset1:5
	ds_write2_b64 v86, v[91:92], v[93:94] offset0:6 offset1:7
	v_mov_b32_e32 v80, v60
	v_mov_b32_e32 v81, v61
	;; [unrolled: 1-line block ×20, first 2 shown]
	ds_write2_b64 v86, v[80:81], v[89:90] offset0:8 offset1:9
	ds_write2_b64 v86, v[91:92], v[93:94] offset0:10 offset1:11
	;; [unrolled: 1-line block ×5, first 2 shown]
	v_mov_b32_e32 v80, v40
	v_mov_b32_e32 v81, v41
	;; [unrolled: 1-line block ×20, first 2 shown]
	ds_write2_b64 v86, v[80:81], v[89:90] offset0:18 offset1:19
	ds_write2_b64 v86, v[91:92], v[93:94] offset0:20 offset1:21
	;; [unrolled: 1-line block ×5, first 2 shown]
	v_mov_b32_e32 v80, v20
	v_mov_b32_e32 v81, v21
	;; [unrolled: 1-line block ×8, first 2 shown]
	ds_write2_b64 v86, v[80:81], v[89:90] offset0:28 offset1:29
	v_mov_b32_e32 v89, 3
	v_mov_b32_e32 v95, v12
	;; [unrolled: 1-line block ×9, first 2 shown]
	ds_write2_b64 v86, v[91:92], v[93:94] offset0:30 offset1:31
	ds_write2_b64 v86, v[95:96], v[97:98] offset0:32 offset1:33
	;; [unrolled: 1-line block ×3, first 2 shown]
	ds_write_b64 v86, v[78:79] offset:288
.LBB72_61:
	s_or_b32 exec_lo, exec_lo, s0
	s_mov_b32 s0, exec_lo
	s_waitcnt lgkmcnt(0)
	s_waitcnt_vscnt null, 0x0
	s_barrier
	buffer_gl0_inv
	v_cmpx_lt_i32_e32 3, v89
	s_cbranch_execz .LBB72_63
; %bb.62:
	v_mul_f64 v[68:69], v[0:1], v[68:69]
	ds_read2_b64 v[90:93], v86 offset0:4 offset1:5
	ds_read2_b64 v[94:97], v86 offset0:6 offset1:7
	;; [unrolled: 1-line block ×13, first 2 shown]
	ds_read_b64 v[0:1], v86 offset:288
	s_waitcnt lgkmcnt(13)
	v_fma_f64 v[70:71], -v[68:69], v[90:91], v[70:71]
	v_fma_f64 v[64:65], -v[68:69], v[92:93], v[64:65]
	s_waitcnt lgkmcnt(12)
	v_fma_f64 v[66:67], -v[68:69], v[94:95], v[66:67]
	v_fma_f64 v[62:63], -v[68:69], v[96:97], v[62:63]
	;; [unrolled: 3-line block ×3, first 2 shown]
	ds_read2_b64 v[90:93], v86 offset0:30 offset1:31
	ds_read2_b64 v[94:97], v86 offset0:32 offset1:33
	;; [unrolled: 1-line block ×3, first 2 shown]
	s_waitcnt lgkmcnt(13)
	v_fma_f64 v[56:57], -v[68:69], v[102:103], v[56:57]
	v_fma_f64 v[54:55], -v[68:69], v[104:105], v[54:55]
	s_waitcnt lgkmcnt(12)
	v_fma_f64 v[52:53], -v[68:69], v[106:107], v[52:53]
	v_fma_f64 v[48:49], -v[68:69], v[108:109], v[48:49]
	s_waitcnt lgkmcnt(11)
	v_fma_f64 v[50:51], -v[68:69], v[110:111], v[50:51]
	v_fma_f64 v[44:45], -v[68:69], v[112:113], v[44:45]
	s_waitcnt lgkmcnt(10)
	v_fma_f64 v[46:47], -v[68:69], v[114:115], v[46:47]
	v_fma_f64 v[42:43], -v[68:69], v[116:117], v[42:43]
	s_waitcnt lgkmcnt(9)
	v_fma_f64 v[40:41], -v[68:69], v[118:119], v[40:41]
	v_fma_f64 v[38:39], -v[68:69], v[120:121], v[38:39]
	s_waitcnt lgkmcnt(8)
	v_fma_f64 v[36:37], -v[68:69], v[122:123], v[36:37]
	v_fma_f64 v[34:35], -v[68:69], v[124:125], v[34:35]
	s_waitcnt lgkmcnt(7)
	v_fma_f64 v[32:33], -v[68:69], v[126:127], v[32:33]
	v_fma_f64 v[28:29], -v[68:69], v[128:129], v[28:29]
	s_waitcnt lgkmcnt(6)
	v_fma_f64 v[30:31], -v[68:69], v[130:131], v[30:31]
	v_fma_f64 v[24:25], -v[68:69], v[132:133], v[24:25]
	s_waitcnt lgkmcnt(5)
	v_fma_f64 v[26:27], -v[68:69], v[134:135], v[26:27]
	v_fma_f64 v[22:23], -v[68:69], v[136:137], v[22:23]
	s_waitcnt lgkmcnt(4)
	v_fma_f64 v[20:21], -v[68:69], v[138:139], v[20:21]
	v_fma_f64 v[18:19], -v[68:69], v[140:141], v[18:19]
	s_waitcnt lgkmcnt(2)
	v_fma_f64 v[16:17], -v[68:69], v[90:91], v[16:17]
	v_fma_f64 v[14:15], -v[68:69], v[92:93], v[14:15]
	s_waitcnt lgkmcnt(1)
	v_fma_f64 v[12:13], -v[68:69], v[94:95], v[12:13]
	v_fma_f64 v[8:9], -v[68:69], v[96:97], v[8:9]
	s_waitcnt lgkmcnt(0)
	v_fma_f64 v[10:11], -v[68:69], v[98:99], v[10:11]
	v_fma_f64 v[6:7], -v[68:69], v[100:101], v[6:7]
	v_fma_f64 v[78:79], -v[68:69], v[0:1], v[78:79]
.LBB72_63:
	s_or_b32 exec_lo, exec_lo, s0
	v_lshl_add_u32 v0, v89, 3, v86
	s_barrier
	buffer_gl0_inv
	v_mov_b32_e32 v80, 4
	ds_write_b64 v0, v[70:71]
	s_waitcnt lgkmcnt(0)
	s_barrier
	buffer_gl0_inv
	ds_read_b64 v[0:1], v86 offset:32
	s_cmp_lt_i32 s7, 6
	s_cbranch_scc1 .LBB72_66
; %bb.64:
	v_add3_u32 v81, v87, 0, 40
	v_mov_b32_e32 v80, 4
	s_mov_b32 s0, 5
.LBB72_65:                              ; =>This Inner Loop Header: Depth=1
	ds_read_b64 v[90:91], v81
	v_add_nc_u32_e32 v81, 8, v81
	s_waitcnt lgkmcnt(0)
	v_cmp_lt_f64_e64 vcc_lo, |v[0:1]|, |v[90:91]|
	v_cndmask_b32_e32 v1, v1, v91, vcc_lo
	v_cndmask_b32_e32 v0, v0, v90, vcc_lo
	v_cndmask_b32_e64 v80, v80, s0, vcc_lo
	s_add_i32 s0, s0, 1
	s_cmp_lg_u32 s7, s0
	s_cbranch_scc1 .LBB72_65
.LBB72_66:
	s_mov_b32 s0, exec_lo
	s_waitcnt lgkmcnt(0)
	v_cmpx_eq_f64_e32 0, v[0:1]
	s_xor_b32 s0, exec_lo, s0
; %bb.67:
	v_cmp_ne_u32_e32 vcc_lo, 0, v88
	v_cndmask_b32_e32 v88, 5, v88, vcc_lo
; %bb.68:
	s_andn2_saveexec_b32 s0, s0
	s_cbranch_execz .LBB72_70
; %bb.69:
	v_div_scale_f64 v[81:82], null, v[0:1], v[0:1], 1.0
	v_rcp_f64_e32 v[90:91], v[81:82]
	v_fma_f64 v[92:93], -v[81:82], v[90:91], 1.0
	v_fma_f64 v[90:91], v[90:91], v[92:93], v[90:91]
	v_fma_f64 v[92:93], -v[81:82], v[90:91], 1.0
	v_fma_f64 v[90:91], v[90:91], v[92:93], v[90:91]
	v_div_scale_f64 v[92:93], vcc_lo, 1.0, v[0:1], 1.0
	v_mul_f64 v[94:95], v[92:93], v[90:91]
	v_fma_f64 v[81:82], -v[81:82], v[94:95], v[92:93]
	v_div_fmas_f64 v[81:82], v[81:82], v[90:91], v[94:95]
	v_div_fixup_f64 v[0:1], v[81:82], v[0:1], 1.0
.LBB72_70:
	s_or_b32 exec_lo, exec_lo, s0
	s_mov_b32 s0, exec_lo
	v_cmpx_ne_u32_e64 v89, v80
	s_xor_b32 s0, exec_lo, s0
	s_cbranch_execz .LBB72_76
; %bb.71:
	s_mov_b32 s1, exec_lo
	v_cmpx_eq_u32_e32 4, v89
	s_cbranch_execz .LBB72_75
; %bb.72:
	v_cmp_ne_u32_e32 vcc_lo, 4, v80
	s_xor_b32 s2, s6, -1
	s_and_b32 s3, s2, vcc_lo
	s_and_saveexec_b32 s2, s3
	s_cbranch_execz .LBB72_74
; %bb.73:
	v_ashrrev_i32_e32 v81, 31, v80
	v_lshlrev_b64 v[81:82], 2, v[80:81]
	v_add_co_u32 v81, vcc_lo, v4, v81
	v_add_co_ci_u32_e64 v82, null, v5, v82, vcc_lo
	s_clause 0x1
	global_load_dword v83, v[81:82], off
	global_load_dword v89, v[4:5], off offset:16
	s_waitcnt vmcnt(1)
	global_store_dword v[4:5], v83, off offset:16
	s_waitcnt vmcnt(0)
	global_store_dword v[81:82], v89, off
.LBB72_74:
	s_or_b32 exec_lo, exec_lo, s2
	v_mov_b32_e32 v83, v80
	v_mov_b32_e32 v89, v80
.LBB72_75:
	s_or_b32 exec_lo, exec_lo, s1
.LBB72_76:
	s_andn2_saveexec_b32 s0, s0
	s_cbranch_execz .LBB72_78
; %bb.77:
	v_mov_b32_e32 v89, 4
	ds_write2_b64 v86, v[64:65], v[66:67] offset0:5 offset1:6
	ds_write2_b64 v86, v[62:63], v[60:61] offset0:7 offset1:8
	;; [unrolled: 1-line block ×16, first 2 shown]
.LBB72_78:
	s_or_b32 exec_lo, exec_lo, s0
	s_mov_b32 s0, exec_lo
	s_waitcnt lgkmcnt(0)
	s_waitcnt_vscnt null, 0x0
	s_barrier
	buffer_gl0_inv
	v_cmpx_lt_i32_e32 4, v89
	s_cbranch_execz .LBB72_80
; %bb.79:
	v_mul_f64 v[70:71], v[0:1], v[70:71]
	ds_read2_b64 v[90:93], v86 offset0:5 offset1:6
	ds_read2_b64 v[94:97], v86 offset0:7 offset1:8
	;; [unrolled: 1-line block ×13, first 2 shown]
	s_waitcnt lgkmcnt(12)
	v_fma_f64 v[64:65], -v[70:71], v[90:91], v[64:65]
	v_fma_f64 v[66:67], -v[70:71], v[92:93], v[66:67]
	s_waitcnt lgkmcnt(11)
	v_fma_f64 v[62:63], -v[70:71], v[94:95], v[62:63]
	v_fma_f64 v[60:61], -v[70:71], v[96:97], v[60:61]
	;; [unrolled: 3-line block ×3, first 2 shown]
	ds_read2_b64 v[90:93], v86 offset0:31 offset1:32
	ds_read2_b64 v[94:97], v86 offset0:33 offset1:34
	;; [unrolled: 1-line block ×3, first 2 shown]
	s_waitcnt lgkmcnt(12)
	v_fma_f64 v[54:55], -v[70:71], v[102:103], v[54:55]
	v_fma_f64 v[52:53], -v[70:71], v[104:105], v[52:53]
	s_waitcnt lgkmcnt(11)
	v_fma_f64 v[48:49], -v[70:71], v[106:107], v[48:49]
	v_fma_f64 v[50:51], -v[70:71], v[108:109], v[50:51]
	;; [unrolled: 3-line block ×13, first 2 shown]
.LBB72_80:
	s_or_b32 exec_lo, exec_lo, s0
	v_lshl_add_u32 v0, v89, 3, v86
	s_barrier
	buffer_gl0_inv
	v_mov_b32_e32 v80, 5
	ds_write_b64 v0, v[64:65]
	s_waitcnt lgkmcnt(0)
	s_barrier
	buffer_gl0_inv
	ds_read_b64 v[0:1], v86 offset:40
	s_cmp_lt_i32 s7, 7
	s_cbranch_scc1 .LBB72_83
; %bb.81:
	v_add3_u32 v81, v87, 0, 48
	v_mov_b32_e32 v80, 5
	s_mov_b32 s0, 6
.LBB72_82:                              ; =>This Inner Loop Header: Depth=1
	ds_read_b64 v[90:91], v81
	v_add_nc_u32_e32 v81, 8, v81
	s_waitcnt lgkmcnt(0)
	v_cmp_lt_f64_e64 vcc_lo, |v[0:1]|, |v[90:91]|
	v_cndmask_b32_e32 v1, v1, v91, vcc_lo
	v_cndmask_b32_e32 v0, v0, v90, vcc_lo
	v_cndmask_b32_e64 v80, v80, s0, vcc_lo
	s_add_i32 s0, s0, 1
	s_cmp_lg_u32 s7, s0
	s_cbranch_scc1 .LBB72_82
.LBB72_83:
	s_mov_b32 s0, exec_lo
	s_waitcnt lgkmcnt(0)
	v_cmpx_eq_f64_e32 0, v[0:1]
	s_xor_b32 s0, exec_lo, s0
; %bb.84:
	v_cmp_ne_u32_e32 vcc_lo, 0, v88
	v_cndmask_b32_e32 v88, 6, v88, vcc_lo
; %bb.85:
	s_andn2_saveexec_b32 s0, s0
	s_cbranch_execz .LBB72_87
; %bb.86:
	v_div_scale_f64 v[81:82], null, v[0:1], v[0:1], 1.0
	v_rcp_f64_e32 v[90:91], v[81:82]
	v_fma_f64 v[92:93], -v[81:82], v[90:91], 1.0
	v_fma_f64 v[90:91], v[90:91], v[92:93], v[90:91]
	v_fma_f64 v[92:93], -v[81:82], v[90:91], 1.0
	v_fma_f64 v[90:91], v[90:91], v[92:93], v[90:91]
	v_div_scale_f64 v[92:93], vcc_lo, 1.0, v[0:1], 1.0
	v_mul_f64 v[94:95], v[92:93], v[90:91]
	v_fma_f64 v[81:82], -v[81:82], v[94:95], v[92:93]
	v_div_fmas_f64 v[81:82], v[81:82], v[90:91], v[94:95]
	v_div_fixup_f64 v[0:1], v[81:82], v[0:1], 1.0
.LBB72_87:
	s_or_b32 exec_lo, exec_lo, s0
	s_mov_b32 s0, exec_lo
	v_cmpx_ne_u32_e64 v89, v80
	s_xor_b32 s0, exec_lo, s0
	s_cbranch_execz .LBB72_93
; %bb.88:
	s_mov_b32 s1, exec_lo
	v_cmpx_eq_u32_e32 5, v89
	s_cbranch_execz .LBB72_92
; %bb.89:
	v_cmp_ne_u32_e32 vcc_lo, 5, v80
	s_xor_b32 s2, s6, -1
	s_and_b32 s3, s2, vcc_lo
	s_and_saveexec_b32 s2, s3
	s_cbranch_execz .LBB72_91
; %bb.90:
	v_ashrrev_i32_e32 v81, 31, v80
	v_lshlrev_b64 v[81:82], 2, v[80:81]
	v_add_co_u32 v81, vcc_lo, v4, v81
	v_add_co_ci_u32_e64 v82, null, v5, v82, vcc_lo
	s_clause 0x1
	global_load_dword v83, v[81:82], off
	global_load_dword v89, v[4:5], off offset:20
	s_waitcnt vmcnt(1)
	global_store_dword v[4:5], v83, off offset:20
	s_waitcnt vmcnt(0)
	global_store_dword v[81:82], v89, off
.LBB72_91:
	s_or_b32 exec_lo, exec_lo, s2
	v_mov_b32_e32 v83, v80
	v_mov_b32_e32 v89, v80
.LBB72_92:
	s_or_b32 exec_lo, exec_lo, s1
.LBB72_93:
	s_andn2_saveexec_b32 s0, s0
	s_cbranch_execz .LBB72_95
; %bb.94:
	v_mov_b32_e32 v80, v66
	v_mov_b32_e32 v81, v67
	;; [unrolled: 1-line block ×8, first 2 shown]
	ds_write2_b64 v86, v[80:81], v[89:90] offset0:6 offset1:7
	v_mov_b32_e32 v80, v58
	v_mov_b32_e32 v81, v59
	;; [unrolled: 1-line block ×16, first 2 shown]
	ds_write2_b64 v86, v[91:92], v[80:81] offset0:8 offset1:9
	ds_write2_b64 v86, v[89:90], v[93:94] offset0:10 offset1:11
	;; [unrolled: 1-line block ×5, first 2 shown]
	v_mov_b32_e32 v80, v40
	v_mov_b32_e32 v81, v41
	;; [unrolled: 1-line block ×20, first 2 shown]
	ds_write2_b64 v86, v[80:81], v[89:90] offset0:18 offset1:19
	ds_write2_b64 v86, v[91:92], v[93:94] offset0:20 offset1:21
	;; [unrolled: 1-line block ×5, first 2 shown]
	v_mov_b32_e32 v80, v20
	v_mov_b32_e32 v81, v21
	;; [unrolled: 1-line block ×8, first 2 shown]
	ds_write2_b64 v86, v[80:81], v[89:90] offset0:28 offset1:29
	v_mov_b32_e32 v89, 5
	v_mov_b32_e32 v95, v12
	;; [unrolled: 1-line block ×9, first 2 shown]
	ds_write2_b64 v86, v[91:92], v[93:94] offset0:30 offset1:31
	ds_write2_b64 v86, v[95:96], v[97:98] offset0:32 offset1:33
	;; [unrolled: 1-line block ×3, first 2 shown]
	ds_write_b64 v86, v[78:79] offset:288
.LBB72_95:
	s_or_b32 exec_lo, exec_lo, s0
	s_mov_b32 s0, exec_lo
	s_waitcnt lgkmcnt(0)
	s_waitcnt_vscnt null, 0x0
	s_barrier
	buffer_gl0_inv
	v_cmpx_lt_i32_e32 5, v89
	s_cbranch_execz .LBB72_97
; %bb.96:
	v_mul_f64 v[64:65], v[0:1], v[64:65]
	ds_read2_b64 v[90:93], v86 offset0:6 offset1:7
	ds_read2_b64 v[94:97], v86 offset0:8 offset1:9
	;; [unrolled: 1-line block ×13, first 2 shown]
	ds_read_b64 v[0:1], v86 offset:288
	s_waitcnt lgkmcnt(13)
	v_fma_f64 v[66:67], -v[64:65], v[90:91], v[66:67]
	v_fma_f64 v[62:63], -v[64:65], v[92:93], v[62:63]
	s_waitcnt lgkmcnt(12)
	v_fma_f64 v[60:61], -v[64:65], v[94:95], v[60:61]
	v_fma_f64 v[58:59], -v[64:65], v[96:97], v[58:59]
	ds_read2_b64 v[90:93], v86 offset0:32 offset1:33
	ds_read2_b64 v[94:97], v86 offset0:34 offset1:35
	s_waitcnt lgkmcnt(13)
	v_fma_f64 v[56:57], -v[64:65], v[98:99], v[56:57]
	v_fma_f64 v[54:55], -v[64:65], v[100:101], v[54:55]
	s_waitcnt lgkmcnt(12)
	v_fma_f64 v[52:53], -v[64:65], v[102:103], v[52:53]
	v_fma_f64 v[48:49], -v[64:65], v[104:105], v[48:49]
	;; [unrolled: 3-line block ×13, first 2 shown]
	v_fma_f64 v[78:79], -v[64:65], v[0:1], v[78:79]
.LBB72_97:
	s_or_b32 exec_lo, exec_lo, s0
	v_lshl_add_u32 v0, v89, 3, v86
	s_barrier
	buffer_gl0_inv
	v_mov_b32_e32 v80, 6
	ds_write_b64 v0, v[66:67]
	s_waitcnt lgkmcnt(0)
	s_barrier
	buffer_gl0_inv
	ds_read_b64 v[0:1], v86 offset:48
	s_cmp_lt_i32 s7, 8
	s_cbranch_scc1 .LBB72_100
; %bb.98:
	v_add3_u32 v81, v87, 0, 56
	v_mov_b32_e32 v80, 6
	s_mov_b32 s0, 7
.LBB72_99:                              ; =>This Inner Loop Header: Depth=1
	ds_read_b64 v[90:91], v81
	v_add_nc_u32_e32 v81, 8, v81
	s_waitcnt lgkmcnt(0)
	v_cmp_lt_f64_e64 vcc_lo, |v[0:1]|, |v[90:91]|
	v_cndmask_b32_e32 v1, v1, v91, vcc_lo
	v_cndmask_b32_e32 v0, v0, v90, vcc_lo
	v_cndmask_b32_e64 v80, v80, s0, vcc_lo
	s_add_i32 s0, s0, 1
	s_cmp_lg_u32 s7, s0
	s_cbranch_scc1 .LBB72_99
.LBB72_100:
	s_mov_b32 s0, exec_lo
	s_waitcnt lgkmcnt(0)
	v_cmpx_eq_f64_e32 0, v[0:1]
	s_xor_b32 s0, exec_lo, s0
; %bb.101:
	v_cmp_ne_u32_e32 vcc_lo, 0, v88
	v_cndmask_b32_e32 v88, 7, v88, vcc_lo
; %bb.102:
	s_andn2_saveexec_b32 s0, s0
	s_cbranch_execz .LBB72_104
; %bb.103:
	v_div_scale_f64 v[81:82], null, v[0:1], v[0:1], 1.0
	v_rcp_f64_e32 v[90:91], v[81:82]
	v_fma_f64 v[92:93], -v[81:82], v[90:91], 1.0
	v_fma_f64 v[90:91], v[90:91], v[92:93], v[90:91]
	v_fma_f64 v[92:93], -v[81:82], v[90:91], 1.0
	v_fma_f64 v[90:91], v[90:91], v[92:93], v[90:91]
	v_div_scale_f64 v[92:93], vcc_lo, 1.0, v[0:1], 1.0
	v_mul_f64 v[94:95], v[92:93], v[90:91]
	v_fma_f64 v[81:82], -v[81:82], v[94:95], v[92:93]
	v_div_fmas_f64 v[81:82], v[81:82], v[90:91], v[94:95]
	v_div_fixup_f64 v[0:1], v[81:82], v[0:1], 1.0
.LBB72_104:
	s_or_b32 exec_lo, exec_lo, s0
	s_mov_b32 s0, exec_lo
	v_cmpx_ne_u32_e64 v89, v80
	s_xor_b32 s0, exec_lo, s0
	s_cbranch_execz .LBB72_110
; %bb.105:
	s_mov_b32 s1, exec_lo
	v_cmpx_eq_u32_e32 6, v89
	s_cbranch_execz .LBB72_109
; %bb.106:
	v_cmp_ne_u32_e32 vcc_lo, 6, v80
	s_xor_b32 s2, s6, -1
	s_and_b32 s3, s2, vcc_lo
	s_and_saveexec_b32 s2, s3
	s_cbranch_execz .LBB72_108
; %bb.107:
	v_ashrrev_i32_e32 v81, 31, v80
	v_lshlrev_b64 v[81:82], 2, v[80:81]
	v_add_co_u32 v81, vcc_lo, v4, v81
	v_add_co_ci_u32_e64 v82, null, v5, v82, vcc_lo
	s_clause 0x1
	global_load_dword v83, v[81:82], off
	global_load_dword v89, v[4:5], off offset:24
	s_waitcnt vmcnt(1)
	global_store_dword v[4:5], v83, off offset:24
	s_waitcnt vmcnt(0)
	global_store_dword v[81:82], v89, off
.LBB72_108:
	s_or_b32 exec_lo, exec_lo, s2
	v_mov_b32_e32 v83, v80
	v_mov_b32_e32 v89, v80
.LBB72_109:
	s_or_b32 exec_lo, exec_lo, s1
.LBB72_110:
	s_andn2_saveexec_b32 s0, s0
	s_cbranch_execz .LBB72_112
; %bb.111:
	v_mov_b32_e32 v89, 6
	ds_write2_b64 v86, v[62:63], v[60:61] offset0:7 offset1:8
	ds_write2_b64 v86, v[58:59], v[56:57] offset0:9 offset1:10
	;; [unrolled: 1-line block ×15, first 2 shown]
.LBB72_112:
	s_or_b32 exec_lo, exec_lo, s0
	s_mov_b32 s0, exec_lo
	s_waitcnt lgkmcnt(0)
	s_waitcnt_vscnt null, 0x0
	s_barrier
	buffer_gl0_inv
	v_cmpx_lt_i32_e32 6, v89
	s_cbranch_execz .LBB72_114
; %bb.113:
	v_mul_f64 v[66:67], v[0:1], v[66:67]
	ds_read2_b64 v[90:93], v86 offset0:7 offset1:8
	ds_read2_b64 v[94:97], v86 offset0:9 offset1:10
	;; [unrolled: 1-line block ×14, first 2 shown]
	s_waitcnt lgkmcnt(13)
	v_fma_f64 v[62:63], -v[66:67], v[90:91], v[62:63]
	v_fma_f64 v[60:61], -v[66:67], v[92:93], v[60:61]
	ds_read2_b64 v[90:93], v86 offset0:35 offset1:36
	s_waitcnt lgkmcnt(13)
	v_fma_f64 v[58:59], -v[66:67], v[94:95], v[58:59]
	v_fma_f64 v[56:57], -v[66:67], v[96:97], v[56:57]
	s_waitcnt lgkmcnt(12)
	v_fma_f64 v[54:55], -v[66:67], v[98:99], v[54:55]
	v_fma_f64 v[52:53], -v[66:67], v[100:101], v[52:53]
	;; [unrolled: 3-line block ×14, first 2 shown]
.LBB72_114:
	s_or_b32 exec_lo, exec_lo, s0
	v_lshl_add_u32 v0, v89, 3, v86
	s_barrier
	buffer_gl0_inv
	v_mov_b32_e32 v80, 7
	ds_write_b64 v0, v[62:63]
	s_waitcnt lgkmcnt(0)
	s_barrier
	buffer_gl0_inv
	ds_read_b64 v[0:1], v86 offset:56
	s_cmp_lt_i32 s7, 9
	s_cbranch_scc1 .LBB72_117
; %bb.115:
	v_add3_u32 v81, v87, 0, 64
	v_mov_b32_e32 v80, 7
	s_mov_b32 s0, 8
.LBB72_116:                             ; =>This Inner Loop Header: Depth=1
	ds_read_b64 v[90:91], v81
	v_add_nc_u32_e32 v81, 8, v81
	s_waitcnt lgkmcnt(0)
	v_cmp_lt_f64_e64 vcc_lo, |v[0:1]|, |v[90:91]|
	v_cndmask_b32_e32 v1, v1, v91, vcc_lo
	v_cndmask_b32_e32 v0, v0, v90, vcc_lo
	v_cndmask_b32_e64 v80, v80, s0, vcc_lo
	s_add_i32 s0, s0, 1
	s_cmp_lg_u32 s7, s0
	s_cbranch_scc1 .LBB72_116
.LBB72_117:
	s_mov_b32 s0, exec_lo
	s_waitcnt lgkmcnt(0)
	v_cmpx_eq_f64_e32 0, v[0:1]
	s_xor_b32 s0, exec_lo, s0
; %bb.118:
	v_cmp_ne_u32_e32 vcc_lo, 0, v88
	v_cndmask_b32_e32 v88, 8, v88, vcc_lo
; %bb.119:
	s_andn2_saveexec_b32 s0, s0
	s_cbranch_execz .LBB72_121
; %bb.120:
	v_div_scale_f64 v[81:82], null, v[0:1], v[0:1], 1.0
	v_rcp_f64_e32 v[90:91], v[81:82]
	v_fma_f64 v[92:93], -v[81:82], v[90:91], 1.0
	v_fma_f64 v[90:91], v[90:91], v[92:93], v[90:91]
	v_fma_f64 v[92:93], -v[81:82], v[90:91], 1.0
	v_fma_f64 v[90:91], v[90:91], v[92:93], v[90:91]
	v_div_scale_f64 v[92:93], vcc_lo, 1.0, v[0:1], 1.0
	v_mul_f64 v[94:95], v[92:93], v[90:91]
	v_fma_f64 v[81:82], -v[81:82], v[94:95], v[92:93]
	v_div_fmas_f64 v[81:82], v[81:82], v[90:91], v[94:95]
	v_div_fixup_f64 v[0:1], v[81:82], v[0:1], 1.0
.LBB72_121:
	s_or_b32 exec_lo, exec_lo, s0
	s_mov_b32 s0, exec_lo
	v_cmpx_ne_u32_e64 v89, v80
	s_xor_b32 s0, exec_lo, s0
	s_cbranch_execz .LBB72_127
; %bb.122:
	s_mov_b32 s1, exec_lo
	v_cmpx_eq_u32_e32 7, v89
	s_cbranch_execz .LBB72_126
; %bb.123:
	v_cmp_ne_u32_e32 vcc_lo, 7, v80
	s_xor_b32 s2, s6, -1
	s_and_b32 s3, s2, vcc_lo
	s_and_saveexec_b32 s2, s3
	s_cbranch_execz .LBB72_125
; %bb.124:
	v_ashrrev_i32_e32 v81, 31, v80
	v_lshlrev_b64 v[81:82], 2, v[80:81]
	v_add_co_u32 v81, vcc_lo, v4, v81
	v_add_co_ci_u32_e64 v82, null, v5, v82, vcc_lo
	s_clause 0x1
	global_load_dword v83, v[81:82], off
	global_load_dword v89, v[4:5], off offset:28
	s_waitcnt vmcnt(1)
	global_store_dword v[4:5], v83, off offset:28
	s_waitcnt vmcnt(0)
	global_store_dword v[81:82], v89, off
.LBB72_125:
	s_or_b32 exec_lo, exec_lo, s2
	v_mov_b32_e32 v83, v80
	v_mov_b32_e32 v89, v80
.LBB72_126:
	s_or_b32 exec_lo, exec_lo, s1
.LBB72_127:
	s_andn2_saveexec_b32 s0, s0
	s_cbranch_execz .LBB72_129
; %bb.128:
	v_mov_b32_e32 v80, v60
	v_mov_b32_e32 v81, v61
	;; [unrolled: 1-line block ×20, first 2 shown]
	ds_write2_b64 v86, v[80:81], v[89:90] offset0:8 offset1:9
	ds_write2_b64 v86, v[91:92], v[93:94] offset0:10 offset1:11
	;; [unrolled: 1-line block ×5, first 2 shown]
	v_mov_b32_e32 v80, v40
	v_mov_b32_e32 v81, v41
	;; [unrolled: 1-line block ×20, first 2 shown]
	ds_write2_b64 v86, v[80:81], v[89:90] offset0:18 offset1:19
	ds_write2_b64 v86, v[91:92], v[93:94] offset0:20 offset1:21
	;; [unrolled: 1-line block ×5, first 2 shown]
	v_mov_b32_e32 v80, v20
	v_mov_b32_e32 v81, v21
	v_mov_b32_e32 v89, v18
	v_mov_b32_e32 v90, v19
	v_mov_b32_e32 v91, v16
	v_mov_b32_e32 v92, v17
	v_mov_b32_e32 v93, v14
	v_mov_b32_e32 v94, v15
	ds_write2_b64 v86, v[80:81], v[89:90] offset0:28 offset1:29
	v_mov_b32_e32 v89, 7
	v_mov_b32_e32 v95, v12
	;; [unrolled: 1-line block ×9, first 2 shown]
	ds_write2_b64 v86, v[91:92], v[93:94] offset0:30 offset1:31
	ds_write2_b64 v86, v[95:96], v[97:98] offset0:32 offset1:33
	;; [unrolled: 1-line block ×3, first 2 shown]
	ds_write_b64 v86, v[78:79] offset:288
.LBB72_129:
	s_or_b32 exec_lo, exec_lo, s0
	s_mov_b32 s0, exec_lo
	s_waitcnt lgkmcnt(0)
	s_waitcnt_vscnt null, 0x0
	s_barrier
	buffer_gl0_inv
	v_cmpx_lt_i32_e32 7, v89
	s_cbranch_execz .LBB72_131
; %bb.130:
	v_mul_f64 v[62:63], v[0:1], v[62:63]
	ds_read2_b64 v[90:93], v86 offset0:8 offset1:9
	ds_read2_b64 v[94:97], v86 offset0:10 offset1:11
	;; [unrolled: 1-line block ×14, first 2 shown]
	ds_read_b64 v[0:1], v86 offset:288
	s_waitcnt lgkmcnt(14)
	v_fma_f64 v[60:61], -v[62:63], v[90:91], v[60:61]
	v_fma_f64 v[58:59], -v[62:63], v[92:93], v[58:59]
	s_waitcnt lgkmcnt(13)
	v_fma_f64 v[56:57], -v[62:63], v[94:95], v[56:57]
	v_fma_f64 v[54:55], -v[62:63], v[96:97], v[54:55]
	;; [unrolled: 3-line block ×14, first 2 shown]
	s_waitcnt lgkmcnt(0)
	v_fma_f64 v[78:79], -v[62:63], v[0:1], v[78:79]
.LBB72_131:
	s_or_b32 exec_lo, exec_lo, s0
	v_lshl_add_u32 v0, v89, 3, v86
	s_barrier
	buffer_gl0_inv
	v_mov_b32_e32 v80, 8
	ds_write_b64 v0, v[60:61]
	s_waitcnt lgkmcnt(0)
	s_barrier
	buffer_gl0_inv
	ds_read_b64 v[0:1], v86 offset:64
	s_cmp_lt_i32 s7, 10
	s_cbranch_scc1 .LBB72_134
; %bb.132:
	v_add3_u32 v81, v87, 0, 0x48
	v_mov_b32_e32 v80, 8
	s_mov_b32 s0, 9
.LBB72_133:                             ; =>This Inner Loop Header: Depth=1
	ds_read_b64 v[90:91], v81
	v_add_nc_u32_e32 v81, 8, v81
	s_waitcnt lgkmcnt(0)
	v_cmp_lt_f64_e64 vcc_lo, |v[0:1]|, |v[90:91]|
	v_cndmask_b32_e32 v1, v1, v91, vcc_lo
	v_cndmask_b32_e32 v0, v0, v90, vcc_lo
	v_cndmask_b32_e64 v80, v80, s0, vcc_lo
	s_add_i32 s0, s0, 1
	s_cmp_lg_u32 s7, s0
	s_cbranch_scc1 .LBB72_133
.LBB72_134:
	s_mov_b32 s0, exec_lo
	s_waitcnt lgkmcnt(0)
	v_cmpx_eq_f64_e32 0, v[0:1]
	s_xor_b32 s0, exec_lo, s0
; %bb.135:
	v_cmp_ne_u32_e32 vcc_lo, 0, v88
	v_cndmask_b32_e32 v88, 9, v88, vcc_lo
; %bb.136:
	s_andn2_saveexec_b32 s0, s0
	s_cbranch_execz .LBB72_138
; %bb.137:
	v_div_scale_f64 v[81:82], null, v[0:1], v[0:1], 1.0
	v_rcp_f64_e32 v[90:91], v[81:82]
	v_fma_f64 v[92:93], -v[81:82], v[90:91], 1.0
	v_fma_f64 v[90:91], v[90:91], v[92:93], v[90:91]
	v_fma_f64 v[92:93], -v[81:82], v[90:91], 1.0
	v_fma_f64 v[90:91], v[90:91], v[92:93], v[90:91]
	v_div_scale_f64 v[92:93], vcc_lo, 1.0, v[0:1], 1.0
	v_mul_f64 v[94:95], v[92:93], v[90:91]
	v_fma_f64 v[81:82], -v[81:82], v[94:95], v[92:93]
	v_div_fmas_f64 v[81:82], v[81:82], v[90:91], v[94:95]
	v_div_fixup_f64 v[0:1], v[81:82], v[0:1], 1.0
.LBB72_138:
	s_or_b32 exec_lo, exec_lo, s0
	s_mov_b32 s0, exec_lo
	v_cmpx_ne_u32_e64 v89, v80
	s_xor_b32 s0, exec_lo, s0
	s_cbranch_execz .LBB72_144
; %bb.139:
	s_mov_b32 s1, exec_lo
	v_cmpx_eq_u32_e32 8, v89
	s_cbranch_execz .LBB72_143
; %bb.140:
	v_cmp_ne_u32_e32 vcc_lo, 8, v80
	s_xor_b32 s2, s6, -1
	s_and_b32 s3, s2, vcc_lo
	s_and_saveexec_b32 s2, s3
	s_cbranch_execz .LBB72_142
; %bb.141:
	v_ashrrev_i32_e32 v81, 31, v80
	v_lshlrev_b64 v[81:82], 2, v[80:81]
	v_add_co_u32 v81, vcc_lo, v4, v81
	v_add_co_ci_u32_e64 v82, null, v5, v82, vcc_lo
	s_clause 0x1
	global_load_dword v83, v[81:82], off
	global_load_dword v89, v[4:5], off offset:32
	s_waitcnt vmcnt(1)
	global_store_dword v[4:5], v83, off offset:32
	s_waitcnt vmcnt(0)
	global_store_dword v[81:82], v89, off
.LBB72_142:
	s_or_b32 exec_lo, exec_lo, s2
	v_mov_b32_e32 v83, v80
	v_mov_b32_e32 v89, v80
.LBB72_143:
	s_or_b32 exec_lo, exec_lo, s1
.LBB72_144:
	s_andn2_saveexec_b32 s0, s0
	s_cbranch_execz .LBB72_146
; %bb.145:
	v_mov_b32_e32 v89, 8
	ds_write2_b64 v86, v[58:59], v[56:57] offset0:9 offset1:10
	ds_write2_b64 v86, v[54:55], v[52:53] offset0:11 offset1:12
	;; [unrolled: 1-line block ×14, first 2 shown]
.LBB72_146:
	s_or_b32 exec_lo, exec_lo, s0
	s_mov_b32 s0, exec_lo
	s_waitcnt lgkmcnt(0)
	s_waitcnt_vscnt null, 0x0
	s_barrier
	buffer_gl0_inv
	v_cmpx_lt_i32_e32 8, v89
	s_cbranch_execz .LBB72_148
; %bb.147:
	v_mul_f64 v[60:61], v[0:1], v[60:61]
	ds_read2_b64 v[90:93], v86 offset0:9 offset1:10
	ds_read2_b64 v[94:97], v86 offset0:11 offset1:12
	;; [unrolled: 1-line block ×14, first 2 shown]
	s_waitcnt lgkmcnt(13)
	v_fma_f64 v[58:59], -v[60:61], v[90:91], v[58:59]
	v_fma_f64 v[56:57], -v[60:61], v[92:93], v[56:57]
	s_waitcnt lgkmcnt(12)
	v_fma_f64 v[54:55], -v[60:61], v[94:95], v[54:55]
	v_fma_f64 v[52:53], -v[60:61], v[96:97], v[52:53]
	;; [unrolled: 3-line block ×14, first 2 shown]
.LBB72_148:
	s_or_b32 exec_lo, exec_lo, s0
	v_lshl_add_u32 v0, v89, 3, v86
	s_barrier
	buffer_gl0_inv
	v_mov_b32_e32 v80, 9
	ds_write_b64 v0, v[58:59]
	s_waitcnt lgkmcnt(0)
	s_barrier
	buffer_gl0_inv
	ds_read_b64 v[0:1], v86 offset:72
	s_cmp_lt_i32 s7, 11
	s_cbranch_scc1 .LBB72_151
; %bb.149:
	v_add3_u32 v81, v87, 0, 0x50
	v_mov_b32_e32 v80, 9
	s_mov_b32 s0, 10
.LBB72_150:                             ; =>This Inner Loop Header: Depth=1
	ds_read_b64 v[90:91], v81
	v_add_nc_u32_e32 v81, 8, v81
	s_waitcnt lgkmcnt(0)
	v_cmp_lt_f64_e64 vcc_lo, |v[0:1]|, |v[90:91]|
	v_cndmask_b32_e32 v1, v1, v91, vcc_lo
	v_cndmask_b32_e32 v0, v0, v90, vcc_lo
	v_cndmask_b32_e64 v80, v80, s0, vcc_lo
	s_add_i32 s0, s0, 1
	s_cmp_lg_u32 s7, s0
	s_cbranch_scc1 .LBB72_150
.LBB72_151:
	s_mov_b32 s0, exec_lo
	s_waitcnt lgkmcnt(0)
	v_cmpx_eq_f64_e32 0, v[0:1]
	s_xor_b32 s0, exec_lo, s0
; %bb.152:
	v_cmp_ne_u32_e32 vcc_lo, 0, v88
	v_cndmask_b32_e32 v88, 10, v88, vcc_lo
; %bb.153:
	s_andn2_saveexec_b32 s0, s0
	s_cbranch_execz .LBB72_155
; %bb.154:
	v_div_scale_f64 v[81:82], null, v[0:1], v[0:1], 1.0
	v_rcp_f64_e32 v[90:91], v[81:82]
	v_fma_f64 v[92:93], -v[81:82], v[90:91], 1.0
	v_fma_f64 v[90:91], v[90:91], v[92:93], v[90:91]
	v_fma_f64 v[92:93], -v[81:82], v[90:91], 1.0
	v_fma_f64 v[90:91], v[90:91], v[92:93], v[90:91]
	v_div_scale_f64 v[92:93], vcc_lo, 1.0, v[0:1], 1.0
	v_mul_f64 v[94:95], v[92:93], v[90:91]
	v_fma_f64 v[81:82], -v[81:82], v[94:95], v[92:93]
	v_div_fmas_f64 v[81:82], v[81:82], v[90:91], v[94:95]
	v_div_fixup_f64 v[0:1], v[81:82], v[0:1], 1.0
.LBB72_155:
	s_or_b32 exec_lo, exec_lo, s0
	s_mov_b32 s0, exec_lo
	v_cmpx_ne_u32_e64 v89, v80
	s_xor_b32 s0, exec_lo, s0
	s_cbranch_execz .LBB72_161
; %bb.156:
	s_mov_b32 s1, exec_lo
	v_cmpx_eq_u32_e32 9, v89
	s_cbranch_execz .LBB72_160
; %bb.157:
	v_cmp_ne_u32_e32 vcc_lo, 9, v80
	s_xor_b32 s2, s6, -1
	s_and_b32 s3, s2, vcc_lo
	s_and_saveexec_b32 s2, s3
	s_cbranch_execz .LBB72_159
; %bb.158:
	v_ashrrev_i32_e32 v81, 31, v80
	v_lshlrev_b64 v[81:82], 2, v[80:81]
	v_add_co_u32 v81, vcc_lo, v4, v81
	v_add_co_ci_u32_e64 v82, null, v5, v82, vcc_lo
	s_clause 0x1
	global_load_dword v83, v[81:82], off
	global_load_dword v89, v[4:5], off offset:36
	s_waitcnt vmcnt(1)
	global_store_dword v[4:5], v83, off offset:36
	s_waitcnt vmcnt(0)
	global_store_dword v[81:82], v89, off
.LBB72_159:
	s_or_b32 exec_lo, exec_lo, s2
	v_mov_b32_e32 v83, v80
	v_mov_b32_e32 v89, v80
.LBB72_160:
	s_or_b32 exec_lo, exec_lo, s1
.LBB72_161:
	s_andn2_saveexec_b32 s0, s0
	s_cbranch_execz .LBB72_163
; %bb.162:
	v_mov_b32_e32 v80, v56
	v_mov_b32_e32 v81, v57
	v_mov_b32_e32 v89, v54
	v_mov_b32_e32 v90, v55
	v_mov_b32_e32 v91, v52
	v_mov_b32_e32 v92, v53
	v_mov_b32_e32 v93, v48
	v_mov_b32_e32 v94, v49
	v_mov_b32_e32 v95, v50
	v_mov_b32_e32 v96, v51
	v_mov_b32_e32 v97, v44
	v_mov_b32_e32 v98, v45
	v_mov_b32_e32 v99, v46
	v_mov_b32_e32 v100, v47
	v_mov_b32_e32 v101, v42
	v_mov_b32_e32 v102, v43
	ds_write2_b64 v86, v[80:81], v[89:90] offset0:10 offset1:11
	ds_write2_b64 v86, v[91:92], v[93:94] offset0:12 offset1:13
	;; [unrolled: 1-line block ×4, first 2 shown]
	v_mov_b32_e32 v80, v40
	v_mov_b32_e32 v81, v41
	;; [unrolled: 1-line block ×20, first 2 shown]
	ds_write2_b64 v86, v[80:81], v[89:90] offset0:18 offset1:19
	ds_write2_b64 v86, v[91:92], v[93:94] offset0:20 offset1:21
	;; [unrolled: 1-line block ×5, first 2 shown]
	v_mov_b32_e32 v80, v20
	v_mov_b32_e32 v81, v21
	v_mov_b32_e32 v89, v18
	v_mov_b32_e32 v90, v19
	v_mov_b32_e32 v91, v16
	v_mov_b32_e32 v92, v17
	v_mov_b32_e32 v93, v14
	v_mov_b32_e32 v94, v15
	ds_write2_b64 v86, v[80:81], v[89:90] offset0:28 offset1:29
	v_mov_b32_e32 v89, 9
	v_mov_b32_e32 v95, v12
	;; [unrolled: 1-line block ×9, first 2 shown]
	ds_write2_b64 v86, v[91:92], v[93:94] offset0:30 offset1:31
	ds_write2_b64 v86, v[95:96], v[97:98] offset0:32 offset1:33
	;; [unrolled: 1-line block ×3, first 2 shown]
	ds_write_b64 v86, v[78:79] offset:288
.LBB72_163:
	s_or_b32 exec_lo, exec_lo, s0
	s_mov_b32 s0, exec_lo
	s_waitcnt lgkmcnt(0)
	s_waitcnt_vscnt null, 0x0
	s_barrier
	buffer_gl0_inv
	v_cmpx_lt_i32_e32 9, v89
	s_cbranch_execz .LBB72_165
; %bb.164:
	v_mul_f64 v[58:59], v[0:1], v[58:59]
	ds_read2_b64 v[90:93], v86 offset0:10 offset1:11
	ds_read2_b64 v[94:97], v86 offset0:12 offset1:13
	;; [unrolled: 1-line block ×13, first 2 shown]
	ds_read_b64 v[0:1], v86 offset:288
	s_waitcnt lgkmcnt(13)
	v_fma_f64 v[56:57], -v[58:59], v[90:91], v[56:57]
	v_fma_f64 v[54:55], -v[58:59], v[92:93], v[54:55]
	s_waitcnt lgkmcnt(12)
	v_fma_f64 v[52:53], -v[58:59], v[94:95], v[52:53]
	v_fma_f64 v[48:49], -v[58:59], v[96:97], v[48:49]
	;; [unrolled: 3-line block ×13, first 2 shown]
	s_waitcnt lgkmcnt(0)
	v_fma_f64 v[78:79], -v[58:59], v[0:1], v[78:79]
.LBB72_165:
	s_or_b32 exec_lo, exec_lo, s0
	v_lshl_add_u32 v0, v89, 3, v86
	s_barrier
	buffer_gl0_inv
	v_mov_b32_e32 v80, 10
	ds_write_b64 v0, v[56:57]
	s_waitcnt lgkmcnt(0)
	s_barrier
	buffer_gl0_inv
	ds_read_b64 v[0:1], v86 offset:80
	s_cmp_lt_i32 s7, 12
	s_cbranch_scc1 .LBB72_168
; %bb.166:
	v_add3_u32 v81, v87, 0, 0x58
	v_mov_b32_e32 v80, 10
	s_mov_b32 s0, 11
.LBB72_167:                             ; =>This Inner Loop Header: Depth=1
	ds_read_b64 v[90:91], v81
	v_add_nc_u32_e32 v81, 8, v81
	s_waitcnt lgkmcnt(0)
	v_cmp_lt_f64_e64 vcc_lo, |v[0:1]|, |v[90:91]|
	v_cndmask_b32_e32 v1, v1, v91, vcc_lo
	v_cndmask_b32_e32 v0, v0, v90, vcc_lo
	v_cndmask_b32_e64 v80, v80, s0, vcc_lo
	s_add_i32 s0, s0, 1
	s_cmp_lg_u32 s7, s0
	s_cbranch_scc1 .LBB72_167
.LBB72_168:
	s_mov_b32 s0, exec_lo
	s_waitcnt lgkmcnt(0)
	v_cmpx_eq_f64_e32 0, v[0:1]
	s_xor_b32 s0, exec_lo, s0
; %bb.169:
	v_cmp_ne_u32_e32 vcc_lo, 0, v88
	v_cndmask_b32_e32 v88, 11, v88, vcc_lo
; %bb.170:
	s_andn2_saveexec_b32 s0, s0
	s_cbranch_execz .LBB72_172
; %bb.171:
	v_div_scale_f64 v[81:82], null, v[0:1], v[0:1], 1.0
	v_rcp_f64_e32 v[90:91], v[81:82]
	v_fma_f64 v[92:93], -v[81:82], v[90:91], 1.0
	v_fma_f64 v[90:91], v[90:91], v[92:93], v[90:91]
	v_fma_f64 v[92:93], -v[81:82], v[90:91], 1.0
	v_fma_f64 v[90:91], v[90:91], v[92:93], v[90:91]
	v_div_scale_f64 v[92:93], vcc_lo, 1.0, v[0:1], 1.0
	v_mul_f64 v[94:95], v[92:93], v[90:91]
	v_fma_f64 v[81:82], -v[81:82], v[94:95], v[92:93]
	v_div_fmas_f64 v[81:82], v[81:82], v[90:91], v[94:95]
	v_div_fixup_f64 v[0:1], v[81:82], v[0:1], 1.0
.LBB72_172:
	s_or_b32 exec_lo, exec_lo, s0
	s_mov_b32 s0, exec_lo
	v_cmpx_ne_u32_e64 v89, v80
	s_xor_b32 s0, exec_lo, s0
	s_cbranch_execz .LBB72_178
; %bb.173:
	s_mov_b32 s1, exec_lo
	v_cmpx_eq_u32_e32 10, v89
	s_cbranch_execz .LBB72_177
; %bb.174:
	v_cmp_ne_u32_e32 vcc_lo, 10, v80
	s_xor_b32 s2, s6, -1
	s_and_b32 s3, s2, vcc_lo
	s_and_saveexec_b32 s2, s3
	s_cbranch_execz .LBB72_176
; %bb.175:
	v_ashrrev_i32_e32 v81, 31, v80
	v_lshlrev_b64 v[81:82], 2, v[80:81]
	v_add_co_u32 v81, vcc_lo, v4, v81
	v_add_co_ci_u32_e64 v82, null, v5, v82, vcc_lo
	s_clause 0x1
	global_load_dword v83, v[81:82], off
	global_load_dword v89, v[4:5], off offset:40
	s_waitcnt vmcnt(1)
	global_store_dword v[4:5], v83, off offset:40
	s_waitcnt vmcnt(0)
	global_store_dword v[81:82], v89, off
.LBB72_176:
	s_or_b32 exec_lo, exec_lo, s2
	v_mov_b32_e32 v83, v80
	v_mov_b32_e32 v89, v80
.LBB72_177:
	s_or_b32 exec_lo, exec_lo, s1
.LBB72_178:
	s_andn2_saveexec_b32 s0, s0
	s_cbranch_execz .LBB72_180
; %bb.179:
	v_mov_b32_e32 v89, 10
	ds_write2_b64 v86, v[54:55], v[52:53] offset0:11 offset1:12
	ds_write2_b64 v86, v[48:49], v[50:51] offset0:13 offset1:14
	;; [unrolled: 1-line block ×13, first 2 shown]
.LBB72_180:
	s_or_b32 exec_lo, exec_lo, s0
	s_mov_b32 s0, exec_lo
	s_waitcnt lgkmcnt(0)
	s_waitcnt_vscnt null, 0x0
	s_barrier
	buffer_gl0_inv
	v_cmpx_lt_i32_e32 10, v89
	s_cbranch_execz .LBB72_182
; %bb.181:
	v_mul_f64 v[56:57], v[0:1], v[56:57]
	ds_read2_b64 v[90:93], v86 offset0:11 offset1:12
	ds_read2_b64 v[94:97], v86 offset0:13 offset1:14
	;; [unrolled: 1-line block ×13, first 2 shown]
	s_waitcnt lgkmcnt(12)
	v_fma_f64 v[54:55], -v[56:57], v[90:91], v[54:55]
	v_fma_f64 v[52:53], -v[56:57], v[92:93], v[52:53]
	s_waitcnt lgkmcnt(11)
	v_fma_f64 v[48:49], -v[56:57], v[94:95], v[48:49]
	v_fma_f64 v[50:51], -v[56:57], v[96:97], v[50:51]
	;; [unrolled: 3-line block ×13, first 2 shown]
.LBB72_182:
	s_or_b32 exec_lo, exec_lo, s0
	v_lshl_add_u32 v0, v89, 3, v86
	s_barrier
	buffer_gl0_inv
	v_mov_b32_e32 v80, 11
	ds_write_b64 v0, v[54:55]
	s_waitcnt lgkmcnt(0)
	s_barrier
	buffer_gl0_inv
	ds_read_b64 v[0:1], v86 offset:88
	s_cmp_lt_i32 s7, 13
	s_cbranch_scc1 .LBB72_185
; %bb.183:
	v_add3_u32 v81, v87, 0, 0x60
	v_mov_b32_e32 v80, 11
	s_mov_b32 s0, 12
.LBB72_184:                             ; =>This Inner Loop Header: Depth=1
	ds_read_b64 v[90:91], v81
	v_add_nc_u32_e32 v81, 8, v81
	s_waitcnt lgkmcnt(0)
	v_cmp_lt_f64_e64 vcc_lo, |v[0:1]|, |v[90:91]|
	v_cndmask_b32_e32 v1, v1, v91, vcc_lo
	v_cndmask_b32_e32 v0, v0, v90, vcc_lo
	v_cndmask_b32_e64 v80, v80, s0, vcc_lo
	s_add_i32 s0, s0, 1
	s_cmp_lg_u32 s7, s0
	s_cbranch_scc1 .LBB72_184
.LBB72_185:
	s_mov_b32 s0, exec_lo
	s_waitcnt lgkmcnt(0)
	v_cmpx_eq_f64_e32 0, v[0:1]
	s_xor_b32 s0, exec_lo, s0
; %bb.186:
	v_cmp_ne_u32_e32 vcc_lo, 0, v88
	v_cndmask_b32_e32 v88, 12, v88, vcc_lo
; %bb.187:
	s_andn2_saveexec_b32 s0, s0
	s_cbranch_execz .LBB72_189
; %bb.188:
	v_div_scale_f64 v[81:82], null, v[0:1], v[0:1], 1.0
	v_rcp_f64_e32 v[90:91], v[81:82]
	v_fma_f64 v[92:93], -v[81:82], v[90:91], 1.0
	v_fma_f64 v[90:91], v[90:91], v[92:93], v[90:91]
	v_fma_f64 v[92:93], -v[81:82], v[90:91], 1.0
	v_fma_f64 v[90:91], v[90:91], v[92:93], v[90:91]
	v_div_scale_f64 v[92:93], vcc_lo, 1.0, v[0:1], 1.0
	v_mul_f64 v[94:95], v[92:93], v[90:91]
	v_fma_f64 v[81:82], -v[81:82], v[94:95], v[92:93]
	v_div_fmas_f64 v[81:82], v[81:82], v[90:91], v[94:95]
	v_div_fixup_f64 v[0:1], v[81:82], v[0:1], 1.0
.LBB72_189:
	s_or_b32 exec_lo, exec_lo, s0
	s_mov_b32 s0, exec_lo
	v_cmpx_ne_u32_e64 v89, v80
	s_xor_b32 s0, exec_lo, s0
	s_cbranch_execz .LBB72_195
; %bb.190:
	s_mov_b32 s1, exec_lo
	v_cmpx_eq_u32_e32 11, v89
	s_cbranch_execz .LBB72_194
; %bb.191:
	v_cmp_ne_u32_e32 vcc_lo, 11, v80
	s_xor_b32 s2, s6, -1
	s_and_b32 s3, s2, vcc_lo
	s_and_saveexec_b32 s2, s3
	s_cbranch_execz .LBB72_193
; %bb.192:
	v_ashrrev_i32_e32 v81, 31, v80
	v_lshlrev_b64 v[81:82], 2, v[80:81]
	v_add_co_u32 v81, vcc_lo, v4, v81
	v_add_co_ci_u32_e64 v82, null, v5, v82, vcc_lo
	s_clause 0x1
	global_load_dword v83, v[81:82], off
	global_load_dword v89, v[4:5], off offset:44
	s_waitcnt vmcnt(1)
	global_store_dword v[4:5], v83, off offset:44
	s_waitcnt vmcnt(0)
	global_store_dword v[81:82], v89, off
.LBB72_193:
	s_or_b32 exec_lo, exec_lo, s2
	v_mov_b32_e32 v83, v80
	v_mov_b32_e32 v89, v80
.LBB72_194:
	s_or_b32 exec_lo, exec_lo, s1
.LBB72_195:
	s_andn2_saveexec_b32 s0, s0
	s_cbranch_execz .LBB72_197
; %bb.196:
	v_mov_b32_e32 v80, v52
	v_mov_b32_e32 v81, v53
	;; [unrolled: 1-line block ×12, first 2 shown]
	ds_write2_b64 v86, v[80:81], v[89:90] offset0:12 offset1:13
	ds_write2_b64 v86, v[91:92], v[93:94] offset0:14 offset1:15
	ds_write2_b64 v86, v[95:96], v[97:98] offset0:16 offset1:17
	v_mov_b32_e32 v80, v40
	v_mov_b32_e32 v81, v41
	;; [unrolled: 1-line block ×20, first 2 shown]
	ds_write2_b64 v86, v[80:81], v[89:90] offset0:18 offset1:19
	ds_write2_b64 v86, v[91:92], v[93:94] offset0:20 offset1:21
	;; [unrolled: 1-line block ×5, first 2 shown]
	v_mov_b32_e32 v80, v20
	v_mov_b32_e32 v81, v21
	;; [unrolled: 1-line block ×8, first 2 shown]
	ds_write2_b64 v86, v[80:81], v[89:90] offset0:28 offset1:29
	v_mov_b32_e32 v89, 11
	v_mov_b32_e32 v95, v12
	v_mov_b32_e32 v96, v13
	v_mov_b32_e32 v97, v8
	v_mov_b32_e32 v98, v9
	v_mov_b32_e32 v99, v10
	v_mov_b32_e32 v100, v11
	v_mov_b32_e32 v101, v6
	v_mov_b32_e32 v102, v7
	ds_write2_b64 v86, v[91:92], v[93:94] offset0:30 offset1:31
	ds_write2_b64 v86, v[95:96], v[97:98] offset0:32 offset1:33
	;; [unrolled: 1-line block ×3, first 2 shown]
	ds_write_b64 v86, v[78:79] offset:288
.LBB72_197:
	s_or_b32 exec_lo, exec_lo, s0
	s_mov_b32 s0, exec_lo
	s_waitcnt lgkmcnt(0)
	s_waitcnt_vscnt null, 0x0
	s_barrier
	buffer_gl0_inv
	v_cmpx_lt_i32_e32 11, v89
	s_cbranch_execz .LBB72_199
; %bb.198:
	v_mul_f64 v[54:55], v[0:1], v[54:55]
	ds_read2_b64 v[90:93], v86 offset0:12 offset1:13
	ds_read2_b64 v[94:97], v86 offset0:14 offset1:15
	;; [unrolled: 1-line block ×12, first 2 shown]
	ds_read_b64 v[0:1], v86 offset:288
	s_waitcnt lgkmcnt(12)
	v_fma_f64 v[52:53], -v[54:55], v[90:91], v[52:53]
	v_fma_f64 v[48:49], -v[54:55], v[92:93], v[48:49]
	s_waitcnt lgkmcnt(11)
	v_fma_f64 v[50:51], -v[54:55], v[94:95], v[50:51]
	v_fma_f64 v[44:45], -v[54:55], v[96:97], v[44:45]
	;; [unrolled: 3-line block ×12, first 2 shown]
	s_waitcnt lgkmcnt(0)
	v_fma_f64 v[78:79], -v[54:55], v[0:1], v[78:79]
.LBB72_199:
	s_or_b32 exec_lo, exec_lo, s0
	v_lshl_add_u32 v0, v89, 3, v86
	s_barrier
	buffer_gl0_inv
	v_mov_b32_e32 v80, 12
	ds_write_b64 v0, v[52:53]
	s_waitcnt lgkmcnt(0)
	s_barrier
	buffer_gl0_inv
	ds_read_b64 v[0:1], v86 offset:96
	s_cmp_lt_i32 s7, 14
	s_cbranch_scc1 .LBB72_202
; %bb.200:
	v_add3_u32 v81, v87, 0, 0x68
	v_mov_b32_e32 v80, 12
	s_mov_b32 s0, 13
.LBB72_201:                             ; =>This Inner Loop Header: Depth=1
	ds_read_b64 v[90:91], v81
	v_add_nc_u32_e32 v81, 8, v81
	s_waitcnt lgkmcnt(0)
	v_cmp_lt_f64_e64 vcc_lo, |v[0:1]|, |v[90:91]|
	v_cndmask_b32_e32 v1, v1, v91, vcc_lo
	v_cndmask_b32_e32 v0, v0, v90, vcc_lo
	v_cndmask_b32_e64 v80, v80, s0, vcc_lo
	s_add_i32 s0, s0, 1
	s_cmp_lg_u32 s7, s0
	s_cbranch_scc1 .LBB72_201
.LBB72_202:
	s_mov_b32 s0, exec_lo
	s_waitcnt lgkmcnt(0)
	v_cmpx_eq_f64_e32 0, v[0:1]
	s_xor_b32 s0, exec_lo, s0
; %bb.203:
	v_cmp_ne_u32_e32 vcc_lo, 0, v88
	v_cndmask_b32_e32 v88, 13, v88, vcc_lo
; %bb.204:
	s_andn2_saveexec_b32 s0, s0
	s_cbranch_execz .LBB72_206
; %bb.205:
	v_div_scale_f64 v[81:82], null, v[0:1], v[0:1], 1.0
	v_rcp_f64_e32 v[90:91], v[81:82]
	v_fma_f64 v[92:93], -v[81:82], v[90:91], 1.0
	v_fma_f64 v[90:91], v[90:91], v[92:93], v[90:91]
	v_fma_f64 v[92:93], -v[81:82], v[90:91], 1.0
	v_fma_f64 v[90:91], v[90:91], v[92:93], v[90:91]
	v_div_scale_f64 v[92:93], vcc_lo, 1.0, v[0:1], 1.0
	v_mul_f64 v[94:95], v[92:93], v[90:91]
	v_fma_f64 v[81:82], -v[81:82], v[94:95], v[92:93]
	v_div_fmas_f64 v[81:82], v[81:82], v[90:91], v[94:95]
	v_div_fixup_f64 v[0:1], v[81:82], v[0:1], 1.0
.LBB72_206:
	s_or_b32 exec_lo, exec_lo, s0
	s_mov_b32 s0, exec_lo
	v_cmpx_ne_u32_e64 v89, v80
	s_xor_b32 s0, exec_lo, s0
	s_cbranch_execz .LBB72_212
; %bb.207:
	s_mov_b32 s1, exec_lo
	v_cmpx_eq_u32_e32 12, v89
	s_cbranch_execz .LBB72_211
; %bb.208:
	v_cmp_ne_u32_e32 vcc_lo, 12, v80
	s_xor_b32 s2, s6, -1
	s_and_b32 s3, s2, vcc_lo
	s_and_saveexec_b32 s2, s3
	s_cbranch_execz .LBB72_210
; %bb.209:
	v_ashrrev_i32_e32 v81, 31, v80
	v_lshlrev_b64 v[81:82], 2, v[80:81]
	v_add_co_u32 v81, vcc_lo, v4, v81
	v_add_co_ci_u32_e64 v82, null, v5, v82, vcc_lo
	s_clause 0x1
	global_load_dword v83, v[81:82], off
	global_load_dword v89, v[4:5], off offset:48
	s_waitcnt vmcnt(1)
	global_store_dword v[4:5], v83, off offset:48
	s_waitcnt vmcnt(0)
	global_store_dword v[81:82], v89, off
.LBB72_210:
	s_or_b32 exec_lo, exec_lo, s2
	v_mov_b32_e32 v83, v80
	v_mov_b32_e32 v89, v80
.LBB72_211:
	s_or_b32 exec_lo, exec_lo, s1
.LBB72_212:
	s_andn2_saveexec_b32 s0, s0
	s_cbranch_execz .LBB72_214
; %bb.213:
	v_mov_b32_e32 v89, 12
	ds_write2_b64 v86, v[48:49], v[50:51] offset0:13 offset1:14
	ds_write2_b64 v86, v[44:45], v[46:47] offset0:15 offset1:16
	;; [unrolled: 1-line block ×12, first 2 shown]
.LBB72_214:
	s_or_b32 exec_lo, exec_lo, s0
	s_mov_b32 s0, exec_lo
	s_waitcnt lgkmcnt(0)
	s_waitcnt_vscnt null, 0x0
	s_barrier
	buffer_gl0_inv
	v_cmpx_lt_i32_e32 12, v89
	s_cbranch_execz .LBB72_216
; %bb.215:
	v_mul_f64 v[52:53], v[0:1], v[52:53]
	ds_read2_b64 v[90:93], v86 offset0:13 offset1:14
	ds_read2_b64 v[94:97], v86 offset0:15 offset1:16
	;; [unrolled: 1-line block ×12, first 2 shown]
	s_waitcnt lgkmcnt(11)
	v_fma_f64 v[48:49], -v[52:53], v[90:91], v[48:49]
	v_fma_f64 v[50:51], -v[52:53], v[92:93], v[50:51]
	s_waitcnt lgkmcnt(10)
	v_fma_f64 v[44:45], -v[52:53], v[94:95], v[44:45]
	v_fma_f64 v[46:47], -v[52:53], v[96:97], v[46:47]
	;; [unrolled: 3-line block ×12, first 2 shown]
.LBB72_216:
	s_or_b32 exec_lo, exec_lo, s0
	v_lshl_add_u32 v0, v89, 3, v86
	s_barrier
	buffer_gl0_inv
	v_mov_b32_e32 v80, 13
	ds_write_b64 v0, v[48:49]
	s_waitcnt lgkmcnt(0)
	s_barrier
	buffer_gl0_inv
	ds_read_b64 v[0:1], v86 offset:104
	s_cmp_lt_i32 s7, 15
	s_cbranch_scc1 .LBB72_219
; %bb.217:
	v_add3_u32 v81, v87, 0, 0x70
	v_mov_b32_e32 v80, 13
	s_mov_b32 s0, 14
.LBB72_218:                             ; =>This Inner Loop Header: Depth=1
	ds_read_b64 v[90:91], v81
	v_add_nc_u32_e32 v81, 8, v81
	s_waitcnt lgkmcnt(0)
	v_cmp_lt_f64_e64 vcc_lo, |v[0:1]|, |v[90:91]|
	v_cndmask_b32_e32 v1, v1, v91, vcc_lo
	v_cndmask_b32_e32 v0, v0, v90, vcc_lo
	v_cndmask_b32_e64 v80, v80, s0, vcc_lo
	s_add_i32 s0, s0, 1
	s_cmp_lg_u32 s7, s0
	s_cbranch_scc1 .LBB72_218
.LBB72_219:
	s_mov_b32 s0, exec_lo
	s_waitcnt lgkmcnt(0)
	v_cmpx_eq_f64_e32 0, v[0:1]
	s_xor_b32 s0, exec_lo, s0
; %bb.220:
	v_cmp_ne_u32_e32 vcc_lo, 0, v88
	v_cndmask_b32_e32 v88, 14, v88, vcc_lo
; %bb.221:
	s_andn2_saveexec_b32 s0, s0
	s_cbranch_execz .LBB72_223
; %bb.222:
	v_div_scale_f64 v[81:82], null, v[0:1], v[0:1], 1.0
	v_rcp_f64_e32 v[90:91], v[81:82]
	v_fma_f64 v[92:93], -v[81:82], v[90:91], 1.0
	v_fma_f64 v[90:91], v[90:91], v[92:93], v[90:91]
	v_fma_f64 v[92:93], -v[81:82], v[90:91], 1.0
	v_fma_f64 v[90:91], v[90:91], v[92:93], v[90:91]
	v_div_scale_f64 v[92:93], vcc_lo, 1.0, v[0:1], 1.0
	v_mul_f64 v[94:95], v[92:93], v[90:91]
	v_fma_f64 v[81:82], -v[81:82], v[94:95], v[92:93]
	v_div_fmas_f64 v[81:82], v[81:82], v[90:91], v[94:95]
	v_div_fixup_f64 v[0:1], v[81:82], v[0:1], 1.0
.LBB72_223:
	s_or_b32 exec_lo, exec_lo, s0
	s_mov_b32 s0, exec_lo
	v_cmpx_ne_u32_e64 v89, v80
	s_xor_b32 s0, exec_lo, s0
	s_cbranch_execz .LBB72_229
; %bb.224:
	s_mov_b32 s1, exec_lo
	v_cmpx_eq_u32_e32 13, v89
	s_cbranch_execz .LBB72_228
; %bb.225:
	v_cmp_ne_u32_e32 vcc_lo, 13, v80
	s_xor_b32 s2, s6, -1
	s_and_b32 s3, s2, vcc_lo
	s_and_saveexec_b32 s2, s3
	s_cbranch_execz .LBB72_227
; %bb.226:
	v_ashrrev_i32_e32 v81, 31, v80
	v_lshlrev_b64 v[81:82], 2, v[80:81]
	v_add_co_u32 v81, vcc_lo, v4, v81
	v_add_co_ci_u32_e64 v82, null, v5, v82, vcc_lo
	s_clause 0x1
	global_load_dword v83, v[81:82], off
	global_load_dword v89, v[4:5], off offset:52
	s_waitcnt vmcnt(1)
	global_store_dword v[4:5], v83, off offset:52
	s_waitcnt vmcnt(0)
	global_store_dword v[81:82], v89, off
.LBB72_227:
	s_or_b32 exec_lo, exec_lo, s2
	v_mov_b32_e32 v83, v80
	v_mov_b32_e32 v89, v80
.LBB72_228:
	s_or_b32 exec_lo, exec_lo, s1
.LBB72_229:
	s_andn2_saveexec_b32 s0, s0
	s_cbranch_execz .LBB72_231
; %bb.230:
	v_mov_b32_e32 v80, v50
	v_mov_b32_e32 v81, v51
	;; [unrolled: 1-line block ×8, first 2 shown]
	ds_write2_b64 v86, v[80:81], v[89:90] offset0:14 offset1:15
	ds_write2_b64 v86, v[91:92], v[93:94] offset0:16 offset1:17
	v_mov_b32_e32 v80, v40
	v_mov_b32_e32 v81, v41
	;; [unrolled: 1-line block ×20, first 2 shown]
	ds_write2_b64 v86, v[80:81], v[89:90] offset0:18 offset1:19
	ds_write2_b64 v86, v[91:92], v[93:94] offset0:20 offset1:21
	;; [unrolled: 1-line block ×5, first 2 shown]
	v_mov_b32_e32 v80, v20
	v_mov_b32_e32 v81, v21
	;; [unrolled: 1-line block ×8, first 2 shown]
	ds_write2_b64 v86, v[80:81], v[89:90] offset0:28 offset1:29
	v_mov_b32_e32 v89, 13
	v_mov_b32_e32 v95, v12
	;; [unrolled: 1-line block ×9, first 2 shown]
	ds_write2_b64 v86, v[91:92], v[93:94] offset0:30 offset1:31
	ds_write2_b64 v86, v[95:96], v[97:98] offset0:32 offset1:33
	ds_write2_b64 v86, v[99:100], v[101:102] offset0:34 offset1:35
	ds_write_b64 v86, v[78:79] offset:288
.LBB72_231:
	s_or_b32 exec_lo, exec_lo, s0
	s_mov_b32 s0, exec_lo
	s_waitcnt lgkmcnt(0)
	s_waitcnt_vscnt null, 0x0
	s_barrier
	buffer_gl0_inv
	v_cmpx_lt_i32_e32 13, v89
	s_cbranch_execz .LBB72_233
; %bb.232:
	v_mul_f64 v[48:49], v[0:1], v[48:49]
	ds_read2_b64 v[90:93], v86 offset0:14 offset1:15
	ds_read2_b64 v[94:97], v86 offset0:16 offset1:17
	;; [unrolled: 1-line block ×11, first 2 shown]
	ds_read_b64 v[0:1], v86 offset:288
	s_waitcnt lgkmcnt(11)
	v_fma_f64 v[50:51], -v[48:49], v[90:91], v[50:51]
	v_fma_f64 v[44:45], -v[48:49], v[92:93], v[44:45]
	s_waitcnt lgkmcnt(10)
	v_fma_f64 v[46:47], -v[48:49], v[94:95], v[46:47]
	v_fma_f64 v[42:43], -v[48:49], v[96:97], v[42:43]
	;; [unrolled: 3-line block ×11, first 2 shown]
	s_waitcnt lgkmcnt(0)
	v_fma_f64 v[78:79], -v[48:49], v[0:1], v[78:79]
.LBB72_233:
	s_or_b32 exec_lo, exec_lo, s0
	v_lshl_add_u32 v0, v89, 3, v86
	s_barrier
	buffer_gl0_inv
	v_mov_b32_e32 v80, 14
	ds_write_b64 v0, v[50:51]
	s_waitcnt lgkmcnt(0)
	s_barrier
	buffer_gl0_inv
	ds_read_b64 v[0:1], v86 offset:112
	s_cmp_lt_i32 s7, 16
	s_cbranch_scc1 .LBB72_236
; %bb.234:
	v_add3_u32 v81, v87, 0, 0x78
	v_mov_b32_e32 v80, 14
	s_mov_b32 s0, 15
.LBB72_235:                             ; =>This Inner Loop Header: Depth=1
	ds_read_b64 v[90:91], v81
	v_add_nc_u32_e32 v81, 8, v81
	s_waitcnt lgkmcnt(0)
	v_cmp_lt_f64_e64 vcc_lo, |v[0:1]|, |v[90:91]|
	v_cndmask_b32_e32 v1, v1, v91, vcc_lo
	v_cndmask_b32_e32 v0, v0, v90, vcc_lo
	v_cndmask_b32_e64 v80, v80, s0, vcc_lo
	s_add_i32 s0, s0, 1
	s_cmp_lg_u32 s7, s0
	s_cbranch_scc1 .LBB72_235
.LBB72_236:
	s_mov_b32 s0, exec_lo
	s_waitcnt lgkmcnt(0)
	v_cmpx_eq_f64_e32 0, v[0:1]
	s_xor_b32 s0, exec_lo, s0
; %bb.237:
	v_cmp_ne_u32_e32 vcc_lo, 0, v88
	v_cndmask_b32_e32 v88, 15, v88, vcc_lo
; %bb.238:
	s_andn2_saveexec_b32 s0, s0
	s_cbranch_execz .LBB72_240
; %bb.239:
	v_div_scale_f64 v[81:82], null, v[0:1], v[0:1], 1.0
	v_rcp_f64_e32 v[90:91], v[81:82]
	v_fma_f64 v[92:93], -v[81:82], v[90:91], 1.0
	v_fma_f64 v[90:91], v[90:91], v[92:93], v[90:91]
	v_fma_f64 v[92:93], -v[81:82], v[90:91], 1.0
	v_fma_f64 v[90:91], v[90:91], v[92:93], v[90:91]
	v_div_scale_f64 v[92:93], vcc_lo, 1.0, v[0:1], 1.0
	v_mul_f64 v[94:95], v[92:93], v[90:91]
	v_fma_f64 v[81:82], -v[81:82], v[94:95], v[92:93]
	v_div_fmas_f64 v[81:82], v[81:82], v[90:91], v[94:95]
	v_div_fixup_f64 v[0:1], v[81:82], v[0:1], 1.0
.LBB72_240:
	s_or_b32 exec_lo, exec_lo, s0
	s_mov_b32 s0, exec_lo
	v_cmpx_ne_u32_e64 v89, v80
	s_xor_b32 s0, exec_lo, s0
	s_cbranch_execz .LBB72_246
; %bb.241:
	s_mov_b32 s1, exec_lo
	v_cmpx_eq_u32_e32 14, v89
	s_cbranch_execz .LBB72_245
; %bb.242:
	v_cmp_ne_u32_e32 vcc_lo, 14, v80
	s_xor_b32 s2, s6, -1
	s_and_b32 s3, s2, vcc_lo
	s_and_saveexec_b32 s2, s3
	s_cbranch_execz .LBB72_244
; %bb.243:
	v_ashrrev_i32_e32 v81, 31, v80
	v_lshlrev_b64 v[81:82], 2, v[80:81]
	v_add_co_u32 v81, vcc_lo, v4, v81
	v_add_co_ci_u32_e64 v82, null, v5, v82, vcc_lo
	s_clause 0x1
	global_load_dword v83, v[81:82], off
	global_load_dword v89, v[4:5], off offset:56
	s_waitcnt vmcnt(1)
	global_store_dword v[4:5], v83, off offset:56
	s_waitcnt vmcnt(0)
	global_store_dword v[81:82], v89, off
.LBB72_244:
	s_or_b32 exec_lo, exec_lo, s2
	v_mov_b32_e32 v83, v80
	v_mov_b32_e32 v89, v80
.LBB72_245:
	s_or_b32 exec_lo, exec_lo, s1
.LBB72_246:
	s_andn2_saveexec_b32 s0, s0
	s_cbranch_execz .LBB72_248
; %bb.247:
	v_mov_b32_e32 v89, 14
	ds_write2_b64 v86, v[44:45], v[46:47] offset0:15 offset1:16
	ds_write2_b64 v86, v[42:43], v[40:41] offset0:17 offset1:18
	;; [unrolled: 1-line block ×11, first 2 shown]
.LBB72_248:
	s_or_b32 exec_lo, exec_lo, s0
	s_mov_b32 s0, exec_lo
	s_waitcnt lgkmcnt(0)
	s_waitcnt_vscnt null, 0x0
	s_barrier
	buffer_gl0_inv
	v_cmpx_lt_i32_e32 14, v89
	s_cbranch_execz .LBB72_250
; %bb.249:
	v_mul_f64 v[50:51], v[0:1], v[50:51]
	ds_read2_b64 v[90:93], v86 offset0:15 offset1:16
	ds_read2_b64 v[94:97], v86 offset0:17 offset1:18
	;; [unrolled: 1-line block ×11, first 2 shown]
	s_waitcnt lgkmcnt(10)
	v_fma_f64 v[44:45], -v[50:51], v[90:91], v[44:45]
	v_fma_f64 v[46:47], -v[50:51], v[92:93], v[46:47]
	s_waitcnt lgkmcnt(9)
	v_fma_f64 v[42:43], -v[50:51], v[94:95], v[42:43]
	v_fma_f64 v[40:41], -v[50:51], v[96:97], v[40:41]
	;; [unrolled: 3-line block ×11, first 2 shown]
.LBB72_250:
	s_or_b32 exec_lo, exec_lo, s0
	v_lshl_add_u32 v0, v89, 3, v86
	s_barrier
	buffer_gl0_inv
	v_mov_b32_e32 v80, 15
	ds_write_b64 v0, v[44:45]
	s_waitcnt lgkmcnt(0)
	s_barrier
	buffer_gl0_inv
	ds_read_b64 v[0:1], v86 offset:120
	s_cmp_lt_i32 s7, 17
	s_cbranch_scc1 .LBB72_253
; %bb.251:
	v_add3_u32 v81, v87, 0, 0x80
	v_mov_b32_e32 v80, 15
	s_mov_b32 s0, 16
.LBB72_252:                             ; =>This Inner Loop Header: Depth=1
	ds_read_b64 v[90:91], v81
	v_add_nc_u32_e32 v81, 8, v81
	s_waitcnt lgkmcnt(0)
	v_cmp_lt_f64_e64 vcc_lo, |v[0:1]|, |v[90:91]|
	v_cndmask_b32_e32 v1, v1, v91, vcc_lo
	v_cndmask_b32_e32 v0, v0, v90, vcc_lo
	v_cndmask_b32_e64 v80, v80, s0, vcc_lo
	s_add_i32 s0, s0, 1
	s_cmp_lg_u32 s7, s0
	s_cbranch_scc1 .LBB72_252
.LBB72_253:
	s_mov_b32 s0, exec_lo
	s_waitcnt lgkmcnt(0)
	v_cmpx_eq_f64_e32 0, v[0:1]
	s_xor_b32 s0, exec_lo, s0
; %bb.254:
	v_cmp_ne_u32_e32 vcc_lo, 0, v88
	v_cndmask_b32_e32 v88, 16, v88, vcc_lo
; %bb.255:
	s_andn2_saveexec_b32 s0, s0
	s_cbranch_execz .LBB72_257
; %bb.256:
	v_div_scale_f64 v[81:82], null, v[0:1], v[0:1], 1.0
	v_rcp_f64_e32 v[90:91], v[81:82]
	v_fma_f64 v[92:93], -v[81:82], v[90:91], 1.0
	v_fma_f64 v[90:91], v[90:91], v[92:93], v[90:91]
	v_fma_f64 v[92:93], -v[81:82], v[90:91], 1.0
	v_fma_f64 v[90:91], v[90:91], v[92:93], v[90:91]
	v_div_scale_f64 v[92:93], vcc_lo, 1.0, v[0:1], 1.0
	v_mul_f64 v[94:95], v[92:93], v[90:91]
	v_fma_f64 v[81:82], -v[81:82], v[94:95], v[92:93]
	v_div_fmas_f64 v[81:82], v[81:82], v[90:91], v[94:95]
	v_div_fixup_f64 v[0:1], v[81:82], v[0:1], 1.0
.LBB72_257:
	s_or_b32 exec_lo, exec_lo, s0
	s_mov_b32 s0, exec_lo
	v_cmpx_ne_u32_e64 v89, v80
	s_xor_b32 s0, exec_lo, s0
	s_cbranch_execz .LBB72_263
; %bb.258:
	s_mov_b32 s1, exec_lo
	v_cmpx_eq_u32_e32 15, v89
	s_cbranch_execz .LBB72_262
; %bb.259:
	v_cmp_ne_u32_e32 vcc_lo, 15, v80
	s_xor_b32 s2, s6, -1
	s_and_b32 s3, s2, vcc_lo
	s_and_saveexec_b32 s2, s3
	s_cbranch_execz .LBB72_261
; %bb.260:
	v_ashrrev_i32_e32 v81, 31, v80
	v_lshlrev_b64 v[81:82], 2, v[80:81]
	v_add_co_u32 v81, vcc_lo, v4, v81
	v_add_co_ci_u32_e64 v82, null, v5, v82, vcc_lo
	s_clause 0x1
	global_load_dword v83, v[81:82], off
	global_load_dword v89, v[4:5], off offset:60
	s_waitcnt vmcnt(1)
	global_store_dword v[4:5], v83, off offset:60
	s_waitcnt vmcnt(0)
	global_store_dword v[81:82], v89, off
.LBB72_261:
	s_or_b32 exec_lo, exec_lo, s2
	v_mov_b32_e32 v83, v80
	v_mov_b32_e32 v89, v80
.LBB72_262:
	s_or_b32 exec_lo, exec_lo, s1
.LBB72_263:
	s_andn2_saveexec_b32 s0, s0
	s_cbranch_execz .LBB72_265
; %bb.264:
	v_mov_b32_e32 v80, v46
	v_mov_b32_e32 v81, v47
	;; [unrolled: 1-line block ×8, first 2 shown]
	ds_write2_b64 v86, v[80:81], v[89:90] offset0:16 offset1:17
	v_mov_b32_e32 v80, v38
	v_mov_b32_e32 v81, v39
	;; [unrolled: 1-line block ×16, first 2 shown]
	ds_write2_b64 v86, v[91:92], v[80:81] offset0:18 offset1:19
	ds_write2_b64 v86, v[89:90], v[93:94] offset0:20 offset1:21
	;; [unrolled: 1-line block ×5, first 2 shown]
	v_mov_b32_e32 v80, v20
	v_mov_b32_e32 v81, v21
	;; [unrolled: 1-line block ×8, first 2 shown]
	ds_write2_b64 v86, v[80:81], v[89:90] offset0:28 offset1:29
	v_mov_b32_e32 v89, 15
	v_mov_b32_e32 v95, v12
	;; [unrolled: 1-line block ×9, first 2 shown]
	ds_write2_b64 v86, v[91:92], v[93:94] offset0:30 offset1:31
	ds_write2_b64 v86, v[95:96], v[97:98] offset0:32 offset1:33
	;; [unrolled: 1-line block ×3, first 2 shown]
	ds_write_b64 v86, v[78:79] offset:288
.LBB72_265:
	s_or_b32 exec_lo, exec_lo, s0
	s_mov_b32 s0, exec_lo
	s_waitcnt lgkmcnt(0)
	s_waitcnt_vscnt null, 0x0
	s_barrier
	buffer_gl0_inv
	v_cmpx_lt_i32_e32 15, v89
	s_cbranch_execz .LBB72_267
; %bb.266:
	v_mul_f64 v[44:45], v[0:1], v[44:45]
	ds_read2_b64 v[90:93], v86 offset0:16 offset1:17
	ds_read2_b64 v[94:97], v86 offset0:18 offset1:19
	;; [unrolled: 1-line block ×10, first 2 shown]
	ds_read_b64 v[0:1], v86 offset:288
	s_waitcnt lgkmcnt(10)
	v_fma_f64 v[46:47], -v[44:45], v[90:91], v[46:47]
	v_fma_f64 v[42:43], -v[44:45], v[92:93], v[42:43]
	s_waitcnt lgkmcnt(9)
	v_fma_f64 v[40:41], -v[44:45], v[94:95], v[40:41]
	v_fma_f64 v[38:39], -v[44:45], v[96:97], v[38:39]
	s_waitcnt lgkmcnt(8)
	v_fma_f64 v[36:37], -v[44:45], v[98:99], v[36:37]
	v_fma_f64 v[34:35], -v[44:45], v[100:101], v[34:35]
	s_waitcnt lgkmcnt(7)
	v_fma_f64 v[32:33], -v[44:45], v[102:103], v[32:33]
	v_fma_f64 v[28:29], -v[44:45], v[104:105], v[28:29]
	s_waitcnt lgkmcnt(6)
	v_fma_f64 v[30:31], -v[44:45], v[106:107], v[30:31]
	v_fma_f64 v[24:25], -v[44:45], v[108:109], v[24:25]
	s_waitcnt lgkmcnt(5)
	v_fma_f64 v[26:27], -v[44:45], v[110:111], v[26:27]
	v_fma_f64 v[22:23], -v[44:45], v[112:113], v[22:23]
	s_waitcnt lgkmcnt(4)
	v_fma_f64 v[20:21], -v[44:45], v[114:115], v[20:21]
	v_fma_f64 v[18:19], -v[44:45], v[116:117], v[18:19]
	s_waitcnt lgkmcnt(3)
	v_fma_f64 v[16:17], -v[44:45], v[118:119], v[16:17]
	v_fma_f64 v[14:15], -v[44:45], v[120:121], v[14:15]
	s_waitcnt lgkmcnt(2)
	v_fma_f64 v[12:13], -v[44:45], v[122:123], v[12:13]
	v_fma_f64 v[8:9], -v[44:45], v[124:125], v[8:9]
	s_waitcnt lgkmcnt(1)
	v_fma_f64 v[10:11], -v[44:45], v[126:127], v[10:11]
	v_fma_f64 v[6:7], -v[44:45], v[128:129], v[6:7]
	s_waitcnt lgkmcnt(0)
	v_fma_f64 v[78:79], -v[44:45], v[0:1], v[78:79]
.LBB72_267:
	s_or_b32 exec_lo, exec_lo, s0
	v_lshl_add_u32 v0, v89, 3, v86
	s_barrier
	buffer_gl0_inv
	v_mov_b32_e32 v80, 16
	ds_write_b64 v0, v[46:47]
	s_waitcnt lgkmcnt(0)
	s_barrier
	buffer_gl0_inv
	ds_read_b64 v[0:1], v86 offset:128
	s_cmp_lt_i32 s7, 18
	s_cbranch_scc1 .LBB72_270
; %bb.268:
	v_add3_u32 v81, v87, 0, 0x88
	v_mov_b32_e32 v80, 16
	s_mov_b32 s0, 17
.LBB72_269:                             ; =>This Inner Loop Header: Depth=1
	ds_read_b64 v[90:91], v81
	v_add_nc_u32_e32 v81, 8, v81
	s_waitcnt lgkmcnt(0)
	v_cmp_lt_f64_e64 vcc_lo, |v[0:1]|, |v[90:91]|
	v_cndmask_b32_e32 v1, v1, v91, vcc_lo
	v_cndmask_b32_e32 v0, v0, v90, vcc_lo
	v_cndmask_b32_e64 v80, v80, s0, vcc_lo
	s_add_i32 s0, s0, 1
	s_cmp_lg_u32 s7, s0
	s_cbranch_scc1 .LBB72_269
.LBB72_270:
	s_mov_b32 s0, exec_lo
	s_waitcnt lgkmcnt(0)
	v_cmpx_eq_f64_e32 0, v[0:1]
	s_xor_b32 s0, exec_lo, s0
; %bb.271:
	v_cmp_ne_u32_e32 vcc_lo, 0, v88
	v_cndmask_b32_e32 v88, 17, v88, vcc_lo
; %bb.272:
	s_andn2_saveexec_b32 s0, s0
	s_cbranch_execz .LBB72_274
; %bb.273:
	v_div_scale_f64 v[81:82], null, v[0:1], v[0:1], 1.0
	v_rcp_f64_e32 v[90:91], v[81:82]
	v_fma_f64 v[92:93], -v[81:82], v[90:91], 1.0
	v_fma_f64 v[90:91], v[90:91], v[92:93], v[90:91]
	v_fma_f64 v[92:93], -v[81:82], v[90:91], 1.0
	v_fma_f64 v[90:91], v[90:91], v[92:93], v[90:91]
	v_div_scale_f64 v[92:93], vcc_lo, 1.0, v[0:1], 1.0
	v_mul_f64 v[94:95], v[92:93], v[90:91]
	v_fma_f64 v[81:82], -v[81:82], v[94:95], v[92:93]
	v_div_fmas_f64 v[81:82], v[81:82], v[90:91], v[94:95]
	v_div_fixup_f64 v[0:1], v[81:82], v[0:1], 1.0
.LBB72_274:
	s_or_b32 exec_lo, exec_lo, s0
	s_mov_b32 s0, exec_lo
	v_cmpx_ne_u32_e64 v89, v80
	s_xor_b32 s0, exec_lo, s0
	s_cbranch_execz .LBB72_280
; %bb.275:
	s_mov_b32 s1, exec_lo
	v_cmpx_eq_u32_e32 16, v89
	s_cbranch_execz .LBB72_279
; %bb.276:
	v_cmp_ne_u32_e32 vcc_lo, 16, v80
	s_xor_b32 s2, s6, -1
	s_and_b32 s3, s2, vcc_lo
	s_and_saveexec_b32 s2, s3
	s_cbranch_execz .LBB72_278
; %bb.277:
	v_ashrrev_i32_e32 v81, 31, v80
	v_lshlrev_b64 v[81:82], 2, v[80:81]
	v_add_co_u32 v81, vcc_lo, v4, v81
	v_add_co_ci_u32_e64 v82, null, v5, v82, vcc_lo
	s_clause 0x1
	global_load_dword v83, v[81:82], off
	global_load_dword v89, v[4:5], off offset:64
	s_waitcnt vmcnt(1)
	global_store_dword v[4:5], v83, off offset:64
	s_waitcnt vmcnt(0)
	global_store_dword v[81:82], v89, off
.LBB72_278:
	s_or_b32 exec_lo, exec_lo, s2
	v_mov_b32_e32 v83, v80
	v_mov_b32_e32 v89, v80
.LBB72_279:
	s_or_b32 exec_lo, exec_lo, s1
.LBB72_280:
	s_andn2_saveexec_b32 s0, s0
	s_cbranch_execz .LBB72_282
; %bb.281:
	v_mov_b32_e32 v89, 16
	ds_write2_b64 v86, v[42:43], v[40:41] offset0:17 offset1:18
	ds_write2_b64 v86, v[38:39], v[36:37] offset0:19 offset1:20
	;; [unrolled: 1-line block ×10, first 2 shown]
.LBB72_282:
	s_or_b32 exec_lo, exec_lo, s0
	s_mov_b32 s0, exec_lo
	s_waitcnt lgkmcnt(0)
	s_waitcnt_vscnt null, 0x0
	s_barrier
	buffer_gl0_inv
	v_cmpx_lt_i32_e32 16, v89
	s_cbranch_execz .LBB72_284
; %bb.283:
	v_mul_f64 v[46:47], v[0:1], v[46:47]
	ds_read2_b64 v[90:93], v86 offset0:17 offset1:18
	ds_read2_b64 v[94:97], v86 offset0:19 offset1:20
	;; [unrolled: 1-line block ×10, first 2 shown]
	s_waitcnt lgkmcnt(9)
	v_fma_f64 v[42:43], -v[46:47], v[90:91], v[42:43]
	v_fma_f64 v[40:41], -v[46:47], v[92:93], v[40:41]
	s_waitcnt lgkmcnt(8)
	v_fma_f64 v[38:39], -v[46:47], v[94:95], v[38:39]
	v_fma_f64 v[36:37], -v[46:47], v[96:97], v[36:37]
	;; [unrolled: 3-line block ×10, first 2 shown]
.LBB72_284:
	s_or_b32 exec_lo, exec_lo, s0
	v_lshl_add_u32 v0, v89, 3, v86
	s_barrier
	buffer_gl0_inv
	v_mov_b32_e32 v80, 17
	ds_write_b64 v0, v[42:43]
	s_waitcnt lgkmcnt(0)
	s_barrier
	buffer_gl0_inv
	ds_read_b64 v[0:1], v86 offset:136
	s_cmp_lt_i32 s7, 19
	s_cbranch_scc1 .LBB72_287
; %bb.285:
	v_add3_u32 v81, v87, 0, 0x90
	v_mov_b32_e32 v80, 17
	s_mov_b32 s0, 18
.LBB72_286:                             ; =>This Inner Loop Header: Depth=1
	ds_read_b64 v[90:91], v81
	v_add_nc_u32_e32 v81, 8, v81
	s_waitcnt lgkmcnt(0)
	v_cmp_lt_f64_e64 vcc_lo, |v[0:1]|, |v[90:91]|
	v_cndmask_b32_e32 v1, v1, v91, vcc_lo
	v_cndmask_b32_e32 v0, v0, v90, vcc_lo
	v_cndmask_b32_e64 v80, v80, s0, vcc_lo
	s_add_i32 s0, s0, 1
	s_cmp_lg_u32 s7, s0
	s_cbranch_scc1 .LBB72_286
.LBB72_287:
	s_mov_b32 s0, exec_lo
	s_waitcnt lgkmcnt(0)
	v_cmpx_eq_f64_e32 0, v[0:1]
	s_xor_b32 s0, exec_lo, s0
; %bb.288:
	v_cmp_ne_u32_e32 vcc_lo, 0, v88
	v_cndmask_b32_e32 v88, 18, v88, vcc_lo
; %bb.289:
	s_andn2_saveexec_b32 s0, s0
	s_cbranch_execz .LBB72_291
; %bb.290:
	v_div_scale_f64 v[81:82], null, v[0:1], v[0:1], 1.0
	v_rcp_f64_e32 v[90:91], v[81:82]
	v_fma_f64 v[92:93], -v[81:82], v[90:91], 1.0
	v_fma_f64 v[90:91], v[90:91], v[92:93], v[90:91]
	v_fma_f64 v[92:93], -v[81:82], v[90:91], 1.0
	v_fma_f64 v[90:91], v[90:91], v[92:93], v[90:91]
	v_div_scale_f64 v[92:93], vcc_lo, 1.0, v[0:1], 1.0
	v_mul_f64 v[94:95], v[92:93], v[90:91]
	v_fma_f64 v[81:82], -v[81:82], v[94:95], v[92:93]
	v_div_fmas_f64 v[81:82], v[81:82], v[90:91], v[94:95]
	v_div_fixup_f64 v[0:1], v[81:82], v[0:1], 1.0
.LBB72_291:
	s_or_b32 exec_lo, exec_lo, s0
	s_mov_b32 s0, exec_lo
	v_cmpx_ne_u32_e64 v89, v80
	s_xor_b32 s0, exec_lo, s0
	s_cbranch_execz .LBB72_297
; %bb.292:
	s_mov_b32 s1, exec_lo
	v_cmpx_eq_u32_e32 17, v89
	s_cbranch_execz .LBB72_296
; %bb.293:
	v_cmp_ne_u32_e32 vcc_lo, 17, v80
	s_xor_b32 s2, s6, -1
	s_and_b32 s3, s2, vcc_lo
	s_and_saveexec_b32 s2, s3
	s_cbranch_execz .LBB72_295
; %bb.294:
	v_ashrrev_i32_e32 v81, 31, v80
	v_lshlrev_b64 v[81:82], 2, v[80:81]
	v_add_co_u32 v81, vcc_lo, v4, v81
	v_add_co_ci_u32_e64 v82, null, v5, v82, vcc_lo
	s_clause 0x1
	global_load_dword v83, v[81:82], off
	global_load_dword v89, v[4:5], off offset:68
	s_waitcnt vmcnt(1)
	global_store_dword v[4:5], v83, off offset:68
	s_waitcnt vmcnt(0)
	global_store_dword v[81:82], v89, off
.LBB72_295:
	s_or_b32 exec_lo, exec_lo, s2
	v_mov_b32_e32 v83, v80
	v_mov_b32_e32 v89, v80
.LBB72_296:
	s_or_b32 exec_lo, exec_lo, s1
.LBB72_297:
	s_andn2_saveexec_b32 s0, s0
	s_cbranch_execz .LBB72_299
; %bb.298:
	v_mov_b32_e32 v80, v40
	v_mov_b32_e32 v81, v41
	;; [unrolled: 1-line block ×20, first 2 shown]
	ds_write2_b64 v86, v[80:81], v[89:90] offset0:18 offset1:19
	ds_write2_b64 v86, v[91:92], v[93:94] offset0:20 offset1:21
	;; [unrolled: 1-line block ×5, first 2 shown]
	v_mov_b32_e32 v80, v20
	v_mov_b32_e32 v81, v21
	;; [unrolled: 1-line block ×8, first 2 shown]
	ds_write2_b64 v86, v[80:81], v[89:90] offset0:28 offset1:29
	v_mov_b32_e32 v89, 17
	v_mov_b32_e32 v95, v12
	;; [unrolled: 1-line block ×9, first 2 shown]
	ds_write2_b64 v86, v[91:92], v[93:94] offset0:30 offset1:31
	ds_write2_b64 v86, v[95:96], v[97:98] offset0:32 offset1:33
	;; [unrolled: 1-line block ×3, first 2 shown]
	ds_write_b64 v86, v[78:79] offset:288
.LBB72_299:
	s_or_b32 exec_lo, exec_lo, s0
	s_mov_b32 s0, exec_lo
	s_waitcnt lgkmcnt(0)
	s_waitcnt_vscnt null, 0x0
	s_barrier
	buffer_gl0_inv
	v_cmpx_lt_i32_e32 17, v89
	s_cbranch_execz .LBB72_301
; %bb.300:
	v_mul_f64 v[42:43], v[0:1], v[42:43]
	ds_read2_b64 v[90:93], v86 offset0:18 offset1:19
	ds_read2_b64 v[94:97], v86 offset0:20 offset1:21
	;; [unrolled: 1-line block ×9, first 2 shown]
	ds_read_b64 v[0:1], v86 offset:288
	s_waitcnt lgkmcnt(9)
	v_fma_f64 v[40:41], -v[42:43], v[90:91], v[40:41]
	v_fma_f64 v[38:39], -v[42:43], v[92:93], v[38:39]
	s_waitcnt lgkmcnt(8)
	v_fma_f64 v[36:37], -v[42:43], v[94:95], v[36:37]
	v_fma_f64 v[34:35], -v[42:43], v[96:97], v[34:35]
	;; [unrolled: 3-line block ×9, first 2 shown]
	s_waitcnt lgkmcnt(0)
	v_fma_f64 v[78:79], -v[42:43], v[0:1], v[78:79]
.LBB72_301:
	s_or_b32 exec_lo, exec_lo, s0
	v_lshl_add_u32 v0, v89, 3, v86
	s_barrier
	buffer_gl0_inv
	v_mov_b32_e32 v80, 18
	ds_write_b64 v0, v[40:41]
	s_waitcnt lgkmcnt(0)
	s_barrier
	buffer_gl0_inv
	ds_read_b64 v[0:1], v86 offset:144
	s_cmp_lt_i32 s7, 20
	s_cbranch_scc1 .LBB72_304
; %bb.302:
	v_add3_u32 v81, v87, 0, 0x98
	v_mov_b32_e32 v80, 18
	s_mov_b32 s0, 19
.LBB72_303:                             ; =>This Inner Loop Header: Depth=1
	ds_read_b64 v[90:91], v81
	v_add_nc_u32_e32 v81, 8, v81
	s_waitcnt lgkmcnt(0)
	v_cmp_lt_f64_e64 vcc_lo, |v[0:1]|, |v[90:91]|
	v_cndmask_b32_e32 v1, v1, v91, vcc_lo
	v_cndmask_b32_e32 v0, v0, v90, vcc_lo
	v_cndmask_b32_e64 v80, v80, s0, vcc_lo
	s_add_i32 s0, s0, 1
	s_cmp_lg_u32 s7, s0
	s_cbranch_scc1 .LBB72_303
.LBB72_304:
	s_mov_b32 s0, exec_lo
	s_waitcnt lgkmcnt(0)
	v_cmpx_eq_f64_e32 0, v[0:1]
	s_xor_b32 s0, exec_lo, s0
; %bb.305:
	v_cmp_ne_u32_e32 vcc_lo, 0, v88
	v_cndmask_b32_e32 v88, 19, v88, vcc_lo
; %bb.306:
	s_andn2_saveexec_b32 s0, s0
	s_cbranch_execz .LBB72_308
; %bb.307:
	v_div_scale_f64 v[81:82], null, v[0:1], v[0:1], 1.0
	v_rcp_f64_e32 v[90:91], v[81:82]
	v_fma_f64 v[92:93], -v[81:82], v[90:91], 1.0
	v_fma_f64 v[90:91], v[90:91], v[92:93], v[90:91]
	v_fma_f64 v[92:93], -v[81:82], v[90:91], 1.0
	v_fma_f64 v[90:91], v[90:91], v[92:93], v[90:91]
	v_div_scale_f64 v[92:93], vcc_lo, 1.0, v[0:1], 1.0
	v_mul_f64 v[94:95], v[92:93], v[90:91]
	v_fma_f64 v[81:82], -v[81:82], v[94:95], v[92:93]
	v_div_fmas_f64 v[81:82], v[81:82], v[90:91], v[94:95]
	v_div_fixup_f64 v[0:1], v[81:82], v[0:1], 1.0
.LBB72_308:
	s_or_b32 exec_lo, exec_lo, s0
	s_mov_b32 s0, exec_lo
	v_cmpx_ne_u32_e64 v89, v80
	s_xor_b32 s0, exec_lo, s0
	s_cbranch_execz .LBB72_314
; %bb.309:
	s_mov_b32 s1, exec_lo
	v_cmpx_eq_u32_e32 18, v89
	s_cbranch_execz .LBB72_313
; %bb.310:
	v_cmp_ne_u32_e32 vcc_lo, 18, v80
	s_xor_b32 s2, s6, -1
	s_and_b32 s3, s2, vcc_lo
	s_and_saveexec_b32 s2, s3
	s_cbranch_execz .LBB72_312
; %bb.311:
	v_ashrrev_i32_e32 v81, 31, v80
	v_lshlrev_b64 v[81:82], 2, v[80:81]
	v_add_co_u32 v81, vcc_lo, v4, v81
	v_add_co_ci_u32_e64 v82, null, v5, v82, vcc_lo
	s_clause 0x1
	global_load_dword v83, v[81:82], off
	global_load_dword v89, v[4:5], off offset:72
	s_waitcnt vmcnt(1)
	global_store_dword v[4:5], v83, off offset:72
	s_waitcnt vmcnt(0)
	global_store_dword v[81:82], v89, off
.LBB72_312:
	s_or_b32 exec_lo, exec_lo, s2
	v_mov_b32_e32 v83, v80
	v_mov_b32_e32 v89, v80
.LBB72_313:
	s_or_b32 exec_lo, exec_lo, s1
.LBB72_314:
	s_andn2_saveexec_b32 s0, s0
	s_cbranch_execz .LBB72_316
; %bb.315:
	v_mov_b32_e32 v89, 18
	ds_write2_b64 v86, v[38:39], v[36:37] offset0:19 offset1:20
	ds_write2_b64 v86, v[34:35], v[32:33] offset0:21 offset1:22
	;; [unrolled: 1-line block ×9, first 2 shown]
.LBB72_316:
	s_or_b32 exec_lo, exec_lo, s0
	s_mov_b32 s0, exec_lo
	s_waitcnt lgkmcnt(0)
	s_waitcnt_vscnt null, 0x0
	s_barrier
	buffer_gl0_inv
	v_cmpx_lt_i32_e32 18, v89
	s_cbranch_execz .LBB72_318
; %bb.317:
	v_mul_f64 v[40:41], v[0:1], v[40:41]
	ds_read2_b64 v[90:93], v86 offset0:19 offset1:20
	ds_read2_b64 v[94:97], v86 offset0:21 offset1:22
	;; [unrolled: 1-line block ×9, first 2 shown]
	s_waitcnt lgkmcnt(8)
	v_fma_f64 v[38:39], -v[40:41], v[90:91], v[38:39]
	v_fma_f64 v[36:37], -v[40:41], v[92:93], v[36:37]
	s_waitcnt lgkmcnt(7)
	v_fma_f64 v[34:35], -v[40:41], v[94:95], v[34:35]
	v_fma_f64 v[32:33], -v[40:41], v[96:97], v[32:33]
	;; [unrolled: 3-line block ×9, first 2 shown]
.LBB72_318:
	s_or_b32 exec_lo, exec_lo, s0
	v_lshl_add_u32 v0, v89, 3, v86
	s_barrier
	buffer_gl0_inv
	v_mov_b32_e32 v80, 19
	ds_write_b64 v0, v[38:39]
	s_waitcnt lgkmcnt(0)
	s_barrier
	buffer_gl0_inv
	ds_read_b64 v[0:1], v86 offset:152
	s_cmp_lt_i32 s7, 21
	s_cbranch_scc1 .LBB72_321
; %bb.319:
	v_add3_u32 v81, v87, 0, 0xa0
	v_mov_b32_e32 v80, 19
	s_mov_b32 s0, 20
.LBB72_320:                             ; =>This Inner Loop Header: Depth=1
	ds_read_b64 v[90:91], v81
	v_add_nc_u32_e32 v81, 8, v81
	s_waitcnt lgkmcnt(0)
	v_cmp_lt_f64_e64 vcc_lo, |v[0:1]|, |v[90:91]|
	v_cndmask_b32_e32 v1, v1, v91, vcc_lo
	v_cndmask_b32_e32 v0, v0, v90, vcc_lo
	v_cndmask_b32_e64 v80, v80, s0, vcc_lo
	s_add_i32 s0, s0, 1
	s_cmp_lg_u32 s7, s0
	s_cbranch_scc1 .LBB72_320
.LBB72_321:
	s_mov_b32 s0, exec_lo
	s_waitcnt lgkmcnt(0)
	v_cmpx_eq_f64_e32 0, v[0:1]
	s_xor_b32 s0, exec_lo, s0
; %bb.322:
	v_cmp_ne_u32_e32 vcc_lo, 0, v88
	v_cndmask_b32_e32 v88, 20, v88, vcc_lo
; %bb.323:
	s_andn2_saveexec_b32 s0, s0
	s_cbranch_execz .LBB72_325
; %bb.324:
	v_div_scale_f64 v[81:82], null, v[0:1], v[0:1], 1.0
	v_rcp_f64_e32 v[90:91], v[81:82]
	v_fma_f64 v[92:93], -v[81:82], v[90:91], 1.0
	v_fma_f64 v[90:91], v[90:91], v[92:93], v[90:91]
	v_fma_f64 v[92:93], -v[81:82], v[90:91], 1.0
	v_fma_f64 v[90:91], v[90:91], v[92:93], v[90:91]
	v_div_scale_f64 v[92:93], vcc_lo, 1.0, v[0:1], 1.0
	v_mul_f64 v[94:95], v[92:93], v[90:91]
	v_fma_f64 v[81:82], -v[81:82], v[94:95], v[92:93]
	v_div_fmas_f64 v[81:82], v[81:82], v[90:91], v[94:95]
	v_div_fixup_f64 v[0:1], v[81:82], v[0:1], 1.0
.LBB72_325:
	s_or_b32 exec_lo, exec_lo, s0
	s_mov_b32 s0, exec_lo
	v_cmpx_ne_u32_e64 v89, v80
	s_xor_b32 s0, exec_lo, s0
	s_cbranch_execz .LBB72_331
; %bb.326:
	s_mov_b32 s1, exec_lo
	v_cmpx_eq_u32_e32 19, v89
	s_cbranch_execz .LBB72_330
; %bb.327:
	v_cmp_ne_u32_e32 vcc_lo, 19, v80
	s_xor_b32 s2, s6, -1
	s_and_b32 s3, s2, vcc_lo
	s_and_saveexec_b32 s2, s3
	s_cbranch_execz .LBB72_329
; %bb.328:
	v_ashrrev_i32_e32 v81, 31, v80
	v_lshlrev_b64 v[81:82], 2, v[80:81]
	v_add_co_u32 v81, vcc_lo, v4, v81
	v_add_co_ci_u32_e64 v82, null, v5, v82, vcc_lo
	s_clause 0x1
	global_load_dword v83, v[81:82], off
	global_load_dword v89, v[4:5], off offset:76
	s_waitcnt vmcnt(1)
	global_store_dword v[4:5], v83, off offset:76
	s_waitcnt vmcnt(0)
	global_store_dword v[81:82], v89, off
.LBB72_329:
	s_or_b32 exec_lo, exec_lo, s2
	v_mov_b32_e32 v83, v80
	v_mov_b32_e32 v89, v80
.LBB72_330:
	s_or_b32 exec_lo, exec_lo, s1
.LBB72_331:
	s_andn2_saveexec_b32 s0, s0
	s_cbranch_execz .LBB72_333
; %bb.332:
	v_mov_b32_e32 v80, v36
	v_mov_b32_e32 v81, v37
	;; [unrolled: 1-line block ×16, first 2 shown]
	ds_write2_b64 v86, v[80:81], v[89:90] offset0:20 offset1:21
	ds_write2_b64 v86, v[91:92], v[93:94] offset0:22 offset1:23
	;; [unrolled: 1-line block ×4, first 2 shown]
	v_mov_b32_e32 v80, v20
	v_mov_b32_e32 v81, v21
	;; [unrolled: 1-line block ×8, first 2 shown]
	ds_write2_b64 v86, v[80:81], v[89:90] offset0:28 offset1:29
	v_mov_b32_e32 v89, 19
	v_mov_b32_e32 v95, v12
	;; [unrolled: 1-line block ×9, first 2 shown]
	ds_write2_b64 v86, v[91:92], v[93:94] offset0:30 offset1:31
	ds_write2_b64 v86, v[95:96], v[97:98] offset0:32 offset1:33
	;; [unrolled: 1-line block ×3, first 2 shown]
	ds_write_b64 v86, v[78:79] offset:288
.LBB72_333:
	s_or_b32 exec_lo, exec_lo, s0
	s_mov_b32 s0, exec_lo
	s_waitcnt lgkmcnt(0)
	s_waitcnt_vscnt null, 0x0
	s_barrier
	buffer_gl0_inv
	v_cmpx_lt_i32_e32 19, v89
	s_cbranch_execz .LBB72_335
; %bb.334:
	v_mul_f64 v[38:39], v[0:1], v[38:39]
	ds_read2_b64 v[90:93], v86 offset0:20 offset1:21
	ds_read2_b64 v[94:97], v86 offset0:22 offset1:23
	;; [unrolled: 1-line block ×8, first 2 shown]
	ds_read_b64 v[0:1], v86 offset:288
	s_waitcnt lgkmcnt(8)
	v_fma_f64 v[36:37], -v[38:39], v[90:91], v[36:37]
	v_fma_f64 v[34:35], -v[38:39], v[92:93], v[34:35]
	s_waitcnt lgkmcnt(7)
	v_fma_f64 v[32:33], -v[38:39], v[94:95], v[32:33]
	v_fma_f64 v[28:29], -v[38:39], v[96:97], v[28:29]
	;; [unrolled: 3-line block ×8, first 2 shown]
	s_waitcnt lgkmcnt(0)
	v_fma_f64 v[78:79], -v[38:39], v[0:1], v[78:79]
.LBB72_335:
	s_or_b32 exec_lo, exec_lo, s0
	v_lshl_add_u32 v0, v89, 3, v86
	s_barrier
	buffer_gl0_inv
	v_mov_b32_e32 v80, 20
	ds_write_b64 v0, v[36:37]
	s_waitcnt lgkmcnt(0)
	s_barrier
	buffer_gl0_inv
	ds_read_b64 v[0:1], v86 offset:160
	s_cmp_lt_i32 s7, 22
	s_cbranch_scc1 .LBB72_338
; %bb.336:
	v_add3_u32 v81, v87, 0, 0xa8
	v_mov_b32_e32 v80, 20
	s_mov_b32 s0, 21
.LBB72_337:                             ; =>This Inner Loop Header: Depth=1
	ds_read_b64 v[90:91], v81
	v_add_nc_u32_e32 v81, 8, v81
	s_waitcnt lgkmcnt(0)
	v_cmp_lt_f64_e64 vcc_lo, |v[0:1]|, |v[90:91]|
	v_cndmask_b32_e32 v1, v1, v91, vcc_lo
	v_cndmask_b32_e32 v0, v0, v90, vcc_lo
	v_cndmask_b32_e64 v80, v80, s0, vcc_lo
	s_add_i32 s0, s0, 1
	s_cmp_lg_u32 s7, s0
	s_cbranch_scc1 .LBB72_337
.LBB72_338:
	s_mov_b32 s0, exec_lo
	s_waitcnt lgkmcnt(0)
	v_cmpx_eq_f64_e32 0, v[0:1]
	s_xor_b32 s0, exec_lo, s0
; %bb.339:
	v_cmp_ne_u32_e32 vcc_lo, 0, v88
	v_cndmask_b32_e32 v88, 21, v88, vcc_lo
; %bb.340:
	s_andn2_saveexec_b32 s0, s0
	s_cbranch_execz .LBB72_342
; %bb.341:
	v_div_scale_f64 v[81:82], null, v[0:1], v[0:1], 1.0
	v_rcp_f64_e32 v[90:91], v[81:82]
	v_fma_f64 v[92:93], -v[81:82], v[90:91], 1.0
	v_fma_f64 v[90:91], v[90:91], v[92:93], v[90:91]
	v_fma_f64 v[92:93], -v[81:82], v[90:91], 1.0
	v_fma_f64 v[90:91], v[90:91], v[92:93], v[90:91]
	v_div_scale_f64 v[92:93], vcc_lo, 1.0, v[0:1], 1.0
	v_mul_f64 v[94:95], v[92:93], v[90:91]
	v_fma_f64 v[81:82], -v[81:82], v[94:95], v[92:93]
	v_div_fmas_f64 v[81:82], v[81:82], v[90:91], v[94:95]
	v_div_fixup_f64 v[0:1], v[81:82], v[0:1], 1.0
.LBB72_342:
	s_or_b32 exec_lo, exec_lo, s0
	s_mov_b32 s0, exec_lo
	v_cmpx_ne_u32_e64 v89, v80
	s_xor_b32 s0, exec_lo, s0
	s_cbranch_execz .LBB72_348
; %bb.343:
	s_mov_b32 s1, exec_lo
	v_cmpx_eq_u32_e32 20, v89
	s_cbranch_execz .LBB72_347
; %bb.344:
	v_cmp_ne_u32_e32 vcc_lo, 20, v80
	s_xor_b32 s2, s6, -1
	s_and_b32 s3, s2, vcc_lo
	s_and_saveexec_b32 s2, s3
	s_cbranch_execz .LBB72_346
; %bb.345:
	v_ashrrev_i32_e32 v81, 31, v80
	v_lshlrev_b64 v[81:82], 2, v[80:81]
	v_add_co_u32 v81, vcc_lo, v4, v81
	v_add_co_ci_u32_e64 v82, null, v5, v82, vcc_lo
	s_clause 0x1
	global_load_dword v83, v[81:82], off
	global_load_dword v89, v[4:5], off offset:80
	s_waitcnt vmcnt(1)
	global_store_dword v[4:5], v83, off offset:80
	s_waitcnt vmcnt(0)
	global_store_dword v[81:82], v89, off
.LBB72_346:
	s_or_b32 exec_lo, exec_lo, s2
	v_mov_b32_e32 v83, v80
	v_mov_b32_e32 v89, v80
.LBB72_347:
	s_or_b32 exec_lo, exec_lo, s1
.LBB72_348:
	s_andn2_saveexec_b32 s0, s0
	s_cbranch_execz .LBB72_350
; %bb.349:
	v_mov_b32_e32 v89, 20
	ds_write2_b64 v86, v[34:35], v[32:33] offset0:21 offset1:22
	ds_write2_b64 v86, v[28:29], v[30:31] offset0:23 offset1:24
	;; [unrolled: 1-line block ×8, first 2 shown]
.LBB72_350:
	s_or_b32 exec_lo, exec_lo, s0
	s_mov_b32 s0, exec_lo
	s_waitcnt lgkmcnt(0)
	s_waitcnt_vscnt null, 0x0
	s_barrier
	buffer_gl0_inv
	v_cmpx_lt_i32_e32 20, v89
	s_cbranch_execz .LBB72_352
; %bb.351:
	v_mul_f64 v[36:37], v[0:1], v[36:37]
	ds_read2_b64 v[90:93], v86 offset0:21 offset1:22
	ds_read2_b64 v[94:97], v86 offset0:23 offset1:24
	;; [unrolled: 1-line block ×8, first 2 shown]
	s_waitcnt lgkmcnt(7)
	v_fma_f64 v[34:35], -v[36:37], v[90:91], v[34:35]
	v_fma_f64 v[32:33], -v[36:37], v[92:93], v[32:33]
	s_waitcnt lgkmcnt(6)
	v_fma_f64 v[28:29], -v[36:37], v[94:95], v[28:29]
	v_fma_f64 v[30:31], -v[36:37], v[96:97], v[30:31]
	;; [unrolled: 3-line block ×8, first 2 shown]
.LBB72_352:
	s_or_b32 exec_lo, exec_lo, s0
	v_lshl_add_u32 v0, v89, 3, v86
	s_barrier
	buffer_gl0_inv
	v_mov_b32_e32 v80, 21
	ds_write_b64 v0, v[34:35]
	s_waitcnt lgkmcnt(0)
	s_barrier
	buffer_gl0_inv
	ds_read_b64 v[0:1], v86 offset:168
	s_cmp_lt_i32 s7, 23
	s_cbranch_scc1 .LBB72_355
; %bb.353:
	v_add3_u32 v81, v87, 0, 0xb0
	v_mov_b32_e32 v80, 21
	s_mov_b32 s0, 22
.LBB72_354:                             ; =>This Inner Loop Header: Depth=1
	ds_read_b64 v[90:91], v81
	v_add_nc_u32_e32 v81, 8, v81
	s_waitcnt lgkmcnt(0)
	v_cmp_lt_f64_e64 vcc_lo, |v[0:1]|, |v[90:91]|
	v_cndmask_b32_e32 v1, v1, v91, vcc_lo
	v_cndmask_b32_e32 v0, v0, v90, vcc_lo
	v_cndmask_b32_e64 v80, v80, s0, vcc_lo
	s_add_i32 s0, s0, 1
	s_cmp_lg_u32 s7, s0
	s_cbranch_scc1 .LBB72_354
.LBB72_355:
	s_mov_b32 s0, exec_lo
	s_waitcnt lgkmcnt(0)
	v_cmpx_eq_f64_e32 0, v[0:1]
	s_xor_b32 s0, exec_lo, s0
; %bb.356:
	v_cmp_ne_u32_e32 vcc_lo, 0, v88
	v_cndmask_b32_e32 v88, 22, v88, vcc_lo
; %bb.357:
	s_andn2_saveexec_b32 s0, s0
	s_cbranch_execz .LBB72_359
; %bb.358:
	v_div_scale_f64 v[81:82], null, v[0:1], v[0:1], 1.0
	v_rcp_f64_e32 v[90:91], v[81:82]
	v_fma_f64 v[92:93], -v[81:82], v[90:91], 1.0
	v_fma_f64 v[90:91], v[90:91], v[92:93], v[90:91]
	v_fma_f64 v[92:93], -v[81:82], v[90:91], 1.0
	v_fma_f64 v[90:91], v[90:91], v[92:93], v[90:91]
	v_div_scale_f64 v[92:93], vcc_lo, 1.0, v[0:1], 1.0
	v_mul_f64 v[94:95], v[92:93], v[90:91]
	v_fma_f64 v[81:82], -v[81:82], v[94:95], v[92:93]
	v_div_fmas_f64 v[81:82], v[81:82], v[90:91], v[94:95]
	v_div_fixup_f64 v[0:1], v[81:82], v[0:1], 1.0
.LBB72_359:
	s_or_b32 exec_lo, exec_lo, s0
	s_mov_b32 s0, exec_lo
	v_cmpx_ne_u32_e64 v89, v80
	s_xor_b32 s0, exec_lo, s0
	s_cbranch_execz .LBB72_365
; %bb.360:
	s_mov_b32 s1, exec_lo
	v_cmpx_eq_u32_e32 21, v89
	s_cbranch_execz .LBB72_364
; %bb.361:
	v_cmp_ne_u32_e32 vcc_lo, 21, v80
	s_xor_b32 s2, s6, -1
	s_and_b32 s3, s2, vcc_lo
	s_and_saveexec_b32 s2, s3
	s_cbranch_execz .LBB72_363
; %bb.362:
	v_ashrrev_i32_e32 v81, 31, v80
	v_lshlrev_b64 v[81:82], 2, v[80:81]
	v_add_co_u32 v81, vcc_lo, v4, v81
	v_add_co_ci_u32_e64 v82, null, v5, v82, vcc_lo
	s_clause 0x1
	global_load_dword v83, v[81:82], off
	global_load_dword v89, v[4:5], off offset:84
	s_waitcnt vmcnt(1)
	global_store_dword v[4:5], v83, off offset:84
	s_waitcnt vmcnt(0)
	global_store_dword v[81:82], v89, off
.LBB72_363:
	s_or_b32 exec_lo, exec_lo, s2
	v_mov_b32_e32 v83, v80
	v_mov_b32_e32 v89, v80
.LBB72_364:
	s_or_b32 exec_lo, exec_lo, s1
.LBB72_365:
	s_andn2_saveexec_b32 s0, s0
	s_cbranch_execz .LBB72_367
; %bb.366:
	v_mov_b32_e32 v80, v32
	v_mov_b32_e32 v81, v33
	;; [unrolled: 1-line block ×12, first 2 shown]
	ds_write2_b64 v86, v[80:81], v[89:90] offset0:22 offset1:23
	ds_write2_b64 v86, v[91:92], v[93:94] offset0:24 offset1:25
	;; [unrolled: 1-line block ×3, first 2 shown]
	v_mov_b32_e32 v80, v20
	v_mov_b32_e32 v81, v21
	;; [unrolled: 1-line block ×8, first 2 shown]
	ds_write2_b64 v86, v[80:81], v[89:90] offset0:28 offset1:29
	v_mov_b32_e32 v89, 21
	v_mov_b32_e32 v95, v12
	;; [unrolled: 1-line block ×9, first 2 shown]
	ds_write2_b64 v86, v[91:92], v[93:94] offset0:30 offset1:31
	ds_write2_b64 v86, v[95:96], v[97:98] offset0:32 offset1:33
	;; [unrolled: 1-line block ×3, first 2 shown]
	ds_write_b64 v86, v[78:79] offset:288
.LBB72_367:
	s_or_b32 exec_lo, exec_lo, s0
	s_mov_b32 s0, exec_lo
	s_waitcnt lgkmcnt(0)
	s_waitcnt_vscnt null, 0x0
	s_barrier
	buffer_gl0_inv
	v_cmpx_lt_i32_e32 21, v89
	s_cbranch_execz .LBB72_369
; %bb.368:
	v_mul_f64 v[34:35], v[0:1], v[34:35]
	ds_read2_b64 v[90:93], v86 offset0:22 offset1:23
	ds_read2_b64 v[94:97], v86 offset0:24 offset1:25
	;; [unrolled: 1-line block ×7, first 2 shown]
	ds_read_b64 v[0:1], v86 offset:288
	s_waitcnt lgkmcnt(7)
	v_fma_f64 v[32:33], -v[34:35], v[90:91], v[32:33]
	v_fma_f64 v[28:29], -v[34:35], v[92:93], v[28:29]
	s_waitcnt lgkmcnt(6)
	v_fma_f64 v[30:31], -v[34:35], v[94:95], v[30:31]
	v_fma_f64 v[24:25], -v[34:35], v[96:97], v[24:25]
	;; [unrolled: 3-line block ×7, first 2 shown]
	s_waitcnt lgkmcnt(0)
	v_fma_f64 v[78:79], -v[34:35], v[0:1], v[78:79]
.LBB72_369:
	s_or_b32 exec_lo, exec_lo, s0
	v_lshl_add_u32 v0, v89, 3, v86
	s_barrier
	buffer_gl0_inv
	v_mov_b32_e32 v80, 22
	ds_write_b64 v0, v[32:33]
	s_waitcnt lgkmcnt(0)
	s_barrier
	buffer_gl0_inv
	ds_read_b64 v[0:1], v86 offset:176
	s_cmp_lt_i32 s7, 24
	s_cbranch_scc1 .LBB72_372
; %bb.370:
	v_add3_u32 v81, v87, 0, 0xb8
	v_mov_b32_e32 v80, 22
	s_mov_b32 s0, 23
.LBB72_371:                             ; =>This Inner Loop Header: Depth=1
	ds_read_b64 v[90:91], v81
	v_add_nc_u32_e32 v81, 8, v81
	s_waitcnt lgkmcnt(0)
	v_cmp_lt_f64_e64 vcc_lo, |v[0:1]|, |v[90:91]|
	v_cndmask_b32_e32 v1, v1, v91, vcc_lo
	v_cndmask_b32_e32 v0, v0, v90, vcc_lo
	v_cndmask_b32_e64 v80, v80, s0, vcc_lo
	s_add_i32 s0, s0, 1
	s_cmp_lg_u32 s7, s0
	s_cbranch_scc1 .LBB72_371
.LBB72_372:
	s_mov_b32 s0, exec_lo
	s_waitcnt lgkmcnt(0)
	v_cmpx_eq_f64_e32 0, v[0:1]
	s_xor_b32 s0, exec_lo, s0
; %bb.373:
	v_cmp_ne_u32_e32 vcc_lo, 0, v88
	v_cndmask_b32_e32 v88, 23, v88, vcc_lo
; %bb.374:
	s_andn2_saveexec_b32 s0, s0
	s_cbranch_execz .LBB72_376
; %bb.375:
	v_div_scale_f64 v[81:82], null, v[0:1], v[0:1], 1.0
	v_rcp_f64_e32 v[90:91], v[81:82]
	v_fma_f64 v[92:93], -v[81:82], v[90:91], 1.0
	v_fma_f64 v[90:91], v[90:91], v[92:93], v[90:91]
	v_fma_f64 v[92:93], -v[81:82], v[90:91], 1.0
	v_fma_f64 v[90:91], v[90:91], v[92:93], v[90:91]
	v_div_scale_f64 v[92:93], vcc_lo, 1.0, v[0:1], 1.0
	v_mul_f64 v[94:95], v[92:93], v[90:91]
	v_fma_f64 v[81:82], -v[81:82], v[94:95], v[92:93]
	v_div_fmas_f64 v[81:82], v[81:82], v[90:91], v[94:95]
	v_div_fixup_f64 v[0:1], v[81:82], v[0:1], 1.0
.LBB72_376:
	s_or_b32 exec_lo, exec_lo, s0
	s_mov_b32 s0, exec_lo
	v_cmpx_ne_u32_e64 v89, v80
	s_xor_b32 s0, exec_lo, s0
	s_cbranch_execz .LBB72_382
; %bb.377:
	s_mov_b32 s1, exec_lo
	v_cmpx_eq_u32_e32 22, v89
	s_cbranch_execz .LBB72_381
; %bb.378:
	v_cmp_ne_u32_e32 vcc_lo, 22, v80
	s_xor_b32 s2, s6, -1
	s_and_b32 s3, s2, vcc_lo
	s_and_saveexec_b32 s2, s3
	s_cbranch_execz .LBB72_380
; %bb.379:
	v_ashrrev_i32_e32 v81, 31, v80
	v_lshlrev_b64 v[81:82], 2, v[80:81]
	v_add_co_u32 v81, vcc_lo, v4, v81
	v_add_co_ci_u32_e64 v82, null, v5, v82, vcc_lo
	s_clause 0x1
	global_load_dword v83, v[81:82], off
	global_load_dword v89, v[4:5], off offset:88
	s_waitcnt vmcnt(1)
	global_store_dword v[4:5], v83, off offset:88
	s_waitcnt vmcnt(0)
	global_store_dword v[81:82], v89, off
.LBB72_380:
	s_or_b32 exec_lo, exec_lo, s2
	v_mov_b32_e32 v83, v80
	v_mov_b32_e32 v89, v80
.LBB72_381:
	s_or_b32 exec_lo, exec_lo, s1
.LBB72_382:
	s_andn2_saveexec_b32 s0, s0
	s_cbranch_execz .LBB72_384
; %bb.383:
	v_mov_b32_e32 v89, 22
	ds_write2_b64 v86, v[28:29], v[30:31] offset0:23 offset1:24
	ds_write2_b64 v86, v[24:25], v[26:27] offset0:25 offset1:26
	ds_write2_b64 v86, v[22:23], v[20:21] offset0:27 offset1:28
	ds_write2_b64 v86, v[18:19], v[16:17] offset0:29 offset1:30
	ds_write2_b64 v86, v[14:15], v[12:13] offset0:31 offset1:32
	ds_write2_b64 v86, v[8:9], v[10:11] offset0:33 offset1:34
	ds_write2_b64 v86, v[6:7], v[78:79] offset0:35 offset1:36
.LBB72_384:
	s_or_b32 exec_lo, exec_lo, s0
	s_mov_b32 s0, exec_lo
	s_waitcnt lgkmcnt(0)
	s_waitcnt_vscnt null, 0x0
	s_barrier
	buffer_gl0_inv
	v_cmpx_lt_i32_e32 22, v89
	s_cbranch_execz .LBB72_386
; %bb.385:
	v_mul_f64 v[32:33], v[0:1], v[32:33]
	ds_read2_b64 v[90:93], v86 offset0:23 offset1:24
	ds_read2_b64 v[94:97], v86 offset0:25 offset1:26
	;; [unrolled: 1-line block ×7, first 2 shown]
	s_waitcnt lgkmcnt(6)
	v_fma_f64 v[28:29], -v[32:33], v[90:91], v[28:29]
	v_fma_f64 v[30:31], -v[32:33], v[92:93], v[30:31]
	s_waitcnt lgkmcnt(5)
	v_fma_f64 v[24:25], -v[32:33], v[94:95], v[24:25]
	v_fma_f64 v[26:27], -v[32:33], v[96:97], v[26:27]
	;; [unrolled: 3-line block ×7, first 2 shown]
.LBB72_386:
	s_or_b32 exec_lo, exec_lo, s0
	v_lshl_add_u32 v0, v89, 3, v86
	s_barrier
	buffer_gl0_inv
	v_mov_b32_e32 v80, 23
	ds_write_b64 v0, v[28:29]
	s_waitcnt lgkmcnt(0)
	s_barrier
	buffer_gl0_inv
	ds_read_b64 v[0:1], v86 offset:184
	s_cmp_lt_i32 s7, 25
	s_cbranch_scc1 .LBB72_389
; %bb.387:
	v_add3_u32 v81, v87, 0, 0xc0
	v_mov_b32_e32 v80, 23
	s_mov_b32 s0, 24
.LBB72_388:                             ; =>This Inner Loop Header: Depth=1
	ds_read_b64 v[90:91], v81
	v_add_nc_u32_e32 v81, 8, v81
	s_waitcnt lgkmcnt(0)
	v_cmp_lt_f64_e64 vcc_lo, |v[0:1]|, |v[90:91]|
	v_cndmask_b32_e32 v1, v1, v91, vcc_lo
	v_cndmask_b32_e32 v0, v0, v90, vcc_lo
	v_cndmask_b32_e64 v80, v80, s0, vcc_lo
	s_add_i32 s0, s0, 1
	s_cmp_lg_u32 s7, s0
	s_cbranch_scc1 .LBB72_388
.LBB72_389:
	s_mov_b32 s0, exec_lo
	s_waitcnt lgkmcnt(0)
	v_cmpx_eq_f64_e32 0, v[0:1]
	s_xor_b32 s0, exec_lo, s0
; %bb.390:
	v_cmp_ne_u32_e32 vcc_lo, 0, v88
	v_cndmask_b32_e32 v88, 24, v88, vcc_lo
; %bb.391:
	s_andn2_saveexec_b32 s0, s0
	s_cbranch_execz .LBB72_393
; %bb.392:
	v_div_scale_f64 v[81:82], null, v[0:1], v[0:1], 1.0
	v_rcp_f64_e32 v[90:91], v[81:82]
	v_fma_f64 v[92:93], -v[81:82], v[90:91], 1.0
	v_fma_f64 v[90:91], v[90:91], v[92:93], v[90:91]
	v_fma_f64 v[92:93], -v[81:82], v[90:91], 1.0
	v_fma_f64 v[90:91], v[90:91], v[92:93], v[90:91]
	v_div_scale_f64 v[92:93], vcc_lo, 1.0, v[0:1], 1.0
	v_mul_f64 v[94:95], v[92:93], v[90:91]
	v_fma_f64 v[81:82], -v[81:82], v[94:95], v[92:93]
	v_div_fmas_f64 v[81:82], v[81:82], v[90:91], v[94:95]
	v_div_fixup_f64 v[0:1], v[81:82], v[0:1], 1.0
.LBB72_393:
	s_or_b32 exec_lo, exec_lo, s0
	s_mov_b32 s0, exec_lo
	v_cmpx_ne_u32_e64 v89, v80
	s_xor_b32 s0, exec_lo, s0
	s_cbranch_execz .LBB72_399
; %bb.394:
	s_mov_b32 s1, exec_lo
	v_cmpx_eq_u32_e32 23, v89
	s_cbranch_execz .LBB72_398
; %bb.395:
	v_cmp_ne_u32_e32 vcc_lo, 23, v80
	s_xor_b32 s2, s6, -1
	s_and_b32 s3, s2, vcc_lo
	s_and_saveexec_b32 s2, s3
	s_cbranch_execz .LBB72_397
; %bb.396:
	v_ashrrev_i32_e32 v81, 31, v80
	v_lshlrev_b64 v[81:82], 2, v[80:81]
	v_add_co_u32 v81, vcc_lo, v4, v81
	v_add_co_ci_u32_e64 v82, null, v5, v82, vcc_lo
	s_clause 0x1
	global_load_dword v83, v[81:82], off
	global_load_dword v89, v[4:5], off offset:92
	s_waitcnt vmcnt(1)
	global_store_dword v[4:5], v83, off offset:92
	s_waitcnt vmcnt(0)
	global_store_dword v[81:82], v89, off
.LBB72_397:
	s_or_b32 exec_lo, exec_lo, s2
	v_mov_b32_e32 v83, v80
	v_mov_b32_e32 v89, v80
.LBB72_398:
	s_or_b32 exec_lo, exec_lo, s1
.LBB72_399:
	s_andn2_saveexec_b32 s0, s0
	s_cbranch_execz .LBB72_401
; %bb.400:
	v_mov_b32_e32 v80, v30
	v_mov_b32_e32 v81, v31
	;; [unrolled: 1-line block ×8, first 2 shown]
	ds_write2_b64 v86, v[80:81], v[89:90] offset0:24 offset1:25
	ds_write2_b64 v86, v[91:92], v[93:94] offset0:26 offset1:27
	v_mov_b32_e32 v80, v20
	v_mov_b32_e32 v81, v21
	;; [unrolled: 1-line block ×8, first 2 shown]
	ds_write2_b64 v86, v[80:81], v[89:90] offset0:28 offset1:29
	v_mov_b32_e32 v89, 23
	v_mov_b32_e32 v95, v12
	;; [unrolled: 1-line block ×9, first 2 shown]
	ds_write2_b64 v86, v[91:92], v[93:94] offset0:30 offset1:31
	ds_write2_b64 v86, v[95:96], v[97:98] offset0:32 offset1:33
	;; [unrolled: 1-line block ×3, first 2 shown]
	ds_write_b64 v86, v[78:79] offset:288
.LBB72_401:
	s_or_b32 exec_lo, exec_lo, s0
	s_mov_b32 s0, exec_lo
	s_waitcnt lgkmcnt(0)
	s_waitcnt_vscnt null, 0x0
	s_barrier
	buffer_gl0_inv
	v_cmpx_lt_i32_e32 23, v89
	s_cbranch_execz .LBB72_403
; %bb.402:
	v_mul_f64 v[28:29], v[0:1], v[28:29]
	ds_read2_b64 v[90:93], v86 offset0:24 offset1:25
	ds_read2_b64 v[94:97], v86 offset0:26 offset1:27
	;; [unrolled: 1-line block ×6, first 2 shown]
	ds_read_b64 v[0:1], v86 offset:288
	s_waitcnt lgkmcnt(6)
	v_fma_f64 v[30:31], -v[28:29], v[90:91], v[30:31]
	v_fma_f64 v[24:25], -v[28:29], v[92:93], v[24:25]
	s_waitcnt lgkmcnt(5)
	v_fma_f64 v[26:27], -v[28:29], v[94:95], v[26:27]
	v_fma_f64 v[22:23], -v[28:29], v[96:97], v[22:23]
	;; [unrolled: 3-line block ×6, first 2 shown]
	s_waitcnt lgkmcnt(0)
	v_fma_f64 v[78:79], -v[28:29], v[0:1], v[78:79]
.LBB72_403:
	s_or_b32 exec_lo, exec_lo, s0
	v_lshl_add_u32 v0, v89, 3, v86
	s_barrier
	buffer_gl0_inv
	v_mov_b32_e32 v80, 24
	ds_write_b64 v0, v[30:31]
	s_waitcnt lgkmcnt(0)
	s_barrier
	buffer_gl0_inv
	ds_read_b64 v[0:1], v86 offset:192
	s_cmp_lt_i32 s7, 26
	s_cbranch_scc1 .LBB72_406
; %bb.404:
	v_add3_u32 v81, v87, 0, 0xc8
	v_mov_b32_e32 v80, 24
	s_mov_b32 s0, 25
.LBB72_405:                             ; =>This Inner Loop Header: Depth=1
	ds_read_b64 v[90:91], v81
	v_add_nc_u32_e32 v81, 8, v81
	s_waitcnt lgkmcnt(0)
	v_cmp_lt_f64_e64 vcc_lo, |v[0:1]|, |v[90:91]|
	v_cndmask_b32_e32 v1, v1, v91, vcc_lo
	v_cndmask_b32_e32 v0, v0, v90, vcc_lo
	v_cndmask_b32_e64 v80, v80, s0, vcc_lo
	s_add_i32 s0, s0, 1
	s_cmp_lg_u32 s7, s0
	s_cbranch_scc1 .LBB72_405
.LBB72_406:
	s_mov_b32 s0, exec_lo
	s_waitcnt lgkmcnt(0)
	v_cmpx_eq_f64_e32 0, v[0:1]
	s_xor_b32 s0, exec_lo, s0
; %bb.407:
	v_cmp_ne_u32_e32 vcc_lo, 0, v88
	v_cndmask_b32_e32 v88, 25, v88, vcc_lo
; %bb.408:
	s_andn2_saveexec_b32 s0, s0
	s_cbranch_execz .LBB72_410
; %bb.409:
	v_div_scale_f64 v[81:82], null, v[0:1], v[0:1], 1.0
	v_rcp_f64_e32 v[90:91], v[81:82]
	v_fma_f64 v[92:93], -v[81:82], v[90:91], 1.0
	v_fma_f64 v[90:91], v[90:91], v[92:93], v[90:91]
	v_fma_f64 v[92:93], -v[81:82], v[90:91], 1.0
	v_fma_f64 v[90:91], v[90:91], v[92:93], v[90:91]
	v_div_scale_f64 v[92:93], vcc_lo, 1.0, v[0:1], 1.0
	v_mul_f64 v[94:95], v[92:93], v[90:91]
	v_fma_f64 v[81:82], -v[81:82], v[94:95], v[92:93]
	v_div_fmas_f64 v[81:82], v[81:82], v[90:91], v[94:95]
	v_div_fixup_f64 v[0:1], v[81:82], v[0:1], 1.0
.LBB72_410:
	s_or_b32 exec_lo, exec_lo, s0
	s_mov_b32 s0, exec_lo
	v_cmpx_ne_u32_e64 v89, v80
	s_xor_b32 s0, exec_lo, s0
	s_cbranch_execz .LBB72_416
; %bb.411:
	s_mov_b32 s1, exec_lo
	v_cmpx_eq_u32_e32 24, v89
	s_cbranch_execz .LBB72_415
; %bb.412:
	v_cmp_ne_u32_e32 vcc_lo, 24, v80
	s_xor_b32 s2, s6, -1
	s_and_b32 s3, s2, vcc_lo
	s_and_saveexec_b32 s2, s3
	s_cbranch_execz .LBB72_414
; %bb.413:
	v_ashrrev_i32_e32 v81, 31, v80
	v_lshlrev_b64 v[81:82], 2, v[80:81]
	v_add_co_u32 v81, vcc_lo, v4, v81
	v_add_co_ci_u32_e64 v82, null, v5, v82, vcc_lo
	s_clause 0x1
	global_load_dword v83, v[81:82], off
	global_load_dword v89, v[4:5], off offset:96
	s_waitcnt vmcnt(1)
	global_store_dword v[4:5], v83, off offset:96
	s_waitcnt vmcnt(0)
	global_store_dword v[81:82], v89, off
.LBB72_414:
	s_or_b32 exec_lo, exec_lo, s2
	v_mov_b32_e32 v83, v80
	v_mov_b32_e32 v89, v80
.LBB72_415:
	s_or_b32 exec_lo, exec_lo, s1
.LBB72_416:
	s_andn2_saveexec_b32 s0, s0
	s_cbranch_execz .LBB72_418
; %bb.417:
	v_mov_b32_e32 v89, 24
	ds_write2_b64 v86, v[24:25], v[26:27] offset0:25 offset1:26
	ds_write2_b64 v86, v[22:23], v[20:21] offset0:27 offset1:28
	;; [unrolled: 1-line block ×6, first 2 shown]
.LBB72_418:
	s_or_b32 exec_lo, exec_lo, s0
	s_mov_b32 s0, exec_lo
	s_waitcnt lgkmcnt(0)
	s_waitcnt_vscnt null, 0x0
	s_barrier
	buffer_gl0_inv
	v_cmpx_lt_i32_e32 24, v89
	s_cbranch_execz .LBB72_420
; %bb.419:
	v_mul_f64 v[30:31], v[0:1], v[30:31]
	ds_read2_b64 v[90:93], v86 offset0:25 offset1:26
	ds_read2_b64 v[94:97], v86 offset0:27 offset1:28
	;; [unrolled: 1-line block ×6, first 2 shown]
	s_waitcnt lgkmcnt(5)
	v_fma_f64 v[24:25], -v[30:31], v[90:91], v[24:25]
	v_fma_f64 v[26:27], -v[30:31], v[92:93], v[26:27]
	s_waitcnt lgkmcnt(4)
	v_fma_f64 v[22:23], -v[30:31], v[94:95], v[22:23]
	v_fma_f64 v[20:21], -v[30:31], v[96:97], v[20:21]
	;; [unrolled: 3-line block ×6, first 2 shown]
.LBB72_420:
	s_or_b32 exec_lo, exec_lo, s0
	v_lshl_add_u32 v0, v89, 3, v86
	s_barrier
	buffer_gl0_inv
	v_mov_b32_e32 v80, 25
	ds_write_b64 v0, v[24:25]
	s_waitcnt lgkmcnt(0)
	s_barrier
	buffer_gl0_inv
	ds_read_b64 v[0:1], v86 offset:200
	s_cmp_lt_i32 s7, 27
	s_cbranch_scc1 .LBB72_423
; %bb.421:
	v_add3_u32 v81, v87, 0, 0xd0
	v_mov_b32_e32 v80, 25
	s_mov_b32 s0, 26
.LBB72_422:                             ; =>This Inner Loop Header: Depth=1
	ds_read_b64 v[90:91], v81
	v_add_nc_u32_e32 v81, 8, v81
	s_waitcnt lgkmcnt(0)
	v_cmp_lt_f64_e64 vcc_lo, |v[0:1]|, |v[90:91]|
	v_cndmask_b32_e32 v1, v1, v91, vcc_lo
	v_cndmask_b32_e32 v0, v0, v90, vcc_lo
	v_cndmask_b32_e64 v80, v80, s0, vcc_lo
	s_add_i32 s0, s0, 1
	s_cmp_lg_u32 s7, s0
	s_cbranch_scc1 .LBB72_422
.LBB72_423:
	s_mov_b32 s0, exec_lo
	s_waitcnt lgkmcnt(0)
	v_cmpx_eq_f64_e32 0, v[0:1]
	s_xor_b32 s0, exec_lo, s0
; %bb.424:
	v_cmp_ne_u32_e32 vcc_lo, 0, v88
	v_cndmask_b32_e32 v88, 26, v88, vcc_lo
; %bb.425:
	s_andn2_saveexec_b32 s0, s0
	s_cbranch_execz .LBB72_427
; %bb.426:
	v_div_scale_f64 v[81:82], null, v[0:1], v[0:1], 1.0
	v_rcp_f64_e32 v[90:91], v[81:82]
	v_fma_f64 v[92:93], -v[81:82], v[90:91], 1.0
	v_fma_f64 v[90:91], v[90:91], v[92:93], v[90:91]
	v_fma_f64 v[92:93], -v[81:82], v[90:91], 1.0
	v_fma_f64 v[90:91], v[90:91], v[92:93], v[90:91]
	v_div_scale_f64 v[92:93], vcc_lo, 1.0, v[0:1], 1.0
	v_mul_f64 v[94:95], v[92:93], v[90:91]
	v_fma_f64 v[81:82], -v[81:82], v[94:95], v[92:93]
	v_div_fmas_f64 v[81:82], v[81:82], v[90:91], v[94:95]
	v_div_fixup_f64 v[0:1], v[81:82], v[0:1], 1.0
.LBB72_427:
	s_or_b32 exec_lo, exec_lo, s0
	s_mov_b32 s0, exec_lo
	v_cmpx_ne_u32_e64 v89, v80
	s_xor_b32 s0, exec_lo, s0
	s_cbranch_execz .LBB72_433
; %bb.428:
	s_mov_b32 s1, exec_lo
	v_cmpx_eq_u32_e32 25, v89
	s_cbranch_execz .LBB72_432
; %bb.429:
	v_cmp_ne_u32_e32 vcc_lo, 25, v80
	s_xor_b32 s2, s6, -1
	s_and_b32 s3, s2, vcc_lo
	s_and_saveexec_b32 s2, s3
	s_cbranch_execz .LBB72_431
; %bb.430:
	v_ashrrev_i32_e32 v81, 31, v80
	v_lshlrev_b64 v[81:82], 2, v[80:81]
	v_add_co_u32 v81, vcc_lo, v4, v81
	v_add_co_ci_u32_e64 v82, null, v5, v82, vcc_lo
	s_clause 0x1
	global_load_dword v83, v[81:82], off
	global_load_dword v89, v[4:5], off offset:100
	s_waitcnt vmcnt(1)
	global_store_dword v[4:5], v83, off offset:100
	s_waitcnt vmcnt(0)
	global_store_dword v[81:82], v89, off
.LBB72_431:
	s_or_b32 exec_lo, exec_lo, s2
	v_mov_b32_e32 v83, v80
	v_mov_b32_e32 v89, v80
.LBB72_432:
	s_or_b32 exec_lo, exec_lo, s1
.LBB72_433:
	s_andn2_saveexec_b32 s0, s0
	s_cbranch_execz .LBB72_435
; %bb.434:
	v_mov_b32_e32 v80, v26
	v_mov_b32_e32 v81, v27
	;; [unrolled: 1-line block ×8, first 2 shown]
	ds_write2_b64 v86, v[80:81], v[89:90] offset0:26 offset1:27
	v_mov_b32_e32 v80, v18
	v_mov_b32_e32 v81, v19
	;; [unrolled: 1-line block ×13, first 2 shown]
	ds_write2_b64 v86, v[91:92], v[80:81] offset0:28 offset1:29
	ds_write2_b64 v86, v[93:94], v[95:96] offset0:30 offset1:31
	;; [unrolled: 1-line block ×4, first 2 shown]
	ds_write_b64 v86, v[78:79] offset:288
.LBB72_435:
	s_or_b32 exec_lo, exec_lo, s0
	s_mov_b32 s0, exec_lo
	s_waitcnt lgkmcnt(0)
	s_waitcnt_vscnt null, 0x0
	s_barrier
	buffer_gl0_inv
	v_cmpx_lt_i32_e32 25, v89
	s_cbranch_execz .LBB72_437
; %bb.436:
	v_mul_f64 v[24:25], v[0:1], v[24:25]
	ds_read2_b64 v[90:93], v86 offset0:26 offset1:27
	ds_read2_b64 v[94:97], v86 offset0:28 offset1:29
	;; [unrolled: 1-line block ×5, first 2 shown]
	ds_read_b64 v[0:1], v86 offset:288
	s_waitcnt lgkmcnt(5)
	v_fma_f64 v[26:27], -v[24:25], v[90:91], v[26:27]
	v_fma_f64 v[22:23], -v[24:25], v[92:93], v[22:23]
	s_waitcnt lgkmcnt(4)
	v_fma_f64 v[20:21], -v[24:25], v[94:95], v[20:21]
	v_fma_f64 v[18:19], -v[24:25], v[96:97], v[18:19]
	;; [unrolled: 3-line block ×5, first 2 shown]
	s_waitcnt lgkmcnt(0)
	v_fma_f64 v[78:79], -v[24:25], v[0:1], v[78:79]
.LBB72_437:
	s_or_b32 exec_lo, exec_lo, s0
	v_lshl_add_u32 v0, v89, 3, v86
	s_barrier
	buffer_gl0_inv
	v_mov_b32_e32 v80, 26
	ds_write_b64 v0, v[26:27]
	s_waitcnt lgkmcnt(0)
	s_barrier
	buffer_gl0_inv
	ds_read_b64 v[0:1], v86 offset:208
	s_cmp_lt_i32 s7, 28
	s_cbranch_scc1 .LBB72_440
; %bb.438:
	v_add3_u32 v81, v87, 0, 0xd8
	v_mov_b32_e32 v80, 26
	s_mov_b32 s0, 27
.LBB72_439:                             ; =>This Inner Loop Header: Depth=1
	ds_read_b64 v[90:91], v81
	v_add_nc_u32_e32 v81, 8, v81
	s_waitcnt lgkmcnt(0)
	v_cmp_lt_f64_e64 vcc_lo, |v[0:1]|, |v[90:91]|
	v_cndmask_b32_e32 v1, v1, v91, vcc_lo
	v_cndmask_b32_e32 v0, v0, v90, vcc_lo
	v_cndmask_b32_e64 v80, v80, s0, vcc_lo
	s_add_i32 s0, s0, 1
	s_cmp_lg_u32 s7, s0
	s_cbranch_scc1 .LBB72_439
.LBB72_440:
	s_mov_b32 s0, exec_lo
	s_waitcnt lgkmcnt(0)
	v_cmpx_eq_f64_e32 0, v[0:1]
	s_xor_b32 s0, exec_lo, s0
; %bb.441:
	v_cmp_ne_u32_e32 vcc_lo, 0, v88
	v_cndmask_b32_e32 v88, 27, v88, vcc_lo
; %bb.442:
	s_andn2_saveexec_b32 s0, s0
	s_cbranch_execz .LBB72_444
; %bb.443:
	v_div_scale_f64 v[81:82], null, v[0:1], v[0:1], 1.0
	v_rcp_f64_e32 v[90:91], v[81:82]
	v_fma_f64 v[92:93], -v[81:82], v[90:91], 1.0
	v_fma_f64 v[90:91], v[90:91], v[92:93], v[90:91]
	v_fma_f64 v[92:93], -v[81:82], v[90:91], 1.0
	v_fma_f64 v[90:91], v[90:91], v[92:93], v[90:91]
	v_div_scale_f64 v[92:93], vcc_lo, 1.0, v[0:1], 1.0
	v_mul_f64 v[94:95], v[92:93], v[90:91]
	v_fma_f64 v[81:82], -v[81:82], v[94:95], v[92:93]
	v_div_fmas_f64 v[81:82], v[81:82], v[90:91], v[94:95]
	v_div_fixup_f64 v[0:1], v[81:82], v[0:1], 1.0
.LBB72_444:
	s_or_b32 exec_lo, exec_lo, s0
	s_mov_b32 s0, exec_lo
	v_cmpx_ne_u32_e64 v89, v80
	s_xor_b32 s0, exec_lo, s0
	s_cbranch_execz .LBB72_450
; %bb.445:
	s_mov_b32 s1, exec_lo
	v_cmpx_eq_u32_e32 26, v89
	s_cbranch_execz .LBB72_449
; %bb.446:
	v_cmp_ne_u32_e32 vcc_lo, 26, v80
	s_xor_b32 s2, s6, -1
	s_and_b32 s3, s2, vcc_lo
	s_and_saveexec_b32 s2, s3
	s_cbranch_execz .LBB72_448
; %bb.447:
	v_ashrrev_i32_e32 v81, 31, v80
	v_lshlrev_b64 v[81:82], 2, v[80:81]
	v_add_co_u32 v81, vcc_lo, v4, v81
	v_add_co_ci_u32_e64 v82, null, v5, v82, vcc_lo
	s_clause 0x1
	global_load_dword v83, v[81:82], off
	global_load_dword v89, v[4:5], off offset:104
	s_waitcnt vmcnt(1)
	global_store_dword v[4:5], v83, off offset:104
	s_waitcnt vmcnt(0)
	global_store_dword v[81:82], v89, off
.LBB72_448:
	s_or_b32 exec_lo, exec_lo, s2
	v_mov_b32_e32 v83, v80
	v_mov_b32_e32 v89, v80
.LBB72_449:
	s_or_b32 exec_lo, exec_lo, s1
.LBB72_450:
	s_andn2_saveexec_b32 s0, s0
	s_cbranch_execz .LBB72_452
; %bb.451:
	v_mov_b32_e32 v89, 26
	ds_write2_b64 v86, v[22:23], v[20:21] offset0:27 offset1:28
	ds_write2_b64 v86, v[18:19], v[16:17] offset0:29 offset1:30
	;; [unrolled: 1-line block ×5, first 2 shown]
.LBB72_452:
	s_or_b32 exec_lo, exec_lo, s0
	s_mov_b32 s0, exec_lo
	s_waitcnt lgkmcnt(0)
	s_waitcnt_vscnt null, 0x0
	s_barrier
	buffer_gl0_inv
	v_cmpx_lt_i32_e32 26, v89
	s_cbranch_execz .LBB72_454
; %bb.453:
	v_mul_f64 v[26:27], v[0:1], v[26:27]
	ds_read2_b64 v[90:93], v86 offset0:27 offset1:28
	ds_read2_b64 v[94:97], v86 offset0:29 offset1:30
	;; [unrolled: 1-line block ×5, first 2 shown]
	s_waitcnt lgkmcnt(4)
	v_fma_f64 v[22:23], -v[26:27], v[90:91], v[22:23]
	v_fma_f64 v[20:21], -v[26:27], v[92:93], v[20:21]
	s_waitcnt lgkmcnt(3)
	v_fma_f64 v[18:19], -v[26:27], v[94:95], v[18:19]
	v_fma_f64 v[16:17], -v[26:27], v[96:97], v[16:17]
	;; [unrolled: 3-line block ×5, first 2 shown]
.LBB72_454:
	s_or_b32 exec_lo, exec_lo, s0
	v_lshl_add_u32 v0, v89, 3, v86
	s_barrier
	buffer_gl0_inv
	v_mov_b32_e32 v80, 27
	ds_write_b64 v0, v[22:23]
	s_waitcnt lgkmcnt(0)
	s_barrier
	buffer_gl0_inv
	ds_read_b64 v[0:1], v86 offset:216
	s_cmp_lt_i32 s7, 29
	s_cbranch_scc1 .LBB72_457
; %bb.455:
	v_add3_u32 v81, v87, 0, 0xe0
	v_mov_b32_e32 v80, 27
	s_mov_b32 s0, 28
.LBB72_456:                             ; =>This Inner Loop Header: Depth=1
	ds_read_b64 v[90:91], v81
	v_add_nc_u32_e32 v81, 8, v81
	s_waitcnt lgkmcnt(0)
	v_cmp_lt_f64_e64 vcc_lo, |v[0:1]|, |v[90:91]|
	v_cndmask_b32_e32 v1, v1, v91, vcc_lo
	v_cndmask_b32_e32 v0, v0, v90, vcc_lo
	v_cndmask_b32_e64 v80, v80, s0, vcc_lo
	s_add_i32 s0, s0, 1
	s_cmp_lg_u32 s7, s0
	s_cbranch_scc1 .LBB72_456
.LBB72_457:
	s_mov_b32 s0, exec_lo
	s_waitcnt lgkmcnt(0)
	v_cmpx_eq_f64_e32 0, v[0:1]
	s_xor_b32 s0, exec_lo, s0
; %bb.458:
	v_cmp_ne_u32_e32 vcc_lo, 0, v88
	v_cndmask_b32_e32 v88, 28, v88, vcc_lo
; %bb.459:
	s_andn2_saveexec_b32 s0, s0
	s_cbranch_execz .LBB72_461
; %bb.460:
	v_div_scale_f64 v[81:82], null, v[0:1], v[0:1], 1.0
	v_rcp_f64_e32 v[90:91], v[81:82]
	v_fma_f64 v[92:93], -v[81:82], v[90:91], 1.0
	v_fma_f64 v[90:91], v[90:91], v[92:93], v[90:91]
	v_fma_f64 v[92:93], -v[81:82], v[90:91], 1.0
	v_fma_f64 v[90:91], v[90:91], v[92:93], v[90:91]
	v_div_scale_f64 v[92:93], vcc_lo, 1.0, v[0:1], 1.0
	v_mul_f64 v[94:95], v[92:93], v[90:91]
	v_fma_f64 v[81:82], -v[81:82], v[94:95], v[92:93]
	v_div_fmas_f64 v[81:82], v[81:82], v[90:91], v[94:95]
	v_div_fixup_f64 v[0:1], v[81:82], v[0:1], 1.0
.LBB72_461:
	s_or_b32 exec_lo, exec_lo, s0
	s_mov_b32 s0, exec_lo
	v_cmpx_ne_u32_e64 v89, v80
	s_xor_b32 s0, exec_lo, s0
	s_cbranch_execz .LBB72_467
; %bb.462:
	s_mov_b32 s1, exec_lo
	v_cmpx_eq_u32_e32 27, v89
	s_cbranch_execz .LBB72_466
; %bb.463:
	v_cmp_ne_u32_e32 vcc_lo, 27, v80
	s_xor_b32 s2, s6, -1
	s_and_b32 s3, s2, vcc_lo
	s_and_saveexec_b32 s2, s3
	s_cbranch_execz .LBB72_465
; %bb.464:
	v_ashrrev_i32_e32 v81, 31, v80
	v_lshlrev_b64 v[81:82], 2, v[80:81]
	v_add_co_u32 v81, vcc_lo, v4, v81
	v_add_co_ci_u32_e64 v82, null, v5, v82, vcc_lo
	s_clause 0x1
	global_load_dword v83, v[81:82], off
	global_load_dword v89, v[4:5], off offset:108
	s_waitcnt vmcnt(1)
	global_store_dword v[4:5], v83, off offset:108
	s_waitcnt vmcnt(0)
	global_store_dword v[81:82], v89, off
.LBB72_465:
	s_or_b32 exec_lo, exec_lo, s2
	v_mov_b32_e32 v83, v80
	v_mov_b32_e32 v89, v80
.LBB72_466:
	s_or_b32 exec_lo, exec_lo, s1
.LBB72_467:
	s_andn2_saveexec_b32 s0, s0
	s_cbranch_execz .LBB72_469
; %bb.468:
	v_mov_b32_e32 v80, v20
	v_mov_b32_e32 v81, v21
	;; [unrolled: 1-line block ×8, first 2 shown]
	ds_write2_b64 v86, v[80:81], v[89:90] offset0:28 offset1:29
	v_mov_b32_e32 v89, 27
	v_mov_b32_e32 v95, v12
	;; [unrolled: 1-line block ×9, first 2 shown]
	ds_write2_b64 v86, v[91:92], v[93:94] offset0:30 offset1:31
	ds_write2_b64 v86, v[95:96], v[97:98] offset0:32 offset1:33
	;; [unrolled: 1-line block ×3, first 2 shown]
	ds_write_b64 v86, v[78:79] offset:288
.LBB72_469:
	s_or_b32 exec_lo, exec_lo, s0
	s_mov_b32 s0, exec_lo
	s_waitcnt lgkmcnt(0)
	s_waitcnt_vscnt null, 0x0
	s_barrier
	buffer_gl0_inv
	v_cmpx_lt_i32_e32 27, v89
	s_cbranch_execz .LBB72_471
; %bb.470:
	v_mul_f64 v[22:23], v[0:1], v[22:23]
	ds_read2_b64 v[90:93], v86 offset0:28 offset1:29
	ds_read2_b64 v[94:97], v86 offset0:30 offset1:31
	;; [unrolled: 1-line block ×4, first 2 shown]
	ds_read_b64 v[0:1], v86 offset:288
	s_waitcnt lgkmcnt(4)
	v_fma_f64 v[20:21], -v[22:23], v[90:91], v[20:21]
	v_fma_f64 v[18:19], -v[22:23], v[92:93], v[18:19]
	s_waitcnt lgkmcnt(3)
	v_fma_f64 v[16:17], -v[22:23], v[94:95], v[16:17]
	v_fma_f64 v[14:15], -v[22:23], v[96:97], v[14:15]
	;; [unrolled: 3-line block ×4, first 2 shown]
	s_waitcnt lgkmcnt(0)
	v_fma_f64 v[78:79], -v[22:23], v[0:1], v[78:79]
.LBB72_471:
	s_or_b32 exec_lo, exec_lo, s0
	v_lshl_add_u32 v0, v89, 3, v86
	s_barrier
	buffer_gl0_inv
	v_mov_b32_e32 v80, 28
	ds_write_b64 v0, v[20:21]
	s_waitcnt lgkmcnt(0)
	s_barrier
	buffer_gl0_inv
	ds_read_b64 v[0:1], v86 offset:224
	s_cmp_lt_i32 s7, 30
	s_cbranch_scc1 .LBB72_474
; %bb.472:
	v_add3_u32 v81, v87, 0, 0xe8
	v_mov_b32_e32 v80, 28
	s_mov_b32 s0, 29
.LBB72_473:                             ; =>This Inner Loop Header: Depth=1
	ds_read_b64 v[90:91], v81
	v_add_nc_u32_e32 v81, 8, v81
	s_waitcnt lgkmcnt(0)
	v_cmp_lt_f64_e64 vcc_lo, |v[0:1]|, |v[90:91]|
	v_cndmask_b32_e32 v1, v1, v91, vcc_lo
	v_cndmask_b32_e32 v0, v0, v90, vcc_lo
	v_cndmask_b32_e64 v80, v80, s0, vcc_lo
	s_add_i32 s0, s0, 1
	s_cmp_lg_u32 s7, s0
	s_cbranch_scc1 .LBB72_473
.LBB72_474:
	s_mov_b32 s0, exec_lo
	s_waitcnt lgkmcnt(0)
	v_cmpx_eq_f64_e32 0, v[0:1]
	s_xor_b32 s0, exec_lo, s0
; %bb.475:
	v_cmp_ne_u32_e32 vcc_lo, 0, v88
	v_cndmask_b32_e32 v88, 29, v88, vcc_lo
; %bb.476:
	s_andn2_saveexec_b32 s0, s0
	s_cbranch_execz .LBB72_478
; %bb.477:
	v_div_scale_f64 v[81:82], null, v[0:1], v[0:1], 1.0
	v_rcp_f64_e32 v[90:91], v[81:82]
	v_fma_f64 v[92:93], -v[81:82], v[90:91], 1.0
	v_fma_f64 v[90:91], v[90:91], v[92:93], v[90:91]
	v_fma_f64 v[92:93], -v[81:82], v[90:91], 1.0
	v_fma_f64 v[90:91], v[90:91], v[92:93], v[90:91]
	v_div_scale_f64 v[92:93], vcc_lo, 1.0, v[0:1], 1.0
	v_mul_f64 v[94:95], v[92:93], v[90:91]
	v_fma_f64 v[81:82], -v[81:82], v[94:95], v[92:93]
	v_div_fmas_f64 v[81:82], v[81:82], v[90:91], v[94:95]
	v_div_fixup_f64 v[0:1], v[81:82], v[0:1], 1.0
.LBB72_478:
	s_or_b32 exec_lo, exec_lo, s0
	s_mov_b32 s0, exec_lo
	v_cmpx_ne_u32_e64 v89, v80
	s_xor_b32 s0, exec_lo, s0
	s_cbranch_execz .LBB72_484
; %bb.479:
	s_mov_b32 s1, exec_lo
	v_cmpx_eq_u32_e32 28, v89
	s_cbranch_execz .LBB72_483
; %bb.480:
	v_cmp_ne_u32_e32 vcc_lo, 28, v80
	s_xor_b32 s2, s6, -1
	s_and_b32 s3, s2, vcc_lo
	s_and_saveexec_b32 s2, s3
	s_cbranch_execz .LBB72_482
; %bb.481:
	v_ashrrev_i32_e32 v81, 31, v80
	v_lshlrev_b64 v[81:82], 2, v[80:81]
	v_add_co_u32 v81, vcc_lo, v4, v81
	v_add_co_ci_u32_e64 v82, null, v5, v82, vcc_lo
	s_clause 0x1
	global_load_dword v83, v[81:82], off
	global_load_dword v89, v[4:5], off offset:112
	s_waitcnt vmcnt(1)
	global_store_dword v[4:5], v83, off offset:112
	s_waitcnt vmcnt(0)
	global_store_dword v[81:82], v89, off
.LBB72_482:
	s_or_b32 exec_lo, exec_lo, s2
	v_mov_b32_e32 v83, v80
	v_mov_b32_e32 v89, v80
.LBB72_483:
	s_or_b32 exec_lo, exec_lo, s1
.LBB72_484:
	s_andn2_saveexec_b32 s0, s0
	s_cbranch_execz .LBB72_486
; %bb.485:
	v_mov_b32_e32 v89, 28
	ds_write2_b64 v86, v[18:19], v[16:17] offset0:29 offset1:30
	ds_write2_b64 v86, v[14:15], v[12:13] offset0:31 offset1:32
	;; [unrolled: 1-line block ×4, first 2 shown]
.LBB72_486:
	s_or_b32 exec_lo, exec_lo, s0
	s_mov_b32 s0, exec_lo
	s_waitcnt lgkmcnt(0)
	s_waitcnt_vscnt null, 0x0
	s_barrier
	buffer_gl0_inv
	v_cmpx_lt_i32_e32 28, v89
	s_cbranch_execz .LBB72_488
; %bb.487:
	v_mul_f64 v[20:21], v[0:1], v[20:21]
	ds_read2_b64 v[90:93], v86 offset0:29 offset1:30
	ds_read2_b64 v[94:97], v86 offset0:31 offset1:32
	;; [unrolled: 1-line block ×4, first 2 shown]
	s_waitcnt lgkmcnt(3)
	v_fma_f64 v[18:19], -v[20:21], v[90:91], v[18:19]
	v_fma_f64 v[16:17], -v[20:21], v[92:93], v[16:17]
	s_waitcnt lgkmcnt(2)
	v_fma_f64 v[14:15], -v[20:21], v[94:95], v[14:15]
	v_fma_f64 v[12:13], -v[20:21], v[96:97], v[12:13]
	;; [unrolled: 3-line block ×4, first 2 shown]
.LBB72_488:
	s_or_b32 exec_lo, exec_lo, s0
	v_lshl_add_u32 v0, v89, 3, v86
	s_barrier
	buffer_gl0_inv
	v_mov_b32_e32 v80, 29
	ds_write_b64 v0, v[18:19]
	s_waitcnt lgkmcnt(0)
	s_barrier
	buffer_gl0_inv
	ds_read_b64 v[0:1], v86 offset:232
	s_cmp_lt_i32 s7, 31
	s_cbranch_scc1 .LBB72_491
; %bb.489:
	v_add3_u32 v81, v87, 0, 0xf0
	v_mov_b32_e32 v80, 29
	s_mov_b32 s0, 30
.LBB72_490:                             ; =>This Inner Loop Header: Depth=1
	ds_read_b64 v[90:91], v81
	v_add_nc_u32_e32 v81, 8, v81
	s_waitcnt lgkmcnt(0)
	v_cmp_lt_f64_e64 vcc_lo, |v[0:1]|, |v[90:91]|
	v_cndmask_b32_e32 v1, v1, v91, vcc_lo
	v_cndmask_b32_e32 v0, v0, v90, vcc_lo
	v_cndmask_b32_e64 v80, v80, s0, vcc_lo
	s_add_i32 s0, s0, 1
	s_cmp_lg_u32 s7, s0
	s_cbranch_scc1 .LBB72_490
.LBB72_491:
	s_mov_b32 s0, exec_lo
	s_waitcnt lgkmcnt(0)
	v_cmpx_eq_f64_e32 0, v[0:1]
	s_xor_b32 s0, exec_lo, s0
; %bb.492:
	v_cmp_ne_u32_e32 vcc_lo, 0, v88
	v_cndmask_b32_e32 v88, 30, v88, vcc_lo
; %bb.493:
	s_andn2_saveexec_b32 s0, s0
	s_cbranch_execz .LBB72_495
; %bb.494:
	v_div_scale_f64 v[81:82], null, v[0:1], v[0:1], 1.0
	v_rcp_f64_e32 v[90:91], v[81:82]
	v_fma_f64 v[92:93], -v[81:82], v[90:91], 1.0
	v_fma_f64 v[90:91], v[90:91], v[92:93], v[90:91]
	v_fma_f64 v[92:93], -v[81:82], v[90:91], 1.0
	v_fma_f64 v[90:91], v[90:91], v[92:93], v[90:91]
	v_div_scale_f64 v[92:93], vcc_lo, 1.0, v[0:1], 1.0
	v_mul_f64 v[94:95], v[92:93], v[90:91]
	v_fma_f64 v[81:82], -v[81:82], v[94:95], v[92:93]
	v_div_fmas_f64 v[81:82], v[81:82], v[90:91], v[94:95]
	v_div_fixup_f64 v[0:1], v[81:82], v[0:1], 1.0
.LBB72_495:
	s_or_b32 exec_lo, exec_lo, s0
	s_mov_b32 s0, exec_lo
	v_cmpx_ne_u32_e64 v89, v80
	s_xor_b32 s0, exec_lo, s0
	s_cbranch_execz .LBB72_501
; %bb.496:
	s_mov_b32 s1, exec_lo
	v_cmpx_eq_u32_e32 29, v89
	s_cbranch_execz .LBB72_500
; %bb.497:
	v_cmp_ne_u32_e32 vcc_lo, 29, v80
	s_xor_b32 s2, s6, -1
	s_and_b32 s3, s2, vcc_lo
	s_and_saveexec_b32 s2, s3
	s_cbranch_execz .LBB72_499
; %bb.498:
	v_ashrrev_i32_e32 v81, 31, v80
	v_lshlrev_b64 v[81:82], 2, v[80:81]
	v_add_co_u32 v81, vcc_lo, v4, v81
	v_add_co_ci_u32_e64 v82, null, v5, v82, vcc_lo
	s_clause 0x1
	global_load_dword v83, v[81:82], off
	global_load_dword v89, v[4:5], off offset:116
	s_waitcnt vmcnt(1)
	global_store_dword v[4:5], v83, off offset:116
	s_waitcnt vmcnt(0)
	global_store_dword v[81:82], v89, off
.LBB72_499:
	s_or_b32 exec_lo, exec_lo, s2
	v_mov_b32_e32 v83, v80
	v_mov_b32_e32 v89, v80
.LBB72_500:
	s_or_b32 exec_lo, exec_lo, s1
.LBB72_501:
	s_andn2_saveexec_b32 s0, s0
	s_cbranch_execz .LBB72_503
; %bb.502:
	v_mov_b32_e32 v80, v16
	v_mov_b32_e32 v81, v17
	;; [unrolled: 1-line block ×13, first 2 shown]
	ds_write2_b64 v86, v[80:81], v[90:91] offset0:30 offset1:31
	ds_write2_b64 v86, v[92:93], v[94:95] offset0:32 offset1:33
	;; [unrolled: 1-line block ×3, first 2 shown]
	ds_write_b64 v86, v[78:79] offset:288
.LBB72_503:
	s_or_b32 exec_lo, exec_lo, s0
	s_mov_b32 s0, exec_lo
	s_waitcnt lgkmcnt(0)
	s_waitcnt_vscnt null, 0x0
	s_barrier
	buffer_gl0_inv
	v_cmpx_lt_i32_e32 29, v89
	s_cbranch_execz .LBB72_505
; %bb.504:
	v_mul_f64 v[18:19], v[0:1], v[18:19]
	ds_read2_b64 v[90:93], v86 offset0:30 offset1:31
	ds_read2_b64 v[94:97], v86 offset0:32 offset1:33
	;; [unrolled: 1-line block ×3, first 2 shown]
	ds_read_b64 v[0:1], v86 offset:288
	s_waitcnt lgkmcnt(3)
	v_fma_f64 v[16:17], -v[18:19], v[90:91], v[16:17]
	v_fma_f64 v[14:15], -v[18:19], v[92:93], v[14:15]
	s_waitcnt lgkmcnt(2)
	v_fma_f64 v[12:13], -v[18:19], v[94:95], v[12:13]
	v_fma_f64 v[8:9], -v[18:19], v[96:97], v[8:9]
	;; [unrolled: 3-line block ×3, first 2 shown]
	s_waitcnt lgkmcnt(0)
	v_fma_f64 v[78:79], -v[18:19], v[0:1], v[78:79]
.LBB72_505:
	s_or_b32 exec_lo, exec_lo, s0
	v_lshl_add_u32 v0, v89, 3, v86
	s_barrier
	buffer_gl0_inv
	v_mov_b32_e32 v80, 30
	ds_write_b64 v0, v[16:17]
	s_waitcnt lgkmcnt(0)
	s_barrier
	buffer_gl0_inv
	ds_read_b64 v[0:1], v86 offset:240
	s_cmp_lt_i32 s7, 32
	s_cbranch_scc1 .LBB72_508
; %bb.506:
	v_add3_u32 v81, v87, 0, 0xf8
	v_mov_b32_e32 v80, 30
	s_mov_b32 s0, 31
.LBB72_507:                             ; =>This Inner Loop Header: Depth=1
	ds_read_b64 v[90:91], v81
	v_add_nc_u32_e32 v81, 8, v81
	s_waitcnt lgkmcnt(0)
	v_cmp_lt_f64_e64 vcc_lo, |v[0:1]|, |v[90:91]|
	v_cndmask_b32_e32 v1, v1, v91, vcc_lo
	v_cndmask_b32_e32 v0, v0, v90, vcc_lo
	v_cndmask_b32_e64 v80, v80, s0, vcc_lo
	s_add_i32 s0, s0, 1
	s_cmp_lg_u32 s7, s0
	s_cbranch_scc1 .LBB72_507
.LBB72_508:
	s_mov_b32 s0, exec_lo
	s_waitcnt lgkmcnt(0)
	v_cmpx_eq_f64_e32 0, v[0:1]
	s_xor_b32 s0, exec_lo, s0
; %bb.509:
	v_cmp_ne_u32_e32 vcc_lo, 0, v88
	v_cndmask_b32_e32 v88, 31, v88, vcc_lo
; %bb.510:
	s_andn2_saveexec_b32 s0, s0
	s_cbranch_execz .LBB72_512
; %bb.511:
	v_div_scale_f64 v[81:82], null, v[0:1], v[0:1], 1.0
	v_rcp_f64_e32 v[90:91], v[81:82]
	v_fma_f64 v[92:93], -v[81:82], v[90:91], 1.0
	v_fma_f64 v[90:91], v[90:91], v[92:93], v[90:91]
	v_fma_f64 v[92:93], -v[81:82], v[90:91], 1.0
	v_fma_f64 v[90:91], v[90:91], v[92:93], v[90:91]
	v_div_scale_f64 v[92:93], vcc_lo, 1.0, v[0:1], 1.0
	v_mul_f64 v[94:95], v[92:93], v[90:91]
	v_fma_f64 v[81:82], -v[81:82], v[94:95], v[92:93]
	v_div_fmas_f64 v[81:82], v[81:82], v[90:91], v[94:95]
	v_div_fixup_f64 v[0:1], v[81:82], v[0:1], 1.0
.LBB72_512:
	s_or_b32 exec_lo, exec_lo, s0
	s_mov_b32 s0, exec_lo
	v_cmpx_ne_u32_e64 v89, v80
	s_xor_b32 s0, exec_lo, s0
	s_cbranch_execz .LBB72_518
; %bb.513:
	s_mov_b32 s1, exec_lo
	v_cmpx_eq_u32_e32 30, v89
	s_cbranch_execz .LBB72_517
; %bb.514:
	v_cmp_ne_u32_e32 vcc_lo, 30, v80
	s_xor_b32 s2, s6, -1
	s_and_b32 s3, s2, vcc_lo
	s_and_saveexec_b32 s2, s3
	s_cbranch_execz .LBB72_516
; %bb.515:
	v_ashrrev_i32_e32 v81, 31, v80
	v_lshlrev_b64 v[81:82], 2, v[80:81]
	v_add_co_u32 v81, vcc_lo, v4, v81
	v_add_co_ci_u32_e64 v82, null, v5, v82, vcc_lo
	s_clause 0x1
	global_load_dword v83, v[81:82], off
	global_load_dword v89, v[4:5], off offset:120
	s_waitcnt vmcnt(1)
	global_store_dword v[4:5], v83, off offset:120
	s_waitcnt vmcnt(0)
	global_store_dword v[81:82], v89, off
.LBB72_516:
	s_or_b32 exec_lo, exec_lo, s2
	v_mov_b32_e32 v83, v80
	v_mov_b32_e32 v89, v80
.LBB72_517:
	s_or_b32 exec_lo, exec_lo, s1
.LBB72_518:
	s_andn2_saveexec_b32 s0, s0
	s_cbranch_execz .LBB72_520
; %bb.519:
	v_mov_b32_e32 v89, 30
	ds_write2_b64 v86, v[14:15], v[12:13] offset0:31 offset1:32
	ds_write2_b64 v86, v[8:9], v[10:11] offset0:33 offset1:34
	;; [unrolled: 1-line block ×3, first 2 shown]
.LBB72_520:
	s_or_b32 exec_lo, exec_lo, s0
	s_mov_b32 s0, exec_lo
	s_waitcnt lgkmcnt(0)
	s_waitcnt_vscnt null, 0x0
	s_barrier
	buffer_gl0_inv
	v_cmpx_lt_i32_e32 30, v89
	s_cbranch_execz .LBB72_522
; %bb.521:
	v_mul_f64 v[16:17], v[0:1], v[16:17]
	ds_read2_b64 v[90:93], v86 offset0:31 offset1:32
	ds_read2_b64 v[94:97], v86 offset0:33 offset1:34
	;; [unrolled: 1-line block ×3, first 2 shown]
	s_waitcnt lgkmcnt(2)
	v_fma_f64 v[14:15], -v[16:17], v[90:91], v[14:15]
	v_fma_f64 v[12:13], -v[16:17], v[92:93], v[12:13]
	s_waitcnt lgkmcnt(1)
	v_fma_f64 v[8:9], -v[16:17], v[94:95], v[8:9]
	v_fma_f64 v[10:11], -v[16:17], v[96:97], v[10:11]
	;; [unrolled: 3-line block ×3, first 2 shown]
.LBB72_522:
	s_or_b32 exec_lo, exec_lo, s0
	v_lshl_add_u32 v0, v89, 3, v86
	s_barrier
	buffer_gl0_inv
	v_mov_b32_e32 v80, 31
	ds_write_b64 v0, v[14:15]
	s_waitcnt lgkmcnt(0)
	s_barrier
	buffer_gl0_inv
	ds_read_b64 v[0:1], v86 offset:248
	s_cmp_lt_i32 s7, 33
	s_cbranch_scc1 .LBB72_525
; %bb.523:
	v_add3_u32 v81, v87, 0, 0x100
	v_mov_b32_e32 v80, 31
	s_mov_b32 s0, 32
.LBB72_524:                             ; =>This Inner Loop Header: Depth=1
	ds_read_b64 v[90:91], v81
	v_add_nc_u32_e32 v81, 8, v81
	s_waitcnt lgkmcnt(0)
	v_cmp_lt_f64_e64 vcc_lo, |v[0:1]|, |v[90:91]|
	v_cndmask_b32_e32 v1, v1, v91, vcc_lo
	v_cndmask_b32_e32 v0, v0, v90, vcc_lo
	v_cndmask_b32_e64 v80, v80, s0, vcc_lo
	s_add_i32 s0, s0, 1
	s_cmp_lg_u32 s7, s0
	s_cbranch_scc1 .LBB72_524
.LBB72_525:
	s_mov_b32 s0, exec_lo
	s_waitcnt lgkmcnt(0)
	v_cmpx_eq_f64_e32 0, v[0:1]
	s_xor_b32 s0, exec_lo, s0
; %bb.526:
	v_cmp_ne_u32_e32 vcc_lo, 0, v88
	v_cndmask_b32_e32 v88, 32, v88, vcc_lo
; %bb.527:
	s_andn2_saveexec_b32 s0, s0
	s_cbranch_execz .LBB72_529
; %bb.528:
	v_div_scale_f64 v[81:82], null, v[0:1], v[0:1], 1.0
	v_rcp_f64_e32 v[90:91], v[81:82]
	v_fma_f64 v[92:93], -v[81:82], v[90:91], 1.0
	v_fma_f64 v[90:91], v[90:91], v[92:93], v[90:91]
	v_fma_f64 v[92:93], -v[81:82], v[90:91], 1.0
	v_fma_f64 v[90:91], v[90:91], v[92:93], v[90:91]
	v_div_scale_f64 v[92:93], vcc_lo, 1.0, v[0:1], 1.0
	v_mul_f64 v[94:95], v[92:93], v[90:91]
	v_fma_f64 v[81:82], -v[81:82], v[94:95], v[92:93]
	v_div_fmas_f64 v[81:82], v[81:82], v[90:91], v[94:95]
	v_div_fixup_f64 v[0:1], v[81:82], v[0:1], 1.0
.LBB72_529:
	s_or_b32 exec_lo, exec_lo, s0
	s_mov_b32 s0, exec_lo
	v_cmpx_ne_u32_e64 v89, v80
	s_xor_b32 s0, exec_lo, s0
	s_cbranch_execz .LBB72_535
; %bb.530:
	s_mov_b32 s1, exec_lo
	v_cmpx_eq_u32_e32 31, v89
	s_cbranch_execz .LBB72_534
; %bb.531:
	v_cmp_ne_u32_e32 vcc_lo, 31, v80
	s_xor_b32 s2, s6, -1
	s_and_b32 s3, s2, vcc_lo
	s_and_saveexec_b32 s2, s3
	s_cbranch_execz .LBB72_533
; %bb.532:
	v_ashrrev_i32_e32 v81, 31, v80
	v_lshlrev_b64 v[81:82], 2, v[80:81]
	v_add_co_u32 v81, vcc_lo, v4, v81
	v_add_co_ci_u32_e64 v82, null, v5, v82, vcc_lo
	s_clause 0x1
	global_load_dword v83, v[81:82], off
	global_load_dword v89, v[4:5], off offset:124
	s_waitcnt vmcnt(1)
	global_store_dword v[4:5], v83, off offset:124
	s_waitcnt vmcnt(0)
	global_store_dword v[81:82], v89, off
.LBB72_533:
	s_or_b32 exec_lo, exec_lo, s2
	v_mov_b32_e32 v83, v80
	v_mov_b32_e32 v89, v80
.LBB72_534:
	s_or_b32 exec_lo, exec_lo, s1
.LBB72_535:
	s_andn2_saveexec_b32 s0, s0
	s_cbranch_execz .LBB72_537
; %bb.536:
	v_mov_b32_e32 v80, v12
	v_mov_b32_e32 v81, v13
	;; [unrolled: 1-line block ×9, first 2 shown]
	ds_write2_b64 v86, v[80:81], v[90:91] offset0:32 offset1:33
	ds_write2_b64 v86, v[92:93], v[94:95] offset0:34 offset1:35
	ds_write_b64 v86, v[78:79] offset:288
.LBB72_537:
	s_or_b32 exec_lo, exec_lo, s0
	s_mov_b32 s0, exec_lo
	s_waitcnt lgkmcnt(0)
	s_waitcnt_vscnt null, 0x0
	s_barrier
	buffer_gl0_inv
	v_cmpx_lt_i32_e32 31, v89
	s_cbranch_execz .LBB72_539
; %bb.538:
	v_mul_f64 v[14:15], v[0:1], v[14:15]
	ds_read2_b64 v[90:93], v86 offset0:32 offset1:33
	ds_read2_b64 v[94:97], v86 offset0:34 offset1:35
	ds_read_b64 v[0:1], v86 offset:288
	s_waitcnt lgkmcnt(2)
	v_fma_f64 v[12:13], -v[14:15], v[90:91], v[12:13]
	v_fma_f64 v[8:9], -v[14:15], v[92:93], v[8:9]
	s_waitcnt lgkmcnt(1)
	v_fma_f64 v[10:11], -v[14:15], v[94:95], v[10:11]
	v_fma_f64 v[6:7], -v[14:15], v[96:97], v[6:7]
	s_waitcnt lgkmcnt(0)
	v_fma_f64 v[78:79], -v[14:15], v[0:1], v[78:79]
.LBB72_539:
	s_or_b32 exec_lo, exec_lo, s0
	v_lshl_add_u32 v0, v89, 3, v86
	s_barrier
	buffer_gl0_inv
	v_mov_b32_e32 v80, 32
	ds_write_b64 v0, v[12:13]
	s_waitcnt lgkmcnt(0)
	s_barrier
	buffer_gl0_inv
	ds_read_b64 v[0:1], v86 offset:256
	s_cmp_lt_i32 s7, 34
	s_cbranch_scc1 .LBB72_542
; %bb.540:
	v_add3_u32 v81, v87, 0, 0x108
	v_mov_b32_e32 v80, 32
	s_mov_b32 s0, 33
.LBB72_541:                             ; =>This Inner Loop Header: Depth=1
	ds_read_b64 v[90:91], v81
	v_add_nc_u32_e32 v81, 8, v81
	s_waitcnt lgkmcnt(0)
	v_cmp_lt_f64_e64 vcc_lo, |v[0:1]|, |v[90:91]|
	v_cndmask_b32_e32 v1, v1, v91, vcc_lo
	v_cndmask_b32_e32 v0, v0, v90, vcc_lo
	v_cndmask_b32_e64 v80, v80, s0, vcc_lo
	s_add_i32 s0, s0, 1
	s_cmp_lg_u32 s7, s0
	s_cbranch_scc1 .LBB72_541
.LBB72_542:
	s_mov_b32 s0, exec_lo
	s_waitcnt lgkmcnt(0)
	v_cmpx_eq_f64_e32 0, v[0:1]
	s_xor_b32 s0, exec_lo, s0
; %bb.543:
	v_cmp_ne_u32_e32 vcc_lo, 0, v88
	v_cndmask_b32_e32 v88, 33, v88, vcc_lo
; %bb.544:
	s_andn2_saveexec_b32 s0, s0
	s_cbranch_execz .LBB72_546
; %bb.545:
	v_div_scale_f64 v[81:82], null, v[0:1], v[0:1], 1.0
	v_rcp_f64_e32 v[90:91], v[81:82]
	v_fma_f64 v[92:93], -v[81:82], v[90:91], 1.0
	v_fma_f64 v[90:91], v[90:91], v[92:93], v[90:91]
	v_fma_f64 v[92:93], -v[81:82], v[90:91], 1.0
	v_fma_f64 v[90:91], v[90:91], v[92:93], v[90:91]
	v_div_scale_f64 v[92:93], vcc_lo, 1.0, v[0:1], 1.0
	v_mul_f64 v[94:95], v[92:93], v[90:91]
	v_fma_f64 v[81:82], -v[81:82], v[94:95], v[92:93]
	v_div_fmas_f64 v[81:82], v[81:82], v[90:91], v[94:95]
	v_div_fixup_f64 v[0:1], v[81:82], v[0:1], 1.0
.LBB72_546:
	s_or_b32 exec_lo, exec_lo, s0
	s_mov_b32 s0, exec_lo
	v_cmpx_ne_u32_e64 v89, v80
	s_xor_b32 s0, exec_lo, s0
	s_cbranch_execz .LBB72_552
; %bb.547:
	s_mov_b32 s1, exec_lo
	v_cmpx_eq_u32_e32 32, v89
	s_cbranch_execz .LBB72_551
; %bb.548:
	v_cmp_ne_u32_e32 vcc_lo, 32, v80
	s_xor_b32 s2, s6, -1
	s_and_b32 s3, s2, vcc_lo
	s_and_saveexec_b32 s2, s3
	s_cbranch_execz .LBB72_550
; %bb.549:
	v_ashrrev_i32_e32 v81, 31, v80
	v_lshlrev_b64 v[81:82], 2, v[80:81]
	v_add_co_u32 v81, vcc_lo, v4, v81
	v_add_co_ci_u32_e64 v82, null, v5, v82, vcc_lo
	s_clause 0x1
	global_load_dword v83, v[81:82], off
	global_load_dword v89, v[4:5], off offset:128
	s_waitcnt vmcnt(1)
	global_store_dword v[4:5], v83, off offset:128
	s_waitcnt vmcnt(0)
	global_store_dword v[81:82], v89, off
.LBB72_550:
	s_or_b32 exec_lo, exec_lo, s2
	v_mov_b32_e32 v83, v80
	v_mov_b32_e32 v89, v80
.LBB72_551:
	s_or_b32 exec_lo, exec_lo, s1
.LBB72_552:
	s_andn2_saveexec_b32 s0, s0
	s_cbranch_execz .LBB72_554
; %bb.553:
	v_mov_b32_e32 v89, 32
	ds_write2_b64 v86, v[8:9], v[10:11] offset0:33 offset1:34
	ds_write2_b64 v86, v[6:7], v[78:79] offset0:35 offset1:36
.LBB72_554:
	s_or_b32 exec_lo, exec_lo, s0
	s_mov_b32 s0, exec_lo
	s_waitcnt lgkmcnt(0)
	s_waitcnt_vscnt null, 0x0
	s_barrier
	buffer_gl0_inv
	v_cmpx_lt_i32_e32 32, v89
	s_cbranch_execz .LBB72_556
; %bb.555:
	v_mul_f64 v[12:13], v[0:1], v[12:13]
	ds_read2_b64 v[90:93], v86 offset0:33 offset1:34
	ds_read2_b64 v[94:97], v86 offset0:35 offset1:36
	s_waitcnt lgkmcnt(1)
	v_fma_f64 v[8:9], -v[12:13], v[90:91], v[8:9]
	v_fma_f64 v[10:11], -v[12:13], v[92:93], v[10:11]
	s_waitcnt lgkmcnt(0)
	v_fma_f64 v[6:7], -v[12:13], v[94:95], v[6:7]
	v_fma_f64 v[78:79], -v[12:13], v[96:97], v[78:79]
.LBB72_556:
	s_or_b32 exec_lo, exec_lo, s0
	v_lshl_add_u32 v0, v89, 3, v86
	s_barrier
	buffer_gl0_inv
	v_mov_b32_e32 v80, 33
	ds_write_b64 v0, v[8:9]
	s_waitcnt lgkmcnt(0)
	s_barrier
	buffer_gl0_inv
	ds_read_b64 v[0:1], v86 offset:264
	s_cmp_lt_i32 s7, 35
	s_cbranch_scc1 .LBB72_559
; %bb.557:
	v_add3_u32 v81, v87, 0, 0x110
	v_mov_b32_e32 v80, 33
	s_mov_b32 s0, 34
.LBB72_558:                             ; =>This Inner Loop Header: Depth=1
	ds_read_b64 v[90:91], v81
	v_add_nc_u32_e32 v81, 8, v81
	s_waitcnt lgkmcnt(0)
	v_cmp_lt_f64_e64 vcc_lo, |v[0:1]|, |v[90:91]|
	v_cndmask_b32_e32 v1, v1, v91, vcc_lo
	v_cndmask_b32_e32 v0, v0, v90, vcc_lo
	v_cndmask_b32_e64 v80, v80, s0, vcc_lo
	s_add_i32 s0, s0, 1
	s_cmp_lg_u32 s7, s0
	s_cbranch_scc1 .LBB72_558
.LBB72_559:
	s_mov_b32 s0, exec_lo
	s_waitcnt lgkmcnt(0)
	v_cmpx_eq_f64_e32 0, v[0:1]
	s_xor_b32 s0, exec_lo, s0
; %bb.560:
	v_cmp_ne_u32_e32 vcc_lo, 0, v88
	v_cndmask_b32_e32 v88, 34, v88, vcc_lo
; %bb.561:
	s_andn2_saveexec_b32 s0, s0
	s_cbranch_execz .LBB72_563
; %bb.562:
	v_div_scale_f64 v[81:82], null, v[0:1], v[0:1], 1.0
	v_rcp_f64_e32 v[90:91], v[81:82]
	v_fma_f64 v[92:93], -v[81:82], v[90:91], 1.0
	v_fma_f64 v[90:91], v[90:91], v[92:93], v[90:91]
	v_fma_f64 v[92:93], -v[81:82], v[90:91], 1.0
	v_fma_f64 v[90:91], v[90:91], v[92:93], v[90:91]
	v_div_scale_f64 v[92:93], vcc_lo, 1.0, v[0:1], 1.0
	v_mul_f64 v[94:95], v[92:93], v[90:91]
	v_fma_f64 v[81:82], -v[81:82], v[94:95], v[92:93]
	v_div_fmas_f64 v[81:82], v[81:82], v[90:91], v[94:95]
	v_div_fixup_f64 v[0:1], v[81:82], v[0:1], 1.0
.LBB72_563:
	s_or_b32 exec_lo, exec_lo, s0
	s_mov_b32 s0, exec_lo
	v_cmpx_ne_u32_e64 v89, v80
	s_xor_b32 s0, exec_lo, s0
	s_cbranch_execz .LBB72_569
; %bb.564:
	s_mov_b32 s1, exec_lo
	v_cmpx_eq_u32_e32 33, v89
	s_cbranch_execz .LBB72_568
; %bb.565:
	v_cmp_ne_u32_e32 vcc_lo, 33, v80
	s_xor_b32 s2, s6, -1
	s_and_b32 s3, s2, vcc_lo
	s_and_saveexec_b32 s2, s3
	s_cbranch_execz .LBB72_567
; %bb.566:
	v_ashrrev_i32_e32 v81, 31, v80
	v_lshlrev_b64 v[81:82], 2, v[80:81]
	v_add_co_u32 v81, vcc_lo, v4, v81
	v_add_co_ci_u32_e64 v82, null, v5, v82, vcc_lo
	s_clause 0x1
	global_load_dword v83, v[81:82], off
	global_load_dword v89, v[4:5], off offset:132
	s_waitcnt vmcnt(1)
	global_store_dword v[4:5], v83, off offset:132
	s_waitcnt vmcnt(0)
	global_store_dword v[81:82], v89, off
.LBB72_567:
	s_or_b32 exec_lo, exec_lo, s2
	v_mov_b32_e32 v83, v80
	v_mov_b32_e32 v89, v80
.LBB72_568:
	s_or_b32 exec_lo, exec_lo, s1
.LBB72_569:
	s_andn2_saveexec_b32 s0, s0
	s_cbranch_execz .LBB72_571
; %bb.570:
	v_mov_b32_e32 v80, v10
	v_mov_b32_e32 v81, v11
	;; [unrolled: 1-line block ×5, first 2 shown]
	ds_write2_b64 v86, v[80:81], v[90:91] offset0:34 offset1:35
	ds_write_b64 v86, v[78:79] offset:288
.LBB72_571:
	s_or_b32 exec_lo, exec_lo, s0
	s_mov_b32 s0, exec_lo
	s_waitcnt lgkmcnt(0)
	s_waitcnt_vscnt null, 0x0
	s_barrier
	buffer_gl0_inv
	v_cmpx_lt_i32_e32 33, v89
	s_cbranch_execz .LBB72_573
; %bb.572:
	v_mul_f64 v[8:9], v[0:1], v[8:9]
	ds_read2_b64 v[90:93], v86 offset0:34 offset1:35
	ds_read_b64 v[0:1], v86 offset:288
	s_waitcnt lgkmcnt(1)
	v_fma_f64 v[10:11], -v[8:9], v[90:91], v[10:11]
	v_fma_f64 v[6:7], -v[8:9], v[92:93], v[6:7]
	s_waitcnt lgkmcnt(0)
	v_fma_f64 v[78:79], -v[8:9], v[0:1], v[78:79]
.LBB72_573:
	s_or_b32 exec_lo, exec_lo, s0
	v_lshl_add_u32 v0, v89, 3, v86
	s_barrier
	buffer_gl0_inv
	v_mov_b32_e32 v80, 34
	ds_write_b64 v0, v[10:11]
	s_waitcnt lgkmcnt(0)
	s_barrier
	buffer_gl0_inv
	ds_read_b64 v[0:1], v86 offset:272
	s_cmp_lt_i32 s7, 36
	s_cbranch_scc1 .LBB72_576
; %bb.574:
	v_add3_u32 v81, v87, 0, 0x118
	v_mov_b32_e32 v80, 34
	s_mov_b32 s0, 35
.LBB72_575:                             ; =>This Inner Loop Header: Depth=1
	ds_read_b64 v[90:91], v81
	v_add_nc_u32_e32 v81, 8, v81
	s_waitcnt lgkmcnt(0)
	v_cmp_lt_f64_e64 vcc_lo, |v[0:1]|, |v[90:91]|
	v_cndmask_b32_e32 v1, v1, v91, vcc_lo
	v_cndmask_b32_e32 v0, v0, v90, vcc_lo
	v_cndmask_b32_e64 v80, v80, s0, vcc_lo
	s_add_i32 s0, s0, 1
	s_cmp_lg_u32 s7, s0
	s_cbranch_scc1 .LBB72_575
.LBB72_576:
	s_mov_b32 s0, exec_lo
	s_waitcnt lgkmcnt(0)
	v_cmpx_eq_f64_e32 0, v[0:1]
	s_xor_b32 s0, exec_lo, s0
; %bb.577:
	v_cmp_ne_u32_e32 vcc_lo, 0, v88
	v_cndmask_b32_e32 v88, 35, v88, vcc_lo
; %bb.578:
	s_andn2_saveexec_b32 s0, s0
	s_cbranch_execz .LBB72_580
; %bb.579:
	v_div_scale_f64 v[81:82], null, v[0:1], v[0:1], 1.0
	v_rcp_f64_e32 v[90:91], v[81:82]
	v_fma_f64 v[92:93], -v[81:82], v[90:91], 1.0
	v_fma_f64 v[90:91], v[90:91], v[92:93], v[90:91]
	v_fma_f64 v[92:93], -v[81:82], v[90:91], 1.0
	v_fma_f64 v[90:91], v[90:91], v[92:93], v[90:91]
	v_div_scale_f64 v[92:93], vcc_lo, 1.0, v[0:1], 1.0
	v_mul_f64 v[94:95], v[92:93], v[90:91]
	v_fma_f64 v[81:82], -v[81:82], v[94:95], v[92:93]
	v_div_fmas_f64 v[81:82], v[81:82], v[90:91], v[94:95]
	v_div_fixup_f64 v[0:1], v[81:82], v[0:1], 1.0
.LBB72_580:
	s_or_b32 exec_lo, exec_lo, s0
	s_mov_b32 s0, exec_lo
	v_cmpx_ne_u32_e64 v89, v80
	s_xor_b32 s0, exec_lo, s0
	s_cbranch_execz .LBB72_586
; %bb.581:
	s_mov_b32 s1, exec_lo
	v_cmpx_eq_u32_e32 34, v89
	s_cbranch_execz .LBB72_585
; %bb.582:
	v_cmp_ne_u32_e32 vcc_lo, 34, v80
	s_xor_b32 s2, s6, -1
	s_and_b32 s3, s2, vcc_lo
	s_and_saveexec_b32 s2, s3
	s_cbranch_execz .LBB72_584
; %bb.583:
	v_ashrrev_i32_e32 v81, 31, v80
	v_lshlrev_b64 v[81:82], 2, v[80:81]
	v_add_co_u32 v81, vcc_lo, v4, v81
	v_add_co_ci_u32_e64 v82, null, v5, v82, vcc_lo
	s_clause 0x1
	global_load_dword v83, v[81:82], off
	global_load_dword v89, v[4:5], off offset:136
	s_waitcnt vmcnt(1)
	global_store_dword v[4:5], v83, off offset:136
	s_waitcnt vmcnt(0)
	global_store_dword v[81:82], v89, off
.LBB72_584:
	s_or_b32 exec_lo, exec_lo, s2
	v_mov_b32_e32 v83, v80
	v_mov_b32_e32 v89, v80
.LBB72_585:
	s_or_b32 exec_lo, exec_lo, s1
.LBB72_586:
	s_andn2_saveexec_b32 s0, s0
; %bb.587:
	v_mov_b32_e32 v89, 34
	ds_write2_b64 v86, v[6:7], v[78:79] offset0:35 offset1:36
; %bb.588:
	s_or_b32 exec_lo, exec_lo, s0
	s_mov_b32 s0, exec_lo
	s_waitcnt lgkmcnt(0)
	s_waitcnt_vscnt null, 0x0
	s_barrier
	buffer_gl0_inv
	v_cmpx_lt_i32_e32 34, v89
	s_cbranch_execz .LBB72_590
; %bb.589:
	v_mul_f64 v[10:11], v[0:1], v[10:11]
	ds_read2_b64 v[90:93], v86 offset0:35 offset1:36
	s_waitcnt lgkmcnt(0)
	v_fma_f64 v[6:7], -v[10:11], v[90:91], v[6:7]
	v_fma_f64 v[78:79], -v[10:11], v[92:93], v[78:79]
.LBB72_590:
	s_or_b32 exec_lo, exec_lo, s0
	v_lshl_add_u32 v0, v89, 3, v86
	s_barrier
	buffer_gl0_inv
	v_mov_b32_e32 v80, 35
	ds_write_b64 v0, v[6:7]
	s_waitcnt lgkmcnt(0)
	s_barrier
	buffer_gl0_inv
	ds_read_b64 v[0:1], v86 offset:280
	s_cmp_lt_i32 s7, 37
	s_cbranch_scc1 .LBB72_593
; %bb.591:
	v_add3_u32 v81, v87, 0, 0x120
	v_mov_b32_e32 v80, 35
	s_mov_b32 s0, 36
.LBB72_592:                             ; =>This Inner Loop Header: Depth=1
	ds_read_b64 v[90:91], v81
	v_add_nc_u32_e32 v81, 8, v81
	s_waitcnt lgkmcnt(0)
	v_cmp_lt_f64_e64 vcc_lo, |v[0:1]|, |v[90:91]|
	v_cndmask_b32_e32 v1, v1, v91, vcc_lo
	v_cndmask_b32_e32 v0, v0, v90, vcc_lo
	v_cndmask_b32_e64 v80, v80, s0, vcc_lo
	s_add_i32 s0, s0, 1
	s_cmp_lg_u32 s7, s0
	s_cbranch_scc1 .LBB72_592
.LBB72_593:
	s_mov_b32 s0, exec_lo
	s_waitcnt lgkmcnt(0)
	v_cmpx_eq_f64_e32 0, v[0:1]
	s_xor_b32 s0, exec_lo, s0
; %bb.594:
	v_cmp_ne_u32_e32 vcc_lo, 0, v88
	v_cndmask_b32_e32 v88, 36, v88, vcc_lo
; %bb.595:
	s_andn2_saveexec_b32 s0, s0
	s_cbranch_execz .LBB72_597
; %bb.596:
	v_div_scale_f64 v[81:82], null, v[0:1], v[0:1], 1.0
	v_rcp_f64_e32 v[90:91], v[81:82]
	v_fma_f64 v[92:93], -v[81:82], v[90:91], 1.0
	v_fma_f64 v[90:91], v[90:91], v[92:93], v[90:91]
	v_fma_f64 v[92:93], -v[81:82], v[90:91], 1.0
	v_fma_f64 v[90:91], v[90:91], v[92:93], v[90:91]
	v_div_scale_f64 v[92:93], vcc_lo, 1.0, v[0:1], 1.0
	v_mul_f64 v[94:95], v[92:93], v[90:91]
	v_fma_f64 v[81:82], -v[81:82], v[94:95], v[92:93]
	v_div_fmas_f64 v[81:82], v[81:82], v[90:91], v[94:95]
	v_div_fixup_f64 v[0:1], v[81:82], v[0:1], 1.0
.LBB72_597:
	s_or_b32 exec_lo, exec_lo, s0
	s_mov_b32 s0, exec_lo
	v_cmpx_ne_u32_e64 v89, v80
	s_xor_b32 s0, exec_lo, s0
	s_cbranch_execz .LBB72_603
; %bb.598:
	s_mov_b32 s1, exec_lo
	v_cmpx_eq_u32_e32 35, v89
	s_cbranch_execz .LBB72_602
; %bb.599:
	v_cmp_ne_u32_e32 vcc_lo, 35, v80
	s_xor_b32 s2, s6, -1
	s_and_b32 s3, s2, vcc_lo
	s_and_saveexec_b32 s2, s3
	s_cbranch_execz .LBB72_601
; %bb.600:
	v_ashrrev_i32_e32 v81, 31, v80
	v_lshlrev_b64 v[81:82], 2, v[80:81]
	v_add_co_u32 v81, vcc_lo, v4, v81
	v_add_co_ci_u32_e64 v82, null, v5, v82, vcc_lo
	s_clause 0x1
	global_load_dword v83, v[81:82], off
	global_load_dword v89, v[4:5], off offset:140
	s_waitcnt vmcnt(1)
	global_store_dword v[4:5], v83, off offset:140
	s_waitcnt vmcnt(0)
	global_store_dword v[81:82], v89, off
.LBB72_601:
	s_or_b32 exec_lo, exec_lo, s2
	v_mov_b32_e32 v83, v80
	v_mov_b32_e32 v89, v80
.LBB72_602:
	s_or_b32 exec_lo, exec_lo, s1
.LBB72_603:
	s_andn2_saveexec_b32 s0, s0
; %bb.604:
	v_mov_b32_e32 v89, 35
	ds_write_b64 v86, v[78:79] offset:288
; %bb.605:
	s_or_b32 exec_lo, exec_lo, s0
	s_mov_b32 s0, exec_lo
	s_waitcnt lgkmcnt(0)
	s_waitcnt_vscnt null, 0x0
	s_barrier
	buffer_gl0_inv
	v_cmpx_lt_i32_e32 35, v89
	s_cbranch_execz .LBB72_607
; %bb.606:
	v_mul_f64 v[6:7], v[0:1], v[6:7]
	ds_read_b64 v[0:1], v86 offset:288
	s_waitcnt lgkmcnt(0)
	v_fma_f64 v[78:79], -v[6:7], v[0:1], v[78:79]
.LBB72_607:
	s_or_b32 exec_lo, exec_lo, s0
	v_lshl_add_u32 v0, v89, 3, v86
	s_barrier
	buffer_gl0_inv
	v_mov_b32_e32 v80, 36
	ds_write_b64 v0, v[78:79]
	s_waitcnt lgkmcnt(0)
	s_barrier
	buffer_gl0_inv
	ds_read_b64 v[0:1], v86 offset:288
	s_cmp_lt_i32 s7, 38
	s_cbranch_scc1 .LBB72_610
; %bb.608:
	v_add3_u32 v81, v87, 0, 0x128
	v_mov_b32_e32 v80, 36
	s_mov_b32 s0, 37
.LBB72_609:                             ; =>This Inner Loop Header: Depth=1
	ds_read_b64 v[86:87], v81
	v_add_nc_u32_e32 v81, 8, v81
	s_waitcnt lgkmcnt(0)
	v_cmp_lt_f64_e64 vcc_lo, |v[0:1]|, |v[86:87]|
	v_cndmask_b32_e32 v1, v1, v87, vcc_lo
	v_cndmask_b32_e32 v0, v0, v86, vcc_lo
	v_cndmask_b32_e64 v80, v80, s0, vcc_lo
	s_add_i32 s0, s0, 1
	s_cmp_lg_u32 s7, s0
	s_cbranch_scc1 .LBB72_609
.LBB72_610:
	s_mov_b32 s0, exec_lo
	s_waitcnt lgkmcnt(0)
	v_cmpx_eq_f64_e32 0, v[0:1]
	s_xor_b32 s0, exec_lo, s0
; %bb.611:
	v_cmp_ne_u32_e32 vcc_lo, 0, v88
	v_cndmask_b32_e32 v88, 37, v88, vcc_lo
; %bb.612:
	s_andn2_saveexec_b32 s0, s0
	s_cbranch_execz .LBB72_614
; %bb.613:
	v_div_scale_f64 v[81:82], null, v[0:1], v[0:1], 1.0
	v_rcp_f64_e32 v[86:87], v[81:82]
	v_fma_f64 v[90:91], -v[81:82], v[86:87], 1.0
	v_fma_f64 v[86:87], v[86:87], v[90:91], v[86:87]
	v_fma_f64 v[90:91], -v[81:82], v[86:87], 1.0
	v_fma_f64 v[86:87], v[86:87], v[90:91], v[86:87]
	v_div_scale_f64 v[90:91], vcc_lo, 1.0, v[0:1], 1.0
	v_mul_f64 v[92:93], v[90:91], v[86:87]
	v_fma_f64 v[81:82], -v[81:82], v[92:93], v[90:91]
	v_div_fmas_f64 v[81:82], v[81:82], v[86:87], v[92:93]
	v_div_fixup_f64 v[0:1], v[81:82], v[0:1], 1.0
.LBB72_614:
	s_or_b32 exec_lo, exec_lo, s0
	v_mov_b32_e32 v81, 36
	s_mov_b32 s0, exec_lo
	v_cmpx_ne_u32_e64 v89, v80
	s_cbranch_execz .LBB72_620
; %bb.615:
	s_mov_b32 s1, exec_lo
	v_cmpx_eq_u32_e32 36, v89
	s_cbranch_execz .LBB72_619
; %bb.616:
	v_cmp_ne_u32_e32 vcc_lo, 36, v80
	s_xor_b32 s2, s6, -1
	s_and_b32 s3, s2, vcc_lo
	s_and_saveexec_b32 s2, s3
	s_cbranch_execz .LBB72_618
; %bb.617:
	v_ashrrev_i32_e32 v81, 31, v80
	v_lshlrev_b64 v[81:82], 2, v[80:81]
	v_add_co_u32 v81, vcc_lo, v4, v81
	v_add_co_ci_u32_e64 v82, null, v5, v82, vcc_lo
	s_clause 0x1
	global_load_dword v83, v[81:82], off
	global_load_dword v86, v[4:5], off offset:144
	s_waitcnt vmcnt(1)
	global_store_dword v[4:5], v83, off offset:144
	s_waitcnt vmcnt(0)
	global_store_dword v[81:82], v86, off
.LBB72_618:
	s_or_b32 exec_lo, exec_lo, s2
	v_mov_b32_e32 v83, v80
	v_mov_b32_e32 v89, v80
.LBB72_619:
	s_or_b32 exec_lo, exec_lo, s1
	v_mov_b32_e32 v81, v89
.LBB72_620:
	s_or_b32 exec_lo, exec_lo, s0
	s_load_dwordx8 s[0:7], s[4:5], 0x28
	v_ashrrev_i32_e32 v82, 31, v81
	s_mov_b32 s9, exec_lo
	s_waitcnt lgkmcnt(0)
	s_waitcnt_vscnt null, 0x0
	s_barrier
	buffer_gl0_inv
	s_barrier
	buffer_gl0_inv
	v_cmpx_gt_i32_e32 37, v81
	s_cbranch_execz .LBB72_622
; %bb.621:
	v_mul_lo_u32 v80, s5, v2
	v_mul_lo_u32 v86, s4, v3
	v_mad_u64_u32 v[4:5], null, s4, v2, 0
	s_lshl_b64 s[2:3], s[2:3], 2
	v_add3_u32 v5, v5, v86, v80
	v_lshlrev_b64 v[4:5], 2, v[4:5]
	v_add_co_u32 v80, vcc_lo, s0, v4
	v_add_co_ci_u32_e64 v86, null, s1, v5, vcc_lo
	v_lshlrev_b64 v[4:5], 2, v[81:82]
	v_add_co_u32 v80, vcc_lo, v80, s2
	v_add_co_ci_u32_e64 v86, null, s3, v86, vcc_lo
	v_add_co_u32 v4, vcc_lo, v80, v4
	v_add_co_ci_u32_e64 v5, null, v86, v5, vcc_lo
	v_add3_u32 v80, v83, s13, 1
	global_store_dword v[4:5], v80, off
.LBB72_622:
	s_or_b32 exec_lo, exec_lo, s9
	s_mov_b32 s1, exec_lo
	v_cmpx_eq_u32_e32 0, v81
	s_cbranch_execz .LBB72_625
; %bb.623:
	v_lshlrev_b64 v[2:3], 2, v[2:3]
	v_cmp_ne_u32_e64 s0, 0, v88
	v_add_co_u32 v2, vcc_lo, s6, v2
	v_add_co_ci_u32_e64 v3, null, s7, v3, vcc_lo
	global_load_dword v4, v[2:3], off
	s_waitcnt vmcnt(0)
	v_cmp_eq_u32_e32 vcc_lo, 0, v4
	s_and_b32 s0, vcc_lo, s0
	s_and_b32 exec_lo, exec_lo, s0
	s_cbranch_execz .LBB72_625
; %bb.624:
	v_add_nc_u32_e32 v4, s13, v88
	global_store_dword v[2:3], v4, off
.LBB72_625:
	s_or_b32 exec_lo, exec_lo, s1
	v_mul_f64 v[0:1], v[0:1], v[78:79]
	v_add3_u32 v2, s8, s8, v81
	v_lshlrev_b64 v[4:5], 3, v[81:82]
	v_cmp_lt_i32_e32 vcc_lo, 36, v81
	v_add_nc_u32_e32 v80, s8, v2
	v_ashrrev_i32_e32 v3, 31, v2
	v_add_co_u32 v4, s0, v84, v4
	v_add_co_ci_u32_e64 v5, null, v85, v5, s0
	v_add_nc_u32_e32 v82, s8, v80
	v_ashrrev_i32_e32 v81, 31, v80
	v_add_co_u32 v86, s0, v4, s10
	v_add_co_ci_u32_e64 v87, null, s11, v5, s0
	v_ashrrev_i32_e32 v83, 31, v82
	v_lshlrev_b64 v[2:3], 3, v[2:3]
	flat_store_dwordx2 v[4:5], v[76:77]
	v_lshlrev_b64 v[4:5], 3, v[80:81]
	flat_store_dwordx2 v[86:87], v[74:75]
	v_lshlrev_b64 v[74:75], 3, v[82:83]
	v_cndmask_b32_e32 v1, v79, v1, vcc_lo
	v_cndmask_b32_e32 v0, v78, v0, vcc_lo
	v_add_co_u32 v2, vcc_lo, v84, v2
	v_add_nc_u32_e32 v76, s8, v82
	v_add_co_ci_u32_e64 v3, null, v85, v3, vcc_lo
	v_add_co_u32 v4, vcc_lo, v84, v4
	v_add_co_ci_u32_e64 v5, null, v85, v5, vcc_lo
	v_add_co_u32 v74, vcc_lo, v84, v74
	v_add_nc_u32_e32 v78, s8, v76
	v_add_co_ci_u32_e64 v75, null, v85, v75, vcc_lo
	v_ashrrev_i32_e32 v77, 31, v76
	flat_store_dwordx2 v[2:3], v[72:73]
	flat_store_dwordx2 v[4:5], v[68:69]
	flat_store_dwordx2 v[74:75], v[70:71]
	v_add_nc_u32_e32 v68, s8, v78
	v_ashrrev_i32_e32 v79, 31, v78
	v_lshlrev_b64 v[2:3], 3, v[76:77]
	v_add_nc_u32_e32 v70, s8, v68
	v_lshlrev_b64 v[4:5], 3, v[78:79]
	v_ashrrev_i32_e32 v69, 31, v68
	v_add_co_u32 v2, vcc_lo, v84, v2
	v_add_nc_u32_e32 v72, s8, v70
	v_add_co_ci_u32_e64 v3, null, v85, v3, vcc_lo
	v_add_co_u32 v4, vcc_lo, v84, v4
	v_ashrrev_i32_e32 v71, 31, v70
	v_add_co_ci_u32_e64 v5, null, v85, v5, vcc_lo
	v_ashrrev_i32_e32 v73, 31, v72
	v_lshlrev_b64 v[68:69], 3, v[68:69]
	flat_store_dwordx2 v[2:3], v[64:65]
	flat_store_dwordx2 v[4:5], v[66:67]
	v_lshlrev_b64 v[2:3], 3, v[70:71]
	v_add_nc_u32_e32 v66, s8, v72
	v_lshlrev_b64 v[64:65], 3, v[72:73]
	v_add_co_u32 v4, vcc_lo, v84, v68
	v_add_co_ci_u32_e64 v5, null, v85, v69, vcc_lo
	v_add_co_u32 v2, vcc_lo, v84, v2
	v_add_co_ci_u32_e64 v3, null, v85, v3, vcc_lo
	v_add_co_u32 v64, vcc_lo, v84, v64
	v_add_nc_u32_e32 v68, s8, v66
	v_add_co_ci_u32_e64 v65, null, v85, v65, vcc_lo
	v_ashrrev_i32_e32 v67, 31, v66
	flat_store_dwordx2 v[4:5], v[62:63]
	flat_store_dwordx2 v[2:3], v[60:61]
	flat_store_dwordx2 v[64:65], v[58:59]
	v_add_nc_u32_e32 v58, s8, v68
	v_ashrrev_i32_e32 v69, 31, v68
	v_lshlrev_b64 v[4:5], 3, v[66:67]
	v_add_nc_u32_e32 v60, s8, v58
	v_lshlrev_b64 v[2:3], 3, v[68:69]
	v_ashrrev_i32_e32 v59, 31, v58
	v_add_co_u32 v4, vcc_lo, v84, v4
	v_add_nc_u32_e32 v62, s8, v60
	v_add_co_ci_u32_e64 v5, null, v85, v5, vcc_lo
	v_add_co_u32 v2, vcc_lo, v84, v2
	v_ashrrev_i32_e32 v61, 31, v60
	v_add_co_ci_u32_e64 v3, null, v85, v3, vcc_lo
	v_ashrrev_i32_e32 v63, 31, v62
	v_lshlrev_b64 v[58:59], 3, v[58:59]
	flat_store_dwordx2 v[4:5], v[56:57]
	flat_store_dwordx2 v[2:3], v[54:55]
	v_lshlrev_b64 v[2:3], 3, v[60:61]
	v_add_nc_u32_e32 v56, s8, v62
	v_lshlrev_b64 v[54:55], 3, v[62:63]
	v_add_co_u32 v4, vcc_lo, v84, v58
	;; [unrolled: 30-line block ×5, first 2 shown]
	v_add_co_ci_u32_e64 v5, null, v85, v29, vcc_lo
	v_add_co_u32 v2, vcc_lo, v84, v2
	v_add_nc_u32_e32 v28, s8, v26
	v_add_co_ci_u32_e64 v3, null, v85, v3, vcc_lo
	v_add_co_u32 v24, vcc_lo, v84, v24
	v_ashrrev_i32_e32 v27, 31, v26
	v_add_co_ci_u32_e64 v25, null, v85, v25, vcc_lo
	v_ashrrev_i32_e32 v29, 31, v28
	flat_store_dwordx2 v[4:5], v[22:23]
	v_lshlrev_b64 v[4:5], 3, v[26:27]
	flat_store_dwordx2 v[2:3], v[20:21]
	flat_store_dwordx2 v[24:25], v[18:19]
	v_add_nc_u32_e32 v18, s8, v28
	v_lshlrev_b64 v[2:3], 3, v[28:29]
	v_add_co_u32 v4, vcc_lo, v84, v4
	v_add_nc_u32_e32 v20, s8, v18
	v_add_co_ci_u32_e64 v5, null, v85, v5, vcc_lo
	v_add_co_u32 v2, vcc_lo, v84, v2
	v_add_co_ci_u32_e64 v3, null, v85, v3, vcc_lo
	v_add_nc_u32_e32 v22, s8, v20
	v_ashrrev_i32_e32 v19, 31, v18
	flat_store_dwordx2 v[4:5], v[16:17]
	flat_store_dwordx2 v[2:3], v[14:15]
	v_ashrrev_i32_e32 v21, 31, v20
	v_add_nc_u32_e32 v14, s8, v22
	v_lshlrev_b64 v[4:5], 3, v[18:19]
	v_ashrrev_i32_e32 v23, 31, v22
	v_lshlrev_b64 v[2:3], 3, v[20:21]
	v_add_nc_u32_e32 v18, s8, v14
	v_ashrrev_i32_e32 v15, 31, v14
	v_lshlrev_b64 v[16:17], 3, v[22:23]
	v_add_co_u32 v4, vcc_lo, v84, v4
	v_ashrrev_i32_e32 v19, 31, v18
	v_lshlrev_b64 v[14:15], 3, v[14:15]
	v_add_co_ci_u32_e64 v5, null, v85, v5, vcc_lo
	v_add_co_u32 v2, vcc_lo, v84, v2
	v_lshlrev_b64 v[18:19], 3, v[18:19]
	v_add_co_ci_u32_e64 v3, null, v85, v3, vcc_lo
	v_add_co_u32 v16, vcc_lo, v84, v16
	v_add_co_ci_u32_e64 v17, null, v85, v17, vcc_lo
	v_add_co_u32 v14, vcc_lo, v84, v14
	;; [unrolled: 2-line block ×3, first 2 shown]
	v_add_co_ci_u32_e64 v19, null, v85, v19, vcc_lo
	flat_store_dwordx2 v[4:5], v[12:13]
	flat_store_dwordx2 v[2:3], v[8:9]
	;; [unrolled: 1-line block ×5, first 2 shown]
.LBB72_626:
	s_endpgm
	.section	.rodata,"a",@progbits
	.p2align	6, 0x0
	.amdhsa_kernel _ZN9rocsolver6v33100L18getf2_small_kernelILi37EdiiPKPdEEvT1_T3_lS5_lPS5_llPT2_S5_S5_S7_l
		.amdhsa_group_segment_fixed_size 0
		.amdhsa_private_segment_fixed_size 0
		.amdhsa_kernarg_size 352
		.amdhsa_user_sgpr_count 6
		.amdhsa_user_sgpr_private_segment_buffer 1
		.amdhsa_user_sgpr_dispatch_ptr 0
		.amdhsa_user_sgpr_queue_ptr 0
		.amdhsa_user_sgpr_kernarg_segment_ptr 1
		.amdhsa_user_sgpr_dispatch_id 0
		.amdhsa_user_sgpr_flat_scratch_init 0
		.amdhsa_user_sgpr_private_segment_size 0
		.amdhsa_wavefront_size32 1
		.amdhsa_uses_dynamic_stack 0
		.amdhsa_system_sgpr_private_segment_wavefront_offset 0
		.amdhsa_system_sgpr_workgroup_id_x 1
		.amdhsa_system_sgpr_workgroup_id_y 1
		.amdhsa_system_sgpr_workgroup_id_z 0
		.amdhsa_system_sgpr_workgroup_info 0
		.amdhsa_system_vgpr_workitem_id 1
		.amdhsa_next_free_vgpr 158
		.amdhsa_next_free_sgpr 14
		.amdhsa_reserve_vcc 1
		.amdhsa_reserve_flat_scratch 1
		.amdhsa_float_round_mode_32 0
		.amdhsa_float_round_mode_16_64 0
		.amdhsa_float_denorm_mode_32 3
		.amdhsa_float_denorm_mode_16_64 3
		.amdhsa_dx10_clamp 1
		.amdhsa_ieee_mode 1
		.amdhsa_fp16_overflow 0
		.amdhsa_workgroup_processor_mode 1
		.amdhsa_memory_ordered 1
		.amdhsa_forward_progress 1
		.amdhsa_shared_vgpr_count 0
		.amdhsa_exception_fp_ieee_invalid_op 0
		.amdhsa_exception_fp_denorm_src 0
		.amdhsa_exception_fp_ieee_div_zero 0
		.amdhsa_exception_fp_ieee_overflow 0
		.amdhsa_exception_fp_ieee_underflow 0
		.amdhsa_exception_fp_ieee_inexact 0
		.amdhsa_exception_int_div_zero 0
	.end_amdhsa_kernel
	.section	.text._ZN9rocsolver6v33100L18getf2_small_kernelILi37EdiiPKPdEEvT1_T3_lS5_lPS5_llPT2_S5_S5_S7_l,"axG",@progbits,_ZN9rocsolver6v33100L18getf2_small_kernelILi37EdiiPKPdEEvT1_T3_lS5_lPS5_llPT2_S5_S5_S7_l,comdat
.Lfunc_end72:
	.size	_ZN9rocsolver6v33100L18getf2_small_kernelILi37EdiiPKPdEEvT1_T3_lS5_lPS5_llPT2_S5_S5_S7_l, .Lfunc_end72-_ZN9rocsolver6v33100L18getf2_small_kernelILi37EdiiPKPdEEvT1_T3_lS5_lPS5_llPT2_S5_S5_S7_l
                                        ; -- End function
	.set _ZN9rocsolver6v33100L18getf2_small_kernelILi37EdiiPKPdEEvT1_T3_lS5_lPS5_llPT2_S5_S5_S7_l.num_vgpr, 158
	.set _ZN9rocsolver6v33100L18getf2_small_kernelILi37EdiiPKPdEEvT1_T3_lS5_lPS5_llPT2_S5_S5_S7_l.num_agpr, 0
	.set _ZN9rocsolver6v33100L18getf2_small_kernelILi37EdiiPKPdEEvT1_T3_lS5_lPS5_llPT2_S5_S5_S7_l.numbered_sgpr, 14
	.set _ZN9rocsolver6v33100L18getf2_small_kernelILi37EdiiPKPdEEvT1_T3_lS5_lPS5_llPT2_S5_S5_S7_l.num_named_barrier, 0
	.set _ZN9rocsolver6v33100L18getf2_small_kernelILi37EdiiPKPdEEvT1_T3_lS5_lPS5_llPT2_S5_S5_S7_l.private_seg_size, 0
	.set _ZN9rocsolver6v33100L18getf2_small_kernelILi37EdiiPKPdEEvT1_T3_lS5_lPS5_llPT2_S5_S5_S7_l.uses_vcc, 1
	.set _ZN9rocsolver6v33100L18getf2_small_kernelILi37EdiiPKPdEEvT1_T3_lS5_lPS5_llPT2_S5_S5_S7_l.uses_flat_scratch, 1
	.set _ZN9rocsolver6v33100L18getf2_small_kernelILi37EdiiPKPdEEvT1_T3_lS5_lPS5_llPT2_S5_S5_S7_l.has_dyn_sized_stack, 0
	.set _ZN9rocsolver6v33100L18getf2_small_kernelILi37EdiiPKPdEEvT1_T3_lS5_lPS5_llPT2_S5_S5_S7_l.has_recursion, 0
	.set _ZN9rocsolver6v33100L18getf2_small_kernelILi37EdiiPKPdEEvT1_T3_lS5_lPS5_llPT2_S5_S5_S7_l.has_indirect_call, 0
	.section	.AMDGPU.csdata,"",@progbits
; Kernel info:
; codeLenInByte = 34868
; TotalNumSgprs: 16
; NumVgprs: 158
; ScratchSize: 0
; MemoryBound: 0
; FloatMode: 240
; IeeeMode: 1
; LDSByteSize: 0 bytes/workgroup (compile time only)
; SGPRBlocks: 0
; VGPRBlocks: 19
; NumSGPRsForWavesPerEU: 16
; NumVGPRsForWavesPerEU: 158
; Occupancy: 6
; WaveLimiterHint : 1
; COMPUTE_PGM_RSRC2:SCRATCH_EN: 0
; COMPUTE_PGM_RSRC2:USER_SGPR: 6
; COMPUTE_PGM_RSRC2:TRAP_HANDLER: 0
; COMPUTE_PGM_RSRC2:TGID_X_EN: 1
; COMPUTE_PGM_RSRC2:TGID_Y_EN: 1
; COMPUTE_PGM_RSRC2:TGID_Z_EN: 0
; COMPUTE_PGM_RSRC2:TIDIG_COMP_CNT: 1
	.section	.text._ZN9rocsolver6v33100L23getf2_npvt_small_kernelILi37EdiiPKPdEEvT1_T3_lS5_lPT2_S5_S5_,"axG",@progbits,_ZN9rocsolver6v33100L23getf2_npvt_small_kernelILi37EdiiPKPdEEvT1_T3_lS5_lPT2_S5_S5_,comdat
	.globl	_ZN9rocsolver6v33100L23getf2_npvt_small_kernelILi37EdiiPKPdEEvT1_T3_lS5_lPT2_S5_S5_ ; -- Begin function _ZN9rocsolver6v33100L23getf2_npvt_small_kernelILi37EdiiPKPdEEvT1_T3_lS5_lPT2_S5_S5_
	.p2align	8
	.type	_ZN9rocsolver6v33100L23getf2_npvt_small_kernelILi37EdiiPKPdEEvT1_T3_lS5_lPT2_S5_S5_,@function
_ZN9rocsolver6v33100L23getf2_npvt_small_kernelILi37EdiiPKPdEEvT1_T3_lS5_lPT2_S5_S5_: ; @_ZN9rocsolver6v33100L23getf2_npvt_small_kernelILi37EdiiPKPdEEvT1_T3_lS5_lPT2_S5_S5_
; %bb.0:
	s_clause 0x1
	s_load_dword s0, s[4:5], 0x44
	s_load_dwordx2 s[8:9], s[4:5], 0x30
	s_waitcnt lgkmcnt(0)
	s_lshr_b32 s10, s0, 16
	s_mov_b32 s0, exec_lo
	v_mad_u64_u32 v[2:3], null, s7, s10, v[1:2]
	v_cmpx_gt_i32_e64 s8, v2
	s_cbranch_execz .LBB73_188
; %bb.1:
	s_clause 0x1
	s_load_dwordx4 s[0:3], s[4:5], 0x8
	s_load_dword s6, s[4:5], 0x18
	v_ashrrev_i32_e32 v3, 31, v2
	v_lshlrev_b32_e32 v78, 3, v0
	v_lshlrev_b32_e32 v152, 3, v1
	s_mulk_i32 s10, 0x128
	v_mad_u32_u24 v224, 0x128, v1, 0
	v_lshlrev_b64 v[4:5], 3, v[2:3]
	v_add3_u32 v1, 0, s10, v152
	s_waitcnt lgkmcnt(0)
	v_add_co_u32 v4, vcc_lo, s0, v4
	v_add_co_ci_u32_e64 v5, null, s1, v5, vcc_lo
	v_add3_u32 v6, s6, s6, v0
	s_lshl_b64 s[2:3], s[2:3], 3
	s_ashr_i32 s7, s6, 31
	global_load_dwordx2 v[4:5], v[4:5], off
	s_lshl_b64 s[0:1], s[6:7], 3
	v_add_nc_u32_e32 v8, s6, v6
	v_ashrrev_i32_e32 v7, 31, v6
	v_add_nc_u32_e32 v10, s6, v8
	v_ashrrev_i32_e32 v9, 31, v8
	v_lshlrev_b64 v[6:7], 3, v[6:7]
	v_add_nc_u32_e32 v12, s6, v10
	v_ashrrev_i32_e32 v11, 31, v10
	v_lshlrev_b64 v[8:9], 3, v[8:9]
	;; [unrolled: 3-line block ×32, first 2 shown]
	v_ashrrev_i32_e32 v73, 31, v72
	v_add_nc_u32_e32 v74, s6, v72
	v_lshlrev_b64 v[70:71], 3, v[70:71]
	v_lshlrev_b64 v[72:73], 3, v[72:73]
	v_ashrrev_i32_e32 v75, 31, v74
	v_lshlrev_b64 v[76:77], 3, v[74:75]
	s_waitcnt vmcnt(0)
	v_add_co_u32 v79, vcc_lo, v4, s2
	v_add_co_ci_u32_e64 v80, null, s3, v5, vcc_lo
	v_add_co_u32 v4, vcc_lo, v79, v6
	v_add_co_ci_u32_e64 v5, null, v80, v7, vcc_lo
	;; [unrolled: 2-line block ×38, first 2 shown]
	s_clause 0x24
	flat_load_dwordx2 v[138:139], v[8:9]
	flat_load_dwordx2 v[122:123], v[10:11]
	;; [unrolled: 1-line block ×37, first 2 shown]
	v_cmp_ne_u32_e64 s1, 0, v0
	v_cmp_eq_u32_e64 s0, 0, v0
	s_and_saveexec_b32 s2, s0
	s_cbranch_execz .LBB73_4
; %bb.2:
	s_waitcnt vmcnt(4) lgkmcnt(4)
	ds_write_b64 v1, v[144:145]
	s_waitcnt vmcnt(2) lgkmcnt(3)
	ds_write2_b64 v224, v[148:149], v[150:151] offset0:1 offset1:2
	s_waitcnt vmcnt(1) lgkmcnt(3)
	ds_write2_b64 v224, v[146:147], v[138:139] offset0:3 offset1:4
	ds_write2_b64 v224, v[122:123], v[136:137] offset0:5 offset1:6
	;; [unrolled: 1-line block ×16, first 2 shown]
	s_waitcnt vmcnt(0) lgkmcnt(18)
	ds_write2_b64 v224, v[76:77], v[142:143] offset0:35 offset1:36
	ds_read_b64 v[152:153], v1
	s_waitcnt lgkmcnt(0)
	v_cmp_neq_f64_e32 vcc_lo, 0, v[152:153]
	s_and_b32 exec_lo, exec_lo, vcc_lo
	s_cbranch_execz .LBB73_4
; %bb.3:
	v_div_scale_f64 v[154:155], null, v[152:153], v[152:153], 1.0
	v_rcp_f64_e32 v[156:157], v[154:155]
	v_fma_f64 v[158:159], -v[154:155], v[156:157], 1.0
	v_fma_f64 v[156:157], v[156:157], v[158:159], v[156:157]
	v_fma_f64 v[158:159], -v[154:155], v[156:157], 1.0
	v_fma_f64 v[156:157], v[156:157], v[158:159], v[156:157]
	v_div_scale_f64 v[158:159], vcc_lo, 1.0, v[152:153], 1.0
	v_mul_f64 v[160:161], v[158:159], v[156:157]
	v_fma_f64 v[154:155], -v[154:155], v[160:161], v[158:159]
	v_div_fmas_f64 v[154:155], v[154:155], v[156:157], v[160:161]
	v_div_fixup_f64 v[152:153], v[154:155], v[152:153], 1.0
	ds_write_b64 v1, v[152:153]
.LBB73_4:
	s_or_b32 exec_lo, exec_lo, s2
	s_waitcnt vmcnt(0) lgkmcnt(0)
	s_barrier
	buffer_gl0_inv
	ds_read_b64 v[152:153], v1
	s_and_saveexec_b32 s2, s1
	s_cbranch_execz .LBB73_6
; %bb.5:
	s_waitcnt lgkmcnt(0)
	v_mul_f64 v[144:145], v[152:153], v[144:145]
	ds_read2_b64 v[154:157], v224 offset0:1 offset1:2
	ds_read2_b64 v[158:161], v224 offset0:3 offset1:4
	;; [unrolled: 1-line block ×12, first 2 shown]
	s_waitcnt lgkmcnt(11)
	v_fma_f64 v[148:149], -v[144:145], v[154:155], v[148:149]
	v_fma_f64 v[150:151], -v[144:145], v[156:157], v[150:151]
	s_waitcnt lgkmcnt(10)
	v_fma_f64 v[146:147], -v[144:145], v[158:159], v[146:147]
	v_fma_f64 v[138:139], -v[144:145], v[160:161], v[138:139]
	s_waitcnt lgkmcnt(9)
	v_fma_f64 v[122:123], -v[144:145], v[162:163], v[122:123]
	v_fma_f64 v[136:137], -v[144:145], v[164:165], v[136:137]
	s_waitcnt lgkmcnt(8)
	v_fma_f64 v[120:121], -v[144:145], v[166:167], v[120:121]
	v_fma_f64 v[134:135], -v[144:145], v[168:169], v[134:135]
	s_waitcnt lgkmcnt(7)
	v_fma_f64 v[118:119], -v[144:145], v[170:171], v[118:119]
	v_fma_f64 v[132:133], -v[144:145], v[172:173], v[132:133]
	ds_read2_b64 v[154:157], v224 offset0:25 offset1:26
	ds_read2_b64 v[158:161], v224 offset0:27 offset1:28
	s_waitcnt lgkmcnt(8)
	v_fma_f64 v[116:117], -v[144:145], v[174:175], v[116:117]
	v_fma_f64 v[130:131], -v[144:145], v[176:177], v[130:131]
	ds_read2_b64 v[162:165], v224 offset0:29 offset1:30
	ds_read2_b64 v[166:169], v224 offset0:31 offset1:32
	;; [unrolled: 1-line block ×4, first 2 shown]
	s_waitcnt lgkmcnt(11)
	v_fma_f64 v[114:115], -v[144:145], v[178:179], v[114:115]
	v_fma_f64 v[128:129], -v[144:145], v[180:181], v[128:129]
	s_waitcnt lgkmcnt(10)
	v_fma_f64 v[112:113], -v[144:145], v[182:183], v[112:113]
	v_fma_f64 v[126:127], -v[144:145], v[184:185], v[126:127]
	;; [unrolled: 3-line block ×12, first 2 shown]
.LBB73_6:
	s_or_b32 exec_lo, exec_lo, s2
	s_mov_b32 s1, exec_lo
	s_waitcnt lgkmcnt(0)
	s_barrier
	buffer_gl0_inv
	v_cmpx_eq_u32_e32 1, v0
	s_cbranch_execz .LBB73_9
; %bb.7:
	v_mov_b32_e32 v154, v150
	v_mov_b32_e32 v155, v151
	;; [unrolled: 1-line block ×8, first 2 shown]
	ds_write_b64 v1, v[148:149]
	ds_write2_b64 v224, v[154:155], v[156:157] offset0:2 offset1:3
	ds_write2_b64 v224, v[158:159], v[160:161] offset0:4 offset1:5
	v_mov_b32_e32 v154, v136
	v_mov_b32_e32 v155, v137
	v_mov_b32_e32 v156, v120
	v_mov_b32_e32 v157, v121
	v_mov_b32_e32 v158, v134
	v_mov_b32_e32 v159, v135
	v_mov_b32_e32 v160, v118
	v_mov_b32_e32 v161, v119
	v_mov_b32_e32 v162, v132
	v_mov_b32_e32 v163, v133
	v_mov_b32_e32 v164, v116
	v_mov_b32_e32 v165, v117
	v_mov_b32_e32 v166, v130
	v_mov_b32_e32 v167, v131
	v_mov_b32_e32 v168, v114
	v_mov_b32_e32 v169, v115
	v_mov_b32_e32 v170, v128
	v_mov_b32_e32 v171, v129
	v_mov_b32_e32 v172, v112
	v_mov_b32_e32 v173, v113
	ds_write2_b64 v224, v[154:155], v[156:157] offset0:6 offset1:7
	ds_write2_b64 v224, v[158:159], v[160:161] offset0:8 offset1:9
	ds_write2_b64 v224, v[162:163], v[164:165] offset0:10 offset1:11
	ds_write2_b64 v224, v[166:167], v[168:169] offset0:12 offset1:13
	ds_write2_b64 v224, v[170:171], v[172:173] offset0:14 offset1:15
	v_mov_b32_e32 v154, v126
	v_mov_b32_e32 v155, v127
	v_mov_b32_e32 v156, v110
	v_mov_b32_e32 v157, v111
	v_mov_b32_e32 v158, v124
	v_mov_b32_e32 v159, v125
	v_mov_b32_e32 v160, v92
	v_mov_b32_e32 v161, v93
	v_mov_b32_e32 v162, v108
	v_mov_b32_e32 v163, v109
	v_mov_b32_e32 v164, v90
	v_mov_b32_e32 v165, v91
	v_mov_b32_e32 v166, v106
	v_mov_b32_e32 v167, v107
	v_mov_b32_e32 v168, v88
	v_mov_b32_e32 v169, v89
	v_mov_b32_e32 v170, v104
	v_mov_b32_e32 v171, v105
	v_mov_b32_e32 v172, v86
	v_mov_b32_e32 v173, v87
	ds_write2_b64 v224, v[154:155], v[156:157] offset0:16 offset1:17
	ds_write2_b64 v224, v[158:159], v[160:161] offset0:18 offset1:19
	ds_write2_b64 v224, v[162:163], v[164:165] offset0:20 offset1:21
	ds_write2_b64 v224, v[166:167], v[168:169] offset0:22 offset1:23
	ds_write2_b64 v224, v[170:171], v[172:173] offset0:24 offset1:25
	v_mov_b32_e32 v154, v102
	v_mov_b32_e32 v155, v103
	v_mov_b32_e32 v156, v84
	v_mov_b32_e32 v157, v85
	v_mov_b32_e32 v158, v100
	v_mov_b32_e32 v159, v101
	v_mov_b32_e32 v160, v82
	v_mov_b32_e32 v161, v83
	v_mov_b32_e32 v162, v98
	v_mov_b32_e32 v163, v99
	v_mov_b32_e32 v164, v80
	v_mov_b32_e32 v165, v81
	v_mov_b32_e32 v166, v96
	v_mov_b32_e32 v167, v97
	v_mov_b32_e32 v168, v78
	v_mov_b32_e32 v169, v79
	v_mov_b32_e32 v170, v94
	v_mov_b32_e32 v171, v95
	v_mov_b32_e32 v172, v76
	v_mov_b32_e32 v173, v77
	ds_write2_b64 v224, v[154:155], v[156:157] offset0:26 offset1:27
	ds_write2_b64 v224, v[158:159], v[160:161] offset0:28 offset1:29
	ds_write2_b64 v224, v[162:163], v[164:165] offset0:30 offset1:31
	ds_write2_b64 v224, v[166:167], v[168:169] offset0:32 offset1:33
	ds_write2_b64 v224, v[170:171], v[172:173] offset0:34 offset1:35
	ds_write_b64 v224, v[142:143] offset:288
	ds_read_b64 v[154:155], v1
	s_waitcnt lgkmcnt(0)
	v_cmp_neq_f64_e32 vcc_lo, 0, v[154:155]
	s_and_b32 exec_lo, exec_lo, vcc_lo
	s_cbranch_execz .LBB73_9
; %bb.8:
	v_div_scale_f64 v[156:157], null, v[154:155], v[154:155], 1.0
	v_rcp_f64_e32 v[158:159], v[156:157]
	v_fma_f64 v[160:161], -v[156:157], v[158:159], 1.0
	v_fma_f64 v[158:159], v[158:159], v[160:161], v[158:159]
	v_fma_f64 v[160:161], -v[156:157], v[158:159], 1.0
	v_fma_f64 v[158:159], v[158:159], v[160:161], v[158:159]
	v_div_scale_f64 v[160:161], vcc_lo, 1.0, v[154:155], 1.0
	v_mul_f64 v[162:163], v[160:161], v[158:159]
	v_fma_f64 v[156:157], -v[156:157], v[162:163], v[160:161]
	v_div_fmas_f64 v[156:157], v[156:157], v[158:159], v[162:163]
	v_div_fixup_f64 v[154:155], v[156:157], v[154:155], 1.0
	ds_write_b64 v1, v[154:155]
.LBB73_9:
	s_or_b32 exec_lo, exec_lo, s1
	s_waitcnt lgkmcnt(0)
	s_barrier
	buffer_gl0_inv
	ds_read_b64 v[154:155], v1
	s_mov_b32 s1, exec_lo
	v_cmpx_lt_u32_e32 1, v0
	s_cbranch_execz .LBB73_11
; %bb.10:
	s_waitcnt lgkmcnt(0)
	v_mul_f64 v[148:149], v[154:155], v[148:149]
	ds_read2_b64 v[156:159], v224 offset0:2 offset1:3
	ds_read2_b64 v[160:163], v224 offset0:4 offset1:5
	;; [unrolled: 1-line block ×12, first 2 shown]
	s_waitcnt lgkmcnt(11)
	v_fma_f64 v[150:151], -v[148:149], v[156:157], v[150:151]
	v_fma_f64 v[146:147], -v[148:149], v[158:159], v[146:147]
	s_waitcnt lgkmcnt(10)
	v_fma_f64 v[138:139], -v[148:149], v[160:161], v[138:139]
	v_fma_f64 v[122:123], -v[148:149], v[162:163], v[122:123]
	;; [unrolled: 3-line block ×5, first 2 shown]
	ds_read2_b64 v[156:159], v224 offset0:26 offset1:27
	ds_read2_b64 v[160:163], v224 offset0:28 offset1:29
	s_waitcnt lgkmcnt(8)
	v_fma_f64 v[130:131], -v[148:149], v[176:177], v[130:131]
	ds_read2_b64 v[164:167], v224 offset0:30 offset1:31
	ds_read2_b64 v[168:171], v224 offset0:32 offset1:33
	ds_read2_b64 v[172:175], v224 offset0:34 offset1:35
	ds_read_b64 v[176:177], v224 offset:288
	v_fma_f64 v[114:115], -v[148:149], v[178:179], v[114:115]
	s_waitcnt lgkmcnt(11)
	v_fma_f64 v[128:129], -v[148:149], v[180:181], v[128:129]
	v_fma_f64 v[112:113], -v[148:149], v[182:183], v[112:113]
	s_waitcnt lgkmcnt(10)
	v_fma_f64 v[126:127], -v[148:149], v[184:185], v[126:127]
	;; [unrolled: 3-line block ×12, first 2 shown]
.LBB73_11:
	s_or_b32 exec_lo, exec_lo, s1
	s_mov_b32 s1, exec_lo
	s_waitcnt lgkmcnt(0)
	s_barrier
	buffer_gl0_inv
	v_cmpx_eq_u32_e32 2, v0
	s_cbranch_execz .LBB73_14
; %bb.12:
	ds_write_b64 v1, v[150:151]
	ds_write2_b64 v224, v[146:147], v[138:139] offset0:3 offset1:4
	ds_write2_b64 v224, v[122:123], v[136:137] offset0:5 offset1:6
	;; [unrolled: 1-line block ×17, first 2 shown]
	ds_read_b64 v[156:157], v1
	s_waitcnt lgkmcnt(0)
	v_cmp_neq_f64_e32 vcc_lo, 0, v[156:157]
	s_and_b32 exec_lo, exec_lo, vcc_lo
	s_cbranch_execz .LBB73_14
; %bb.13:
	v_div_scale_f64 v[158:159], null, v[156:157], v[156:157], 1.0
	v_rcp_f64_e32 v[160:161], v[158:159]
	v_fma_f64 v[162:163], -v[158:159], v[160:161], 1.0
	v_fma_f64 v[160:161], v[160:161], v[162:163], v[160:161]
	v_fma_f64 v[162:163], -v[158:159], v[160:161], 1.0
	v_fma_f64 v[160:161], v[160:161], v[162:163], v[160:161]
	v_div_scale_f64 v[162:163], vcc_lo, 1.0, v[156:157], 1.0
	v_mul_f64 v[164:165], v[162:163], v[160:161]
	v_fma_f64 v[158:159], -v[158:159], v[164:165], v[162:163]
	v_div_fmas_f64 v[158:159], v[158:159], v[160:161], v[164:165]
	v_div_fixup_f64 v[156:157], v[158:159], v[156:157], 1.0
	ds_write_b64 v1, v[156:157]
.LBB73_14:
	s_or_b32 exec_lo, exec_lo, s1
	s_waitcnt lgkmcnt(0)
	s_barrier
	buffer_gl0_inv
	ds_read_b64 v[156:157], v1
	s_mov_b32 s1, exec_lo
	v_cmpx_lt_u32_e32 2, v0
	s_cbranch_execz .LBB73_16
; %bb.15:
	s_waitcnt lgkmcnt(0)
	v_mul_f64 v[150:151], v[156:157], v[150:151]
	ds_read2_b64 v[158:161], v224 offset0:3 offset1:4
	ds_read2_b64 v[162:165], v224 offset0:5 offset1:6
	;; [unrolled: 1-line block ×13, first 2 shown]
	s_waitcnt lgkmcnt(12)
	v_fma_f64 v[146:147], -v[150:151], v[158:159], v[146:147]
	v_fma_f64 v[138:139], -v[150:151], v[160:161], v[138:139]
	s_waitcnt lgkmcnt(11)
	v_fma_f64 v[122:123], -v[150:151], v[162:163], v[122:123]
	v_fma_f64 v[136:137], -v[150:151], v[164:165], v[136:137]
	;; [unrolled: 3-line block ×4, first 2 shown]
	ds_read2_b64 v[158:161], v224 offset0:29 offset1:30
	ds_read2_b64 v[162:165], v224 offset0:31 offset1:32
	;; [unrolled: 1-line block ×4, first 2 shown]
	s_waitcnt lgkmcnt(12)
	v_fma_f64 v[116:117], -v[150:151], v[174:175], v[116:117]
	v_fma_f64 v[130:131], -v[150:151], v[176:177], v[130:131]
	s_waitcnt lgkmcnt(11)
	v_fma_f64 v[114:115], -v[150:151], v[178:179], v[114:115]
	v_fma_f64 v[128:129], -v[150:151], v[180:181], v[128:129]
	;; [unrolled: 3-line block ×13, first 2 shown]
.LBB73_16:
	s_or_b32 exec_lo, exec_lo, s1
	s_mov_b32 s1, exec_lo
	s_waitcnt lgkmcnt(0)
	s_barrier
	buffer_gl0_inv
	v_cmpx_eq_u32_e32 3, v0
	s_cbranch_execz .LBB73_19
; %bb.17:
	v_mov_b32_e32 v158, v138
	v_mov_b32_e32 v159, v139
	v_mov_b32_e32 v160, v122
	v_mov_b32_e32 v161, v123
	ds_write_b64 v1, v[146:147]
	ds_write2_b64 v224, v[158:159], v[160:161] offset0:4 offset1:5
	v_mov_b32_e32 v158, v136
	v_mov_b32_e32 v159, v137
	v_mov_b32_e32 v160, v120
	v_mov_b32_e32 v161, v121
	v_mov_b32_e32 v162, v134
	v_mov_b32_e32 v163, v135
	v_mov_b32_e32 v164, v118
	v_mov_b32_e32 v165, v119
	v_mov_b32_e32 v166, v132
	v_mov_b32_e32 v167, v133
	v_mov_b32_e32 v168, v116
	v_mov_b32_e32 v169, v117
	v_mov_b32_e32 v170, v130
	v_mov_b32_e32 v171, v131
	v_mov_b32_e32 v172, v114
	v_mov_b32_e32 v173, v115
	v_mov_b32_e32 v174, v128
	v_mov_b32_e32 v175, v129
	v_mov_b32_e32 v176, v112
	v_mov_b32_e32 v177, v113
	ds_write2_b64 v224, v[158:159], v[160:161] offset0:6 offset1:7
	ds_write2_b64 v224, v[162:163], v[164:165] offset0:8 offset1:9
	ds_write2_b64 v224, v[166:167], v[168:169] offset0:10 offset1:11
	ds_write2_b64 v224, v[170:171], v[172:173] offset0:12 offset1:13
	ds_write2_b64 v224, v[174:175], v[176:177] offset0:14 offset1:15
	v_mov_b32_e32 v158, v126
	v_mov_b32_e32 v159, v127
	v_mov_b32_e32 v160, v110
	v_mov_b32_e32 v161, v111
	v_mov_b32_e32 v162, v124
	v_mov_b32_e32 v163, v125
	v_mov_b32_e32 v164, v92
	v_mov_b32_e32 v165, v93
	v_mov_b32_e32 v166, v108
	v_mov_b32_e32 v167, v109
	v_mov_b32_e32 v168, v90
	v_mov_b32_e32 v169, v91
	v_mov_b32_e32 v170, v106
	v_mov_b32_e32 v171, v107
	v_mov_b32_e32 v172, v88
	v_mov_b32_e32 v173, v89
	v_mov_b32_e32 v174, v104
	v_mov_b32_e32 v175, v105
	v_mov_b32_e32 v176, v86
	v_mov_b32_e32 v177, v87
	ds_write2_b64 v224, v[158:159], v[160:161] offset0:16 offset1:17
	ds_write2_b64 v224, v[162:163], v[164:165] offset0:18 offset1:19
	ds_write2_b64 v224, v[166:167], v[168:169] offset0:20 offset1:21
	ds_write2_b64 v224, v[170:171], v[172:173] offset0:22 offset1:23
	ds_write2_b64 v224, v[174:175], v[176:177] offset0:24 offset1:25
	v_mov_b32_e32 v158, v102
	v_mov_b32_e32 v159, v103
	v_mov_b32_e32 v160, v84
	v_mov_b32_e32 v161, v85
	v_mov_b32_e32 v162, v100
	v_mov_b32_e32 v163, v101
	v_mov_b32_e32 v164, v82
	v_mov_b32_e32 v165, v83
	v_mov_b32_e32 v166, v98
	v_mov_b32_e32 v167, v99
	v_mov_b32_e32 v168, v80
	v_mov_b32_e32 v169, v81
	v_mov_b32_e32 v170, v96
	v_mov_b32_e32 v171, v97
	v_mov_b32_e32 v172, v78
	v_mov_b32_e32 v173, v79
	v_mov_b32_e32 v174, v94
	v_mov_b32_e32 v175, v95
	v_mov_b32_e32 v176, v76
	v_mov_b32_e32 v177, v77
	ds_write2_b64 v224, v[158:159], v[160:161] offset0:26 offset1:27
	ds_write2_b64 v224, v[162:163], v[164:165] offset0:28 offset1:29
	ds_write2_b64 v224, v[166:167], v[168:169] offset0:30 offset1:31
	ds_write2_b64 v224, v[170:171], v[172:173] offset0:32 offset1:33
	ds_write2_b64 v224, v[174:175], v[176:177] offset0:34 offset1:35
	ds_write_b64 v224, v[142:143] offset:288
	ds_read_b64 v[158:159], v1
	s_waitcnt lgkmcnt(0)
	v_cmp_neq_f64_e32 vcc_lo, 0, v[158:159]
	s_and_b32 exec_lo, exec_lo, vcc_lo
	s_cbranch_execz .LBB73_19
; %bb.18:
	v_div_scale_f64 v[160:161], null, v[158:159], v[158:159], 1.0
	v_rcp_f64_e32 v[162:163], v[160:161]
	v_fma_f64 v[164:165], -v[160:161], v[162:163], 1.0
	v_fma_f64 v[162:163], v[162:163], v[164:165], v[162:163]
	v_fma_f64 v[164:165], -v[160:161], v[162:163], 1.0
	v_fma_f64 v[162:163], v[162:163], v[164:165], v[162:163]
	v_div_scale_f64 v[164:165], vcc_lo, 1.0, v[158:159], 1.0
	v_mul_f64 v[166:167], v[164:165], v[162:163]
	v_fma_f64 v[160:161], -v[160:161], v[166:167], v[164:165]
	v_div_fmas_f64 v[160:161], v[160:161], v[162:163], v[166:167]
	v_div_fixup_f64 v[158:159], v[160:161], v[158:159], 1.0
	ds_write_b64 v1, v[158:159]
.LBB73_19:
	s_or_b32 exec_lo, exec_lo, s1
	s_waitcnt lgkmcnt(0)
	s_barrier
	buffer_gl0_inv
	ds_read_b64 v[158:159], v1
	s_mov_b32 s1, exec_lo
	v_cmpx_lt_u32_e32 3, v0
	s_cbranch_execz .LBB73_21
; %bb.20:
	s_waitcnt lgkmcnt(0)
	v_mul_f64 v[146:147], v[158:159], v[146:147]
	ds_read2_b64 v[160:163], v224 offset0:4 offset1:5
	ds_read2_b64 v[164:167], v224 offset0:6 offset1:7
	ds_read2_b64 v[168:171], v224 offset0:8 offset1:9
	ds_read2_b64 v[172:175], v224 offset0:10 offset1:11
	ds_read2_b64 v[176:179], v224 offset0:12 offset1:13
	ds_read2_b64 v[180:183], v224 offset0:14 offset1:15
	ds_read2_b64 v[184:187], v224 offset0:16 offset1:17
	ds_read2_b64 v[188:191], v224 offset0:18 offset1:19
	ds_read2_b64 v[192:195], v224 offset0:20 offset1:21
	ds_read2_b64 v[196:199], v224 offset0:22 offset1:23
	ds_read2_b64 v[200:203], v224 offset0:24 offset1:25
	ds_read2_b64 v[204:207], v224 offset0:26 offset1:27
	ds_read2_b64 v[208:211], v224 offset0:28 offset1:29
	s_waitcnt lgkmcnt(12)
	v_fma_f64 v[138:139], -v[146:147], v[160:161], v[138:139]
	v_fma_f64 v[122:123], -v[146:147], v[162:163], v[122:123]
	s_waitcnt lgkmcnt(11)
	v_fma_f64 v[136:137], -v[146:147], v[164:165], v[136:137]
	v_fma_f64 v[120:121], -v[146:147], v[166:167], v[120:121]
	;; [unrolled: 3-line block ×3, first 2 shown]
	s_waitcnt lgkmcnt(9)
	v_fma_f64 v[132:133], -v[146:147], v[172:173], v[132:133]
	ds_read2_b64 v[160:163], v224 offset0:30 offset1:31
	ds_read2_b64 v[164:167], v224 offset0:32 offset1:33
	;; [unrolled: 1-line block ×3, first 2 shown]
	ds_read_b64 v[172:173], v224 offset:288
	v_fma_f64 v[116:117], -v[146:147], v[174:175], v[116:117]
	s_waitcnt lgkmcnt(12)
	v_fma_f64 v[130:131], -v[146:147], v[176:177], v[130:131]
	v_fma_f64 v[114:115], -v[146:147], v[178:179], v[114:115]
	s_waitcnt lgkmcnt(11)
	v_fma_f64 v[128:129], -v[146:147], v[180:181], v[128:129]
	;; [unrolled: 3-line block ×13, first 2 shown]
.LBB73_21:
	s_or_b32 exec_lo, exec_lo, s1
	s_mov_b32 s1, exec_lo
	s_waitcnt lgkmcnt(0)
	s_barrier
	buffer_gl0_inv
	v_cmpx_eq_u32_e32 4, v0
	s_cbranch_execz .LBB73_24
; %bb.22:
	ds_write_b64 v1, v[138:139]
	ds_write2_b64 v224, v[122:123], v[136:137] offset0:5 offset1:6
	ds_write2_b64 v224, v[120:121], v[134:135] offset0:7 offset1:8
	;; [unrolled: 1-line block ×16, first 2 shown]
	ds_read_b64 v[160:161], v1
	s_waitcnt lgkmcnt(0)
	v_cmp_neq_f64_e32 vcc_lo, 0, v[160:161]
	s_and_b32 exec_lo, exec_lo, vcc_lo
	s_cbranch_execz .LBB73_24
; %bb.23:
	v_div_scale_f64 v[162:163], null, v[160:161], v[160:161], 1.0
	v_rcp_f64_e32 v[164:165], v[162:163]
	v_fma_f64 v[166:167], -v[162:163], v[164:165], 1.0
	v_fma_f64 v[164:165], v[164:165], v[166:167], v[164:165]
	v_fma_f64 v[166:167], -v[162:163], v[164:165], 1.0
	v_fma_f64 v[164:165], v[164:165], v[166:167], v[164:165]
	v_div_scale_f64 v[166:167], vcc_lo, 1.0, v[160:161], 1.0
	v_mul_f64 v[168:169], v[166:167], v[164:165]
	v_fma_f64 v[162:163], -v[162:163], v[168:169], v[166:167]
	v_div_fmas_f64 v[162:163], v[162:163], v[164:165], v[168:169]
	v_div_fixup_f64 v[160:161], v[162:163], v[160:161], 1.0
	ds_write_b64 v1, v[160:161]
.LBB73_24:
	s_or_b32 exec_lo, exec_lo, s1
	s_waitcnt lgkmcnt(0)
	s_barrier
	buffer_gl0_inv
	ds_read_b64 v[160:161], v1
	s_mov_b32 s1, exec_lo
	v_cmpx_lt_u32_e32 4, v0
	s_cbranch_execz .LBB73_26
; %bb.25:
	s_waitcnt lgkmcnt(0)
	v_mul_f64 v[138:139], v[160:161], v[138:139]
	ds_read2_b64 v[162:165], v224 offset0:5 offset1:6
	ds_read2_b64 v[166:169], v224 offset0:7 offset1:8
	;; [unrolled: 1-line block ×13, first 2 shown]
	s_waitcnt lgkmcnt(12)
	v_fma_f64 v[122:123], -v[138:139], v[162:163], v[122:123]
	v_fma_f64 v[136:137], -v[138:139], v[164:165], v[136:137]
	s_waitcnt lgkmcnt(11)
	v_fma_f64 v[120:121], -v[138:139], v[166:167], v[120:121]
	v_fma_f64 v[134:135], -v[138:139], v[168:169], v[134:135]
	;; [unrolled: 3-line block ×3, first 2 shown]
	ds_read2_b64 v[162:165], v224 offset0:31 offset1:32
	ds_read2_b64 v[166:169], v224 offset0:33 offset1:34
	;; [unrolled: 1-line block ×3, first 2 shown]
	s_waitcnt lgkmcnt(12)
	v_fma_f64 v[116:117], -v[138:139], v[174:175], v[116:117]
	v_fma_f64 v[130:131], -v[138:139], v[176:177], v[130:131]
	s_waitcnt lgkmcnt(11)
	v_fma_f64 v[114:115], -v[138:139], v[178:179], v[114:115]
	v_fma_f64 v[128:129], -v[138:139], v[180:181], v[128:129]
	;; [unrolled: 3-line block ×13, first 2 shown]
.LBB73_26:
	s_or_b32 exec_lo, exec_lo, s1
	s_mov_b32 s1, exec_lo
	s_waitcnt lgkmcnt(0)
	s_barrier
	buffer_gl0_inv
	v_cmpx_eq_u32_e32 5, v0
	s_cbranch_execz .LBB73_29
; %bb.27:
	v_mov_b32_e32 v162, v136
	v_mov_b32_e32 v163, v137
	;; [unrolled: 1-line block ×20, first 2 shown]
	ds_write_b64 v1, v[122:123]
	ds_write2_b64 v224, v[162:163], v[164:165] offset0:6 offset1:7
	ds_write2_b64 v224, v[166:167], v[168:169] offset0:8 offset1:9
	;; [unrolled: 1-line block ×5, first 2 shown]
	v_mov_b32_e32 v162, v126
	v_mov_b32_e32 v163, v127
	;; [unrolled: 1-line block ×20, first 2 shown]
	ds_write2_b64 v224, v[162:163], v[164:165] offset0:16 offset1:17
	ds_write2_b64 v224, v[166:167], v[168:169] offset0:18 offset1:19
	;; [unrolled: 1-line block ×5, first 2 shown]
	v_mov_b32_e32 v162, v102
	v_mov_b32_e32 v163, v103
	;; [unrolled: 1-line block ×20, first 2 shown]
	ds_write2_b64 v224, v[162:163], v[164:165] offset0:26 offset1:27
	ds_write2_b64 v224, v[166:167], v[168:169] offset0:28 offset1:29
	;; [unrolled: 1-line block ×5, first 2 shown]
	ds_write_b64 v224, v[142:143] offset:288
	ds_read_b64 v[162:163], v1
	s_waitcnt lgkmcnt(0)
	v_cmp_neq_f64_e32 vcc_lo, 0, v[162:163]
	s_and_b32 exec_lo, exec_lo, vcc_lo
	s_cbranch_execz .LBB73_29
; %bb.28:
	v_div_scale_f64 v[164:165], null, v[162:163], v[162:163], 1.0
	v_rcp_f64_e32 v[166:167], v[164:165]
	v_fma_f64 v[168:169], -v[164:165], v[166:167], 1.0
	v_fma_f64 v[166:167], v[166:167], v[168:169], v[166:167]
	v_fma_f64 v[168:169], -v[164:165], v[166:167], 1.0
	v_fma_f64 v[166:167], v[166:167], v[168:169], v[166:167]
	v_div_scale_f64 v[168:169], vcc_lo, 1.0, v[162:163], 1.0
	v_mul_f64 v[170:171], v[168:169], v[166:167]
	v_fma_f64 v[164:165], -v[164:165], v[170:171], v[168:169]
	v_div_fmas_f64 v[164:165], v[164:165], v[166:167], v[170:171]
	v_div_fixup_f64 v[162:163], v[164:165], v[162:163], 1.0
	ds_write_b64 v1, v[162:163]
.LBB73_29:
	s_or_b32 exec_lo, exec_lo, s1
	s_waitcnt lgkmcnt(0)
	s_barrier
	buffer_gl0_inv
	ds_read_b64 v[162:163], v1
	s_mov_b32 s1, exec_lo
	v_cmpx_lt_u32_e32 5, v0
	s_cbranch_execz .LBB73_31
; %bb.30:
	s_waitcnt lgkmcnt(0)
	v_mul_f64 v[122:123], v[162:163], v[122:123]
	ds_read2_b64 v[164:167], v224 offset0:6 offset1:7
	ds_read2_b64 v[168:171], v224 offset0:8 offset1:9
	ds_read2_b64 v[172:175], v224 offset0:10 offset1:11
	ds_read2_b64 v[176:179], v224 offset0:12 offset1:13
	ds_read2_b64 v[180:183], v224 offset0:14 offset1:15
	ds_read2_b64 v[184:187], v224 offset0:16 offset1:17
	ds_read2_b64 v[188:191], v224 offset0:18 offset1:19
	ds_read2_b64 v[192:195], v224 offset0:20 offset1:21
	ds_read2_b64 v[196:199], v224 offset0:22 offset1:23
	ds_read2_b64 v[200:203], v224 offset0:24 offset1:25
	ds_read2_b64 v[204:207], v224 offset0:26 offset1:27
	ds_read2_b64 v[208:211], v224 offset0:28 offset1:29
	ds_read2_b64 v[212:215], v224 offset0:30 offset1:31
	s_waitcnt lgkmcnt(12)
	v_fma_f64 v[136:137], -v[122:123], v[164:165], v[136:137]
	v_fma_f64 v[120:121], -v[122:123], v[166:167], v[120:121]
	s_waitcnt lgkmcnt(11)
	v_fma_f64 v[134:135], -v[122:123], v[168:169], v[134:135]
	v_fma_f64 v[118:119], -v[122:123], v[170:171], v[118:119]
	s_waitcnt lgkmcnt(10)
	v_fma_f64 v[132:133], -v[122:123], v[172:173], v[132:133]
	ds_read2_b64 v[164:167], v224 offset0:32 offset1:33
	ds_read2_b64 v[168:171], v224 offset0:34 offset1:35
	ds_read_b64 v[172:173], v224 offset:288
	v_fma_f64 v[116:117], -v[122:123], v[174:175], v[116:117]
	s_waitcnt lgkmcnt(12)
	v_fma_f64 v[130:131], -v[122:123], v[176:177], v[130:131]
	v_fma_f64 v[114:115], -v[122:123], v[178:179], v[114:115]
	s_waitcnt lgkmcnt(11)
	v_fma_f64 v[128:129], -v[122:123], v[180:181], v[128:129]
	;; [unrolled: 3-line block ×13, first 2 shown]
.LBB73_31:
	s_or_b32 exec_lo, exec_lo, s1
	s_mov_b32 s1, exec_lo
	s_waitcnt lgkmcnt(0)
	s_barrier
	buffer_gl0_inv
	v_cmpx_eq_u32_e32 6, v0
	s_cbranch_execz .LBB73_34
; %bb.32:
	ds_write_b64 v1, v[136:137]
	ds_write2_b64 v224, v[120:121], v[134:135] offset0:7 offset1:8
	ds_write2_b64 v224, v[118:119], v[132:133] offset0:9 offset1:10
	ds_write2_b64 v224, v[116:117], v[130:131] offset0:11 offset1:12
	ds_write2_b64 v224, v[114:115], v[128:129] offset0:13 offset1:14
	ds_write2_b64 v224, v[112:113], v[126:127] offset0:15 offset1:16
	ds_write2_b64 v224, v[110:111], v[124:125] offset0:17 offset1:18
	ds_write2_b64 v224, v[92:93], v[108:109] offset0:19 offset1:20
	ds_write2_b64 v224, v[90:91], v[106:107] offset0:21 offset1:22
	ds_write2_b64 v224, v[88:89], v[104:105] offset0:23 offset1:24
	ds_write2_b64 v224, v[86:87], v[102:103] offset0:25 offset1:26
	ds_write2_b64 v224, v[84:85], v[100:101] offset0:27 offset1:28
	ds_write2_b64 v224, v[82:83], v[98:99] offset0:29 offset1:30
	ds_write2_b64 v224, v[80:81], v[96:97] offset0:31 offset1:32
	ds_write2_b64 v224, v[78:79], v[94:95] offset0:33 offset1:34
	ds_write2_b64 v224, v[76:77], v[142:143] offset0:35 offset1:36
	ds_read_b64 v[164:165], v1
	s_waitcnt lgkmcnt(0)
	v_cmp_neq_f64_e32 vcc_lo, 0, v[164:165]
	s_and_b32 exec_lo, exec_lo, vcc_lo
	s_cbranch_execz .LBB73_34
; %bb.33:
	v_div_scale_f64 v[166:167], null, v[164:165], v[164:165], 1.0
	v_rcp_f64_e32 v[168:169], v[166:167]
	v_fma_f64 v[170:171], -v[166:167], v[168:169], 1.0
	v_fma_f64 v[168:169], v[168:169], v[170:171], v[168:169]
	v_fma_f64 v[170:171], -v[166:167], v[168:169], 1.0
	v_fma_f64 v[168:169], v[168:169], v[170:171], v[168:169]
	v_div_scale_f64 v[170:171], vcc_lo, 1.0, v[164:165], 1.0
	v_mul_f64 v[172:173], v[170:171], v[168:169]
	v_fma_f64 v[166:167], -v[166:167], v[172:173], v[170:171]
	v_div_fmas_f64 v[166:167], v[166:167], v[168:169], v[172:173]
	v_div_fixup_f64 v[164:165], v[166:167], v[164:165], 1.0
	ds_write_b64 v1, v[164:165]
.LBB73_34:
	s_or_b32 exec_lo, exec_lo, s1
	s_waitcnt lgkmcnt(0)
	s_barrier
	buffer_gl0_inv
	ds_read_b64 v[164:165], v1
	s_mov_b32 s1, exec_lo
	v_cmpx_lt_u32_e32 6, v0
	s_cbranch_execz .LBB73_36
; %bb.35:
	s_waitcnt lgkmcnt(0)
	v_mul_f64 v[136:137], v[164:165], v[136:137]
	ds_read2_b64 v[166:169], v224 offset0:7 offset1:8
	ds_read2_b64 v[170:173], v224 offset0:9 offset1:10
	ds_read2_b64 v[174:177], v224 offset0:11 offset1:12
	ds_read2_b64 v[178:181], v224 offset0:13 offset1:14
	ds_read2_b64 v[182:185], v224 offset0:15 offset1:16
	ds_read2_b64 v[186:189], v224 offset0:17 offset1:18
	ds_read2_b64 v[190:193], v224 offset0:19 offset1:20
	ds_read2_b64 v[194:197], v224 offset0:21 offset1:22
	ds_read2_b64 v[198:201], v224 offset0:23 offset1:24
	ds_read2_b64 v[202:205], v224 offset0:25 offset1:26
	ds_read2_b64 v[206:209], v224 offset0:27 offset1:28
	ds_read2_b64 v[210:213], v224 offset0:29 offset1:30
	ds_read2_b64 v[214:217], v224 offset0:31 offset1:32
	ds_read2_b64 v[218:221], v224 offset0:33 offset1:34
	s_waitcnt lgkmcnt(13)
	v_fma_f64 v[120:121], -v[136:137], v[166:167], v[120:121]
	v_fma_f64 v[134:135], -v[136:137], v[168:169], v[134:135]
	ds_read2_b64 v[166:169], v224 offset0:35 offset1:36
	s_waitcnt lgkmcnt(13)
	v_fma_f64 v[118:119], -v[136:137], v[170:171], v[118:119]
	v_fma_f64 v[132:133], -v[136:137], v[172:173], v[132:133]
	s_waitcnt lgkmcnt(12)
	v_fma_f64 v[116:117], -v[136:137], v[174:175], v[116:117]
	v_fma_f64 v[130:131], -v[136:137], v[176:177], v[130:131]
	;; [unrolled: 3-line block ×14, first 2 shown]
.LBB73_36:
	s_or_b32 exec_lo, exec_lo, s1
	s_mov_b32 s1, exec_lo
	s_waitcnt lgkmcnt(0)
	s_barrier
	buffer_gl0_inv
	v_cmpx_eq_u32_e32 7, v0
	s_cbranch_execz .LBB73_39
; %bb.37:
	v_mov_b32_e32 v166, v134
	v_mov_b32_e32 v167, v135
	;; [unrolled: 1-line block ×16, first 2 shown]
	ds_write_b64 v1, v[120:121]
	ds_write2_b64 v224, v[166:167], v[168:169] offset0:8 offset1:9
	ds_write2_b64 v224, v[170:171], v[172:173] offset0:10 offset1:11
	;; [unrolled: 1-line block ×4, first 2 shown]
	v_mov_b32_e32 v166, v126
	v_mov_b32_e32 v167, v127
	v_mov_b32_e32 v168, v110
	v_mov_b32_e32 v169, v111
	v_mov_b32_e32 v170, v124
	v_mov_b32_e32 v171, v125
	v_mov_b32_e32 v172, v92
	v_mov_b32_e32 v173, v93
	v_mov_b32_e32 v174, v108
	v_mov_b32_e32 v175, v109
	v_mov_b32_e32 v176, v90
	v_mov_b32_e32 v177, v91
	v_mov_b32_e32 v178, v106
	v_mov_b32_e32 v179, v107
	v_mov_b32_e32 v180, v88
	v_mov_b32_e32 v181, v89
	v_mov_b32_e32 v182, v104
	v_mov_b32_e32 v183, v105
	v_mov_b32_e32 v184, v86
	v_mov_b32_e32 v185, v87
	ds_write2_b64 v224, v[166:167], v[168:169] offset0:16 offset1:17
	ds_write2_b64 v224, v[170:171], v[172:173] offset0:18 offset1:19
	;; [unrolled: 1-line block ×5, first 2 shown]
	v_mov_b32_e32 v166, v102
	v_mov_b32_e32 v167, v103
	;; [unrolled: 1-line block ×20, first 2 shown]
	ds_write2_b64 v224, v[166:167], v[168:169] offset0:26 offset1:27
	ds_write2_b64 v224, v[170:171], v[172:173] offset0:28 offset1:29
	;; [unrolled: 1-line block ×5, first 2 shown]
	ds_write_b64 v224, v[142:143] offset:288
	ds_read_b64 v[166:167], v1
	s_waitcnt lgkmcnt(0)
	v_cmp_neq_f64_e32 vcc_lo, 0, v[166:167]
	s_and_b32 exec_lo, exec_lo, vcc_lo
	s_cbranch_execz .LBB73_39
; %bb.38:
	v_div_scale_f64 v[168:169], null, v[166:167], v[166:167], 1.0
	v_rcp_f64_e32 v[170:171], v[168:169]
	v_fma_f64 v[172:173], -v[168:169], v[170:171], 1.0
	v_fma_f64 v[170:171], v[170:171], v[172:173], v[170:171]
	v_fma_f64 v[172:173], -v[168:169], v[170:171], 1.0
	v_fma_f64 v[170:171], v[170:171], v[172:173], v[170:171]
	v_div_scale_f64 v[172:173], vcc_lo, 1.0, v[166:167], 1.0
	v_mul_f64 v[174:175], v[172:173], v[170:171]
	v_fma_f64 v[168:169], -v[168:169], v[174:175], v[172:173]
	v_div_fmas_f64 v[168:169], v[168:169], v[170:171], v[174:175]
	v_div_fixup_f64 v[166:167], v[168:169], v[166:167], 1.0
	ds_write_b64 v1, v[166:167]
.LBB73_39:
	s_or_b32 exec_lo, exec_lo, s1
	s_waitcnt lgkmcnt(0)
	s_barrier
	buffer_gl0_inv
	ds_read_b64 v[166:167], v1
	s_mov_b32 s1, exec_lo
	v_cmpx_lt_u32_e32 7, v0
	s_cbranch_execz .LBB73_41
; %bb.40:
	s_waitcnt lgkmcnt(0)
	v_mul_f64 v[120:121], v[166:167], v[120:121]
	ds_read2_b64 v[168:171], v224 offset0:8 offset1:9
	ds_read2_b64 v[172:175], v224 offset0:10 offset1:11
	;; [unrolled: 1-line block ×14, first 2 shown]
	s_waitcnt lgkmcnt(13)
	v_fma_f64 v[134:135], -v[120:121], v[168:169], v[134:135]
	ds_read_b64 v[168:169], v224 offset:288
	v_fma_f64 v[118:119], -v[120:121], v[170:171], v[118:119]
	s_waitcnt lgkmcnt(13)
	v_fma_f64 v[132:133], -v[120:121], v[172:173], v[132:133]
	v_fma_f64 v[116:117], -v[120:121], v[174:175], v[116:117]
	s_waitcnt lgkmcnt(12)
	v_fma_f64 v[130:131], -v[120:121], v[176:177], v[130:131]
	;; [unrolled: 3-line block ×14, first 2 shown]
.LBB73_41:
	s_or_b32 exec_lo, exec_lo, s1
	s_mov_b32 s1, exec_lo
	s_waitcnt lgkmcnt(0)
	s_barrier
	buffer_gl0_inv
	v_cmpx_eq_u32_e32 8, v0
	s_cbranch_execz .LBB73_44
; %bb.42:
	ds_write_b64 v1, v[134:135]
	ds_write2_b64 v224, v[118:119], v[132:133] offset0:9 offset1:10
	ds_write2_b64 v224, v[116:117], v[130:131] offset0:11 offset1:12
	;; [unrolled: 1-line block ×14, first 2 shown]
	ds_read_b64 v[168:169], v1
	s_waitcnt lgkmcnt(0)
	v_cmp_neq_f64_e32 vcc_lo, 0, v[168:169]
	s_and_b32 exec_lo, exec_lo, vcc_lo
	s_cbranch_execz .LBB73_44
; %bb.43:
	v_div_scale_f64 v[170:171], null, v[168:169], v[168:169], 1.0
	v_rcp_f64_e32 v[172:173], v[170:171]
	v_fma_f64 v[174:175], -v[170:171], v[172:173], 1.0
	v_fma_f64 v[172:173], v[172:173], v[174:175], v[172:173]
	v_fma_f64 v[174:175], -v[170:171], v[172:173], 1.0
	v_fma_f64 v[172:173], v[172:173], v[174:175], v[172:173]
	v_div_scale_f64 v[174:175], vcc_lo, 1.0, v[168:169], 1.0
	v_mul_f64 v[176:177], v[174:175], v[172:173]
	v_fma_f64 v[170:171], -v[170:171], v[176:177], v[174:175]
	v_div_fmas_f64 v[170:171], v[170:171], v[172:173], v[176:177]
	v_div_fixup_f64 v[168:169], v[170:171], v[168:169], 1.0
	ds_write_b64 v1, v[168:169]
.LBB73_44:
	s_or_b32 exec_lo, exec_lo, s1
	s_waitcnt lgkmcnt(0)
	s_barrier
	buffer_gl0_inv
	ds_read_b64 v[168:169], v1
	s_mov_b32 s1, exec_lo
	v_cmpx_lt_u32_e32 8, v0
	s_cbranch_execz .LBB73_46
; %bb.45:
	s_waitcnt lgkmcnt(0)
	v_mul_f64 v[134:135], v[168:169], v[134:135]
	ds_read2_b64 v[170:173], v224 offset0:9 offset1:10
	ds_read2_b64 v[174:177], v224 offset0:11 offset1:12
	;; [unrolled: 1-line block ×14, first 2 shown]
	s_waitcnt lgkmcnt(13)
	v_fma_f64 v[118:119], -v[134:135], v[170:171], v[118:119]
	v_fma_f64 v[132:133], -v[134:135], v[172:173], v[132:133]
	s_waitcnt lgkmcnt(12)
	v_fma_f64 v[116:117], -v[134:135], v[174:175], v[116:117]
	v_fma_f64 v[130:131], -v[134:135], v[176:177], v[130:131]
	;; [unrolled: 3-line block ×14, first 2 shown]
.LBB73_46:
	s_or_b32 exec_lo, exec_lo, s1
	s_mov_b32 s1, exec_lo
	s_waitcnt lgkmcnt(0)
	s_barrier
	buffer_gl0_inv
	v_cmpx_eq_u32_e32 9, v0
	s_cbranch_execz .LBB73_49
; %bb.47:
	v_mov_b32_e32 v170, v132
	v_mov_b32_e32 v171, v133
	;; [unrolled: 1-line block ×12, first 2 shown]
	ds_write_b64 v1, v[118:119]
	ds_write2_b64 v224, v[170:171], v[172:173] offset0:10 offset1:11
	ds_write2_b64 v224, v[174:175], v[176:177] offset0:12 offset1:13
	;; [unrolled: 1-line block ×3, first 2 shown]
	v_mov_b32_e32 v170, v126
	v_mov_b32_e32 v171, v127
	;; [unrolled: 1-line block ×20, first 2 shown]
	ds_write2_b64 v224, v[170:171], v[172:173] offset0:16 offset1:17
	ds_write2_b64 v224, v[174:175], v[176:177] offset0:18 offset1:19
	;; [unrolled: 1-line block ×5, first 2 shown]
	v_mov_b32_e32 v170, v102
	v_mov_b32_e32 v171, v103
	v_mov_b32_e32 v172, v84
	v_mov_b32_e32 v173, v85
	v_mov_b32_e32 v174, v100
	v_mov_b32_e32 v175, v101
	v_mov_b32_e32 v176, v82
	v_mov_b32_e32 v177, v83
	v_mov_b32_e32 v178, v98
	v_mov_b32_e32 v179, v99
	v_mov_b32_e32 v180, v80
	v_mov_b32_e32 v181, v81
	v_mov_b32_e32 v182, v96
	v_mov_b32_e32 v183, v97
	v_mov_b32_e32 v184, v78
	v_mov_b32_e32 v185, v79
	v_mov_b32_e32 v186, v94
	v_mov_b32_e32 v187, v95
	v_mov_b32_e32 v188, v76
	v_mov_b32_e32 v189, v77
	ds_write2_b64 v224, v[170:171], v[172:173] offset0:26 offset1:27
	ds_write2_b64 v224, v[174:175], v[176:177] offset0:28 offset1:29
	;; [unrolled: 1-line block ×5, first 2 shown]
	ds_write_b64 v224, v[142:143] offset:288
	ds_read_b64 v[170:171], v1
	s_waitcnt lgkmcnt(0)
	v_cmp_neq_f64_e32 vcc_lo, 0, v[170:171]
	s_and_b32 exec_lo, exec_lo, vcc_lo
	s_cbranch_execz .LBB73_49
; %bb.48:
	v_div_scale_f64 v[172:173], null, v[170:171], v[170:171], 1.0
	v_rcp_f64_e32 v[174:175], v[172:173]
	v_fma_f64 v[176:177], -v[172:173], v[174:175], 1.0
	v_fma_f64 v[174:175], v[174:175], v[176:177], v[174:175]
	v_fma_f64 v[176:177], -v[172:173], v[174:175], 1.0
	v_fma_f64 v[174:175], v[174:175], v[176:177], v[174:175]
	v_div_scale_f64 v[176:177], vcc_lo, 1.0, v[170:171], 1.0
	v_mul_f64 v[178:179], v[176:177], v[174:175]
	v_fma_f64 v[172:173], -v[172:173], v[178:179], v[176:177]
	v_div_fmas_f64 v[172:173], v[172:173], v[174:175], v[178:179]
	v_div_fixup_f64 v[170:171], v[172:173], v[170:171], 1.0
	ds_write_b64 v1, v[170:171]
.LBB73_49:
	s_or_b32 exec_lo, exec_lo, s1
	s_waitcnt lgkmcnt(0)
	s_barrier
	buffer_gl0_inv
	ds_read_b64 v[170:171], v1
	s_mov_b32 s1, exec_lo
	v_cmpx_lt_u32_e32 9, v0
	s_cbranch_execz .LBB73_51
; %bb.50:
	s_waitcnt lgkmcnt(0)
	v_mul_f64 v[118:119], v[170:171], v[118:119]
	ds_read2_b64 v[172:175], v224 offset0:10 offset1:11
	ds_read2_b64 v[176:179], v224 offset0:12 offset1:13
	;; [unrolled: 1-line block ×13, first 2 shown]
	ds_read_b64 v[225:226], v224 offset:288
	s_waitcnt lgkmcnt(13)
	v_fma_f64 v[132:133], -v[118:119], v[172:173], v[132:133]
	v_fma_f64 v[116:117], -v[118:119], v[174:175], v[116:117]
	s_waitcnt lgkmcnt(12)
	v_fma_f64 v[130:131], -v[118:119], v[176:177], v[130:131]
	v_fma_f64 v[114:115], -v[118:119], v[178:179], v[114:115]
	;; [unrolled: 3-line block ×13, first 2 shown]
	s_waitcnt lgkmcnt(0)
	v_fma_f64 v[142:143], -v[118:119], v[225:226], v[142:143]
.LBB73_51:
	s_or_b32 exec_lo, exec_lo, s1
	s_mov_b32 s1, exec_lo
	s_waitcnt lgkmcnt(0)
	s_barrier
	buffer_gl0_inv
	v_cmpx_eq_u32_e32 10, v0
	s_cbranch_execz .LBB73_54
; %bb.52:
	ds_write_b64 v1, v[132:133]
	ds_write2_b64 v224, v[116:117], v[130:131] offset0:11 offset1:12
	ds_write2_b64 v224, v[114:115], v[128:129] offset0:13 offset1:14
	;; [unrolled: 1-line block ×13, first 2 shown]
	ds_read_b64 v[172:173], v1
	s_waitcnt lgkmcnt(0)
	v_cmp_neq_f64_e32 vcc_lo, 0, v[172:173]
	s_and_b32 exec_lo, exec_lo, vcc_lo
	s_cbranch_execz .LBB73_54
; %bb.53:
	v_div_scale_f64 v[174:175], null, v[172:173], v[172:173], 1.0
	v_rcp_f64_e32 v[176:177], v[174:175]
	v_fma_f64 v[178:179], -v[174:175], v[176:177], 1.0
	v_fma_f64 v[176:177], v[176:177], v[178:179], v[176:177]
	v_fma_f64 v[178:179], -v[174:175], v[176:177], 1.0
	v_fma_f64 v[176:177], v[176:177], v[178:179], v[176:177]
	v_div_scale_f64 v[178:179], vcc_lo, 1.0, v[172:173], 1.0
	v_mul_f64 v[180:181], v[178:179], v[176:177]
	v_fma_f64 v[174:175], -v[174:175], v[180:181], v[178:179]
	v_div_fmas_f64 v[174:175], v[174:175], v[176:177], v[180:181]
	v_div_fixup_f64 v[172:173], v[174:175], v[172:173], 1.0
	ds_write_b64 v1, v[172:173]
.LBB73_54:
	s_or_b32 exec_lo, exec_lo, s1
	s_waitcnt lgkmcnt(0)
	s_barrier
	buffer_gl0_inv
	ds_read_b64 v[172:173], v1
	s_mov_b32 s1, exec_lo
	v_cmpx_lt_u32_e32 10, v0
	s_cbranch_execz .LBB73_56
; %bb.55:
	s_waitcnt lgkmcnt(0)
	v_mul_f64 v[132:133], v[172:173], v[132:133]
	ds_read2_b64 v[174:177], v224 offset0:11 offset1:12
	ds_read2_b64 v[178:181], v224 offset0:13 offset1:14
	;; [unrolled: 1-line block ×13, first 2 shown]
	s_waitcnt lgkmcnt(12)
	v_fma_f64 v[116:117], -v[132:133], v[174:175], v[116:117]
	v_fma_f64 v[130:131], -v[132:133], v[176:177], v[130:131]
	s_waitcnt lgkmcnt(11)
	v_fma_f64 v[114:115], -v[132:133], v[178:179], v[114:115]
	v_fma_f64 v[128:129], -v[132:133], v[180:181], v[128:129]
	;; [unrolled: 3-line block ×13, first 2 shown]
.LBB73_56:
	s_or_b32 exec_lo, exec_lo, s1
	s_mov_b32 s1, exec_lo
	s_waitcnt lgkmcnt(0)
	s_barrier
	buffer_gl0_inv
	v_cmpx_eq_u32_e32 11, v0
	s_cbranch_execz .LBB73_59
; %bb.57:
	v_mov_b32_e32 v174, v130
	v_mov_b32_e32 v175, v131
	;; [unrolled: 1-line block ×8, first 2 shown]
	ds_write_b64 v1, v[116:117]
	ds_write2_b64 v224, v[174:175], v[176:177] offset0:12 offset1:13
	ds_write2_b64 v224, v[178:179], v[180:181] offset0:14 offset1:15
	v_mov_b32_e32 v174, v126
	v_mov_b32_e32 v175, v127
	;; [unrolled: 1-line block ×20, first 2 shown]
	ds_write2_b64 v224, v[174:175], v[176:177] offset0:16 offset1:17
	ds_write2_b64 v224, v[178:179], v[180:181] offset0:18 offset1:19
	ds_write2_b64 v224, v[182:183], v[184:185] offset0:20 offset1:21
	ds_write2_b64 v224, v[186:187], v[188:189] offset0:22 offset1:23
	ds_write2_b64 v224, v[190:191], v[192:193] offset0:24 offset1:25
	v_mov_b32_e32 v174, v102
	v_mov_b32_e32 v175, v103
	;; [unrolled: 1-line block ×20, first 2 shown]
	ds_write2_b64 v224, v[174:175], v[176:177] offset0:26 offset1:27
	ds_write2_b64 v224, v[178:179], v[180:181] offset0:28 offset1:29
	;; [unrolled: 1-line block ×5, first 2 shown]
	ds_write_b64 v224, v[142:143] offset:288
	ds_read_b64 v[174:175], v1
	s_waitcnt lgkmcnt(0)
	v_cmp_neq_f64_e32 vcc_lo, 0, v[174:175]
	s_and_b32 exec_lo, exec_lo, vcc_lo
	s_cbranch_execz .LBB73_59
; %bb.58:
	v_div_scale_f64 v[176:177], null, v[174:175], v[174:175], 1.0
	v_rcp_f64_e32 v[178:179], v[176:177]
	v_fma_f64 v[180:181], -v[176:177], v[178:179], 1.0
	v_fma_f64 v[178:179], v[178:179], v[180:181], v[178:179]
	v_fma_f64 v[180:181], -v[176:177], v[178:179], 1.0
	v_fma_f64 v[178:179], v[178:179], v[180:181], v[178:179]
	v_div_scale_f64 v[180:181], vcc_lo, 1.0, v[174:175], 1.0
	v_mul_f64 v[182:183], v[180:181], v[178:179]
	v_fma_f64 v[176:177], -v[176:177], v[182:183], v[180:181]
	v_div_fmas_f64 v[176:177], v[176:177], v[178:179], v[182:183]
	v_div_fixup_f64 v[174:175], v[176:177], v[174:175], 1.0
	ds_write_b64 v1, v[174:175]
.LBB73_59:
	s_or_b32 exec_lo, exec_lo, s1
	s_waitcnt lgkmcnt(0)
	s_barrier
	buffer_gl0_inv
	ds_read_b64 v[174:175], v1
	s_mov_b32 s1, exec_lo
	v_cmpx_lt_u32_e32 11, v0
	s_cbranch_execz .LBB73_61
; %bb.60:
	s_waitcnt lgkmcnt(0)
	v_mul_f64 v[116:117], v[174:175], v[116:117]
	ds_read2_b64 v[176:179], v224 offset0:12 offset1:13
	ds_read2_b64 v[180:183], v224 offset0:14 offset1:15
	;; [unrolled: 1-line block ×12, first 2 shown]
	ds_read_b64 v[225:226], v224 offset:288
	s_waitcnt lgkmcnt(12)
	v_fma_f64 v[130:131], -v[116:117], v[176:177], v[130:131]
	v_fma_f64 v[114:115], -v[116:117], v[178:179], v[114:115]
	s_waitcnt lgkmcnt(11)
	v_fma_f64 v[128:129], -v[116:117], v[180:181], v[128:129]
	v_fma_f64 v[112:113], -v[116:117], v[182:183], v[112:113]
	;; [unrolled: 3-line block ×12, first 2 shown]
	s_waitcnt lgkmcnt(0)
	v_fma_f64 v[142:143], -v[116:117], v[225:226], v[142:143]
.LBB73_61:
	s_or_b32 exec_lo, exec_lo, s1
	s_mov_b32 s1, exec_lo
	s_waitcnt lgkmcnt(0)
	s_barrier
	buffer_gl0_inv
	v_cmpx_eq_u32_e32 12, v0
	s_cbranch_execz .LBB73_64
; %bb.62:
	ds_write_b64 v1, v[130:131]
	ds_write2_b64 v224, v[114:115], v[128:129] offset0:13 offset1:14
	ds_write2_b64 v224, v[112:113], v[126:127] offset0:15 offset1:16
	;; [unrolled: 1-line block ×12, first 2 shown]
	ds_read_b64 v[176:177], v1
	s_waitcnt lgkmcnt(0)
	v_cmp_neq_f64_e32 vcc_lo, 0, v[176:177]
	s_and_b32 exec_lo, exec_lo, vcc_lo
	s_cbranch_execz .LBB73_64
; %bb.63:
	v_div_scale_f64 v[178:179], null, v[176:177], v[176:177], 1.0
	v_rcp_f64_e32 v[180:181], v[178:179]
	v_fma_f64 v[182:183], -v[178:179], v[180:181], 1.0
	v_fma_f64 v[180:181], v[180:181], v[182:183], v[180:181]
	v_fma_f64 v[182:183], -v[178:179], v[180:181], 1.0
	v_fma_f64 v[180:181], v[180:181], v[182:183], v[180:181]
	v_div_scale_f64 v[182:183], vcc_lo, 1.0, v[176:177], 1.0
	v_mul_f64 v[184:185], v[182:183], v[180:181]
	v_fma_f64 v[178:179], -v[178:179], v[184:185], v[182:183]
	v_div_fmas_f64 v[178:179], v[178:179], v[180:181], v[184:185]
	v_div_fixup_f64 v[176:177], v[178:179], v[176:177], 1.0
	ds_write_b64 v1, v[176:177]
.LBB73_64:
	s_or_b32 exec_lo, exec_lo, s1
	s_waitcnt lgkmcnt(0)
	s_barrier
	buffer_gl0_inv
	ds_read_b64 v[176:177], v1
	s_mov_b32 s1, exec_lo
	v_cmpx_lt_u32_e32 12, v0
	s_cbranch_execz .LBB73_66
; %bb.65:
	s_waitcnt lgkmcnt(0)
	v_mul_f64 v[130:131], v[176:177], v[130:131]
	ds_read2_b64 v[178:181], v224 offset0:13 offset1:14
	ds_read2_b64 v[182:185], v224 offset0:15 offset1:16
	;; [unrolled: 1-line block ×12, first 2 shown]
	s_waitcnt lgkmcnt(11)
	v_fma_f64 v[114:115], -v[130:131], v[178:179], v[114:115]
	v_fma_f64 v[128:129], -v[130:131], v[180:181], v[128:129]
	s_waitcnt lgkmcnt(10)
	v_fma_f64 v[112:113], -v[130:131], v[182:183], v[112:113]
	v_fma_f64 v[126:127], -v[130:131], v[184:185], v[126:127]
	;; [unrolled: 3-line block ×12, first 2 shown]
.LBB73_66:
	s_or_b32 exec_lo, exec_lo, s1
	s_mov_b32 s1, exec_lo
	s_waitcnt lgkmcnt(0)
	s_barrier
	buffer_gl0_inv
	v_cmpx_eq_u32_e32 13, v0
	s_cbranch_execz .LBB73_69
; %bb.67:
	v_mov_b32_e32 v178, v128
	v_mov_b32_e32 v179, v129
	;; [unrolled: 1-line block ×4, first 2 shown]
	ds_write_b64 v1, v[114:115]
	ds_write2_b64 v224, v[178:179], v[180:181] offset0:14 offset1:15
	v_mov_b32_e32 v178, v126
	v_mov_b32_e32 v179, v127
	;; [unrolled: 1-line block ×20, first 2 shown]
	ds_write2_b64 v224, v[178:179], v[180:181] offset0:16 offset1:17
	ds_write2_b64 v224, v[182:183], v[184:185] offset0:18 offset1:19
	;; [unrolled: 1-line block ×5, first 2 shown]
	v_mov_b32_e32 v178, v102
	v_mov_b32_e32 v179, v103
	;; [unrolled: 1-line block ×20, first 2 shown]
	ds_write2_b64 v224, v[178:179], v[180:181] offset0:26 offset1:27
	ds_write2_b64 v224, v[182:183], v[184:185] offset0:28 offset1:29
	;; [unrolled: 1-line block ×5, first 2 shown]
	ds_write_b64 v224, v[142:143] offset:288
	ds_read_b64 v[178:179], v1
	s_waitcnt lgkmcnt(0)
	v_cmp_neq_f64_e32 vcc_lo, 0, v[178:179]
	s_and_b32 exec_lo, exec_lo, vcc_lo
	s_cbranch_execz .LBB73_69
; %bb.68:
	v_div_scale_f64 v[180:181], null, v[178:179], v[178:179], 1.0
	v_rcp_f64_e32 v[182:183], v[180:181]
	v_fma_f64 v[184:185], -v[180:181], v[182:183], 1.0
	v_fma_f64 v[182:183], v[182:183], v[184:185], v[182:183]
	v_fma_f64 v[184:185], -v[180:181], v[182:183], 1.0
	v_fma_f64 v[182:183], v[182:183], v[184:185], v[182:183]
	v_div_scale_f64 v[184:185], vcc_lo, 1.0, v[178:179], 1.0
	v_mul_f64 v[186:187], v[184:185], v[182:183]
	v_fma_f64 v[180:181], -v[180:181], v[186:187], v[184:185]
	v_div_fmas_f64 v[180:181], v[180:181], v[182:183], v[186:187]
	v_div_fixup_f64 v[178:179], v[180:181], v[178:179], 1.0
	ds_write_b64 v1, v[178:179]
.LBB73_69:
	s_or_b32 exec_lo, exec_lo, s1
	s_waitcnt lgkmcnt(0)
	s_barrier
	buffer_gl0_inv
	ds_read_b64 v[178:179], v1
	s_mov_b32 s1, exec_lo
	v_cmpx_lt_u32_e32 13, v0
	s_cbranch_execz .LBB73_71
; %bb.70:
	s_waitcnt lgkmcnt(0)
	v_mul_f64 v[114:115], v[178:179], v[114:115]
	ds_read2_b64 v[180:183], v224 offset0:14 offset1:15
	ds_read2_b64 v[184:187], v224 offset0:16 offset1:17
	;; [unrolled: 1-line block ×11, first 2 shown]
	ds_read_b64 v[225:226], v224 offset:288
	s_waitcnt lgkmcnt(11)
	v_fma_f64 v[128:129], -v[114:115], v[180:181], v[128:129]
	v_fma_f64 v[112:113], -v[114:115], v[182:183], v[112:113]
	s_waitcnt lgkmcnt(10)
	v_fma_f64 v[126:127], -v[114:115], v[184:185], v[126:127]
	v_fma_f64 v[110:111], -v[114:115], v[186:187], v[110:111]
	;; [unrolled: 3-line block ×11, first 2 shown]
	s_waitcnt lgkmcnt(0)
	v_fma_f64 v[142:143], -v[114:115], v[225:226], v[142:143]
.LBB73_71:
	s_or_b32 exec_lo, exec_lo, s1
	s_mov_b32 s1, exec_lo
	s_waitcnt lgkmcnt(0)
	s_barrier
	buffer_gl0_inv
	v_cmpx_eq_u32_e32 14, v0
	s_cbranch_execz .LBB73_74
; %bb.72:
	ds_write_b64 v1, v[128:129]
	ds_write2_b64 v224, v[112:113], v[126:127] offset0:15 offset1:16
	ds_write2_b64 v224, v[110:111], v[124:125] offset0:17 offset1:18
	;; [unrolled: 1-line block ×11, first 2 shown]
	ds_read_b64 v[180:181], v1
	s_waitcnt lgkmcnt(0)
	v_cmp_neq_f64_e32 vcc_lo, 0, v[180:181]
	s_and_b32 exec_lo, exec_lo, vcc_lo
	s_cbranch_execz .LBB73_74
; %bb.73:
	v_div_scale_f64 v[182:183], null, v[180:181], v[180:181], 1.0
	v_rcp_f64_e32 v[184:185], v[182:183]
	v_fma_f64 v[186:187], -v[182:183], v[184:185], 1.0
	v_fma_f64 v[184:185], v[184:185], v[186:187], v[184:185]
	v_fma_f64 v[186:187], -v[182:183], v[184:185], 1.0
	v_fma_f64 v[184:185], v[184:185], v[186:187], v[184:185]
	v_div_scale_f64 v[186:187], vcc_lo, 1.0, v[180:181], 1.0
	v_mul_f64 v[188:189], v[186:187], v[184:185]
	v_fma_f64 v[182:183], -v[182:183], v[188:189], v[186:187]
	v_div_fmas_f64 v[182:183], v[182:183], v[184:185], v[188:189]
	v_div_fixup_f64 v[180:181], v[182:183], v[180:181], 1.0
	ds_write_b64 v1, v[180:181]
.LBB73_74:
	s_or_b32 exec_lo, exec_lo, s1
	s_waitcnt lgkmcnt(0)
	s_barrier
	buffer_gl0_inv
	ds_read_b64 v[180:181], v1
	s_mov_b32 s1, exec_lo
	v_cmpx_lt_u32_e32 14, v0
	s_cbranch_execz .LBB73_76
; %bb.75:
	s_waitcnt lgkmcnt(0)
	v_mul_f64 v[128:129], v[180:181], v[128:129]
	ds_read2_b64 v[182:185], v224 offset0:15 offset1:16
	ds_read2_b64 v[186:189], v224 offset0:17 offset1:18
	;; [unrolled: 1-line block ×11, first 2 shown]
	s_waitcnt lgkmcnt(10)
	v_fma_f64 v[112:113], -v[128:129], v[182:183], v[112:113]
	v_fma_f64 v[126:127], -v[128:129], v[184:185], v[126:127]
	s_waitcnt lgkmcnt(9)
	v_fma_f64 v[110:111], -v[128:129], v[186:187], v[110:111]
	v_fma_f64 v[124:125], -v[128:129], v[188:189], v[124:125]
	;; [unrolled: 3-line block ×11, first 2 shown]
.LBB73_76:
	s_or_b32 exec_lo, exec_lo, s1
	s_mov_b32 s1, exec_lo
	s_waitcnt lgkmcnt(0)
	s_barrier
	buffer_gl0_inv
	v_cmpx_eq_u32_e32 15, v0
	s_cbranch_execz .LBB73_79
; %bb.77:
	v_mov_b32_e32 v182, v126
	v_mov_b32_e32 v183, v127
	;; [unrolled: 1-line block ×20, first 2 shown]
	ds_write_b64 v1, v[112:113]
	ds_write2_b64 v224, v[182:183], v[184:185] offset0:16 offset1:17
	ds_write2_b64 v224, v[186:187], v[188:189] offset0:18 offset1:19
	;; [unrolled: 1-line block ×5, first 2 shown]
	v_mov_b32_e32 v182, v102
	v_mov_b32_e32 v183, v103
	;; [unrolled: 1-line block ×20, first 2 shown]
	ds_write2_b64 v224, v[182:183], v[184:185] offset0:26 offset1:27
	ds_write2_b64 v224, v[186:187], v[188:189] offset0:28 offset1:29
	;; [unrolled: 1-line block ×5, first 2 shown]
	ds_write_b64 v224, v[142:143] offset:288
	ds_read_b64 v[182:183], v1
	s_waitcnt lgkmcnt(0)
	v_cmp_neq_f64_e32 vcc_lo, 0, v[182:183]
	s_and_b32 exec_lo, exec_lo, vcc_lo
	s_cbranch_execz .LBB73_79
; %bb.78:
	v_div_scale_f64 v[184:185], null, v[182:183], v[182:183], 1.0
	v_rcp_f64_e32 v[186:187], v[184:185]
	v_fma_f64 v[188:189], -v[184:185], v[186:187], 1.0
	v_fma_f64 v[186:187], v[186:187], v[188:189], v[186:187]
	v_fma_f64 v[188:189], -v[184:185], v[186:187], 1.0
	v_fma_f64 v[186:187], v[186:187], v[188:189], v[186:187]
	v_div_scale_f64 v[188:189], vcc_lo, 1.0, v[182:183], 1.0
	v_mul_f64 v[190:191], v[188:189], v[186:187]
	v_fma_f64 v[184:185], -v[184:185], v[190:191], v[188:189]
	v_div_fmas_f64 v[184:185], v[184:185], v[186:187], v[190:191]
	v_div_fixup_f64 v[182:183], v[184:185], v[182:183], 1.0
	ds_write_b64 v1, v[182:183]
.LBB73_79:
	s_or_b32 exec_lo, exec_lo, s1
	s_waitcnt lgkmcnt(0)
	s_barrier
	buffer_gl0_inv
	ds_read_b64 v[182:183], v1
	s_mov_b32 s1, exec_lo
	v_cmpx_lt_u32_e32 15, v0
	s_cbranch_execz .LBB73_81
; %bb.80:
	s_waitcnt lgkmcnt(0)
	v_mul_f64 v[112:113], v[182:183], v[112:113]
	ds_read2_b64 v[184:187], v224 offset0:16 offset1:17
	ds_read2_b64 v[188:191], v224 offset0:18 offset1:19
	;; [unrolled: 1-line block ×10, first 2 shown]
	ds_read_b64 v[225:226], v224 offset:288
	s_waitcnt lgkmcnt(10)
	v_fma_f64 v[126:127], -v[112:113], v[184:185], v[126:127]
	v_fma_f64 v[110:111], -v[112:113], v[186:187], v[110:111]
	s_waitcnt lgkmcnt(9)
	v_fma_f64 v[124:125], -v[112:113], v[188:189], v[124:125]
	v_fma_f64 v[92:93], -v[112:113], v[190:191], v[92:93]
	;; [unrolled: 3-line block ×10, first 2 shown]
	s_waitcnt lgkmcnt(0)
	v_fma_f64 v[142:143], -v[112:113], v[225:226], v[142:143]
.LBB73_81:
	s_or_b32 exec_lo, exec_lo, s1
	s_mov_b32 s1, exec_lo
	s_waitcnt lgkmcnt(0)
	s_barrier
	buffer_gl0_inv
	v_cmpx_eq_u32_e32 16, v0
	s_cbranch_execz .LBB73_84
; %bb.82:
	ds_write_b64 v1, v[126:127]
	ds_write2_b64 v224, v[110:111], v[124:125] offset0:17 offset1:18
	ds_write2_b64 v224, v[92:93], v[108:109] offset0:19 offset1:20
	;; [unrolled: 1-line block ×10, first 2 shown]
	ds_read_b64 v[184:185], v1
	s_waitcnt lgkmcnt(0)
	v_cmp_neq_f64_e32 vcc_lo, 0, v[184:185]
	s_and_b32 exec_lo, exec_lo, vcc_lo
	s_cbranch_execz .LBB73_84
; %bb.83:
	v_div_scale_f64 v[186:187], null, v[184:185], v[184:185], 1.0
	v_rcp_f64_e32 v[188:189], v[186:187]
	v_fma_f64 v[190:191], -v[186:187], v[188:189], 1.0
	v_fma_f64 v[188:189], v[188:189], v[190:191], v[188:189]
	v_fma_f64 v[190:191], -v[186:187], v[188:189], 1.0
	v_fma_f64 v[188:189], v[188:189], v[190:191], v[188:189]
	v_div_scale_f64 v[190:191], vcc_lo, 1.0, v[184:185], 1.0
	v_mul_f64 v[192:193], v[190:191], v[188:189]
	v_fma_f64 v[186:187], -v[186:187], v[192:193], v[190:191]
	v_div_fmas_f64 v[186:187], v[186:187], v[188:189], v[192:193]
	v_div_fixup_f64 v[184:185], v[186:187], v[184:185], 1.0
	ds_write_b64 v1, v[184:185]
.LBB73_84:
	s_or_b32 exec_lo, exec_lo, s1
	s_waitcnt lgkmcnt(0)
	s_barrier
	buffer_gl0_inv
	ds_read_b64 v[184:185], v1
	s_mov_b32 s1, exec_lo
	v_cmpx_lt_u32_e32 16, v0
	s_cbranch_execz .LBB73_86
; %bb.85:
	s_waitcnt lgkmcnt(0)
	v_mul_f64 v[126:127], v[184:185], v[126:127]
	ds_read2_b64 v[186:189], v224 offset0:17 offset1:18
	ds_read2_b64 v[190:193], v224 offset0:19 offset1:20
	;; [unrolled: 1-line block ×10, first 2 shown]
	s_waitcnt lgkmcnt(9)
	v_fma_f64 v[110:111], -v[126:127], v[186:187], v[110:111]
	v_fma_f64 v[124:125], -v[126:127], v[188:189], v[124:125]
	s_waitcnt lgkmcnt(8)
	v_fma_f64 v[92:93], -v[126:127], v[190:191], v[92:93]
	v_fma_f64 v[108:109], -v[126:127], v[192:193], v[108:109]
	;; [unrolled: 3-line block ×10, first 2 shown]
.LBB73_86:
	s_or_b32 exec_lo, exec_lo, s1
	s_mov_b32 s1, exec_lo
	s_waitcnt lgkmcnt(0)
	s_barrier
	buffer_gl0_inv
	v_cmpx_eq_u32_e32 17, v0
	s_cbranch_execz .LBB73_89
; %bb.87:
	v_mov_b32_e32 v186, v124
	v_mov_b32_e32 v187, v125
	;; [unrolled: 1-line block ×16, first 2 shown]
	ds_write_b64 v1, v[110:111]
	ds_write2_b64 v224, v[186:187], v[188:189] offset0:18 offset1:19
	ds_write2_b64 v224, v[190:191], v[192:193] offset0:20 offset1:21
	;; [unrolled: 1-line block ×4, first 2 shown]
	v_mov_b32_e32 v186, v102
	v_mov_b32_e32 v187, v103
	;; [unrolled: 1-line block ×20, first 2 shown]
	ds_write2_b64 v224, v[186:187], v[188:189] offset0:26 offset1:27
	ds_write2_b64 v224, v[190:191], v[192:193] offset0:28 offset1:29
	;; [unrolled: 1-line block ×5, first 2 shown]
	ds_write_b64 v224, v[142:143] offset:288
	ds_read_b64 v[186:187], v1
	s_waitcnt lgkmcnt(0)
	v_cmp_neq_f64_e32 vcc_lo, 0, v[186:187]
	s_and_b32 exec_lo, exec_lo, vcc_lo
	s_cbranch_execz .LBB73_89
; %bb.88:
	v_div_scale_f64 v[188:189], null, v[186:187], v[186:187], 1.0
	v_rcp_f64_e32 v[190:191], v[188:189]
	v_fma_f64 v[192:193], -v[188:189], v[190:191], 1.0
	v_fma_f64 v[190:191], v[190:191], v[192:193], v[190:191]
	v_fma_f64 v[192:193], -v[188:189], v[190:191], 1.0
	v_fma_f64 v[190:191], v[190:191], v[192:193], v[190:191]
	v_div_scale_f64 v[192:193], vcc_lo, 1.0, v[186:187], 1.0
	v_mul_f64 v[194:195], v[192:193], v[190:191]
	v_fma_f64 v[188:189], -v[188:189], v[194:195], v[192:193]
	v_div_fmas_f64 v[188:189], v[188:189], v[190:191], v[194:195]
	v_div_fixup_f64 v[186:187], v[188:189], v[186:187], 1.0
	ds_write_b64 v1, v[186:187]
.LBB73_89:
	s_or_b32 exec_lo, exec_lo, s1
	s_waitcnt lgkmcnt(0)
	s_barrier
	buffer_gl0_inv
	ds_read_b64 v[186:187], v1
	s_mov_b32 s1, exec_lo
	v_cmpx_lt_u32_e32 17, v0
	s_cbranch_execz .LBB73_91
; %bb.90:
	s_waitcnt lgkmcnt(0)
	v_mul_f64 v[110:111], v[186:187], v[110:111]
	ds_read2_b64 v[188:191], v224 offset0:18 offset1:19
	ds_read2_b64 v[192:195], v224 offset0:20 offset1:21
	;; [unrolled: 1-line block ×9, first 2 shown]
	ds_read_b64 v[225:226], v224 offset:288
	s_waitcnt lgkmcnt(9)
	v_fma_f64 v[124:125], -v[110:111], v[188:189], v[124:125]
	v_fma_f64 v[92:93], -v[110:111], v[190:191], v[92:93]
	s_waitcnt lgkmcnt(8)
	v_fma_f64 v[108:109], -v[110:111], v[192:193], v[108:109]
	v_fma_f64 v[90:91], -v[110:111], v[194:195], v[90:91]
	;; [unrolled: 3-line block ×9, first 2 shown]
	s_waitcnt lgkmcnt(0)
	v_fma_f64 v[142:143], -v[110:111], v[225:226], v[142:143]
.LBB73_91:
	s_or_b32 exec_lo, exec_lo, s1
	s_mov_b32 s1, exec_lo
	s_waitcnt lgkmcnt(0)
	s_barrier
	buffer_gl0_inv
	v_cmpx_eq_u32_e32 18, v0
	s_cbranch_execz .LBB73_94
; %bb.92:
	ds_write_b64 v1, v[124:125]
	ds_write2_b64 v224, v[92:93], v[108:109] offset0:19 offset1:20
	ds_write2_b64 v224, v[90:91], v[106:107] offset0:21 offset1:22
	;; [unrolled: 1-line block ×9, first 2 shown]
	ds_read_b64 v[188:189], v1
	s_waitcnt lgkmcnt(0)
	v_cmp_neq_f64_e32 vcc_lo, 0, v[188:189]
	s_and_b32 exec_lo, exec_lo, vcc_lo
	s_cbranch_execz .LBB73_94
; %bb.93:
	v_div_scale_f64 v[190:191], null, v[188:189], v[188:189], 1.0
	v_rcp_f64_e32 v[192:193], v[190:191]
	v_fma_f64 v[194:195], -v[190:191], v[192:193], 1.0
	v_fma_f64 v[192:193], v[192:193], v[194:195], v[192:193]
	v_fma_f64 v[194:195], -v[190:191], v[192:193], 1.0
	v_fma_f64 v[192:193], v[192:193], v[194:195], v[192:193]
	v_div_scale_f64 v[194:195], vcc_lo, 1.0, v[188:189], 1.0
	v_mul_f64 v[196:197], v[194:195], v[192:193]
	v_fma_f64 v[190:191], -v[190:191], v[196:197], v[194:195]
	v_div_fmas_f64 v[190:191], v[190:191], v[192:193], v[196:197]
	v_div_fixup_f64 v[188:189], v[190:191], v[188:189], 1.0
	ds_write_b64 v1, v[188:189]
.LBB73_94:
	s_or_b32 exec_lo, exec_lo, s1
	s_waitcnt lgkmcnt(0)
	s_barrier
	buffer_gl0_inv
	ds_read_b64 v[188:189], v1
	s_mov_b32 s1, exec_lo
	v_cmpx_lt_u32_e32 18, v0
	s_cbranch_execz .LBB73_96
; %bb.95:
	s_waitcnt lgkmcnt(0)
	v_mul_f64 v[124:125], v[188:189], v[124:125]
	ds_read2_b64 v[190:193], v224 offset0:19 offset1:20
	ds_read2_b64 v[194:197], v224 offset0:21 offset1:22
	;; [unrolled: 1-line block ×9, first 2 shown]
	s_waitcnt lgkmcnt(8)
	v_fma_f64 v[92:93], -v[124:125], v[190:191], v[92:93]
	v_fma_f64 v[108:109], -v[124:125], v[192:193], v[108:109]
	s_waitcnt lgkmcnt(7)
	v_fma_f64 v[90:91], -v[124:125], v[194:195], v[90:91]
	v_fma_f64 v[106:107], -v[124:125], v[196:197], v[106:107]
	;; [unrolled: 3-line block ×9, first 2 shown]
.LBB73_96:
	s_or_b32 exec_lo, exec_lo, s1
	s_mov_b32 s1, exec_lo
	s_waitcnt lgkmcnt(0)
	s_barrier
	buffer_gl0_inv
	v_cmpx_eq_u32_e32 19, v0
	s_cbranch_execz .LBB73_99
; %bb.97:
	v_mov_b32_e32 v190, v108
	v_mov_b32_e32 v191, v109
	;; [unrolled: 1-line block ×12, first 2 shown]
	ds_write_b64 v1, v[92:93]
	ds_write2_b64 v224, v[190:191], v[192:193] offset0:20 offset1:21
	ds_write2_b64 v224, v[194:195], v[196:197] offset0:22 offset1:23
	;; [unrolled: 1-line block ×3, first 2 shown]
	v_mov_b32_e32 v190, v102
	v_mov_b32_e32 v191, v103
	;; [unrolled: 1-line block ×20, first 2 shown]
	ds_write2_b64 v224, v[190:191], v[192:193] offset0:26 offset1:27
	ds_write2_b64 v224, v[194:195], v[196:197] offset0:28 offset1:29
	;; [unrolled: 1-line block ×5, first 2 shown]
	ds_write_b64 v224, v[142:143] offset:288
	ds_read_b64 v[190:191], v1
	s_waitcnt lgkmcnt(0)
	v_cmp_neq_f64_e32 vcc_lo, 0, v[190:191]
	s_and_b32 exec_lo, exec_lo, vcc_lo
	s_cbranch_execz .LBB73_99
; %bb.98:
	v_div_scale_f64 v[192:193], null, v[190:191], v[190:191], 1.0
	v_rcp_f64_e32 v[194:195], v[192:193]
	v_fma_f64 v[196:197], -v[192:193], v[194:195], 1.0
	v_fma_f64 v[194:195], v[194:195], v[196:197], v[194:195]
	v_fma_f64 v[196:197], -v[192:193], v[194:195], 1.0
	v_fma_f64 v[194:195], v[194:195], v[196:197], v[194:195]
	v_div_scale_f64 v[196:197], vcc_lo, 1.0, v[190:191], 1.0
	v_mul_f64 v[198:199], v[196:197], v[194:195]
	v_fma_f64 v[192:193], -v[192:193], v[198:199], v[196:197]
	v_div_fmas_f64 v[192:193], v[192:193], v[194:195], v[198:199]
	v_div_fixup_f64 v[190:191], v[192:193], v[190:191], 1.0
	ds_write_b64 v1, v[190:191]
.LBB73_99:
	s_or_b32 exec_lo, exec_lo, s1
	s_waitcnt lgkmcnt(0)
	s_barrier
	buffer_gl0_inv
	ds_read_b64 v[190:191], v1
	s_mov_b32 s1, exec_lo
	v_cmpx_lt_u32_e32 19, v0
	s_cbranch_execz .LBB73_101
; %bb.100:
	s_waitcnt lgkmcnt(0)
	v_mul_f64 v[92:93], v[190:191], v[92:93]
	ds_read2_b64 v[192:195], v224 offset0:20 offset1:21
	ds_read2_b64 v[196:199], v224 offset0:22 offset1:23
	;; [unrolled: 1-line block ×8, first 2 shown]
	ds_read_b64 v[225:226], v224 offset:288
	s_waitcnt lgkmcnt(8)
	v_fma_f64 v[108:109], -v[92:93], v[192:193], v[108:109]
	v_fma_f64 v[90:91], -v[92:93], v[194:195], v[90:91]
	s_waitcnt lgkmcnt(7)
	v_fma_f64 v[106:107], -v[92:93], v[196:197], v[106:107]
	v_fma_f64 v[88:89], -v[92:93], v[198:199], v[88:89]
	;; [unrolled: 3-line block ×8, first 2 shown]
	s_waitcnt lgkmcnt(0)
	v_fma_f64 v[142:143], -v[92:93], v[225:226], v[142:143]
.LBB73_101:
	s_or_b32 exec_lo, exec_lo, s1
	s_mov_b32 s1, exec_lo
	s_waitcnt lgkmcnt(0)
	s_barrier
	buffer_gl0_inv
	v_cmpx_eq_u32_e32 20, v0
	s_cbranch_execz .LBB73_104
; %bb.102:
	ds_write_b64 v1, v[108:109]
	ds_write2_b64 v224, v[90:91], v[106:107] offset0:21 offset1:22
	ds_write2_b64 v224, v[88:89], v[104:105] offset0:23 offset1:24
	;; [unrolled: 1-line block ×8, first 2 shown]
	ds_read_b64 v[192:193], v1
	s_waitcnt lgkmcnt(0)
	v_cmp_neq_f64_e32 vcc_lo, 0, v[192:193]
	s_and_b32 exec_lo, exec_lo, vcc_lo
	s_cbranch_execz .LBB73_104
; %bb.103:
	v_div_scale_f64 v[194:195], null, v[192:193], v[192:193], 1.0
	v_rcp_f64_e32 v[196:197], v[194:195]
	v_fma_f64 v[198:199], -v[194:195], v[196:197], 1.0
	v_fma_f64 v[196:197], v[196:197], v[198:199], v[196:197]
	v_fma_f64 v[198:199], -v[194:195], v[196:197], 1.0
	v_fma_f64 v[196:197], v[196:197], v[198:199], v[196:197]
	v_div_scale_f64 v[198:199], vcc_lo, 1.0, v[192:193], 1.0
	v_mul_f64 v[200:201], v[198:199], v[196:197]
	v_fma_f64 v[194:195], -v[194:195], v[200:201], v[198:199]
	v_div_fmas_f64 v[194:195], v[194:195], v[196:197], v[200:201]
	v_div_fixup_f64 v[192:193], v[194:195], v[192:193], 1.0
	ds_write_b64 v1, v[192:193]
.LBB73_104:
	s_or_b32 exec_lo, exec_lo, s1
	s_waitcnt lgkmcnt(0)
	s_barrier
	buffer_gl0_inv
	ds_read_b64 v[192:193], v1
	s_mov_b32 s1, exec_lo
	v_cmpx_lt_u32_e32 20, v0
	s_cbranch_execz .LBB73_106
; %bb.105:
	s_waitcnt lgkmcnt(0)
	v_mul_f64 v[108:109], v[192:193], v[108:109]
	ds_read2_b64 v[194:197], v224 offset0:21 offset1:22
	ds_read2_b64 v[198:201], v224 offset0:23 offset1:24
	;; [unrolled: 1-line block ×8, first 2 shown]
	s_waitcnt lgkmcnt(7)
	v_fma_f64 v[90:91], -v[108:109], v[194:195], v[90:91]
	v_fma_f64 v[106:107], -v[108:109], v[196:197], v[106:107]
	s_waitcnt lgkmcnt(6)
	v_fma_f64 v[88:89], -v[108:109], v[198:199], v[88:89]
	v_fma_f64 v[104:105], -v[108:109], v[200:201], v[104:105]
	;; [unrolled: 3-line block ×8, first 2 shown]
.LBB73_106:
	s_or_b32 exec_lo, exec_lo, s1
	s_mov_b32 s1, exec_lo
	s_waitcnt lgkmcnt(0)
	s_barrier
	buffer_gl0_inv
	v_cmpx_eq_u32_e32 21, v0
	s_cbranch_execz .LBB73_109
; %bb.107:
	v_mov_b32_e32 v194, v106
	v_mov_b32_e32 v195, v107
	;; [unrolled: 1-line block ×8, first 2 shown]
	ds_write_b64 v1, v[90:91]
	ds_write2_b64 v224, v[194:195], v[196:197] offset0:22 offset1:23
	ds_write2_b64 v224, v[198:199], v[200:201] offset0:24 offset1:25
	v_mov_b32_e32 v194, v102
	v_mov_b32_e32 v195, v103
	;; [unrolled: 1-line block ×20, first 2 shown]
	ds_write2_b64 v224, v[194:195], v[196:197] offset0:26 offset1:27
	ds_write2_b64 v224, v[198:199], v[200:201] offset0:28 offset1:29
	;; [unrolled: 1-line block ×5, first 2 shown]
	ds_write_b64 v224, v[142:143] offset:288
	ds_read_b64 v[194:195], v1
	s_waitcnt lgkmcnt(0)
	v_cmp_neq_f64_e32 vcc_lo, 0, v[194:195]
	s_and_b32 exec_lo, exec_lo, vcc_lo
	s_cbranch_execz .LBB73_109
; %bb.108:
	v_div_scale_f64 v[196:197], null, v[194:195], v[194:195], 1.0
	v_rcp_f64_e32 v[198:199], v[196:197]
	v_fma_f64 v[200:201], -v[196:197], v[198:199], 1.0
	v_fma_f64 v[198:199], v[198:199], v[200:201], v[198:199]
	v_fma_f64 v[200:201], -v[196:197], v[198:199], 1.0
	v_fma_f64 v[198:199], v[198:199], v[200:201], v[198:199]
	v_div_scale_f64 v[200:201], vcc_lo, 1.0, v[194:195], 1.0
	v_mul_f64 v[202:203], v[200:201], v[198:199]
	v_fma_f64 v[196:197], -v[196:197], v[202:203], v[200:201]
	v_div_fmas_f64 v[196:197], v[196:197], v[198:199], v[202:203]
	v_div_fixup_f64 v[194:195], v[196:197], v[194:195], 1.0
	ds_write_b64 v1, v[194:195]
.LBB73_109:
	s_or_b32 exec_lo, exec_lo, s1
	s_waitcnt lgkmcnt(0)
	s_barrier
	buffer_gl0_inv
	ds_read_b64 v[194:195], v1
	s_mov_b32 s1, exec_lo
	v_cmpx_lt_u32_e32 21, v0
	s_cbranch_execz .LBB73_111
; %bb.110:
	s_waitcnt lgkmcnt(0)
	v_mul_f64 v[90:91], v[194:195], v[90:91]
	ds_read2_b64 v[196:199], v224 offset0:22 offset1:23
	ds_read2_b64 v[200:203], v224 offset0:24 offset1:25
	;; [unrolled: 1-line block ×7, first 2 shown]
	ds_read_b64 v[225:226], v224 offset:288
	s_waitcnt lgkmcnt(7)
	v_fma_f64 v[106:107], -v[90:91], v[196:197], v[106:107]
	v_fma_f64 v[88:89], -v[90:91], v[198:199], v[88:89]
	s_waitcnt lgkmcnt(6)
	v_fma_f64 v[104:105], -v[90:91], v[200:201], v[104:105]
	v_fma_f64 v[86:87], -v[90:91], v[202:203], v[86:87]
	;; [unrolled: 3-line block ×7, first 2 shown]
	s_waitcnt lgkmcnt(0)
	v_fma_f64 v[142:143], -v[90:91], v[225:226], v[142:143]
.LBB73_111:
	s_or_b32 exec_lo, exec_lo, s1
	s_mov_b32 s1, exec_lo
	s_waitcnt lgkmcnt(0)
	s_barrier
	buffer_gl0_inv
	v_cmpx_eq_u32_e32 22, v0
	s_cbranch_execz .LBB73_114
; %bb.112:
	ds_write_b64 v1, v[106:107]
	ds_write2_b64 v224, v[88:89], v[104:105] offset0:23 offset1:24
	ds_write2_b64 v224, v[86:87], v[102:103] offset0:25 offset1:26
	;; [unrolled: 1-line block ×7, first 2 shown]
	ds_read_b64 v[196:197], v1
	s_waitcnt lgkmcnt(0)
	v_cmp_neq_f64_e32 vcc_lo, 0, v[196:197]
	s_and_b32 exec_lo, exec_lo, vcc_lo
	s_cbranch_execz .LBB73_114
; %bb.113:
	v_div_scale_f64 v[198:199], null, v[196:197], v[196:197], 1.0
	v_rcp_f64_e32 v[200:201], v[198:199]
	v_fma_f64 v[202:203], -v[198:199], v[200:201], 1.0
	v_fma_f64 v[200:201], v[200:201], v[202:203], v[200:201]
	v_fma_f64 v[202:203], -v[198:199], v[200:201], 1.0
	v_fma_f64 v[200:201], v[200:201], v[202:203], v[200:201]
	v_div_scale_f64 v[202:203], vcc_lo, 1.0, v[196:197], 1.0
	v_mul_f64 v[204:205], v[202:203], v[200:201]
	v_fma_f64 v[198:199], -v[198:199], v[204:205], v[202:203]
	v_div_fmas_f64 v[198:199], v[198:199], v[200:201], v[204:205]
	v_div_fixup_f64 v[196:197], v[198:199], v[196:197], 1.0
	ds_write_b64 v1, v[196:197]
.LBB73_114:
	s_or_b32 exec_lo, exec_lo, s1
	s_waitcnt lgkmcnt(0)
	s_barrier
	buffer_gl0_inv
	ds_read_b64 v[196:197], v1
	s_mov_b32 s1, exec_lo
	v_cmpx_lt_u32_e32 22, v0
	s_cbranch_execz .LBB73_116
; %bb.115:
	s_waitcnt lgkmcnt(0)
	v_mul_f64 v[106:107], v[196:197], v[106:107]
	ds_read2_b64 v[198:201], v224 offset0:23 offset1:24
	ds_read2_b64 v[202:205], v224 offset0:25 offset1:26
	;; [unrolled: 1-line block ×7, first 2 shown]
	s_waitcnt lgkmcnt(6)
	v_fma_f64 v[88:89], -v[106:107], v[198:199], v[88:89]
	v_fma_f64 v[104:105], -v[106:107], v[200:201], v[104:105]
	s_waitcnt lgkmcnt(5)
	v_fma_f64 v[86:87], -v[106:107], v[202:203], v[86:87]
	v_fma_f64 v[102:103], -v[106:107], v[204:205], v[102:103]
	;; [unrolled: 3-line block ×7, first 2 shown]
.LBB73_116:
	s_or_b32 exec_lo, exec_lo, s1
	s_mov_b32 s1, exec_lo
	s_waitcnt lgkmcnt(0)
	s_barrier
	buffer_gl0_inv
	v_cmpx_eq_u32_e32 23, v0
	s_cbranch_execz .LBB73_119
; %bb.117:
	v_mov_b32_e32 v198, v104
	v_mov_b32_e32 v199, v105
	;; [unrolled: 1-line block ×4, first 2 shown]
	ds_write_b64 v1, v[88:89]
	ds_write2_b64 v224, v[198:199], v[200:201] offset0:24 offset1:25
	v_mov_b32_e32 v198, v102
	v_mov_b32_e32 v199, v103
	;; [unrolled: 1-line block ×20, first 2 shown]
	ds_write2_b64 v224, v[198:199], v[200:201] offset0:26 offset1:27
	ds_write2_b64 v224, v[202:203], v[204:205] offset0:28 offset1:29
	;; [unrolled: 1-line block ×5, first 2 shown]
	ds_write_b64 v224, v[142:143] offset:288
	ds_read_b64 v[198:199], v1
	s_waitcnt lgkmcnt(0)
	v_cmp_neq_f64_e32 vcc_lo, 0, v[198:199]
	s_and_b32 exec_lo, exec_lo, vcc_lo
	s_cbranch_execz .LBB73_119
; %bb.118:
	v_div_scale_f64 v[200:201], null, v[198:199], v[198:199], 1.0
	v_rcp_f64_e32 v[202:203], v[200:201]
	v_fma_f64 v[204:205], -v[200:201], v[202:203], 1.0
	v_fma_f64 v[202:203], v[202:203], v[204:205], v[202:203]
	v_fma_f64 v[204:205], -v[200:201], v[202:203], 1.0
	v_fma_f64 v[202:203], v[202:203], v[204:205], v[202:203]
	v_div_scale_f64 v[204:205], vcc_lo, 1.0, v[198:199], 1.0
	v_mul_f64 v[206:207], v[204:205], v[202:203]
	v_fma_f64 v[200:201], -v[200:201], v[206:207], v[204:205]
	v_div_fmas_f64 v[200:201], v[200:201], v[202:203], v[206:207]
	v_div_fixup_f64 v[198:199], v[200:201], v[198:199], 1.0
	ds_write_b64 v1, v[198:199]
.LBB73_119:
	s_or_b32 exec_lo, exec_lo, s1
	s_waitcnt lgkmcnt(0)
	s_barrier
	buffer_gl0_inv
	ds_read_b64 v[198:199], v1
	s_mov_b32 s1, exec_lo
	v_cmpx_lt_u32_e32 23, v0
	s_cbranch_execz .LBB73_121
; %bb.120:
	s_waitcnt lgkmcnt(0)
	v_mul_f64 v[88:89], v[198:199], v[88:89]
	ds_read2_b64 v[200:203], v224 offset0:24 offset1:25
	ds_read2_b64 v[204:207], v224 offset0:26 offset1:27
	;; [unrolled: 1-line block ×6, first 2 shown]
	ds_read_b64 v[225:226], v224 offset:288
	s_waitcnt lgkmcnt(6)
	v_fma_f64 v[104:105], -v[88:89], v[200:201], v[104:105]
	v_fma_f64 v[86:87], -v[88:89], v[202:203], v[86:87]
	s_waitcnt lgkmcnt(5)
	v_fma_f64 v[102:103], -v[88:89], v[204:205], v[102:103]
	v_fma_f64 v[84:85], -v[88:89], v[206:207], v[84:85]
	;; [unrolled: 3-line block ×6, first 2 shown]
	s_waitcnt lgkmcnt(0)
	v_fma_f64 v[142:143], -v[88:89], v[225:226], v[142:143]
.LBB73_121:
	s_or_b32 exec_lo, exec_lo, s1
	s_mov_b32 s1, exec_lo
	s_waitcnt lgkmcnt(0)
	s_barrier
	buffer_gl0_inv
	v_cmpx_eq_u32_e32 24, v0
	s_cbranch_execz .LBB73_124
; %bb.122:
	ds_write_b64 v1, v[104:105]
	ds_write2_b64 v224, v[86:87], v[102:103] offset0:25 offset1:26
	ds_write2_b64 v224, v[84:85], v[100:101] offset0:27 offset1:28
	;; [unrolled: 1-line block ×6, first 2 shown]
	ds_read_b64 v[200:201], v1
	s_waitcnt lgkmcnt(0)
	v_cmp_neq_f64_e32 vcc_lo, 0, v[200:201]
	s_and_b32 exec_lo, exec_lo, vcc_lo
	s_cbranch_execz .LBB73_124
; %bb.123:
	v_div_scale_f64 v[202:203], null, v[200:201], v[200:201], 1.0
	v_rcp_f64_e32 v[204:205], v[202:203]
	v_fma_f64 v[206:207], -v[202:203], v[204:205], 1.0
	v_fma_f64 v[204:205], v[204:205], v[206:207], v[204:205]
	v_fma_f64 v[206:207], -v[202:203], v[204:205], 1.0
	v_fma_f64 v[204:205], v[204:205], v[206:207], v[204:205]
	v_div_scale_f64 v[206:207], vcc_lo, 1.0, v[200:201], 1.0
	v_mul_f64 v[208:209], v[206:207], v[204:205]
	v_fma_f64 v[202:203], -v[202:203], v[208:209], v[206:207]
	v_div_fmas_f64 v[202:203], v[202:203], v[204:205], v[208:209]
	v_div_fixup_f64 v[200:201], v[202:203], v[200:201], 1.0
	ds_write_b64 v1, v[200:201]
.LBB73_124:
	s_or_b32 exec_lo, exec_lo, s1
	s_waitcnt lgkmcnt(0)
	s_barrier
	buffer_gl0_inv
	ds_read_b64 v[200:201], v1
	s_mov_b32 s1, exec_lo
	v_cmpx_lt_u32_e32 24, v0
	s_cbranch_execz .LBB73_126
; %bb.125:
	s_waitcnt lgkmcnt(0)
	v_mul_f64 v[104:105], v[200:201], v[104:105]
	ds_read2_b64 v[202:205], v224 offset0:25 offset1:26
	ds_read2_b64 v[206:209], v224 offset0:27 offset1:28
	;; [unrolled: 1-line block ×6, first 2 shown]
	s_waitcnt lgkmcnt(5)
	v_fma_f64 v[86:87], -v[104:105], v[202:203], v[86:87]
	v_fma_f64 v[102:103], -v[104:105], v[204:205], v[102:103]
	s_waitcnt lgkmcnt(4)
	v_fma_f64 v[84:85], -v[104:105], v[206:207], v[84:85]
	v_fma_f64 v[100:101], -v[104:105], v[208:209], v[100:101]
	s_waitcnt lgkmcnt(3)
	v_fma_f64 v[82:83], -v[104:105], v[210:211], v[82:83]
	v_fma_f64 v[98:99], -v[104:105], v[212:213], v[98:99]
	s_waitcnt lgkmcnt(2)
	v_fma_f64 v[80:81], -v[104:105], v[214:215], v[80:81]
	v_fma_f64 v[96:97], -v[104:105], v[216:217], v[96:97]
	s_waitcnt lgkmcnt(1)
	v_fma_f64 v[78:79], -v[104:105], v[218:219], v[78:79]
	v_fma_f64 v[94:95], -v[104:105], v[220:221], v[94:95]
	s_waitcnt lgkmcnt(0)
	v_fma_f64 v[76:77], -v[104:105], v[225:226], v[76:77]
	v_fma_f64 v[142:143], -v[104:105], v[227:228], v[142:143]
.LBB73_126:
	s_or_b32 exec_lo, exec_lo, s1
	s_mov_b32 s1, exec_lo
	s_waitcnt lgkmcnt(0)
	s_barrier
	buffer_gl0_inv
	v_cmpx_eq_u32_e32 25, v0
	s_cbranch_execz .LBB73_129
; %bb.127:
	v_mov_b32_e32 v202, v102
	v_mov_b32_e32 v203, v103
	;; [unrolled: 1-line block ×20, first 2 shown]
	ds_write_b64 v1, v[86:87]
	ds_write2_b64 v224, v[202:203], v[204:205] offset0:26 offset1:27
	ds_write2_b64 v224, v[206:207], v[208:209] offset0:28 offset1:29
	ds_write2_b64 v224, v[210:211], v[212:213] offset0:30 offset1:31
	ds_write2_b64 v224, v[214:215], v[216:217] offset0:32 offset1:33
	ds_write2_b64 v224, v[218:219], v[220:221] offset0:34 offset1:35
	ds_write_b64 v224, v[142:143] offset:288
	ds_read_b64 v[202:203], v1
	s_waitcnt lgkmcnt(0)
	v_cmp_neq_f64_e32 vcc_lo, 0, v[202:203]
	s_and_b32 exec_lo, exec_lo, vcc_lo
	s_cbranch_execz .LBB73_129
; %bb.128:
	v_div_scale_f64 v[204:205], null, v[202:203], v[202:203], 1.0
	v_rcp_f64_e32 v[206:207], v[204:205]
	v_fma_f64 v[208:209], -v[204:205], v[206:207], 1.0
	v_fma_f64 v[206:207], v[206:207], v[208:209], v[206:207]
	v_fma_f64 v[208:209], -v[204:205], v[206:207], 1.0
	v_fma_f64 v[206:207], v[206:207], v[208:209], v[206:207]
	v_div_scale_f64 v[208:209], vcc_lo, 1.0, v[202:203], 1.0
	v_mul_f64 v[210:211], v[208:209], v[206:207]
	v_fma_f64 v[204:205], -v[204:205], v[210:211], v[208:209]
	v_div_fmas_f64 v[204:205], v[204:205], v[206:207], v[210:211]
	v_div_fixup_f64 v[202:203], v[204:205], v[202:203], 1.0
	ds_write_b64 v1, v[202:203]
.LBB73_129:
	s_or_b32 exec_lo, exec_lo, s1
	s_waitcnt lgkmcnt(0)
	s_barrier
	buffer_gl0_inv
	ds_read_b64 v[202:203], v1
	s_mov_b32 s1, exec_lo
	v_cmpx_lt_u32_e32 25, v0
	s_cbranch_execz .LBB73_131
; %bb.130:
	s_waitcnt lgkmcnt(0)
	v_mul_f64 v[86:87], v[202:203], v[86:87]
	ds_read2_b64 v[204:207], v224 offset0:26 offset1:27
	ds_read2_b64 v[208:211], v224 offset0:28 offset1:29
	ds_read2_b64 v[212:215], v224 offset0:30 offset1:31
	ds_read2_b64 v[216:219], v224 offset0:32 offset1:33
	ds_read2_b64 v[220:223], v224 offset0:34 offset1:35
	ds_read_b64 v[225:226], v224 offset:288
	s_waitcnt lgkmcnt(5)
	v_fma_f64 v[102:103], -v[86:87], v[204:205], v[102:103]
	v_fma_f64 v[84:85], -v[86:87], v[206:207], v[84:85]
	s_waitcnt lgkmcnt(4)
	v_fma_f64 v[100:101], -v[86:87], v[208:209], v[100:101]
	v_fma_f64 v[82:83], -v[86:87], v[210:211], v[82:83]
	;; [unrolled: 3-line block ×5, first 2 shown]
	s_waitcnt lgkmcnt(0)
	v_fma_f64 v[142:143], -v[86:87], v[225:226], v[142:143]
.LBB73_131:
	s_or_b32 exec_lo, exec_lo, s1
	s_mov_b32 s1, exec_lo
	s_waitcnt lgkmcnt(0)
	s_barrier
	buffer_gl0_inv
	v_cmpx_eq_u32_e32 26, v0
	s_cbranch_execz .LBB73_134
; %bb.132:
	ds_write_b64 v1, v[102:103]
	ds_write2_b64 v224, v[84:85], v[100:101] offset0:27 offset1:28
	ds_write2_b64 v224, v[82:83], v[98:99] offset0:29 offset1:30
	;; [unrolled: 1-line block ×5, first 2 shown]
	ds_read_b64 v[204:205], v1
	s_waitcnt lgkmcnt(0)
	v_cmp_neq_f64_e32 vcc_lo, 0, v[204:205]
	s_and_b32 exec_lo, exec_lo, vcc_lo
	s_cbranch_execz .LBB73_134
; %bb.133:
	v_div_scale_f64 v[206:207], null, v[204:205], v[204:205], 1.0
	v_rcp_f64_e32 v[208:209], v[206:207]
	v_fma_f64 v[210:211], -v[206:207], v[208:209], 1.0
	v_fma_f64 v[208:209], v[208:209], v[210:211], v[208:209]
	v_fma_f64 v[210:211], -v[206:207], v[208:209], 1.0
	v_fma_f64 v[208:209], v[208:209], v[210:211], v[208:209]
	v_div_scale_f64 v[210:211], vcc_lo, 1.0, v[204:205], 1.0
	v_mul_f64 v[212:213], v[210:211], v[208:209]
	v_fma_f64 v[206:207], -v[206:207], v[212:213], v[210:211]
	v_div_fmas_f64 v[206:207], v[206:207], v[208:209], v[212:213]
	v_div_fixup_f64 v[204:205], v[206:207], v[204:205], 1.0
	ds_write_b64 v1, v[204:205]
.LBB73_134:
	s_or_b32 exec_lo, exec_lo, s1
	s_waitcnt lgkmcnt(0)
	s_barrier
	buffer_gl0_inv
	ds_read_b64 v[204:205], v1
	s_mov_b32 s1, exec_lo
	v_cmpx_lt_u32_e32 26, v0
	s_cbranch_execz .LBB73_136
; %bb.135:
	s_waitcnt lgkmcnt(0)
	v_mul_f64 v[102:103], v[204:205], v[102:103]
	ds_read2_b64 v[206:209], v224 offset0:27 offset1:28
	ds_read2_b64 v[210:213], v224 offset0:29 offset1:30
	;; [unrolled: 1-line block ×5, first 2 shown]
	s_waitcnt lgkmcnt(4)
	v_fma_f64 v[84:85], -v[102:103], v[206:207], v[84:85]
	v_fma_f64 v[100:101], -v[102:103], v[208:209], v[100:101]
	s_waitcnt lgkmcnt(3)
	v_fma_f64 v[82:83], -v[102:103], v[210:211], v[82:83]
	v_fma_f64 v[98:99], -v[102:103], v[212:213], v[98:99]
	;; [unrolled: 3-line block ×5, first 2 shown]
.LBB73_136:
	s_or_b32 exec_lo, exec_lo, s1
	s_mov_b32 s1, exec_lo
	s_waitcnt lgkmcnt(0)
	s_barrier
	buffer_gl0_inv
	v_cmpx_eq_u32_e32 27, v0
	s_cbranch_execz .LBB73_139
; %bb.137:
	v_mov_b32_e32 v206, v100
	v_mov_b32_e32 v207, v101
	;; [unrolled: 1-line block ×16, first 2 shown]
	ds_write_b64 v1, v[84:85]
	ds_write2_b64 v224, v[206:207], v[208:209] offset0:28 offset1:29
	ds_write2_b64 v224, v[210:211], v[212:213] offset0:30 offset1:31
	;; [unrolled: 1-line block ×4, first 2 shown]
	ds_write_b64 v224, v[142:143] offset:288
	ds_read_b64 v[206:207], v1
	s_waitcnt lgkmcnt(0)
	v_cmp_neq_f64_e32 vcc_lo, 0, v[206:207]
	s_and_b32 exec_lo, exec_lo, vcc_lo
	s_cbranch_execz .LBB73_139
; %bb.138:
	v_div_scale_f64 v[208:209], null, v[206:207], v[206:207], 1.0
	v_rcp_f64_e32 v[210:211], v[208:209]
	v_fma_f64 v[212:213], -v[208:209], v[210:211], 1.0
	v_fma_f64 v[210:211], v[210:211], v[212:213], v[210:211]
	v_fma_f64 v[212:213], -v[208:209], v[210:211], 1.0
	v_fma_f64 v[210:211], v[210:211], v[212:213], v[210:211]
	v_div_scale_f64 v[212:213], vcc_lo, 1.0, v[206:207], 1.0
	v_mul_f64 v[214:215], v[212:213], v[210:211]
	v_fma_f64 v[208:209], -v[208:209], v[214:215], v[212:213]
	v_div_fmas_f64 v[208:209], v[208:209], v[210:211], v[214:215]
	v_div_fixup_f64 v[206:207], v[208:209], v[206:207], 1.0
	ds_write_b64 v1, v[206:207]
.LBB73_139:
	s_or_b32 exec_lo, exec_lo, s1
	s_waitcnt lgkmcnt(0)
	s_barrier
	buffer_gl0_inv
	ds_read_b64 v[206:207], v1
	s_mov_b32 s1, exec_lo
	v_cmpx_lt_u32_e32 27, v0
	s_cbranch_execz .LBB73_141
; %bb.140:
	s_waitcnt lgkmcnt(0)
	v_mul_f64 v[84:85], v[206:207], v[84:85]
	ds_read2_b64 v[208:211], v224 offset0:28 offset1:29
	ds_read2_b64 v[212:215], v224 offset0:30 offset1:31
	;; [unrolled: 1-line block ×4, first 2 shown]
	ds_read_b64 v[225:226], v224 offset:288
	s_waitcnt lgkmcnt(4)
	v_fma_f64 v[100:101], -v[84:85], v[208:209], v[100:101]
	v_fma_f64 v[82:83], -v[84:85], v[210:211], v[82:83]
	s_waitcnt lgkmcnt(3)
	v_fma_f64 v[98:99], -v[84:85], v[212:213], v[98:99]
	v_fma_f64 v[80:81], -v[84:85], v[214:215], v[80:81]
	;; [unrolled: 3-line block ×4, first 2 shown]
	s_waitcnt lgkmcnt(0)
	v_fma_f64 v[142:143], -v[84:85], v[225:226], v[142:143]
.LBB73_141:
	s_or_b32 exec_lo, exec_lo, s1
	s_mov_b32 s1, exec_lo
	s_waitcnt lgkmcnt(0)
	s_barrier
	buffer_gl0_inv
	v_cmpx_eq_u32_e32 28, v0
	s_cbranch_execz .LBB73_144
; %bb.142:
	ds_write_b64 v1, v[100:101]
	ds_write2_b64 v224, v[82:83], v[98:99] offset0:29 offset1:30
	ds_write2_b64 v224, v[80:81], v[96:97] offset0:31 offset1:32
	;; [unrolled: 1-line block ×4, first 2 shown]
	ds_read_b64 v[208:209], v1
	s_waitcnt lgkmcnt(0)
	v_cmp_neq_f64_e32 vcc_lo, 0, v[208:209]
	s_and_b32 exec_lo, exec_lo, vcc_lo
	s_cbranch_execz .LBB73_144
; %bb.143:
	v_div_scale_f64 v[210:211], null, v[208:209], v[208:209], 1.0
	v_rcp_f64_e32 v[212:213], v[210:211]
	v_fma_f64 v[214:215], -v[210:211], v[212:213], 1.0
	v_fma_f64 v[212:213], v[212:213], v[214:215], v[212:213]
	v_fma_f64 v[214:215], -v[210:211], v[212:213], 1.0
	v_fma_f64 v[212:213], v[212:213], v[214:215], v[212:213]
	v_div_scale_f64 v[214:215], vcc_lo, 1.0, v[208:209], 1.0
	v_mul_f64 v[216:217], v[214:215], v[212:213]
	v_fma_f64 v[210:211], -v[210:211], v[216:217], v[214:215]
	v_div_fmas_f64 v[210:211], v[210:211], v[212:213], v[216:217]
	v_div_fixup_f64 v[208:209], v[210:211], v[208:209], 1.0
	ds_write_b64 v1, v[208:209]
.LBB73_144:
	s_or_b32 exec_lo, exec_lo, s1
	s_waitcnt lgkmcnt(0)
	s_barrier
	buffer_gl0_inv
	ds_read_b64 v[208:209], v1
	s_mov_b32 s1, exec_lo
	v_cmpx_lt_u32_e32 28, v0
	s_cbranch_execz .LBB73_146
; %bb.145:
	s_waitcnt lgkmcnt(0)
	v_mul_f64 v[100:101], v[208:209], v[100:101]
	ds_read2_b64 v[210:213], v224 offset0:29 offset1:30
	ds_read2_b64 v[214:217], v224 offset0:31 offset1:32
	;; [unrolled: 1-line block ×4, first 2 shown]
	s_waitcnt lgkmcnt(3)
	v_fma_f64 v[82:83], -v[100:101], v[210:211], v[82:83]
	v_fma_f64 v[98:99], -v[100:101], v[212:213], v[98:99]
	s_waitcnt lgkmcnt(2)
	v_fma_f64 v[80:81], -v[100:101], v[214:215], v[80:81]
	v_fma_f64 v[96:97], -v[100:101], v[216:217], v[96:97]
	;; [unrolled: 3-line block ×4, first 2 shown]
.LBB73_146:
	s_or_b32 exec_lo, exec_lo, s1
	s_mov_b32 s1, exec_lo
	s_waitcnt lgkmcnt(0)
	s_barrier
	buffer_gl0_inv
	v_cmpx_eq_u32_e32 29, v0
	s_cbranch_execz .LBB73_149
; %bb.147:
	v_mov_b32_e32 v210, v98
	v_mov_b32_e32 v211, v99
	;; [unrolled: 1-line block ×12, first 2 shown]
	ds_write_b64 v1, v[82:83]
	ds_write2_b64 v224, v[210:211], v[212:213] offset0:30 offset1:31
	ds_write2_b64 v224, v[214:215], v[216:217] offset0:32 offset1:33
	;; [unrolled: 1-line block ×3, first 2 shown]
	ds_write_b64 v224, v[142:143] offset:288
	ds_read_b64 v[210:211], v1
	s_waitcnt lgkmcnt(0)
	v_cmp_neq_f64_e32 vcc_lo, 0, v[210:211]
	s_and_b32 exec_lo, exec_lo, vcc_lo
	s_cbranch_execz .LBB73_149
; %bb.148:
	v_div_scale_f64 v[212:213], null, v[210:211], v[210:211], 1.0
	v_rcp_f64_e32 v[214:215], v[212:213]
	v_fma_f64 v[216:217], -v[212:213], v[214:215], 1.0
	v_fma_f64 v[214:215], v[214:215], v[216:217], v[214:215]
	v_fma_f64 v[216:217], -v[212:213], v[214:215], 1.0
	v_fma_f64 v[214:215], v[214:215], v[216:217], v[214:215]
	v_div_scale_f64 v[216:217], vcc_lo, 1.0, v[210:211], 1.0
	v_mul_f64 v[218:219], v[216:217], v[214:215]
	v_fma_f64 v[212:213], -v[212:213], v[218:219], v[216:217]
	v_div_fmas_f64 v[212:213], v[212:213], v[214:215], v[218:219]
	v_div_fixup_f64 v[210:211], v[212:213], v[210:211], 1.0
	ds_write_b64 v1, v[210:211]
.LBB73_149:
	s_or_b32 exec_lo, exec_lo, s1
	s_waitcnt lgkmcnt(0)
	s_barrier
	buffer_gl0_inv
	ds_read_b64 v[210:211], v1
	s_mov_b32 s1, exec_lo
	v_cmpx_lt_u32_e32 29, v0
	s_cbranch_execz .LBB73_151
; %bb.150:
	s_waitcnt lgkmcnt(0)
	v_mul_f64 v[82:83], v[210:211], v[82:83]
	ds_read2_b64 v[212:215], v224 offset0:30 offset1:31
	ds_read2_b64 v[216:219], v224 offset0:32 offset1:33
	;; [unrolled: 1-line block ×3, first 2 shown]
	ds_read_b64 v[225:226], v224 offset:288
	s_waitcnt lgkmcnt(3)
	v_fma_f64 v[98:99], -v[82:83], v[212:213], v[98:99]
	v_fma_f64 v[80:81], -v[82:83], v[214:215], v[80:81]
	s_waitcnt lgkmcnt(2)
	v_fma_f64 v[96:97], -v[82:83], v[216:217], v[96:97]
	v_fma_f64 v[78:79], -v[82:83], v[218:219], v[78:79]
	;; [unrolled: 3-line block ×3, first 2 shown]
	s_waitcnt lgkmcnt(0)
	v_fma_f64 v[142:143], -v[82:83], v[225:226], v[142:143]
.LBB73_151:
	s_or_b32 exec_lo, exec_lo, s1
	s_mov_b32 s1, exec_lo
	s_waitcnt lgkmcnt(0)
	s_barrier
	buffer_gl0_inv
	v_cmpx_eq_u32_e32 30, v0
	s_cbranch_execz .LBB73_154
; %bb.152:
	ds_write_b64 v1, v[98:99]
	ds_write2_b64 v224, v[80:81], v[96:97] offset0:31 offset1:32
	ds_write2_b64 v224, v[78:79], v[94:95] offset0:33 offset1:34
	ds_write2_b64 v224, v[76:77], v[142:143] offset0:35 offset1:36
	ds_read_b64 v[212:213], v1
	s_waitcnt lgkmcnt(0)
	v_cmp_neq_f64_e32 vcc_lo, 0, v[212:213]
	s_and_b32 exec_lo, exec_lo, vcc_lo
	s_cbranch_execz .LBB73_154
; %bb.153:
	v_div_scale_f64 v[214:215], null, v[212:213], v[212:213], 1.0
	v_rcp_f64_e32 v[216:217], v[214:215]
	v_fma_f64 v[218:219], -v[214:215], v[216:217], 1.0
	v_fma_f64 v[216:217], v[216:217], v[218:219], v[216:217]
	v_fma_f64 v[218:219], -v[214:215], v[216:217], 1.0
	v_fma_f64 v[216:217], v[216:217], v[218:219], v[216:217]
	v_div_scale_f64 v[218:219], vcc_lo, 1.0, v[212:213], 1.0
	v_mul_f64 v[220:221], v[218:219], v[216:217]
	v_fma_f64 v[214:215], -v[214:215], v[220:221], v[218:219]
	v_div_fmas_f64 v[214:215], v[214:215], v[216:217], v[220:221]
	v_div_fixup_f64 v[212:213], v[214:215], v[212:213], 1.0
	ds_write_b64 v1, v[212:213]
.LBB73_154:
	s_or_b32 exec_lo, exec_lo, s1
	s_waitcnt lgkmcnt(0)
	s_barrier
	buffer_gl0_inv
	ds_read_b64 v[212:213], v1
	s_mov_b32 s1, exec_lo
	v_cmpx_lt_u32_e32 30, v0
	s_cbranch_execz .LBB73_156
; %bb.155:
	s_waitcnt lgkmcnt(0)
	v_mul_f64 v[98:99], v[212:213], v[98:99]
	ds_read2_b64 v[214:217], v224 offset0:31 offset1:32
	ds_read2_b64 v[218:221], v224 offset0:33 offset1:34
	;; [unrolled: 1-line block ×3, first 2 shown]
	s_waitcnt lgkmcnt(2)
	v_fma_f64 v[80:81], -v[98:99], v[214:215], v[80:81]
	v_fma_f64 v[96:97], -v[98:99], v[216:217], v[96:97]
	s_waitcnt lgkmcnt(1)
	v_fma_f64 v[78:79], -v[98:99], v[218:219], v[78:79]
	v_fma_f64 v[94:95], -v[98:99], v[220:221], v[94:95]
	;; [unrolled: 3-line block ×3, first 2 shown]
.LBB73_156:
	s_or_b32 exec_lo, exec_lo, s1
	s_mov_b32 s1, exec_lo
	s_waitcnt lgkmcnt(0)
	s_barrier
	buffer_gl0_inv
	v_cmpx_eq_u32_e32 31, v0
	s_cbranch_execz .LBB73_159
; %bb.157:
	v_mov_b32_e32 v214, v96
	v_mov_b32_e32 v215, v97
	;; [unrolled: 1-line block ×8, first 2 shown]
	ds_write_b64 v1, v[80:81]
	ds_write2_b64 v224, v[214:215], v[216:217] offset0:32 offset1:33
	ds_write2_b64 v224, v[218:219], v[220:221] offset0:34 offset1:35
	ds_write_b64 v224, v[142:143] offset:288
	ds_read_b64 v[214:215], v1
	s_waitcnt lgkmcnt(0)
	v_cmp_neq_f64_e32 vcc_lo, 0, v[214:215]
	s_and_b32 exec_lo, exec_lo, vcc_lo
	s_cbranch_execz .LBB73_159
; %bb.158:
	v_div_scale_f64 v[216:217], null, v[214:215], v[214:215], 1.0
	v_rcp_f64_e32 v[218:219], v[216:217]
	v_fma_f64 v[220:221], -v[216:217], v[218:219], 1.0
	v_fma_f64 v[218:219], v[218:219], v[220:221], v[218:219]
	v_fma_f64 v[220:221], -v[216:217], v[218:219], 1.0
	v_fma_f64 v[218:219], v[218:219], v[220:221], v[218:219]
	v_div_scale_f64 v[220:221], vcc_lo, 1.0, v[214:215], 1.0
	v_mul_f64 v[222:223], v[220:221], v[218:219]
	v_fma_f64 v[216:217], -v[216:217], v[222:223], v[220:221]
	v_div_fmas_f64 v[216:217], v[216:217], v[218:219], v[222:223]
	v_div_fixup_f64 v[214:215], v[216:217], v[214:215], 1.0
	ds_write_b64 v1, v[214:215]
.LBB73_159:
	s_or_b32 exec_lo, exec_lo, s1
	s_waitcnt lgkmcnt(0)
	s_barrier
	buffer_gl0_inv
	ds_read_b64 v[214:215], v1
	s_mov_b32 s1, exec_lo
	v_cmpx_lt_u32_e32 31, v0
	s_cbranch_execz .LBB73_161
; %bb.160:
	s_waitcnt lgkmcnt(0)
	v_mul_f64 v[80:81], v[214:215], v[80:81]
	ds_read2_b64 v[216:219], v224 offset0:32 offset1:33
	ds_read2_b64 v[220:223], v224 offset0:34 offset1:35
	ds_read_b64 v[225:226], v224 offset:288
	s_waitcnt lgkmcnt(2)
	v_fma_f64 v[96:97], -v[80:81], v[216:217], v[96:97]
	v_fma_f64 v[78:79], -v[80:81], v[218:219], v[78:79]
	s_waitcnt lgkmcnt(1)
	v_fma_f64 v[94:95], -v[80:81], v[220:221], v[94:95]
	v_fma_f64 v[76:77], -v[80:81], v[222:223], v[76:77]
	s_waitcnt lgkmcnt(0)
	v_fma_f64 v[142:143], -v[80:81], v[225:226], v[142:143]
.LBB73_161:
	s_or_b32 exec_lo, exec_lo, s1
	s_mov_b32 s1, exec_lo
	s_waitcnt lgkmcnt(0)
	s_barrier
	buffer_gl0_inv
	v_cmpx_eq_u32_e32 32, v0
	s_cbranch_execz .LBB73_164
; %bb.162:
	ds_write_b64 v1, v[96:97]
	ds_write2_b64 v224, v[78:79], v[94:95] offset0:33 offset1:34
	ds_write2_b64 v224, v[76:77], v[142:143] offset0:35 offset1:36
	ds_read_b64 v[216:217], v1
	s_waitcnt lgkmcnt(0)
	v_cmp_neq_f64_e32 vcc_lo, 0, v[216:217]
	s_and_b32 exec_lo, exec_lo, vcc_lo
	s_cbranch_execz .LBB73_164
; %bb.163:
	v_div_scale_f64 v[218:219], null, v[216:217], v[216:217], 1.0
	v_rcp_f64_e32 v[220:221], v[218:219]
	v_fma_f64 v[222:223], -v[218:219], v[220:221], 1.0
	v_fma_f64 v[220:221], v[220:221], v[222:223], v[220:221]
	v_fma_f64 v[222:223], -v[218:219], v[220:221], 1.0
	v_fma_f64 v[220:221], v[220:221], v[222:223], v[220:221]
	v_div_scale_f64 v[222:223], vcc_lo, 1.0, v[216:217], 1.0
	v_mul_f64 v[225:226], v[222:223], v[220:221]
	v_fma_f64 v[218:219], -v[218:219], v[225:226], v[222:223]
	v_div_fmas_f64 v[218:219], v[218:219], v[220:221], v[225:226]
	v_div_fixup_f64 v[216:217], v[218:219], v[216:217], 1.0
	ds_write_b64 v1, v[216:217]
.LBB73_164:
	s_or_b32 exec_lo, exec_lo, s1
	s_waitcnt lgkmcnt(0)
	s_barrier
	buffer_gl0_inv
	ds_read_b64 v[216:217], v1
	s_mov_b32 s1, exec_lo
	v_cmpx_lt_u32_e32 32, v0
	s_cbranch_execz .LBB73_166
; %bb.165:
	s_waitcnt lgkmcnt(0)
	v_mul_f64 v[96:97], v[216:217], v[96:97]
	ds_read2_b64 v[218:221], v224 offset0:33 offset1:34
	ds_read2_b64 v[225:228], v224 offset0:35 offset1:36
	s_waitcnt lgkmcnt(1)
	v_fma_f64 v[78:79], -v[96:97], v[218:219], v[78:79]
	v_fma_f64 v[94:95], -v[96:97], v[220:221], v[94:95]
	s_waitcnt lgkmcnt(0)
	v_fma_f64 v[76:77], -v[96:97], v[225:226], v[76:77]
	v_fma_f64 v[142:143], -v[96:97], v[227:228], v[142:143]
.LBB73_166:
	s_or_b32 exec_lo, exec_lo, s1
	s_mov_b32 s1, exec_lo
	s_waitcnt lgkmcnt(0)
	s_barrier
	buffer_gl0_inv
	v_cmpx_eq_u32_e32 33, v0
	s_cbranch_execz .LBB73_169
; %bb.167:
	v_mov_b32_e32 v218, v94
	v_mov_b32_e32 v219, v95
	;; [unrolled: 1-line block ×4, first 2 shown]
	ds_write_b64 v1, v[78:79]
	ds_write2_b64 v224, v[218:219], v[220:221] offset0:34 offset1:35
	ds_write_b64 v224, v[142:143] offset:288
	ds_read_b64 v[218:219], v1
	s_waitcnt lgkmcnt(0)
	v_cmp_neq_f64_e32 vcc_lo, 0, v[218:219]
	s_and_b32 exec_lo, exec_lo, vcc_lo
	s_cbranch_execz .LBB73_169
; %bb.168:
	v_div_scale_f64 v[220:221], null, v[218:219], v[218:219], 1.0
	v_rcp_f64_e32 v[222:223], v[220:221]
	v_fma_f64 v[225:226], -v[220:221], v[222:223], 1.0
	v_fma_f64 v[222:223], v[222:223], v[225:226], v[222:223]
	v_fma_f64 v[225:226], -v[220:221], v[222:223], 1.0
	v_fma_f64 v[222:223], v[222:223], v[225:226], v[222:223]
	v_div_scale_f64 v[225:226], vcc_lo, 1.0, v[218:219], 1.0
	v_mul_f64 v[227:228], v[225:226], v[222:223]
	v_fma_f64 v[220:221], -v[220:221], v[227:228], v[225:226]
	v_div_fmas_f64 v[220:221], v[220:221], v[222:223], v[227:228]
	v_div_fixup_f64 v[218:219], v[220:221], v[218:219], 1.0
	ds_write_b64 v1, v[218:219]
.LBB73_169:
	s_or_b32 exec_lo, exec_lo, s1
	s_waitcnt lgkmcnt(0)
	s_barrier
	buffer_gl0_inv
	ds_read_b64 v[218:219], v1
	s_mov_b32 s1, exec_lo
	v_cmpx_lt_u32_e32 33, v0
	s_cbranch_execz .LBB73_171
; %bb.170:
	s_waitcnt lgkmcnt(0)
	v_mul_f64 v[78:79], v[218:219], v[78:79]
	ds_read2_b64 v[220:223], v224 offset0:34 offset1:35
	ds_read_b64 v[225:226], v224 offset:288
	s_waitcnt lgkmcnt(1)
	v_fma_f64 v[94:95], -v[78:79], v[220:221], v[94:95]
	v_fma_f64 v[76:77], -v[78:79], v[222:223], v[76:77]
	s_waitcnt lgkmcnt(0)
	v_fma_f64 v[142:143], -v[78:79], v[225:226], v[142:143]
.LBB73_171:
	s_or_b32 exec_lo, exec_lo, s1
	s_mov_b32 s1, exec_lo
	s_waitcnt lgkmcnt(0)
	s_barrier
	buffer_gl0_inv
	v_cmpx_eq_u32_e32 34, v0
	s_cbranch_execz .LBB73_174
; %bb.172:
	ds_write_b64 v1, v[94:95]
	ds_write2_b64 v224, v[76:77], v[142:143] offset0:35 offset1:36
	ds_read_b64 v[220:221], v1
	s_waitcnt lgkmcnt(0)
	v_cmp_neq_f64_e32 vcc_lo, 0, v[220:221]
	s_and_b32 exec_lo, exec_lo, vcc_lo
	s_cbranch_execz .LBB73_174
; %bb.173:
	v_div_scale_f64 v[222:223], null, v[220:221], v[220:221], 1.0
	v_rcp_f64_e32 v[225:226], v[222:223]
	v_fma_f64 v[227:228], -v[222:223], v[225:226], 1.0
	v_fma_f64 v[225:226], v[225:226], v[227:228], v[225:226]
	v_fma_f64 v[227:228], -v[222:223], v[225:226], 1.0
	v_fma_f64 v[225:226], v[225:226], v[227:228], v[225:226]
	v_div_scale_f64 v[227:228], vcc_lo, 1.0, v[220:221], 1.0
	v_mul_f64 v[229:230], v[227:228], v[225:226]
	v_fma_f64 v[222:223], -v[222:223], v[229:230], v[227:228]
	v_div_fmas_f64 v[222:223], v[222:223], v[225:226], v[229:230]
	v_div_fixup_f64 v[220:221], v[222:223], v[220:221], 1.0
	ds_write_b64 v1, v[220:221]
.LBB73_174:
	s_or_b32 exec_lo, exec_lo, s1
	s_waitcnt lgkmcnt(0)
	s_barrier
	buffer_gl0_inv
	ds_read_b64 v[220:221], v1
	s_mov_b32 s1, exec_lo
	v_cmpx_lt_u32_e32 34, v0
	s_cbranch_execz .LBB73_176
; %bb.175:
	s_waitcnt lgkmcnt(0)
	v_mul_f64 v[94:95], v[220:221], v[94:95]
	ds_read2_b64 v[225:228], v224 offset0:35 offset1:36
	s_waitcnt lgkmcnt(0)
	v_fma_f64 v[76:77], -v[94:95], v[225:226], v[76:77]
	v_fma_f64 v[142:143], -v[94:95], v[227:228], v[142:143]
.LBB73_176:
	s_or_b32 exec_lo, exec_lo, s1
	s_mov_b32 s1, exec_lo
	s_waitcnt lgkmcnt(0)
	s_barrier
	buffer_gl0_inv
	v_cmpx_eq_u32_e32 35, v0
	s_cbranch_execz .LBB73_179
; %bb.177:
	ds_write_b64 v1, v[76:77]
	ds_write_b64 v224, v[142:143] offset:288
	ds_read_b64 v[222:223], v1
	s_waitcnt lgkmcnt(0)
	v_cmp_neq_f64_e32 vcc_lo, 0, v[222:223]
	s_and_b32 exec_lo, exec_lo, vcc_lo
	s_cbranch_execz .LBB73_179
; %bb.178:
	v_div_scale_f64 v[225:226], null, v[222:223], v[222:223], 1.0
	v_rcp_f64_e32 v[227:228], v[225:226]
	v_fma_f64 v[229:230], -v[225:226], v[227:228], 1.0
	v_fma_f64 v[227:228], v[227:228], v[229:230], v[227:228]
	v_fma_f64 v[229:230], -v[225:226], v[227:228], 1.0
	v_fma_f64 v[227:228], v[227:228], v[229:230], v[227:228]
	v_div_scale_f64 v[229:230], vcc_lo, 1.0, v[222:223], 1.0
	v_mul_f64 v[231:232], v[229:230], v[227:228]
	v_fma_f64 v[225:226], -v[225:226], v[231:232], v[229:230]
	v_div_fmas_f64 v[225:226], v[225:226], v[227:228], v[231:232]
	v_div_fixup_f64 v[222:223], v[225:226], v[222:223], 1.0
	ds_write_b64 v1, v[222:223]
.LBB73_179:
	s_or_b32 exec_lo, exec_lo, s1
	s_waitcnt lgkmcnt(0)
	s_barrier
	buffer_gl0_inv
	ds_read_b64 v[222:223], v1
	s_mov_b32 s1, exec_lo
	v_cmpx_lt_u32_e32 35, v0
	s_cbranch_execz .LBB73_181
; %bb.180:
	s_waitcnt lgkmcnt(0)
	v_mul_f64 v[76:77], v[222:223], v[76:77]
	ds_read_b64 v[224:225], v224 offset:288
	s_waitcnt lgkmcnt(0)
	v_fma_f64 v[142:143], -v[76:77], v[224:225], v[142:143]
.LBB73_181:
	s_or_b32 exec_lo, exec_lo, s1
	s_mov_b32 s1, exec_lo
	s_waitcnt lgkmcnt(0)
	s_barrier
	buffer_gl0_inv
	v_cmpx_eq_u32_e32 36, v0
	s_cbranch_execz .LBB73_184
; %bb.182:
	v_cmp_neq_f64_e32 vcc_lo, 0, v[142:143]
	ds_write_b64 v1, v[142:143]
	s_and_b32 exec_lo, exec_lo, vcc_lo
	s_cbranch_execz .LBB73_184
; %bb.183:
	v_div_scale_f64 v[224:225], null, v[142:143], v[142:143], 1.0
	v_rcp_f64_e32 v[226:227], v[224:225]
	v_fma_f64 v[228:229], -v[224:225], v[226:227], 1.0
	v_fma_f64 v[226:227], v[226:227], v[228:229], v[226:227]
	v_fma_f64 v[228:229], -v[224:225], v[226:227], 1.0
	v_fma_f64 v[226:227], v[226:227], v[228:229], v[226:227]
	v_div_scale_f64 v[228:229], vcc_lo, 1.0, v[142:143], 1.0
	v_mul_f64 v[230:231], v[228:229], v[226:227]
	v_fma_f64 v[224:225], -v[224:225], v[230:231], v[228:229]
	v_div_fmas_f64 v[224:225], v[224:225], v[226:227], v[230:231]
	v_div_fixup_f64 v[224:225], v[224:225], v[142:143], 1.0
	ds_write_b64 v1, v[224:225]
.LBB73_184:
	s_or_b32 exec_lo, exec_lo, s1
	s_waitcnt lgkmcnt(0)
	s_barrier
	buffer_gl0_inv
	ds_read_b64 v[224:225], v1
	s_waitcnt lgkmcnt(0)
	s_barrier
	buffer_gl0_inv
	s_and_saveexec_b32 s6, s0
	s_cbranch_execz .LBB73_187
; %bb.185:
	v_cmp_eq_f64_e32 vcc_lo, 0, v[152:153]
	v_cmp_neq_f64_e64 s0, 0, v[154:155]
	v_cmp_eq_f64_e64 s1, 0, v[156:157]
	v_cmp_eq_f64_e64 s2, 0, v[158:159]
	s_load_dwordx2 s[4:5], s[4:5], 0x28
	v_cndmask_b32_e64 v1, 0, 1, vcc_lo
	s_or_b32 vcc_lo, s0, vcc_lo
	v_cmp_eq_f64_e64 s0, 0, v[160:161]
	v_cndmask_b32_e32 v1, 2, v1, vcc_lo
	v_cmp_eq_u32_e32 vcc_lo, 0, v1
	s_and_b32 s1, s1, vcc_lo
	v_cndmask_b32_e64 v1, v1, 3, s1
	v_cmp_eq_f64_e64 s1, 0, v[162:163]
	v_cmp_eq_u32_e32 vcc_lo, 0, v1
	s_and_b32 s2, s2, vcc_lo
	v_cndmask_b32_e64 v1, v1, 4, s2
	v_cmp_eq_f64_e64 s2, 0, v[164:165]
	;; [unrolled: 4-line block ×4, first 2 shown]
	v_cmp_eq_u32_e32 vcc_lo, 0, v1
	s_and_b32 s2, s2, vcc_lo
	v_cmp_eq_f64_e32 vcc_lo, 0, v[170:171]
	v_cndmask_b32_e64 v152, v1, 7, s2
	v_lshlrev_b64 v[1:2], 2, v[2:3]
	v_cmp_eq_u32_e64 s2, 0, v152
	s_waitcnt lgkmcnt(0)
	v_add_co_u32 v1, s3, s4, v1
	v_add_co_ci_u32_e64 v2, null, s5, v2, s3
	s_and_b32 s0, s0, s2
	v_cmp_eq_f64_e64 s2, 0, v[172:173]
	v_cndmask_b32_e64 v3, v152, 8, s0
	global_load_dword v152, v[1:2], off
	v_cmp_eq_u32_e64 s0, 0, v3
	s_and_b32 s0, s1, s0
	v_cmp_eq_f64_e64 s1, 0, v[174:175]
	v_cndmask_b32_e64 v3, v3, 9, s0
	v_cmp_eq_u32_e64 s0, 0, v3
	s_and_b32 s0, vcc_lo, s0
	v_cndmask_b32_e64 v3, v3, 10, s0
	v_cmp_eq_f64_e64 s0, 0, v[176:177]
	v_cmp_eq_u32_e32 vcc_lo, 0, v3
	s_and_b32 s2, s2, vcc_lo
	v_cndmask_b32_e64 v3, v3, 11, s2
	v_cmp_eq_f64_e64 s2, 0, v[178:179]
	v_cmp_eq_u32_e32 vcc_lo, 0, v3
	s_and_b32 s1, s1, vcc_lo
	;; [unrolled: 4-line block ×25, first 2 shown]
	v_cndmask_b32_e64 v3, v3, 35, s2
	v_cmp_eq_u32_e32 vcc_lo, 0, v3
	s_and_b32 s1, s1, vcc_lo
	v_cndmask_b32_e64 v3, v3, 36, s1
	v_cmp_eq_u32_e32 vcc_lo, 0, v3
	s_and_b32 s0, s0, vcc_lo
	s_waitcnt vmcnt(0)
	v_cmp_eq_u32_e32 vcc_lo, 0, v152
	v_cndmask_b32_e64 v3, v3, 37, s0
	v_cmp_ne_u32_e64 s0, 0, v3
	s_and_b32 s0, vcc_lo, s0
	s_and_b32 exec_lo, exec_lo, s0
	s_cbranch_execz .LBB73_187
; %bb.186:
	v_add_nc_u32_e32 v3, s9, v3
	global_store_dword v[1:2], v3, off
.LBB73_187:
	s_or_b32 exec_lo, exec_lo, s6
	v_mul_f64 v[1:2], v[224:225], v[142:143]
	v_cmp_lt_u32_e32 vcc_lo, 36, v0
	flat_store_dwordx2 v[74:75], v[144:145]
	flat_store_dwordx2 v[140:141], v[148:149]
	;; [unrolled: 1-line block ×19, first 2 shown]
	v_cndmask_b32_e32 v2, v143, v2, vcc_lo
	v_cndmask_b32_e32 v1, v142, v1, vcc_lo
	flat_store_dwordx2 v[36:37], v[92:93]
	flat_store_dwordx2 v[40:41], v[108:109]
	;; [unrolled: 1-line block ×18, first 2 shown]
.LBB73_188:
	s_endpgm
	.section	.rodata,"a",@progbits
	.p2align	6, 0x0
	.amdhsa_kernel _ZN9rocsolver6v33100L23getf2_npvt_small_kernelILi37EdiiPKPdEEvT1_T3_lS5_lPT2_S5_S5_
		.amdhsa_group_segment_fixed_size 0
		.amdhsa_private_segment_fixed_size 0
		.amdhsa_kernarg_size 312
		.amdhsa_user_sgpr_count 6
		.amdhsa_user_sgpr_private_segment_buffer 1
		.amdhsa_user_sgpr_dispatch_ptr 0
		.amdhsa_user_sgpr_queue_ptr 0
		.amdhsa_user_sgpr_kernarg_segment_ptr 1
		.amdhsa_user_sgpr_dispatch_id 0
		.amdhsa_user_sgpr_flat_scratch_init 0
		.amdhsa_user_sgpr_private_segment_size 0
		.amdhsa_wavefront_size32 1
		.amdhsa_uses_dynamic_stack 0
		.amdhsa_system_sgpr_private_segment_wavefront_offset 0
		.amdhsa_system_sgpr_workgroup_id_x 1
		.amdhsa_system_sgpr_workgroup_id_y 1
		.amdhsa_system_sgpr_workgroup_id_z 0
		.amdhsa_system_sgpr_workgroup_info 0
		.amdhsa_system_vgpr_workitem_id 1
		.amdhsa_next_free_vgpr 233
		.amdhsa_next_free_sgpr 11
		.amdhsa_reserve_vcc 1
		.amdhsa_reserve_flat_scratch 1
		.amdhsa_float_round_mode_32 0
		.amdhsa_float_round_mode_16_64 0
		.amdhsa_float_denorm_mode_32 3
		.amdhsa_float_denorm_mode_16_64 3
		.amdhsa_dx10_clamp 1
		.amdhsa_ieee_mode 1
		.amdhsa_fp16_overflow 0
		.amdhsa_workgroup_processor_mode 1
		.amdhsa_memory_ordered 1
		.amdhsa_forward_progress 1
		.amdhsa_shared_vgpr_count 0
		.amdhsa_exception_fp_ieee_invalid_op 0
		.amdhsa_exception_fp_denorm_src 0
		.amdhsa_exception_fp_ieee_div_zero 0
		.amdhsa_exception_fp_ieee_overflow 0
		.amdhsa_exception_fp_ieee_underflow 0
		.amdhsa_exception_fp_ieee_inexact 0
		.amdhsa_exception_int_div_zero 0
	.end_amdhsa_kernel
	.section	.text._ZN9rocsolver6v33100L23getf2_npvt_small_kernelILi37EdiiPKPdEEvT1_T3_lS5_lPT2_S5_S5_,"axG",@progbits,_ZN9rocsolver6v33100L23getf2_npvt_small_kernelILi37EdiiPKPdEEvT1_T3_lS5_lPT2_S5_S5_,comdat
.Lfunc_end73:
	.size	_ZN9rocsolver6v33100L23getf2_npvt_small_kernelILi37EdiiPKPdEEvT1_T3_lS5_lPT2_S5_S5_, .Lfunc_end73-_ZN9rocsolver6v33100L23getf2_npvt_small_kernelILi37EdiiPKPdEEvT1_T3_lS5_lPT2_S5_S5_
                                        ; -- End function
	.set _ZN9rocsolver6v33100L23getf2_npvt_small_kernelILi37EdiiPKPdEEvT1_T3_lS5_lPT2_S5_S5_.num_vgpr, 233
	.set _ZN9rocsolver6v33100L23getf2_npvt_small_kernelILi37EdiiPKPdEEvT1_T3_lS5_lPT2_S5_S5_.num_agpr, 0
	.set _ZN9rocsolver6v33100L23getf2_npvt_small_kernelILi37EdiiPKPdEEvT1_T3_lS5_lPT2_S5_S5_.numbered_sgpr, 11
	.set _ZN9rocsolver6v33100L23getf2_npvt_small_kernelILi37EdiiPKPdEEvT1_T3_lS5_lPT2_S5_S5_.num_named_barrier, 0
	.set _ZN9rocsolver6v33100L23getf2_npvt_small_kernelILi37EdiiPKPdEEvT1_T3_lS5_lPT2_S5_S5_.private_seg_size, 0
	.set _ZN9rocsolver6v33100L23getf2_npvt_small_kernelILi37EdiiPKPdEEvT1_T3_lS5_lPT2_S5_S5_.uses_vcc, 1
	.set _ZN9rocsolver6v33100L23getf2_npvt_small_kernelILi37EdiiPKPdEEvT1_T3_lS5_lPT2_S5_S5_.uses_flat_scratch, 1
	.set _ZN9rocsolver6v33100L23getf2_npvt_small_kernelILi37EdiiPKPdEEvT1_T3_lS5_lPT2_S5_S5_.has_dyn_sized_stack, 0
	.set _ZN9rocsolver6v33100L23getf2_npvt_small_kernelILi37EdiiPKPdEEvT1_T3_lS5_lPT2_S5_S5_.has_recursion, 0
	.set _ZN9rocsolver6v33100L23getf2_npvt_small_kernelILi37EdiiPKPdEEvT1_T3_lS5_lPT2_S5_S5_.has_indirect_call, 0
	.section	.AMDGPU.csdata,"",@progbits
; Kernel info:
; codeLenInByte = 25220
; TotalNumSgprs: 13
; NumVgprs: 233
; ScratchSize: 0
; MemoryBound: 0
; FloatMode: 240
; IeeeMode: 1
; LDSByteSize: 0 bytes/workgroup (compile time only)
; SGPRBlocks: 0
; VGPRBlocks: 29
; NumSGPRsForWavesPerEU: 13
; NumVGPRsForWavesPerEU: 233
; Occupancy: 4
; WaveLimiterHint : 1
; COMPUTE_PGM_RSRC2:SCRATCH_EN: 0
; COMPUTE_PGM_RSRC2:USER_SGPR: 6
; COMPUTE_PGM_RSRC2:TRAP_HANDLER: 0
; COMPUTE_PGM_RSRC2:TGID_X_EN: 1
; COMPUTE_PGM_RSRC2:TGID_Y_EN: 1
; COMPUTE_PGM_RSRC2:TGID_Z_EN: 0
; COMPUTE_PGM_RSRC2:TIDIG_COMP_CNT: 1
	.section	.text._ZN9rocsolver6v33100L18getf2_small_kernelILi38EdiiPKPdEEvT1_T3_lS5_lPS5_llPT2_S5_S5_S7_l,"axG",@progbits,_ZN9rocsolver6v33100L18getf2_small_kernelILi38EdiiPKPdEEvT1_T3_lS5_lPS5_llPT2_S5_S5_S7_l,comdat
	.globl	_ZN9rocsolver6v33100L18getf2_small_kernelILi38EdiiPKPdEEvT1_T3_lS5_lPS5_llPT2_S5_S5_S7_l ; -- Begin function _ZN9rocsolver6v33100L18getf2_small_kernelILi38EdiiPKPdEEvT1_T3_lS5_lPS5_llPT2_S5_S5_S7_l
	.p2align	8
	.type	_ZN9rocsolver6v33100L18getf2_small_kernelILi38EdiiPKPdEEvT1_T3_lS5_lPS5_llPT2_S5_S5_S7_l,@function
_ZN9rocsolver6v33100L18getf2_small_kernelILi38EdiiPKPdEEvT1_T3_lS5_lPS5_llPT2_S5_S5_S7_l: ; @_ZN9rocsolver6v33100L18getf2_small_kernelILi38EdiiPKPdEEvT1_T3_lS5_lPS5_llPT2_S5_S5_S7_l
; %bb.0:
	s_clause 0x1
	s_load_dword s0, s[4:5], 0x6c
	s_load_dwordx2 s[12:13], s[4:5], 0x48
	s_waitcnt lgkmcnt(0)
	s_lshr_b32 s0, s0, 16
	v_mad_u64_u32 v[2:3], null, s7, s0, v[1:2]
	s_mov_b32 s0, exec_lo
	v_cmpx_gt_i32_e64 s12, v2
	s_cbranch_execz .LBB74_643
; %bb.1:
	s_clause 0x1
	s_load_dwordx4 s[0:3], s[4:5], 0x8
	s_load_dwordx4 s[8:11], s[4:5], 0x50
	v_ashrrev_i32_e32 v3, 31, v2
	v_lshlrev_b64 v[4:5], 3, v[2:3]
	s_waitcnt lgkmcnt(0)
	v_add_co_u32 v4, vcc_lo, s0, v4
	v_add_co_ci_u32_e64 v5, null, s1, v5, vcc_lo
	s_cmp_eq_u64 s[8:9], 0
	s_cselect_b32 s6, -1, 0
	global_load_dwordx2 v[6:7], v[4:5], off
	v_mov_b32_e32 v4, 0
	v_mov_b32_e32 v5, 0
	s_and_b32 vcc_lo, exec_lo, s6
	s_cbranch_vccnz .LBB74_3
; %bb.2:
	v_mul_lo_u32 v8, s11, v2
	v_mul_lo_u32 v9, s10, v3
	v_mad_u64_u32 v[4:5], null, s10, v2, 0
	v_add3_u32 v5, v5, v9, v8
	v_lshlrev_b64 v[4:5], 2, v[4:5]
	v_add_co_u32 v4, vcc_lo, s8, v4
	v_add_co_ci_u32_e64 v5, null, s9, v5, vcc_lo
.LBB74_3:
	s_clause 0x1
	s_load_dword s8, s[4:5], 0x18
	s_load_dword s7, s[4:5], 0x0
	s_lshl_b64 s[0:1], s[2:3], 3
	v_lshlrev_b32_e32 v118, 3, v0
	s_waitcnt vmcnt(0)
	v_add_co_u32 v86, vcc_lo, v6, s0
	v_add_co_ci_u32_e64 v87, null, s1, v7, vcc_lo
	s_waitcnt lgkmcnt(0)
	v_add3_u32 v8, s8, s8, v0
	s_ashr_i32 s9, s8, 31
	s_max_i32 s0, s7, 38
	s_lshl_b64 s[10:11], s[8:9], 3
	v_mul_lo_u32 v1, s0, v1
	v_add_nc_u32_e32 v10, s8, v8
	v_ashrrev_i32_e32 v9, 31, v8
	s_cmp_lt_i32 s7, 2
	v_ashrrev_i32_e32 v11, 31, v10
	v_add_nc_u32_e32 v12, s8, v10
	v_lshlrev_b64 v[8:9], 3, v[8:9]
	v_lshlrev_b64 v[6:7], 3, v[10:11]
	v_add_nc_u32_e32 v10, s8, v12
	v_ashrrev_i32_e32 v13, 31, v12
	v_add_co_u32 v8, vcc_lo, v86, v8
	v_add_co_ci_u32_e64 v9, null, v87, v9, vcc_lo
	v_add_nc_u32_e32 v14, s8, v10
	v_ashrrev_i32_e32 v11, 31, v10
	v_lshlrev_b64 v[12:13], 3, v[12:13]
	v_add_co_u32 v6, vcc_lo, v86, v6
	v_add_nc_u32_e32 v16, s8, v14
	v_ashrrev_i32_e32 v15, 31, v14
	v_lshlrev_b64 v[10:11], 3, v[10:11]
	v_add_co_ci_u32_e64 v7, null, v87, v7, vcc_lo
	v_add_nc_u32_e32 v18, s8, v16
	v_ashrrev_i32_e32 v17, 31, v16
	v_lshlrev_b64 v[14:15], 3, v[14:15]
	v_add_co_u32 v12, vcc_lo, v86, v12
	v_add_nc_u32_e32 v20, s8, v18
	v_ashrrev_i32_e32 v19, 31, v18
	v_lshlrev_b64 v[16:17], 3, v[16:17]
	v_add_co_ci_u32_e64 v13, null, v87, v13, vcc_lo
	v_add_nc_u32_e32 v22, s8, v20
	v_ashrrev_i32_e32 v21, 31, v20
	v_add_co_u32 v10, vcc_lo, v86, v10
	v_lshlrev_b64 v[18:19], 3, v[18:19]
	v_add_nc_u32_e32 v24, s8, v22
	v_ashrrev_i32_e32 v23, 31, v22
	v_add_co_ci_u32_e64 v11, null, v87, v11, vcc_lo
	v_add_co_u32 v14, vcc_lo, v86, v14
	v_add_nc_u32_e32 v26, s8, v24
	v_ashrrev_i32_e32 v25, 31, v24
	v_lshlrev_b64 v[20:21], 3, v[20:21]
	v_add_co_ci_u32_e64 v15, null, v87, v15, vcc_lo
	v_add_nc_u32_e32 v28, s8, v26
	v_ashrrev_i32_e32 v27, 31, v26
	v_add_co_u32 v16, vcc_lo, v86, v16
	v_lshlrev_b64 v[22:23], 3, v[22:23]
	v_add_nc_u32_e32 v30, s8, v28
	v_ashrrev_i32_e32 v29, 31, v28
	v_add_co_ci_u32_e64 v17, null, v87, v17, vcc_lo
	v_add_co_u32 v18, vcc_lo, v86, v18
	v_add_nc_u32_e32 v32, s8, v30
	v_lshlrev_b64 v[24:25], 3, v[24:25]
	v_ashrrev_i32_e32 v31, 31, v30
	v_add_co_ci_u32_e64 v19, null, v87, v19, vcc_lo
	v_add_nc_u32_e32 v34, s8, v32
	v_add_co_u32 v20, vcc_lo, v86, v20
	v_lshlrev_b64 v[26:27], 3, v[26:27]
	v_ashrrev_i32_e32 v33, 31, v32
	v_add_nc_u32_e32 v36, s8, v34
	v_add_co_ci_u32_e64 v21, null, v87, v21, vcc_lo
	v_add_co_u32 v22, vcc_lo, v86, v22
	v_add_nc_u32_e32 v38, s8, v36
	v_lshlrev_b64 v[28:29], 3, v[28:29]
	v_ashrrev_i32_e32 v35, 31, v34
	v_add_co_ci_u32_e64 v23, null, v87, v23, vcc_lo
	v_add_nc_u32_e32 v40, s8, v38
	v_add_co_u32 v24, vcc_lo, v86, v24
	v_lshlrev_b64 v[30:31], 3, v[30:31]
	v_ashrrev_i32_e32 v37, 31, v36
	v_add_nc_u32_e32 v42, s8, v40
	v_add_co_ci_u32_e64 v25, null, v87, v25, vcc_lo
	v_add_co_u32 v26, vcc_lo, v86, v26
	v_lshlrev_b64 v[32:33], 3, v[32:33]
	v_ashrrev_i32_e32 v39, 31, v38
	v_add_co_ci_u32_e64 v27, null, v87, v27, vcc_lo
	v_add_co_u32 v28, vcc_lo, v86, v28
	v_lshlrev_b64 v[34:35], 3, v[34:35]
	v_ashrrev_i32_e32 v41, 31, v40
	v_add_nc_u32_e32 v44, s8, v42
	v_add_co_ci_u32_e64 v29, null, v87, v29, vcc_lo
	v_add_co_u32 v30, vcc_lo, v86, v30
	v_lshlrev_b64 v[36:37], 3, v[36:37]
	v_ashrrev_i32_e32 v43, 31, v42
	v_add_co_ci_u32_e64 v31, null, v87, v31, vcc_lo
	v_add_co_u32 v32, vcc_lo, v86, v32
	v_lshlrev_b64 v[38:39], 3, v[38:39]
	v_add_co_ci_u32_e64 v33, null, v87, v33, vcc_lo
	v_add_co_u32 v34, vcc_lo, v86, v34
	v_lshlrev_b64 v[40:41], 3, v[40:41]
	v_add_nc_u32_e32 v46, s8, v44
	v_add_co_ci_u32_e64 v35, null, v87, v35, vcc_lo
	v_add_co_u32 v36, vcc_lo, v86, v36
	v_lshlrev_b64 v[42:43], 3, v[42:43]
	v_ashrrev_i32_e32 v45, 31, v44
	v_add_co_ci_u32_e64 v37, null, v87, v37, vcc_lo
	v_add_co_u32 v38, vcc_lo, v86, v38
	v_ashrrev_i32_e32 v47, 31, v46
	v_add_nc_u32_e32 v48, s8, v46
	v_add_co_ci_u32_e64 v39, null, v87, v39, vcc_lo
	v_add_co_u32 v40, vcc_lo, v86, v40
	v_lshlrev_b64 v[44:45], 3, v[44:45]
	v_add_co_ci_u32_e64 v41, null, v87, v41, vcc_lo
	v_add_co_u32 v80, vcc_lo, v86, v42
	v_add_co_ci_u32_e64 v81, null, v87, v43, vcc_lo
	v_lshlrev_b64 v[42:43], 3, v[46:47]
	v_ashrrev_i32_e32 v49, 31, v48
	v_add_nc_u32_e32 v46, s8, v48
	v_add_co_u32 v82, vcc_lo, v86, v44
	v_add_co_ci_u32_e64 v83, null, v87, v45, vcc_lo
	v_lshlrev_b64 v[44:45], 3, v[48:49]
	v_ashrrev_i32_e32 v47, 31, v46
	v_add_nc_u32_e32 v48, s8, v46
	;; [unrolled: 5-line block ×12, first 2 shown]
	v_add_co_u32 v106, vcc_lo, v86, v42
	v_add_co_ci_u32_e64 v107, null, v87, v43, vcc_lo
	v_lshlrev_b64 v[42:43], 3, v[46:47]
	v_add_nc_u32_e32 v46, s8, v48
	v_ashrrev_i32_e32 v49, 31, v48
	v_add_co_u32 v108, vcc_lo, v86, v44
	v_add_co_ci_u32_e64 v109, null, v87, v45, vcc_lo
	v_ashrrev_i32_e32 v47, 31, v46
	v_lshlrev_b64 v[44:45], 3, v[48:49]
	v_add_co_u32 v110, vcc_lo, v86, v42
	v_add_co_ci_u32_e64 v111, null, v87, v43, vcc_lo
	v_lshlrev_b64 v[42:43], 3, v[46:47]
	v_add_nc_u32_e32 v46, s8, v46
	v_add_co_u32 v112, vcc_lo, v86, v44
	v_add_co_ci_u32_e64 v113, null, v87, v45, vcc_lo
	v_ashrrev_i32_e32 v47, 31, v46
	v_add_co_u32 v114, vcc_lo, v86, v42
	v_add_co_ci_u32_e64 v115, null, v87, v43, vcc_lo
	v_add_co_u32 v44, vcc_lo, v86, v118
	v_add_co_ci_u32_e64 v45, null, 0, v87, vcc_lo
	v_lshlrev_b64 v[42:43], 3, v[46:47]
	v_add_co_u32 v46, vcc_lo, v44, s10
	v_add_co_ci_u32_e64 v47, null, s11, v45, vcc_lo
	v_add_co_u32 v116, vcc_lo, v86, v42
	v_add_co_ci_u32_e64 v117, null, v87, v43, vcc_lo
	s_clause 0x25
	flat_load_dwordx2 v[78:79], v[44:45]
	flat_load_dwordx2 v[74:75], v[46:47]
	flat_load_dwordx2 v[76:77], v[8:9]
	flat_load_dwordx2 v[72:73], v[6:7]
	flat_load_dwordx2 v[70:71], v[12:13]
	flat_load_dwordx2 v[68:69], v[10:11]
	flat_load_dwordx2 v[66:67], v[14:15]
	flat_load_dwordx2 v[64:65], v[16:17]
	flat_load_dwordx2 v[62:63], v[18:19]
	flat_load_dwordx2 v[58:59], v[20:21]
	flat_load_dwordx2 v[60:61], v[22:23]
	flat_load_dwordx2 v[54:55], v[24:25]
	flat_load_dwordx2 v[56:57], v[26:27]
	flat_load_dwordx2 v[52:53], v[28:29]
	flat_load_dwordx2 v[50:51], v[30:31]
	flat_load_dwordx2 v[48:49], v[32:33]
	flat_load_dwordx2 v[46:47], v[34:35]
	flat_load_dwordx2 v[44:45], v[36:37]
	flat_load_dwordx2 v[42:43], v[38:39]
	flat_load_dwordx2 v[38:39], v[40:41]
	flat_load_dwordx2 v[40:41], v[80:81]
	flat_load_dwordx2 v[34:35], v[82:83]
	flat_load_dwordx2 v[36:37], v[84:85]
	flat_load_dwordx2 v[32:33], v[88:89]
	flat_load_dwordx2 v[30:31], v[90:91]
	flat_load_dwordx2 v[28:29], v[92:93]
	flat_load_dwordx2 v[26:27], v[94:95]
	flat_load_dwordx2 v[24:25], v[96:97]
	flat_load_dwordx2 v[22:23], v[98:99]
	flat_load_dwordx2 v[18:19], v[100:101]
	flat_load_dwordx2 v[20:21], v[102:103]
	flat_load_dwordx2 v[16:17], v[104:105]
	flat_load_dwordx2 v[14:15], v[106:107]
	flat_load_dwordx2 v[8:9], v[108:109]
	flat_load_dwordx2 v[12:13], v[110:111]
	flat_load_dwordx2 v[6:7], v[112:113]
	flat_load_dwordx2 v[10:11], v[114:115]
	flat_load_dwordx2 v[80:81], v[116:117]
	v_lshl_add_u32 v88, v1, 3, 0
	v_lshlrev_b32_e32 v89, 3, v1
	v_mov_b32_e32 v84, 0
	v_add_nc_u32_e32 v82, v88, v118
	s_waitcnt vmcnt(37) lgkmcnt(37)
	ds_write_b64 v82, v[78:79]
	s_waitcnt vmcnt(0) lgkmcnt(0)
	s_barrier
	buffer_gl0_inv
	ds_read_b64 v[82:83], v88
	s_cbranch_scc1 .LBB74_6
; %bb.4:
	v_add3_u32 v1, v89, 0, 8
	v_mov_b32_e32 v84, 0
	s_mov_b32 s0, 1
.LBB74_5:                               ; =>This Inner Loop Header: Depth=1
	ds_read_b64 v[90:91], v1
	v_add_nc_u32_e32 v1, 8, v1
	s_waitcnt lgkmcnt(0)
	v_cmp_lt_f64_e64 vcc_lo, |v[82:83]|, |v[90:91]|
	v_cndmask_b32_e32 v83, v83, v91, vcc_lo
	v_cndmask_b32_e32 v82, v82, v90, vcc_lo
	v_cndmask_b32_e64 v84, v84, s0, vcc_lo
	s_add_i32 s0, s0, 1
	s_cmp_eq_u32 s7, s0
	s_cbranch_scc0 .LBB74_5
.LBB74_6:
	s_mov_b32 s0, exec_lo
                                        ; implicit-def: $vgpr91
	v_cmpx_ne_u32_e64 v0, v84
	s_xor_b32 s0, exec_lo, s0
	s_cbranch_execz .LBB74_12
; %bb.7:
	s_mov_b32 s1, exec_lo
	v_cmpx_eq_u32_e32 0, v0
	s_cbranch_execz .LBB74_11
; %bb.8:
	v_cmp_ne_u32_e32 vcc_lo, 0, v84
	s_xor_b32 s2, s6, -1
	s_and_b32 s3, s2, vcc_lo
	s_and_saveexec_b32 s2, s3
	s_cbranch_execz .LBB74_10
; %bb.9:
	v_ashrrev_i32_e32 v85, 31, v84
	v_lshlrev_b64 v[0:1], 2, v[84:85]
	v_add_co_u32 v0, vcc_lo, v4, v0
	v_add_co_ci_u32_e64 v1, null, v5, v1, vcc_lo
	s_clause 0x1
	global_load_dword v85, v[0:1], off
	global_load_dword v90, v[4:5], off
	s_waitcnt vmcnt(1)
	global_store_dword v[4:5], v85, off
	s_waitcnt vmcnt(0)
	global_store_dword v[0:1], v90, off
.LBB74_10:
	s_or_b32 exec_lo, exec_lo, s2
	v_mov_b32_e32 v0, v84
.LBB74_11:
	s_or_b32 exec_lo, exec_lo, s1
	v_mov_b32_e32 v91, v0
                                        ; implicit-def: $vgpr0
.LBB74_12:
	s_or_saveexec_b32 s0, s0
	v_mov_b32_e32 v85, v91
	s_xor_b32 exec_lo, exec_lo, s0
	s_cbranch_execz .LBB74_14
; %bb.13:
	v_mov_b32_e32 v91, 0
	v_mov_b32_e32 v85, v0
	ds_write2_b64 v88, v[74:75], v[76:77] offset0:1 offset1:2
	ds_write2_b64 v88, v[72:73], v[70:71] offset0:3 offset1:4
	;; [unrolled: 1-line block ×18, first 2 shown]
	ds_write_b64 v88, v[80:81] offset:296
.LBB74_14:
	s_or_b32 exec_lo, exec_lo, s0
	s_waitcnt lgkmcnt(0)
	v_cmp_eq_f64_e64 s0, 0, v[82:83]
	s_mov_b32 s1, exec_lo
	s_waitcnt_vscnt null, 0x0
	s_barrier
	buffer_gl0_inv
	v_cmpx_lt_i32_e32 0, v91
	s_cbranch_execz .LBB74_16
; %bb.15:
	v_div_scale_f64 v[0:1], null, v[82:83], v[82:83], 1.0
	v_div_scale_f64 v[96:97], vcc_lo, 1.0, v[82:83], 1.0
	v_rcp_f64_e32 v[92:93], v[0:1]
	v_fma_f64 v[94:95], -v[0:1], v[92:93], 1.0
	v_fma_f64 v[92:93], v[92:93], v[94:95], v[92:93]
	v_fma_f64 v[94:95], -v[0:1], v[92:93], 1.0
	v_fma_f64 v[92:93], v[92:93], v[94:95], v[92:93]
	v_mul_f64 v[94:95], v[96:97], v[92:93]
	v_fma_f64 v[0:1], -v[0:1], v[94:95], v[96:97]
	v_div_fmas_f64 v[0:1], v[0:1], v[92:93], v[94:95]
	ds_read2_b64 v[92:95], v88 offset0:1 offset1:2
	ds_read2_b64 v[96:99], v88 offset0:3 offset1:4
	ds_read2_b64 v[100:103], v88 offset0:5 offset1:6
	ds_read2_b64 v[104:107], v88 offset0:7 offset1:8
	ds_read2_b64 v[108:111], v88 offset0:9 offset1:10
	ds_read2_b64 v[112:115], v88 offset0:11 offset1:12
	ds_read2_b64 v[116:119], v88 offset0:13 offset1:14
	ds_read2_b64 v[120:123], v88 offset0:15 offset1:16
	ds_read2_b64 v[124:127], v88 offset0:17 offset1:18
	ds_read2_b64 v[128:131], v88 offset0:19 offset1:20
	ds_read2_b64 v[132:135], v88 offset0:21 offset1:22
	ds_read2_b64 v[136:139], v88 offset0:23 offset1:24
	ds_read2_b64 v[140:143], v88 offset0:25 offset1:26
	ds_read2_b64 v[144:147], v88 offset0:27 offset1:28
	v_div_fixup_f64 v[0:1], v[0:1], v[82:83], 1.0
	v_cndmask_b32_e64 v1, v1, v83, s0
	v_cndmask_b32_e64 v0, v0, v82, s0
	v_mul_f64 v[78:79], v[0:1], v[78:79]
	s_waitcnt lgkmcnt(13)
	v_fma_f64 v[74:75], -v[78:79], v[92:93], v[74:75]
	v_fma_f64 v[76:77], -v[78:79], v[94:95], v[76:77]
	ds_read2_b64 v[92:95], v88 offset0:29 offset1:30
	ds_read2_b64 v[148:151], v88 offset0:31 offset1:32
	s_waitcnt lgkmcnt(14)
	v_fma_f64 v[72:73], -v[78:79], v[96:97], v[72:73]
	v_fma_f64 v[70:71], -v[78:79], v[98:99], v[70:71]
	s_waitcnt lgkmcnt(13)
	v_fma_f64 v[68:69], -v[78:79], v[100:101], v[68:69]
	v_fma_f64 v[66:67], -v[78:79], v[102:103], v[66:67]
	ds_read2_b64 v[96:99], v88 offset0:33 offset1:34
	ds_read2_b64 v[100:103], v88 offset0:35 offset1:36
	ds_read_b64 v[0:1], v88 offset:296
	s_waitcnt lgkmcnt(15)
	v_fma_f64 v[64:65], -v[78:79], v[104:105], v[64:65]
	v_fma_f64 v[62:63], -v[78:79], v[106:107], v[62:63]
	s_waitcnt lgkmcnt(14)
	v_fma_f64 v[58:59], -v[78:79], v[108:109], v[58:59]
	v_fma_f64 v[60:61], -v[78:79], v[110:111], v[60:61]
	s_waitcnt lgkmcnt(13)
	v_fma_f64 v[54:55], -v[78:79], v[112:113], v[54:55]
	v_fma_f64 v[56:57], -v[78:79], v[114:115], v[56:57]
	s_waitcnt lgkmcnt(12)
	v_fma_f64 v[52:53], -v[78:79], v[116:117], v[52:53]
	v_fma_f64 v[50:51], -v[78:79], v[118:119], v[50:51]
	s_waitcnt lgkmcnt(11)
	v_fma_f64 v[48:49], -v[78:79], v[120:121], v[48:49]
	v_fma_f64 v[46:47], -v[78:79], v[122:123], v[46:47]
	s_waitcnt lgkmcnt(10)
	v_fma_f64 v[44:45], -v[78:79], v[124:125], v[44:45]
	v_fma_f64 v[42:43], -v[78:79], v[126:127], v[42:43]
	s_waitcnt lgkmcnt(9)
	v_fma_f64 v[38:39], -v[78:79], v[128:129], v[38:39]
	v_fma_f64 v[40:41], -v[78:79], v[130:131], v[40:41]
	s_waitcnt lgkmcnt(8)
	v_fma_f64 v[34:35], -v[78:79], v[132:133], v[34:35]
	v_fma_f64 v[36:37], -v[78:79], v[134:135], v[36:37]
	s_waitcnt lgkmcnt(7)
	v_fma_f64 v[32:33], -v[78:79], v[136:137], v[32:33]
	v_fma_f64 v[30:31], -v[78:79], v[138:139], v[30:31]
	s_waitcnt lgkmcnt(6)
	v_fma_f64 v[28:29], -v[78:79], v[140:141], v[28:29]
	v_fma_f64 v[26:27], -v[78:79], v[142:143], v[26:27]
	s_waitcnt lgkmcnt(5)
	v_fma_f64 v[24:25], -v[78:79], v[144:145], v[24:25]
	v_fma_f64 v[22:23], -v[78:79], v[146:147], v[22:23]
	s_waitcnt lgkmcnt(4)
	v_fma_f64 v[18:19], -v[78:79], v[92:93], v[18:19]
	v_fma_f64 v[20:21], -v[78:79], v[94:95], v[20:21]
	s_waitcnt lgkmcnt(3)
	v_fma_f64 v[16:17], -v[78:79], v[148:149], v[16:17]
	v_fma_f64 v[14:15], -v[78:79], v[150:151], v[14:15]
	s_waitcnt lgkmcnt(2)
	v_fma_f64 v[8:9], -v[78:79], v[96:97], v[8:9]
	v_fma_f64 v[12:13], -v[78:79], v[98:99], v[12:13]
	s_waitcnt lgkmcnt(1)
	v_fma_f64 v[6:7], -v[78:79], v[100:101], v[6:7]
	v_fma_f64 v[10:11], -v[78:79], v[102:103], v[10:11]
	s_waitcnt lgkmcnt(0)
	v_fma_f64 v[80:81], -v[78:79], v[0:1], v[80:81]
.LBB74_16:
	s_or_b32 exec_lo, exec_lo, s1
	v_lshl_add_u32 v0, v91, 3, v88
	s_barrier
	buffer_gl0_inv
	v_mov_b32_e32 v82, 1
	ds_write_b64 v0, v[74:75]
	s_waitcnt lgkmcnt(0)
	s_barrier
	buffer_gl0_inv
	ds_read_b64 v[0:1], v88 offset:8
	s_cmp_lt_i32 s7, 3
	s_cbranch_scc1 .LBB74_19
; %bb.17:
	v_add3_u32 v83, v89, 0, 16
	v_mov_b32_e32 v82, 1
	s_mov_b32 s1, 2
.LBB74_18:                              ; =>This Inner Loop Header: Depth=1
	ds_read_b64 v[92:93], v83
	v_add_nc_u32_e32 v83, 8, v83
	s_waitcnt lgkmcnt(0)
	v_cmp_lt_f64_e64 vcc_lo, |v[0:1]|, |v[92:93]|
	v_cndmask_b32_e32 v1, v1, v93, vcc_lo
	v_cndmask_b32_e32 v0, v0, v92, vcc_lo
	v_cndmask_b32_e64 v82, v82, s1, vcc_lo
	s_add_i32 s1, s1, 1
	s_cmp_lg_u32 s7, s1
	s_cbranch_scc1 .LBB74_18
.LBB74_19:
	s_mov_b32 s1, exec_lo
	v_cmpx_ne_u32_e64 v91, v82
	s_xor_b32 s1, exec_lo, s1
	s_cbranch_execz .LBB74_25
; %bb.20:
	s_mov_b32 s2, exec_lo
	v_cmpx_eq_u32_e32 1, v91
	s_cbranch_execz .LBB74_24
; %bb.21:
	v_cmp_ne_u32_e32 vcc_lo, 1, v82
	s_xor_b32 s3, s6, -1
	s_and_b32 s9, s3, vcc_lo
	s_and_saveexec_b32 s3, s9
	s_cbranch_execz .LBB74_23
; %bb.22:
	v_ashrrev_i32_e32 v83, 31, v82
	v_lshlrev_b64 v[83:84], 2, v[82:83]
	v_add_co_u32 v83, vcc_lo, v4, v83
	v_add_co_ci_u32_e64 v84, null, v5, v84, vcc_lo
	s_clause 0x1
	global_load_dword v85, v[83:84], off
	global_load_dword v90, v[4:5], off offset:4
	s_waitcnt vmcnt(1)
	global_store_dword v[4:5], v85, off offset:4
	s_waitcnt vmcnt(0)
	global_store_dword v[83:84], v90, off
.LBB74_23:
	s_or_b32 exec_lo, exec_lo, s3
	v_mov_b32_e32 v85, v82
	v_mov_b32_e32 v91, v82
.LBB74_24:
	s_or_b32 exec_lo, exec_lo, s2
.LBB74_25:
	s_andn2_saveexec_b32 s1, s1
	s_cbranch_execz .LBB74_27
; %bb.26:
	v_mov_b32_e32 v82, v76
	v_mov_b32_e32 v83, v77
	v_mov_b32_e32 v90, v72
	v_mov_b32_e32 v91, v73
	v_mov_b32_e32 v92, v70
	v_mov_b32_e32 v93, v71
	v_mov_b32_e32 v94, v68
	v_mov_b32_e32 v95, v69
	v_mov_b32_e32 v96, v66
	v_mov_b32_e32 v97, v67
	v_mov_b32_e32 v98, v64
	v_mov_b32_e32 v99, v65
	v_mov_b32_e32 v100, v62
	v_mov_b32_e32 v101, v63
	v_mov_b32_e32 v102, v58
	v_mov_b32_e32 v103, v59
	ds_write2_b64 v88, v[82:83], v[90:91] offset0:2 offset1:3
	ds_write2_b64 v88, v[92:93], v[94:95] offset0:4 offset1:5
	ds_write2_b64 v88, v[96:97], v[98:99] offset0:6 offset1:7
	ds_write2_b64 v88, v[100:101], v[102:103] offset0:8 offset1:9
	v_mov_b32_e32 v82, v60
	v_mov_b32_e32 v83, v61
	;; [unrolled: 1-line block ×20, first 2 shown]
	ds_write2_b64 v88, v[82:83], v[90:91] offset0:10 offset1:11
	ds_write2_b64 v88, v[92:93], v[94:95] offset0:12 offset1:13
	;; [unrolled: 1-line block ×5, first 2 shown]
	v_mov_b32_e32 v82, v40
	v_mov_b32_e32 v83, v41
	;; [unrolled: 1-line block ×20, first 2 shown]
	ds_write2_b64 v88, v[82:83], v[90:91] offset0:20 offset1:21
	ds_write2_b64 v88, v[92:93], v[94:95] offset0:22 offset1:23
	;; [unrolled: 1-line block ×5, first 2 shown]
	v_mov_b32_e32 v82, v20
	v_mov_b32_e32 v83, v21
	;; [unrolled: 1-line block ×15, first 2 shown]
	ds_write2_b64 v88, v[82:83], v[92:93] offset0:30 offset1:31
	ds_write2_b64 v88, v[94:95], v[96:97] offset0:32 offset1:33
	ds_write2_b64 v88, v[98:99], v[100:101] offset0:34 offset1:35
	ds_write2_b64 v88, v[102:103], v[80:81] offset0:36 offset1:37
.LBB74_27:
	s_or_b32 exec_lo, exec_lo, s1
	s_waitcnt lgkmcnt(0)
	v_cmp_neq_f64_e64 s1, 0, v[0:1]
	s_mov_b32 s2, exec_lo
	s_waitcnt_vscnt null, 0x0
	s_barrier
	buffer_gl0_inv
	v_cmpx_lt_i32_e32 1, v91
	s_cbranch_execz .LBB74_29
; %bb.28:
	v_div_scale_f64 v[82:83], null, v[0:1], v[0:1], 1.0
	v_div_scale_f64 v[96:97], vcc_lo, 1.0, v[0:1], 1.0
	v_rcp_f64_e32 v[92:93], v[82:83]
	v_fma_f64 v[94:95], -v[82:83], v[92:93], 1.0
	v_fma_f64 v[92:93], v[92:93], v[94:95], v[92:93]
	v_fma_f64 v[94:95], -v[82:83], v[92:93], 1.0
	v_fma_f64 v[92:93], v[92:93], v[94:95], v[92:93]
	v_mul_f64 v[94:95], v[96:97], v[92:93]
	v_fma_f64 v[82:83], -v[82:83], v[94:95], v[96:97]
	v_div_fmas_f64 v[82:83], v[82:83], v[92:93], v[94:95]
	ds_read2_b64 v[92:95], v88 offset0:2 offset1:3
	ds_read2_b64 v[96:99], v88 offset0:4 offset1:5
	;; [unrolled: 1-line block ×18, first 2 shown]
	v_div_fixup_f64 v[82:83], v[82:83], v[0:1], 1.0
	v_cndmask_b32_e64 v1, v1, v83, s1
	v_cndmask_b32_e64 v0, v0, v82, s1
	v_mul_f64 v[74:75], v[0:1], v[74:75]
	s_waitcnt lgkmcnt(17)
	v_fma_f64 v[76:77], -v[74:75], v[92:93], v[76:77]
	v_fma_f64 v[72:73], -v[74:75], v[94:95], v[72:73]
	s_waitcnt lgkmcnt(16)
	v_fma_f64 v[70:71], -v[74:75], v[96:97], v[70:71]
	v_fma_f64 v[68:69], -v[74:75], v[98:99], v[68:69]
	;; [unrolled: 3-line block ×18, first 2 shown]
.LBB74_29:
	s_or_b32 exec_lo, exec_lo, s2
	v_lshl_add_u32 v0, v91, 3, v88
	s_barrier
	buffer_gl0_inv
	v_mov_b32_e32 v82, 2
	ds_write_b64 v0, v[76:77]
	s_waitcnt lgkmcnt(0)
	s_barrier
	buffer_gl0_inv
	ds_read_b64 v[0:1], v88 offset:16
	s_cmp_lt_i32 s7, 4
	s_mov_b32 s2, 3
	s_cbranch_scc1 .LBB74_32
; %bb.30:
	v_add3_u32 v83, v89, 0, 24
	v_mov_b32_e32 v82, 2
.LBB74_31:                              ; =>This Inner Loop Header: Depth=1
	ds_read_b64 v[92:93], v83
	v_add_nc_u32_e32 v83, 8, v83
	s_waitcnt lgkmcnt(0)
	v_cmp_lt_f64_e64 vcc_lo, |v[0:1]|, |v[92:93]|
	v_cndmask_b32_e32 v1, v1, v93, vcc_lo
	v_cndmask_b32_e32 v0, v0, v92, vcc_lo
	v_cndmask_b32_e64 v82, v82, s2, vcc_lo
	s_add_i32 s2, s2, 1
	s_cmp_lg_u32 s7, s2
	s_cbranch_scc1 .LBB74_31
.LBB74_32:
	v_cndmask_b32_e64 v83, 2, 1, s0
	v_cndmask_b32_e64 v84, 0, 1, s0
	s_mov_b32 s0, exec_lo
	v_cndmask_b32_e64 v90, v83, v84, s1
	s_waitcnt lgkmcnt(0)
	v_cmpx_eq_f64_e32 0, v[0:1]
	s_xor_b32 s0, exec_lo, s0
; %bb.33:
	v_cmp_ne_u32_e32 vcc_lo, 0, v90
	v_cndmask_b32_e32 v90, 3, v90, vcc_lo
; %bb.34:
	s_andn2_saveexec_b32 s0, s0
	s_cbranch_execz .LBB74_36
; %bb.35:
	v_div_scale_f64 v[83:84], null, v[0:1], v[0:1], 1.0
	v_rcp_f64_e32 v[92:93], v[83:84]
	v_fma_f64 v[94:95], -v[83:84], v[92:93], 1.0
	v_fma_f64 v[92:93], v[92:93], v[94:95], v[92:93]
	v_fma_f64 v[94:95], -v[83:84], v[92:93], 1.0
	v_fma_f64 v[92:93], v[92:93], v[94:95], v[92:93]
	v_div_scale_f64 v[94:95], vcc_lo, 1.0, v[0:1], 1.0
	v_mul_f64 v[96:97], v[94:95], v[92:93]
	v_fma_f64 v[83:84], -v[83:84], v[96:97], v[94:95]
	v_div_fmas_f64 v[83:84], v[83:84], v[92:93], v[96:97]
	v_div_fixup_f64 v[0:1], v[83:84], v[0:1], 1.0
.LBB74_36:
	s_or_b32 exec_lo, exec_lo, s0
	s_mov_b32 s0, exec_lo
	v_cmpx_ne_u32_e64 v91, v82
	s_xor_b32 s0, exec_lo, s0
	s_cbranch_execz .LBB74_42
; %bb.37:
	s_mov_b32 s1, exec_lo
	v_cmpx_eq_u32_e32 2, v91
	s_cbranch_execz .LBB74_41
; %bb.38:
	v_cmp_ne_u32_e32 vcc_lo, 2, v82
	s_xor_b32 s2, s6, -1
	s_and_b32 s3, s2, vcc_lo
	s_and_saveexec_b32 s2, s3
	s_cbranch_execz .LBB74_40
; %bb.39:
	v_ashrrev_i32_e32 v83, 31, v82
	v_lshlrev_b64 v[83:84], 2, v[82:83]
	v_add_co_u32 v83, vcc_lo, v4, v83
	v_add_co_ci_u32_e64 v84, null, v5, v84, vcc_lo
	s_clause 0x1
	global_load_dword v85, v[83:84], off
	global_load_dword v91, v[4:5], off offset:8
	s_waitcnt vmcnt(1)
	global_store_dword v[4:5], v85, off offset:8
	s_waitcnt vmcnt(0)
	global_store_dword v[83:84], v91, off
.LBB74_40:
	s_or_b32 exec_lo, exec_lo, s2
	v_mov_b32_e32 v85, v82
	v_mov_b32_e32 v91, v82
.LBB74_41:
	s_or_b32 exec_lo, exec_lo, s1
.LBB74_42:
	s_andn2_saveexec_b32 s0, s0
	s_cbranch_execz .LBB74_44
; %bb.43:
	v_mov_b32_e32 v91, 2
	ds_write2_b64 v88, v[72:73], v[70:71] offset0:3 offset1:4
	ds_write2_b64 v88, v[68:69], v[66:67] offset0:5 offset1:6
	ds_write2_b64 v88, v[64:65], v[62:63] offset0:7 offset1:8
	ds_write2_b64 v88, v[58:59], v[60:61] offset0:9 offset1:10
	ds_write2_b64 v88, v[54:55], v[56:57] offset0:11 offset1:12
	ds_write2_b64 v88, v[52:53], v[50:51] offset0:13 offset1:14
	ds_write2_b64 v88, v[48:49], v[46:47] offset0:15 offset1:16
	ds_write2_b64 v88, v[44:45], v[42:43] offset0:17 offset1:18
	ds_write2_b64 v88, v[38:39], v[40:41] offset0:19 offset1:20
	ds_write2_b64 v88, v[34:35], v[36:37] offset0:21 offset1:22
	ds_write2_b64 v88, v[32:33], v[30:31] offset0:23 offset1:24
	ds_write2_b64 v88, v[28:29], v[26:27] offset0:25 offset1:26
	ds_write2_b64 v88, v[24:25], v[22:23] offset0:27 offset1:28
	ds_write2_b64 v88, v[18:19], v[20:21] offset0:29 offset1:30
	ds_write2_b64 v88, v[16:17], v[14:15] offset0:31 offset1:32
	ds_write2_b64 v88, v[8:9], v[12:13] offset0:33 offset1:34
	ds_write2_b64 v88, v[6:7], v[10:11] offset0:35 offset1:36
	ds_write_b64 v88, v[80:81] offset:296
.LBB74_44:
	s_or_b32 exec_lo, exec_lo, s0
	s_mov_b32 s0, exec_lo
	s_waitcnt lgkmcnt(0)
	s_waitcnt_vscnt null, 0x0
	s_barrier
	buffer_gl0_inv
	v_cmpx_lt_i32_e32 2, v91
	s_cbranch_execz .LBB74_46
; %bb.45:
	v_mul_f64 v[76:77], v[0:1], v[76:77]
	ds_read2_b64 v[92:95], v88 offset0:3 offset1:4
	ds_read2_b64 v[96:99], v88 offset0:5 offset1:6
	ds_read2_b64 v[100:103], v88 offset0:7 offset1:8
	ds_read2_b64 v[104:107], v88 offset0:9 offset1:10
	ds_read2_b64 v[108:111], v88 offset0:11 offset1:12
	ds_read2_b64 v[112:115], v88 offset0:13 offset1:14
	ds_read2_b64 v[116:119], v88 offset0:15 offset1:16
	ds_read2_b64 v[120:123], v88 offset0:17 offset1:18
	ds_read2_b64 v[124:127], v88 offset0:19 offset1:20
	ds_read2_b64 v[128:131], v88 offset0:21 offset1:22
	ds_read2_b64 v[132:135], v88 offset0:23 offset1:24
	ds_read2_b64 v[136:139], v88 offset0:25 offset1:26
	ds_read_b64 v[0:1], v88 offset:296
	s_waitcnt lgkmcnt(12)
	v_fma_f64 v[72:73], -v[76:77], v[92:93], v[72:73]
	v_fma_f64 v[70:71], -v[76:77], v[94:95], v[70:71]
	s_waitcnt lgkmcnt(11)
	v_fma_f64 v[68:69], -v[76:77], v[96:97], v[68:69]
	v_fma_f64 v[66:67], -v[76:77], v[98:99], v[66:67]
	s_waitcnt lgkmcnt(10)
	v_fma_f64 v[64:65], -v[76:77], v[100:101], v[64:65]
	v_fma_f64 v[62:63], -v[76:77], v[102:103], v[62:63]
	s_waitcnt lgkmcnt(9)
	v_fma_f64 v[58:59], -v[76:77], v[104:105], v[58:59]
	v_fma_f64 v[60:61], -v[76:77], v[106:107], v[60:61]
	s_waitcnt lgkmcnt(8)
	v_fma_f64 v[54:55], -v[76:77], v[108:109], v[54:55]
	v_fma_f64 v[56:57], -v[76:77], v[110:111], v[56:57]
	ds_read2_b64 v[92:95], v88 offset0:27 offset1:28
	ds_read2_b64 v[96:99], v88 offset0:29 offset1:30
	;; [unrolled: 1-line block ×5, first 2 shown]
	s_waitcnt lgkmcnt(12)
	v_fma_f64 v[52:53], -v[76:77], v[112:113], v[52:53]
	v_fma_f64 v[50:51], -v[76:77], v[114:115], v[50:51]
	s_waitcnt lgkmcnt(11)
	v_fma_f64 v[48:49], -v[76:77], v[116:117], v[48:49]
	v_fma_f64 v[46:47], -v[76:77], v[118:119], v[46:47]
	;; [unrolled: 3-line block ×7, first 2 shown]
	s_waitcnt lgkmcnt(5)
	v_fma_f64 v[80:81], -v[76:77], v[0:1], v[80:81]
	s_waitcnt lgkmcnt(4)
	v_fma_f64 v[24:25], -v[76:77], v[92:93], v[24:25]
	v_fma_f64 v[22:23], -v[76:77], v[94:95], v[22:23]
	s_waitcnt lgkmcnt(3)
	v_fma_f64 v[18:19], -v[76:77], v[96:97], v[18:19]
	;; [unrolled: 3-line block ×5, first 2 shown]
	v_fma_f64 v[10:11], -v[76:77], v[110:111], v[10:11]
.LBB74_46:
	s_or_b32 exec_lo, exec_lo, s0
	v_lshl_add_u32 v0, v91, 3, v88
	s_barrier
	buffer_gl0_inv
	v_mov_b32_e32 v82, 3
	ds_write_b64 v0, v[72:73]
	s_waitcnt lgkmcnt(0)
	s_barrier
	buffer_gl0_inv
	ds_read_b64 v[0:1], v88 offset:24
	s_cmp_lt_i32 s7, 5
	s_cbranch_scc1 .LBB74_49
; %bb.47:
	v_mov_b32_e32 v82, 3
	v_add3_u32 v83, v89, 0, 32
	s_mov_b32 s0, 4
.LBB74_48:                              ; =>This Inner Loop Header: Depth=1
	ds_read_b64 v[92:93], v83
	v_add_nc_u32_e32 v83, 8, v83
	s_waitcnt lgkmcnt(0)
	v_cmp_lt_f64_e64 vcc_lo, |v[0:1]|, |v[92:93]|
	v_cndmask_b32_e32 v1, v1, v93, vcc_lo
	v_cndmask_b32_e32 v0, v0, v92, vcc_lo
	v_cndmask_b32_e64 v82, v82, s0, vcc_lo
	s_add_i32 s0, s0, 1
	s_cmp_lg_u32 s7, s0
	s_cbranch_scc1 .LBB74_48
.LBB74_49:
	s_mov_b32 s0, exec_lo
	s_waitcnt lgkmcnt(0)
	v_cmpx_eq_f64_e32 0, v[0:1]
	s_xor_b32 s0, exec_lo, s0
; %bb.50:
	v_cmp_ne_u32_e32 vcc_lo, 0, v90
	v_cndmask_b32_e32 v90, 4, v90, vcc_lo
; %bb.51:
	s_andn2_saveexec_b32 s0, s0
	s_cbranch_execz .LBB74_53
; %bb.52:
	v_div_scale_f64 v[83:84], null, v[0:1], v[0:1], 1.0
	v_rcp_f64_e32 v[92:93], v[83:84]
	v_fma_f64 v[94:95], -v[83:84], v[92:93], 1.0
	v_fma_f64 v[92:93], v[92:93], v[94:95], v[92:93]
	v_fma_f64 v[94:95], -v[83:84], v[92:93], 1.0
	v_fma_f64 v[92:93], v[92:93], v[94:95], v[92:93]
	v_div_scale_f64 v[94:95], vcc_lo, 1.0, v[0:1], 1.0
	v_mul_f64 v[96:97], v[94:95], v[92:93]
	v_fma_f64 v[83:84], -v[83:84], v[96:97], v[94:95]
	v_div_fmas_f64 v[83:84], v[83:84], v[92:93], v[96:97]
	v_div_fixup_f64 v[0:1], v[83:84], v[0:1], 1.0
.LBB74_53:
	s_or_b32 exec_lo, exec_lo, s0
	s_mov_b32 s0, exec_lo
	v_cmpx_ne_u32_e64 v91, v82
	s_xor_b32 s0, exec_lo, s0
	s_cbranch_execz .LBB74_59
; %bb.54:
	s_mov_b32 s1, exec_lo
	v_cmpx_eq_u32_e32 3, v91
	s_cbranch_execz .LBB74_58
; %bb.55:
	v_cmp_ne_u32_e32 vcc_lo, 3, v82
	s_xor_b32 s2, s6, -1
	s_and_b32 s3, s2, vcc_lo
	s_and_saveexec_b32 s2, s3
	s_cbranch_execz .LBB74_57
; %bb.56:
	v_ashrrev_i32_e32 v83, 31, v82
	v_lshlrev_b64 v[83:84], 2, v[82:83]
	v_add_co_u32 v83, vcc_lo, v4, v83
	v_add_co_ci_u32_e64 v84, null, v5, v84, vcc_lo
	s_clause 0x1
	global_load_dword v85, v[83:84], off
	global_load_dword v91, v[4:5], off offset:12
	s_waitcnt vmcnt(1)
	global_store_dword v[4:5], v85, off offset:12
	s_waitcnt vmcnt(0)
	global_store_dword v[83:84], v91, off
.LBB74_57:
	s_or_b32 exec_lo, exec_lo, s2
	v_mov_b32_e32 v85, v82
	v_mov_b32_e32 v91, v82
.LBB74_58:
	s_or_b32 exec_lo, exec_lo, s1
.LBB74_59:
	s_andn2_saveexec_b32 s0, s0
	s_cbranch_execz .LBB74_61
; %bb.60:
	v_mov_b32_e32 v82, v70
	v_mov_b32_e32 v83, v71
	;; [unrolled: 1-line block ×12, first 2 shown]
	ds_write2_b64 v88, v[82:83], v[91:92] offset0:4 offset1:5
	ds_write2_b64 v88, v[93:94], v[95:96] offset0:6 offset1:7
	;; [unrolled: 1-line block ×3, first 2 shown]
	v_mov_b32_e32 v82, v60
	v_mov_b32_e32 v83, v61
	v_mov_b32_e32 v91, v54
	v_mov_b32_e32 v92, v55
	v_mov_b32_e32 v93, v56
	v_mov_b32_e32 v94, v57
	v_mov_b32_e32 v95, v52
	v_mov_b32_e32 v96, v53
	v_mov_b32_e32 v97, v50
	v_mov_b32_e32 v98, v51
	v_mov_b32_e32 v99, v48
	v_mov_b32_e32 v100, v49
	v_mov_b32_e32 v101, v46
	v_mov_b32_e32 v102, v47
	v_mov_b32_e32 v103, v44
	v_mov_b32_e32 v104, v45
	v_mov_b32_e32 v105, v42
	v_mov_b32_e32 v106, v43
	v_mov_b32_e32 v107, v38
	v_mov_b32_e32 v108, v39
	ds_write2_b64 v88, v[82:83], v[91:92] offset0:10 offset1:11
	ds_write2_b64 v88, v[93:94], v[95:96] offset0:12 offset1:13
	;; [unrolled: 1-line block ×5, first 2 shown]
	v_mov_b32_e32 v82, v40
	v_mov_b32_e32 v83, v41
	;; [unrolled: 1-line block ×20, first 2 shown]
	ds_write2_b64 v88, v[82:83], v[91:92] offset0:20 offset1:21
	ds_write2_b64 v88, v[93:94], v[95:96] offset0:22 offset1:23
	;; [unrolled: 1-line block ×5, first 2 shown]
	v_mov_b32_e32 v82, v20
	v_mov_b32_e32 v83, v21
	v_mov_b32_e32 v92, v16
	v_mov_b32_e32 v93, v17
	v_mov_b32_e32 v91, 3
	v_mov_b32_e32 v94, v14
	v_mov_b32_e32 v95, v15
	v_mov_b32_e32 v96, v8
	v_mov_b32_e32 v97, v9
	v_mov_b32_e32 v98, v12
	v_mov_b32_e32 v99, v13
	v_mov_b32_e32 v100, v6
	v_mov_b32_e32 v101, v7
	v_mov_b32_e32 v102, v10
	v_mov_b32_e32 v103, v11
	ds_write2_b64 v88, v[82:83], v[92:93] offset0:30 offset1:31
	ds_write2_b64 v88, v[94:95], v[96:97] offset0:32 offset1:33
	;; [unrolled: 1-line block ×4, first 2 shown]
.LBB74_61:
	s_or_b32 exec_lo, exec_lo, s0
	s_mov_b32 s0, exec_lo
	s_waitcnt lgkmcnt(0)
	s_waitcnt_vscnt null, 0x0
	s_barrier
	buffer_gl0_inv
	v_cmpx_lt_i32_e32 3, v91
	s_cbranch_execz .LBB74_63
; %bb.62:
	v_mul_f64 v[72:73], v[0:1], v[72:73]
	ds_read2_b64 v[92:95], v88 offset0:4 offset1:5
	ds_read2_b64 v[96:99], v88 offset0:6 offset1:7
	;; [unrolled: 1-line block ×13, first 2 shown]
	s_waitcnt lgkmcnt(12)
	v_fma_f64 v[70:71], -v[72:73], v[92:93], v[70:71]
	v_fma_f64 v[68:69], -v[72:73], v[94:95], v[68:69]
	s_waitcnt lgkmcnt(11)
	v_fma_f64 v[66:67], -v[72:73], v[96:97], v[66:67]
	v_fma_f64 v[64:65], -v[72:73], v[98:99], v[64:65]
	;; [unrolled: 3-line block ×4, first 2 shown]
	ds_read2_b64 v[92:95], v88 offset0:30 offset1:31
	ds_read2_b64 v[96:99], v88 offset0:32 offset1:33
	;; [unrolled: 1-line block ×4, first 2 shown]
	s_waitcnt lgkmcnt(12)
	v_fma_f64 v[56:57], -v[72:73], v[108:109], v[56:57]
	v_fma_f64 v[52:53], -v[72:73], v[110:111], v[52:53]
	s_waitcnt lgkmcnt(11)
	v_fma_f64 v[50:51], -v[72:73], v[112:113], v[50:51]
	v_fma_f64 v[48:49], -v[72:73], v[114:115], v[48:49]
	;; [unrolled: 3-line block ×13, first 2 shown]
.LBB74_63:
	s_or_b32 exec_lo, exec_lo, s0
	v_lshl_add_u32 v0, v91, 3, v88
	s_barrier
	buffer_gl0_inv
	v_mov_b32_e32 v82, 4
	ds_write_b64 v0, v[70:71]
	s_waitcnt lgkmcnt(0)
	s_barrier
	buffer_gl0_inv
	ds_read_b64 v[0:1], v88 offset:32
	s_cmp_lt_i32 s7, 6
	s_cbranch_scc1 .LBB74_66
; %bb.64:
	v_add3_u32 v83, v89, 0, 40
	v_mov_b32_e32 v82, 4
	s_mov_b32 s0, 5
.LBB74_65:                              ; =>This Inner Loop Header: Depth=1
	ds_read_b64 v[92:93], v83
	v_add_nc_u32_e32 v83, 8, v83
	s_waitcnt lgkmcnt(0)
	v_cmp_lt_f64_e64 vcc_lo, |v[0:1]|, |v[92:93]|
	v_cndmask_b32_e32 v1, v1, v93, vcc_lo
	v_cndmask_b32_e32 v0, v0, v92, vcc_lo
	v_cndmask_b32_e64 v82, v82, s0, vcc_lo
	s_add_i32 s0, s0, 1
	s_cmp_lg_u32 s7, s0
	s_cbranch_scc1 .LBB74_65
.LBB74_66:
	s_mov_b32 s0, exec_lo
	s_waitcnt lgkmcnt(0)
	v_cmpx_eq_f64_e32 0, v[0:1]
	s_xor_b32 s0, exec_lo, s0
; %bb.67:
	v_cmp_ne_u32_e32 vcc_lo, 0, v90
	v_cndmask_b32_e32 v90, 5, v90, vcc_lo
; %bb.68:
	s_andn2_saveexec_b32 s0, s0
	s_cbranch_execz .LBB74_70
; %bb.69:
	v_div_scale_f64 v[83:84], null, v[0:1], v[0:1], 1.0
	v_rcp_f64_e32 v[92:93], v[83:84]
	v_fma_f64 v[94:95], -v[83:84], v[92:93], 1.0
	v_fma_f64 v[92:93], v[92:93], v[94:95], v[92:93]
	v_fma_f64 v[94:95], -v[83:84], v[92:93], 1.0
	v_fma_f64 v[92:93], v[92:93], v[94:95], v[92:93]
	v_div_scale_f64 v[94:95], vcc_lo, 1.0, v[0:1], 1.0
	v_mul_f64 v[96:97], v[94:95], v[92:93]
	v_fma_f64 v[83:84], -v[83:84], v[96:97], v[94:95]
	v_div_fmas_f64 v[83:84], v[83:84], v[92:93], v[96:97]
	v_div_fixup_f64 v[0:1], v[83:84], v[0:1], 1.0
.LBB74_70:
	s_or_b32 exec_lo, exec_lo, s0
	s_mov_b32 s0, exec_lo
	v_cmpx_ne_u32_e64 v91, v82
	s_xor_b32 s0, exec_lo, s0
	s_cbranch_execz .LBB74_76
; %bb.71:
	s_mov_b32 s1, exec_lo
	v_cmpx_eq_u32_e32 4, v91
	s_cbranch_execz .LBB74_75
; %bb.72:
	v_cmp_ne_u32_e32 vcc_lo, 4, v82
	s_xor_b32 s2, s6, -1
	s_and_b32 s3, s2, vcc_lo
	s_and_saveexec_b32 s2, s3
	s_cbranch_execz .LBB74_74
; %bb.73:
	v_ashrrev_i32_e32 v83, 31, v82
	v_lshlrev_b64 v[83:84], 2, v[82:83]
	v_add_co_u32 v83, vcc_lo, v4, v83
	v_add_co_ci_u32_e64 v84, null, v5, v84, vcc_lo
	s_clause 0x1
	global_load_dword v85, v[83:84], off
	global_load_dword v91, v[4:5], off offset:16
	s_waitcnt vmcnt(1)
	global_store_dword v[4:5], v85, off offset:16
	s_waitcnt vmcnt(0)
	global_store_dword v[83:84], v91, off
.LBB74_74:
	s_or_b32 exec_lo, exec_lo, s2
	v_mov_b32_e32 v85, v82
	v_mov_b32_e32 v91, v82
.LBB74_75:
	s_or_b32 exec_lo, exec_lo, s1
.LBB74_76:
	s_andn2_saveexec_b32 s0, s0
	s_cbranch_execz .LBB74_78
; %bb.77:
	v_mov_b32_e32 v91, 4
	ds_write2_b64 v88, v[68:69], v[66:67] offset0:5 offset1:6
	ds_write2_b64 v88, v[64:65], v[62:63] offset0:7 offset1:8
	;; [unrolled: 1-line block ×16, first 2 shown]
	ds_write_b64 v88, v[80:81] offset:296
.LBB74_78:
	s_or_b32 exec_lo, exec_lo, s0
	s_mov_b32 s0, exec_lo
	s_waitcnt lgkmcnt(0)
	s_waitcnt_vscnt null, 0x0
	s_barrier
	buffer_gl0_inv
	v_cmpx_lt_i32_e32 4, v91
	s_cbranch_execz .LBB74_80
; %bb.79:
	v_mul_f64 v[70:71], v[0:1], v[70:71]
	ds_read2_b64 v[92:95], v88 offset0:5 offset1:6
	ds_read2_b64 v[96:99], v88 offset0:7 offset1:8
	;; [unrolled: 1-line block ×13, first 2 shown]
	ds_read_b64 v[0:1], v88 offset:296
	s_waitcnt lgkmcnt(13)
	v_fma_f64 v[68:69], -v[70:71], v[92:93], v[68:69]
	v_fma_f64 v[66:67], -v[70:71], v[94:95], v[66:67]
	s_waitcnt lgkmcnt(12)
	v_fma_f64 v[64:65], -v[70:71], v[96:97], v[64:65]
	v_fma_f64 v[62:63], -v[70:71], v[98:99], v[62:63]
	;; [unrolled: 3-line block ×3, first 2 shown]
	ds_read2_b64 v[92:95], v88 offset0:31 offset1:32
	ds_read2_b64 v[96:99], v88 offset0:33 offset1:34
	;; [unrolled: 1-line block ×3, first 2 shown]
	s_waitcnt lgkmcnt(13)
	v_fma_f64 v[54:55], -v[70:71], v[104:105], v[54:55]
	v_fma_f64 v[56:57], -v[70:71], v[106:107], v[56:57]
	s_waitcnt lgkmcnt(12)
	v_fma_f64 v[52:53], -v[70:71], v[108:109], v[52:53]
	v_fma_f64 v[50:51], -v[70:71], v[110:111], v[50:51]
	;; [unrolled: 3-line block ×13, first 2 shown]
	v_fma_f64 v[80:81], -v[70:71], v[0:1], v[80:81]
.LBB74_80:
	s_or_b32 exec_lo, exec_lo, s0
	v_lshl_add_u32 v0, v91, 3, v88
	s_barrier
	buffer_gl0_inv
	v_mov_b32_e32 v82, 5
	ds_write_b64 v0, v[68:69]
	s_waitcnt lgkmcnt(0)
	s_barrier
	buffer_gl0_inv
	ds_read_b64 v[0:1], v88 offset:40
	s_cmp_lt_i32 s7, 7
	s_cbranch_scc1 .LBB74_83
; %bb.81:
	v_add3_u32 v83, v89, 0, 48
	v_mov_b32_e32 v82, 5
	s_mov_b32 s0, 6
.LBB74_82:                              ; =>This Inner Loop Header: Depth=1
	ds_read_b64 v[92:93], v83
	v_add_nc_u32_e32 v83, 8, v83
	s_waitcnt lgkmcnt(0)
	v_cmp_lt_f64_e64 vcc_lo, |v[0:1]|, |v[92:93]|
	v_cndmask_b32_e32 v1, v1, v93, vcc_lo
	v_cndmask_b32_e32 v0, v0, v92, vcc_lo
	v_cndmask_b32_e64 v82, v82, s0, vcc_lo
	s_add_i32 s0, s0, 1
	s_cmp_lg_u32 s7, s0
	s_cbranch_scc1 .LBB74_82
.LBB74_83:
	s_mov_b32 s0, exec_lo
	s_waitcnt lgkmcnt(0)
	v_cmpx_eq_f64_e32 0, v[0:1]
	s_xor_b32 s0, exec_lo, s0
; %bb.84:
	v_cmp_ne_u32_e32 vcc_lo, 0, v90
	v_cndmask_b32_e32 v90, 6, v90, vcc_lo
; %bb.85:
	s_andn2_saveexec_b32 s0, s0
	s_cbranch_execz .LBB74_87
; %bb.86:
	v_div_scale_f64 v[83:84], null, v[0:1], v[0:1], 1.0
	v_rcp_f64_e32 v[92:93], v[83:84]
	v_fma_f64 v[94:95], -v[83:84], v[92:93], 1.0
	v_fma_f64 v[92:93], v[92:93], v[94:95], v[92:93]
	v_fma_f64 v[94:95], -v[83:84], v[92:93], 1.0
	v_fma_f64 v[92:93], v[92:93], v[94:95], v[92:93]
	v_div_scale_f64 v[94:95], vcc_lo, 1.0, v[0:1], 1.0
	v_mul_f64 v[96:97], v[94:95], v[92:93]
	v_fma_f64 v[83:84], -v[83:84], v[96:97], v[94:95]
	v_div_fmas_f64 v[83:84], v[83:84], v[92:93], v[96:97]
	v_div_fixup_f64 v[0:1], v[83:84], v[0:1], 1.0
.LBB74_87:
	s_or_b32 exec_lo, exec_lo, s0
	s_mov_b32 s0, exec_lo
	v_cmpx_ne_u32_e64 v91, v82
	s_xor_b32 s0, exec_lo, s0
	s_cbranch_execz .LBB74_93
; %bb.88:
	s_mov_b32 s1, exec_lo
	v_cmpx_eq_u32_e32 5, v91
	s_cbranch_execz .LBB74_92
; %bb.89:
	v_cmp_ne_u32_e32 vcc_lo, 5, v82
	s_xor_b32 s2, s6, -1
	s_and_b32 s3, s2, vcc_lo
	s_and_saveexec_b32 s2, s3
	s_cbranch_execz .LBB74_91
; %bb.90:
	v_ashrrev_i32_e32 v83, 31, v82
	v_lshlrev_b64 v[83:84], 2, v[82:83]
	v_add_co_u32 v83, vcc_lo, v4, v83
	v_add_co_ci_u32_e64 v84, null, v5, v84, vcc_lo
	s_clause 0x1
	global_load_dword v85, v[83:84], off
	global_load_dword v91, v[4:5], off offset:20
	s_waitcnt vmcnt(1)
	global_store_dword v[4:5], v85, off offset:20
	s_waitcnt vmcnt(0)
	global_store_dword v[83:84], v91, off
.LBB74_91:
	s_or_b32 exec_lo, exec_lo, s2
	v_mov_b32_e32 v85, v82
	v_mov_b32_e32 v91, v82
.LBB74_92:
	s_or_b32 exec_lo, exec_lo, s1
.LBB74_93:
	s_andn2_saveexec_b32 s0, s0
	s_cbranch_execz .LBB74_95
; %bb.94:
	v_mov_b32_e32 v82, v66
	v_mov_b32_e32 v83, v67
	;; [unrolled: 1-line block ×8, first 2 shown]
	ds_write2_b64 v88, v[82:83], v[91:92] offset0:6 offset1:7
	ds_write2_b64 v88, v[93:94], v[95:96] offset0:8 offset1:9
	v_mov_b32_e32 v82, v60
	v_mov_b32_e32 v83, v61
	;; [unrolled: 1-line block ×20, first 2 shown]
	ds_write2_b64 v88, v[82:83], v[91:92] offset0:10 offset1:11
	ds_write2_b64 v88, v[93:94], v[95:96] offset0:12 offset1:13
	ds_write2_b64 v88, v[97:98], v[99:100] offset0:14 offset1:15
	ds_write2_b64 v88, v[101:102], v[103:104] offset0:16 offset1:17
	ds_write2_b64 v88, v[105:106], v[107:108] offset0:18 offset1:19
	v_mov_b32_e32 v82, v40
	v_mov_b32_e32 v83, v41
	;; [unrolled: 1-line block ×20, first 2 shown]
	ds_write2_b64 v88, v[82:83], v[91:92] offset0:20 offset1:21
	ds_write2_b64 v88, v[93:94], v[95:96] offset0:22 offset1:23
	;; [unrolled: 1-line block ×5, first 2 shown]
	v_mov_b32_e32 v82, v20
	v_mov_b32_e32 v83, v21
	;; [unrolled: 1-line block ×15, first 2 shown]
	ds_write2_b64 v88, v[82:83], v[92:93] offset0:30 offset1:31
	ds_write2_b64 v88, v[94:95], v[96:97] offset0:32 offset1:33
	ds_write2_b64 v88, v[98:99], v[100:101] offset0:34 offset1:35
	ds_write2_b64 v88, v[102:103], v[80:81] offset0:36 offset1:37
.LBB74_95:
	s_or_b32 exec_lo, exec_lo, s0
	s_mov_b32 s0, exec_lo
	s_waitcnt lgkmcnt(0)
	s_waitcnt_vscnt null, 0x0
	s_barrier
	buffer_gl0_inv
	v_cmpx_lt_i32_e32 5, v91
	s_cbranch_execz .LBB74_97
; %bb.96:
	v_mul_f64 v[68:69], v[0:1], v[68:69]
	ds_read2_b64 v[92:95], v88 offset0:6 offset1:7
	ds_read2_b64 v[96:99], v88 offset0:8 offset1:9
	;; [unrolled: 1-line block ×13, first 2 shown]
	s_waitcnt lgkmcnt(12)
	v_fma_f64 v[66:67], -v[68:69], v[92:93], v[66:67]
	v_fma_f64 v[64:65], -v[68:69], v[94:95], v[64:65]
	s_waitcnt lgkmcnt(11)
	v_fma_f64 v[62:63], -v[68:69], v[96:97], v[62:63]
	v_fma_f64 v[58:59], -v[68:69], v[98:99], v[58:59]
	;; [unrolled: 3-line block ×3, first 2 shown]
	ds_read2_b64 v[92:95], v88 offset0:32 offset1:33
	ds_read2_b64 v[96:99], v88 offset0:34 offset1:35
	;; [unrolled: 1-line block ×3, first 2 shown]
	s_waitcnt lgkmcnt(12)
	v_fma_f64 v[56:57], -v[68:69], v[104:105], v[56:57]
	v_fma_f64 v[52:53], -v[68:69], v[106:107], v[52:53]
	s_waitcnt lgkmcnt(11)
	v_fma_f64 v[50:51], -v[68:69], v[108:109], v[50:51]
	v_fma_f64 v[48:49], -v[68:69], v[110:111], v[48:49]
	;; [unrolled: 3-line block ×13, first 2 shown]
.LBB74_97:
	s_or_b32 exec_lo, exec_lo, s0
	v_lshl_add_u32 v0, v91, 3, v88
	s_barrier
	buffer_gl0_inv
	v_mov_b32_e32 v82, 6
	ds_write_b64 v0, v[66:67]
	s_waitcnt lgkmcnt(0)
	s_barrier
	buffer_gl0_inv
	ds_read_b64 v[0:1], v88 offset:48
	s_cmp_lt_i32 s7, 8
	s_cbranch_scc1 .LBB74_100
; %bb.98:
	v_add3_u32 v83, v89, 0, 56
	v_mov_b32_e32 v82, 6
	s_mov_b32 s0, 7
.LBB74_99:                              ; =>This Inner Loop Header: Depth=1
	ds_read_b64 v[92:93], v83
	v_add_nc_u32_e32 v83, 8, v83
	s_waitcnt lgkmcnt(0)
	v_cmp_lt_f64_e64 vcc_lo, |v[0:1]|, |v[92:93]|
	v_cndmask_b32_e32 v1, v1, v93, vcc_lo
	v_cndmask_b32_e32 v0, v0, v92, vcc_lo
	v_cndmask_b32_e64 v82, v82, s0, vcc_lo
	s_add_i32 s0, s0, 1
	s_cmp_lg_u32 s7, s0
	s_cbranch_scc1 .LBB74_99
.LBB74_100:
	s_mov_b32 s0, exec_lo
	s_waitcnt lgkmcnt(0)
	v_cmpx_eq_f64_e32 0, v[0:1]
	s_xor_b32 s0, exec_lo, s0
; %bb.101:
	v_cmp_ne_u32_e32 vcc_lo, 0, v90
	v_cndmask_b32_e32 v90, 7, v90, vcc_lo
; %bb.102:
	s_andn2_saveexec_b32 s0, s0
	s_cbranch_execz .LBB74_104
; %bb.103:
	v_div_scale_f64 v[83:84], null, v[0:1], v[0:1], 1.0
	v_rcp_f64_e32 v[92:93], v[83:84]
	v_fma_f64 v[94:95], -v[83:84], v[92:93], 1.0
	v_fma_f64 v[92:93], v[92:93], v[94:95], v[92:93]
	v_fma_f64 v[94:95], -v[83:84], v[92:93], 1.0
	v_fma_f64 v[92:93], v[92:93], v[94:95], v[92:93]
	v_div_scale_f64 v[94:95], vcc_lo, 1.0, v[0:1], 1.0
	v_mul_f64 v[96:97], v[94:95], v[92:93]
	v_fma_f64 v[83:84], -v[83:84], v[96:97], v[94:95]
	v_div_fmas_f64 v[83:84], v[83:84], v[92:93], v[96:97]
	v_div_fixup_f64 v[0:1], v[83:84], v[0:1], 1.0
.LBB74_104:
	s_or_b32 exec_lo, exec_lo, s0
	s_mov_b32 s0, exec_lo
	v_cmpx_ne_u32_e64 v91, v82
	s_xor_b32 s0, exec_lo, s0
	s_cbranch_execz .LBB74_110
; %bb.105:
	s_mov_b32 s1, exec_lo
	v_cmpx_eq_u32_e32 6, v91
	s_cbranch_execz .LBB74_109
; %bb.106:
	v_cmp_ne_u32_e32 vcc_lo, 6, v82
	s_xor_b32 s2, s6, -1
	s_and_b32 s3, s2, vcc_lo
	s_and_saveexec_b32 s2, s3
	s_cbranch_execz .LBB74_108
; %bb.107:
	v_ashrrev_i32_e32 v83, 31, v82
	v_lshlrev_b64 v[83:84], 2, v[82:83]
	v_add_co_u32 v83, vcc_lo, v4, v83
	v_add_co_ci_u32_e64 v84, null, v5, v84, vcc_lo
	s_clause 0x1
	global_load_dword v85, v[83:84], off
	global_load_dword v91, v[4:5], off offset:24
	s_waitcnt vmcnt(1)
	global_store_dword v[4:5], v85, off offset:24
	s_waitcnt vmcnt(0)
	global_store_dword v[83:84], v91, off
.LBB74_108:
	s_or_b32 exec_lo, exec_lo, s2
	v_mov_b32_e32 v85, v82
	v_mov_b32_e32 v91, v82
.LBB74_109:
	s_or_b32 exec_lo, exec_lo, s1
.LBB74_110:
	s_andn2_saveexec_b32 s0, s0
	s_cbranch_execz .LBB74_112
; %bb.111:
	v_mov_b32_e32 v91, 6
	ds_write2_b64 v88, v[64:65], v[62:63] offset0:7 offset1:8
	ds_write2_b64 v88, v[58:59], v[60:61] offset0:9 offset1:10
	;; [unrolled: 1-line block ×15, first 2 shown]
	ds_write_b64 v88, v[80:81] offset:296
.LBB74_112:
	s_or_b32 exec_lo, exec_lo, s0
	s_mov_b32 s0, exec_lo
	s_waitcnt lgkmcnt(0)
	s_waitcnt_vscnt null, 0x0
	s_barrier
	buffer_gl0_inv
	v_cmpx_lt_i32_e32 6, v91
	s_cbranch_execz .LBB74_114
; %bb.113:
	v_mul_f64 v[66:67], v[0:1], v[66:67]
	ds_read2_b64 v[92:95], v88 offset0:7 offset1:8
	ds_read2_b64 v[96:99], v88 offset0:9 offset1:10
	ds_read2_b64 v[100:103], v88 offset0:11 offset1:12
	ds_read2_b64 v[104:107], v88 offset0:13 offset1:14
	ds_read2_b64 v[108:111], v88 offset0:15 offset1:16
	ds_read2_b64 v[112:115], v88 offset0:17 offset1:18
	ds_read2_b64 v[116:119], v88 offset0:19 offset1:20
	ds_read2_b64 v[120:123], v88 offset0:21 offset1:22
	ds_read2_b64 v[124:127], v88 offset0:23 offset1:24
	ds_read2_b64 v[128:131], v88 offset0:25 offset1:26
	ds_read2_b64 v[132:135], v88 offset0:27 offset1:28
	ds_read2_b64 v[136:139], v88 offset0:29 offset1:30
	ds_read2_b64 v[140:143], v88 offset0:31 offset1:32
	ds_read_b64 v[0:1], v88 offset:296
	s_waitcnt lgkmcnt(13)
	v_fma_f64 v[64:65], -v[66:67], v[92:93], v[64:65]
	v_fma_f64 v[62:63], -v[66:67], v[94:95], v[62:63]
	s_waitcnt lgkmcnt(12)
	v_fma_f64 v[58:59], -v[66:67], v[96:97], v[58:59]
	v_fma_f64 v[60:61], -v[66:67], v[98:99], v[60:61]
	ds_read2_b64 v[92:95], v88 offset0:33 offset1:34
	ds_read2_b64 v[96:99], v88 offset0:35 offset1:36
	s_waitcnt lgkmcnt(13)
	v_fma_f64 v[54:55], -v[66:67], v[100:101], v[54:55]
	v_fma_f64 v[56:57], -v[66:67], v[102:103], v[56:57]
	s_waitcnt lgkmcnt(12)
	v_fma_f64 v[52:53], -v[66:67], v[104:105], v[52:53]
	v_fma_f64 v[50:51], -v[66:67], v[106:107], v[50:51]
	;; [unrolled: 3-line block ×13, first 2 shown]
	v_fma_f64 v[80:81], -v[66:67], v[0:1], v[80:81]
.LBB74_114:
	s_or_b32 exec_lo, exec_lo, s0
	v_lshl_add_u32 v0, v91, 3, v88
	s_barrier
	buffer_gl0_inv
	v_mov_b32_e32 v82, 7
	ds_write_b64 v0, v[64:65]
	s_waitcnt lgkmcnt(0)
	s_barrier
	buffer_gl0_inv
	ds_read_b64 v[0:1], v88 offset:56
	s_cmp_lt_i32 s7, 9
	s_cbranch_scc1 .LBB74_117
; %bb.115:
	v_add3_u32 v83, v89, 0, 64
	v_mov_b32_e32 v82, 7
	s_mov_b32 s0, 8
.LBB74_116:                             ; =>This Inner Loop Header: Depth=1
	ds_read_b64 v[92:93], v83
	v_add_nc_u32_e32 v83, 8, v83
	s_waitcnt lgkmcnt(0)
	v_cmp_lt_f64_e64 vcc_lo, |v[0:1]|, |v[92:93]|
	v_cndmask_b32_e32 v1, v1, v93, vcc_lo
	v_cndmask_b32_e32 v0, v0, v92, vcc_lo
	v_cndmask_b32_e64 v82, v82, s0, vcc_lo
	s_add_i32 s0, s0, 1
	s_cmp_lg_u32 s7, s0
	s_cbranch_scc1 .LBB74_116
.LBB74_117:
	s_mov_b32 s0, exec_lo
	s_waitcnt lgkmcnt(0)
	v_cmpx_eq_f64_e32 0, v[0:1]
	s_xor_b32 s0, exec_lo, s0
; %bb.118:
	v_cmp_ne_u32_e32 vcc_lo, 0, v90
	v_cndmask_b32_e32 v90, 8, v90, vcc_lo
; %bb.119:
	s_andn2_saveexec_b32 s0, s0
	s_cbranch_execz .LBB74_121
; %bb.120:
	v_div_scale_f64 v[83:84], null, v[0:1], v[0:1], 1.0
	v_rcp_f64_e32 v[92:93], v[83:84]
	v_fma_f64 v[94:95], -v[83:84], v[92:93], 1.0
	v_fma_f64 v[92:93], v[92:93], v[94:95], v[92:93]
	v_fma_f64 v[94:95], -v[83:84], v[92:93], 1.0
	v_fma_f64 v[92:93], v[92:93], v[94:95], v[92:93]
	v_div_scale_f64 v[94:95], vcc_lo, 1.0, v[0:1], 1.0
	v_mul_f64 v[96:97], v[94:95], v[92:93]
	v_fma_f64 v[83:84], -v[83:84], v[96:97], v[94:95]
	v_div_fmas_f64 v[83:84], v[83:84], v[92:93], v[96:97]
	v_div_fixup_f64 v[0:1], v[83:84], v[0:1], 1.0
.LBB74_121:
	s_or_b32 exec_lo, exec_lo, s0
	s_mov_b32 s0, exec_lo
	v_cmpx_ne_u32_e64 v91, v82
	s_xor_b32 s0, exec_lo, s0
	s_cbranch_execz .LBB74_127
; %bb.122:
	s_mov_b32 s1, exec_lo
	v_cmpx_eq_u32_e32 7, v91
	s_cbranch_execz .LBB74_126
; %bb.123:
	v_cmp_ne_u32_e32 vcc_lo, 7, v82
	s_xor_b32 s2, s6, -1
	s_and_b32 s3, s2, vcc_lo
	s_and_saveexec_b32 s2, s3
	s_cbranch_execz .LBB74_125
; %bb.124:
	v_ashrrev_i32_e32 v83, 31, v82
	v_lshlrev_b64 v[83:84], 2, v[82:83]
	v_add_co_u32 v83, vcc_lo, v4, v83
	v_add_co_ci_u32_e64 v84, null, v5, v84, vcc_lo
	s_clause 0x1
	global_load_dword v85, v[83:84], off
	global_load_dword v91, v[4:5], off offset:28
	s_waitcnt vmcnt(1)
	global_store_dword v[4:5], v85, off offset:28
	s_waitcnt vmcnt(0)
	global_store_dword v[83:84], v91, off
.LBB74_125:
	s_or_b32 exec_lo, exec_lo, s2
	v_mov_b32_e32 v85, v82
	v_mov_b32_e32 v91, v82
.LBB74_126:
	s_or_b32 exec_lo, exec_lo, s1
.LBB74_127:
	s_andn2_saveexec_b32 s0, s0
	s_cbranch_execz .LBB74_129
; %bb.128:
	v_mov_b32_e32 v82, v62
	v_mov_b32_e32 v83, v63
	;; [unrolled: 1-line block ×8, first 2 shown]
	ds_write2_b64 v88, v[82:83], v[91:92] offset0:8 offset1:9
	v_mov_b32_e32 v82, v54
	v_mov_b32_e32 v83, v55
	;; [unrolled: 1-line block ×16, first 2 shown]
	ds_write2_b64 v88, v[93:94], v[82:83] offset0:10 offset1:11
	ds_write2_b64 v88, v[91:92], v[95:96] offset0:12 offset1:13
	;; [unrolled: 1-line block ×5, first 2 shown]
	v_mov_b32_e32 v82, v40
	v_mov_b32_e32 v83, v41
	;; [unrolled: 1-line block ×20, first 2 shown]
	ds_write2_b64 v88, v[82:83], v[91:92] offset0:20 offset1:21
	ds_write2_b64 v88, v[93:94], v[95:96] offset0:22 offset1:23
	ds_write2_b64 v88, v[97:98], v[99:100] offset0:24 offset1:25
	ds_write2_b64 v88, v[101:102], v[103:104] offset0:26 offset1:27
	ds_write2_b64 v88, v[105:106], v[107:108] offset0:28 offset1:29
	v_mov_b32_e32 v82, v20
	v_mov_b32_e32 v83, v21
	;; [unrolled: 1-line block ×15, first 2 shown]
	ds_write2_b64 v88, v[82:83], v[92:93] offset0:30 offset1:31
	ds_write2_b64 v88, v[94:95], v[96:97] offset0:32 offset1:33
	;; [unrolled: 1-line block ×4, first 2 shown]
.LBB74_129:
	s_or_b32 exec_lo, exec_lo, s0
	s_mov_b32 s0, exec_lo
	s_waitcnt lgkmcnt(0)
	s_waitcnt_vscnt null, 0x0
	s_barrier
	buffer_gl0_inv
	v_cmpx_lt_i32_e32 7, v91
	s_cbranch_execz .LBB74_131
; %bb.130:
	v_mul_f64 v[64:65], v[0:1], v[64:65]
	ds_read2_b64 v[92:95], v88 offset0:8 offset1:9
	ds_read2_b64 v[96:99], v88 offset0:10 offset1:11
	;; [unrolled: 1-line block ×14, first 2 shown]
	s_waitcnt lgkmcnt(13)
	v_fma_f64 v[62:63], -v[64:65], v[92:93], v[62:63]
	v_fma_f64 v[58:59], -v[64:65], v[94:95], v[58:59]
	ds_read2_b64 v[92:95], v88 offset0:36 offset1:37
	s_waitcnt lgkmcnt(13)
	v_fma_f64 v[60:61], -v[64:65], v[96:97], v[60:61]
	v_fma_f64 v[54:55], -v[64:65], v[98:99], v[54:55]
	s_waitcnt lgkmcnt(12)
	v_fma_f64 v[56:57], -v[64:65], v[100:101], v[56:57]
	v_fma_f64 v[52:53], -v[64:65], v[102:103], v[52:53]
	;; [unrolled: 3-line block ×14, first 2 shown]
.LBB74_131:
	s_or_b32 exec_lo, exec_lo, s0
	v_lshl_add_u32 v0, v91, 3, v88
	s_barrier
	buffer_gl0_inv
	v_mov_b32_e32 v82, 8
	ds_write_b64 v0, v[62:63]
	s_waitcnt lgkmcnt(0)
	s_barrier
	buffer_gl0_inv
	ds_read_b64 v[0:1], v88 offset:64
	s_cmp_lt_i32 s7, 10
	s_cbranch_scc1 .LBB74_134
; %bb.132:
	v_add3_u32 v83, v89, 0, 0x48
	v_mov_b32_e32 v82, 8
	s_mov_b32 s0, 9
.LBB74_133:                             ; =>This Inner Loop Header: Depth=1
	ds_read_b64 v[92:93], v83
	v_add_nc_u32_e32 v83, 8, v83
	s_waitcnt lgkmcnt(0)
	v_cmp_lt_f64_e64 vcc_lo, |v[0:1]|, |v[92:93]|
	v_cndmask_b32_e32 v1, v1, v93, vcc_lo
	v_cndmask_b32_e32 v0, v0, v92, vcc_lo
	v_cndmask_b32_e64 v82, v82, s0, vcc_lo
	s_add_i32 s0, s0, 1
	s_cmp_lg_u32 s7, s0
	s_cbranch_scc1 .LBB74_133
.LBB74_134:
	s_mov_b32 s0, exec_lo
	s_waitcnt lgkmcnt(0)
	v_cmpx_eq_f64_e32 0, v[0:1]
	s_xor_b32 s0, exec_lo, s0
; %bb.135:
	v_cmp_ne_u32_e32 vcc_lo, 0, v90
	v_cndmask_b32_e32 v90, 9, v90, vcc_lo
; %bb.136:
	s_andn2_saveexec_b32 s0, s0
	s_cbranch_execz .LBB74_138
; %bb.137:
	v_div_scale_f64 v[83:84], null, v[0:1], v[0:1], 1.0
	v_rcp_f64_e32 v[92:93], v[83:84]
	v_fma_f64 v[94:95], -v[83:84], v[92:93], 1.0
	v_fma_f64 v[92:93], v[92:93], v[94:95], v[92:93]
	v_fma_f64 v[94:95], -v[83:84], v[92:93], 1.0
	v_fma_f64 v[92:93], v[92:93], v[94:95], v[92:93]
	v_div_scale_f64 v[94:95], vcc_lo, 1.0, v[0:1], 1.0
	v_mul_f64 v[96:97], v[94:95], v[92:93]
	v_fma_f64 v[83:84], -v[83:84], v[96:97], v[94:95]
	v_div_fmas_f64 v[83:84], v[83:84], v[92:93], v[96:97]
	v_div_fixup_f64 v[0:1], v[83:84], v[0:1], 1.0
.LBB74_138:
	s_or_b32 exec_lo, exec_lo, s0
	s_mov_b32 s0, exec_lo
	v_cmpx_ne_u32_e64 v91, v82
	s_xor_b32 s0, exec_lo, s0
	s_cbranch_execz .LBB74_144
; %bb.139:
	s_mov_b32 s1, exec_lo
	v_cmpx_eq_u32_e32 8, v91
	s_cbranch_execz .LBB74_143
; %bb.140:
	v_cmp_ne_u32_e32 vcc_lo, 8, v82
	s_xor_b32 s2, s6, -1
	s_and_b32 s3, s2, vcc_lo
	s_and_saveexec_b32 s2, s3
	s_cbranch_execz .LBB74_142
; %bb.141:
	v_ashrrev_i32_e32 v83, 31, v82
	v_lshlrev_b64 v[83:84], 2, v[82:83]
	v_add_co_u32 v83, vcc_lo, v4, v83
	v_add_co_ci_u32_e64 v84, null, v5, v84, vcc_lo
	s_clause 0x1
	global_load_dword v85, v[83:84], off
	global_load_dword v91, v[4:5], off offset:32
	s_waitcnt vmcnt(1)
	global_store_dword v[4:5], v85, off offset:32
	s_waitcnt vmcnt(0)
	global_store_dword v[83:84], v91, off
.LBB74_142:
	s_or_b32 exec_lo, exec_lo, s2
	v_mov_b32_e32 v85, v82
	v_mov_b32_e32 v91, v82
.LBB74_143:
	s_or_b32 exec_lo, exec_lo, s1
.LBB74_144:
	s_andn2_saveexec_b32 s0, s0
	s_cbranch_execz .LBB74_146
; %bb.145:
	v_mov_b32_e32 v91, 8
	ds_write2_b64 v88, v[58:59], v[60:61] offset0:9 offset1:10
	ds_write2_b64 v88, v[54:55], v[56:57] offset0:11 offset1:12
	;; [unrolled: 1-line block ×14, first 2 shown]
	ds_write_b64 v88, v[80:81] offset:296
.LBB74_146:
	s_or_b32 exec_lo, exec_lo, s0
	s_mov_b32 s0, exec_lo
	s_waitcnt lgkmcnt(0)
	s_waitcnt_vscnt null, 0x0
	s_barrier
	buffer_gl0_inv
	v_cmpx_lt_i32_e32 8, v91
	s_cbranch_execz .LBB74_148
; %bb.147:
	v_mul_f64 v[62:63], v[0:1], v[62:63]
	ds_read2_b64 v[92:95], v88 offset0:9 offset1:10
	ds_read2_b64 v[96:99], v88 offset0:11 offset1:12
	;; [unrolled: 1-line block ×14, first 2 shown]
	ds_read_b64 v[0:1], v88 offset:296
	s_waitcnt lgkmcnt(14)
	v_fma_f64 v[58:59], -v[62:63], v[92:93], v[58:59]
	v_fma_f64 v[60:61], -v[62:63], v[94:95], v[60:61]
	s_waitcnt lgkmcnt(13)
	v_fma_f64 v[54:55], -v[62:63], v[96:97], v[54:55]
	v_fma_f64 v[56:57], -v[62:63], v[98:99], v[56:57]
	;; [unrolled: 3-line block ×14, first 2 shown]
	s_waitcnt lgkmcnt(0)
	v_fma_f64 v[80:81], -v[62:63], v[0:1], v[80:81]
.LBB74_148:
	s_or_b32 exec_lo, exec_lo, s0
	v_lshl_add_u32 v0, v91, 3, v88
	s_barrier
	buffer_gl0_inv
	v_mov_b32_e32 v82, 9
	ds_write_b64 v0, v[58:59]
	s_waitcnt lgkmcnt(0)
	s_barrier
	buffer_gl0_inv
	ds_read_b64 v[0:1], v88 offset:72
	s_cmp_lt_i32 s7, 11
	s_cbranch_scc1 .LBB74_151
; %bb.149:
	v_add3_u32 v83, v89, 0, 0x50
	v_mov_b32_e32 v82, 9
	s_mov_b32 s0, 10
.LBB74_150:                             ; =>This Inner Loop Header: Depth=1
	ds_read_b64 v[92:93], v83
	v_add_nc_u32_e32 v83, 8, v83
	s_waitcnt lgkmcnt(0)
	v_cmp_lt_f64_e64 vcc_lo, |v[0:1]|, |v[92:93]|
	v_cndmask_b32_e32 v1, v1, v93, vcc_lo
	v_cndmask_b32_e32 v0, v0, v92, vcc_lo
	v_cndmask_b32_e64 v82, v82, s0, vcc_lo
	s_add_i32 s0, s0, 1
	s_cmp_lg_u32 s7, s0
	s_cbranch_scc1 .LBB74_150
.LBB74_151:
	s_mov_b32 s0, exec_lo
	s_waitcnt lgkmcnt(0)
	v_cmpx_eq_f64_e32 0, v[0:1]
	s_xor_b32 s0, exec_lo, s0
; %bb.152:
	v_cmp_ne_u32_e32 vcc_lo, 0, v90
	v_cndmask_b32_e32 v90, 10, v90, vcc_lo
; %bb.153:
	s_andn2_saveexec_b32 s0, s0
	s_cbranch_execz .LBB74_155
; %bb.154:
	v_div_scale_f64 v[83:84], null, v[0:1], v[0:1], 1.0
	v_rcp_f64_e32 v[92:93], v[83:84]
	v_fma_f64 v[94:95], -v[83:84], v[92:93], 1.0
	v_fma_f64 v[92:93], v[92:93], v[94:95], v[92:93]
	v_fma_f64 v[94:95], -v[83:84], v[92:93], 1.0
	v_fma_f64 v[92:93], v[92:93], v[94:95], v[92:93]
	v_div_scale_f64 v[94:95], vcc_lo, 1.0, v[0:1], 1.0
	v_mul_f64 v[96:97], v[94:95], v[92:93]
	v_fma_f64 v[83:84], -v[83:84], v[96:97], v[94:95]
	v_div_fmas_f64 v[83:84], v[83:84], v[92:93], v[96:97]
	v_div_fixup_f64 v[0:1], v[83:84], v[0:1], 1.0
.LBB74_155:
	s_or_b32 exec_lo, exec_lo, s0
	s_mov_b32 s0, exec_lo
	v_cmpx_ne_u32_e64 v91, v82
	s_xor_b32 s0, exec_lo, s0
	s_cbranch_execz .LBB74_161
; %bb.156:
	s_mov_b32 s1, exec_lo
	v_cmpx_eq_u32_e32 9, v91
	s_cbranch_execz .LBB74_160
; %bb.157:
	v_cmp_ne_u32_e32 vcc_lo, 9, v82
	s_xor_b32 s2, s6, -1
	s_and_b32 s3, s2, vcc_lo
	s_and_saveexec_b32 s2, s3
	s_cbranch_execz .LBB74_159
; %bb.158:
	v_ashrrev_i32_e32 v83, 31, v82
	v_lshlrev_b64 v[83:84], 2, v[82:83]
	v_add_co_u32 v83, vcc_lo, v4, v83
	v_add_co_ci_u32_e64 v84, null, v5, v84, vcc_lo
	s_clause 0x1
	global_load_dword v85, v[83:84], off
	global_load_dword v91, v[4:5], off offset:36
	s_waitcnt vmcnt(1)
	global_store_dword v[4:5], v85, off offset:36
	s_waitcnt vmcnt(0)
	global_store_dword v[83:84], v91, off
.LBB74_159:
	s_or_b32 exec_lo, exec_lo, s2
	v_mov_b32_e32 v85, v82
	v_mov_b32_e32 v91, v82
.LBB74_160:
	s_or_b32 exec_lo, exec_lo, s1
.LBB74_161:
	s_andn2_saveexec_b32 s0, s0
	s_cbranch_execz .LBB74_163
; %bb.162:
	v_mov_b32_e32 v82, v60
	v_mov_b32_e32 v83, v61
	;; [unrolled: 1-line block ×20, first 2 shown]
	ds_write2_b64 v88, v[82:83], v[91:92] offset0:10 offset1:11
	ds_write2_b64 v88, v[93:94], v[95:96] offset0:12 offset1:13
	;; [unrolled: 1-line block ×5, first 2 shown]
	v_mov_b32_e32 v82, v40
	v_mov_b32_e32 v83, v41
	;; [unrolled: 1-line block ×20, first 2 shown]
	ds_write2_b64 v88, v[82:83], v[91:92] offset0:20 offset1:21
	ds_write2_b64 v88, v[93:94], v[95:96] offset0:22 offset1:23
	;; [unrolled: 1-line block ×5, first 2 shown]
	v_mov_b32_e32 v82, v20
	v_mov_b32_e32 v83, v21
	;; [unrolled: 1-line block ×15, first 2 shown]
	ds_write2_b64 v88, v[82:83], v[92:93] offset0:30 offset1:31
	ds_write2_b64 v88, v[94:95], v[96:97] offset0:32 offset1:33
	;; [unrolled: 1-line block ×4, first 2 shown]
.LBB74_163:
	s_or_b32 exec_lo, exec_lo, s0
	s_mov_b32 s0, exec_lo
	s_waitcnt lgkmcnt(0)
	s_waitcnt_vscnt null, 0x0
	s_barrier
	buffer_gl0_inv
	v_cmpx_lt_i32_e32 9, v91
	s_cbranch_execz .LBB74_165
; %bb.164:
	v_mul_f64 v[58:59], v[0:1], v[58:59]
	ds_read2_b64 v[92:95], v88 offset0:10 offset1:11
	ds_read2_b64 v[96:99], v88 offset0:12 offset1:13
	;; [unrolled: 1-line block ×14, first 2 shown]
	s_waitcnt lgkmcnt(13)
	v_fma_f64 v[60:61], -v[58:59], v[92:93], v[60:61]
	v_fma_f64 v[54:55], -v[58:59], v[94:95], v[54:55]
	s_waitcnt lgkmcnt(12)
	v_fma_f64 v[56:57], -v[58:59], v[96:97], v[56:57]
	v_fma_f64 v[52:53], -v[58:59], v[98:99], v[52:53]
	;; [unrolled: 3-line block ×14, first 2 shown]
.LBB74_165:
	s_or_b32 exec_lo, exec_lo, s0
	v_lshl_add_u32 v0, v91, 3, v88
	s_barrier
	buffer_gl0_inv
	v_mov_b32_e32 v82, 10
	ds_write_b64 v0, v[60:61]
	s_waitcnt lgkmcnt(0)
	s_barrier
	buffer_gl0_inv
	ds_read_b64 v[0:1], v88 offset:80
	s_cmp_lt_i32 s7, 12
	s_cbranch_scc1 .LBB74_168
; %bb.166:
	v_add3_u32 v83, v89, 0, 0x58
	v_mov_b32_e32 v82, 10
	s_mov_b32 s0, 11
.LBB74_167:                             ; =>This Inner Loop Header: Depth=1
	ds_read_b64 v[92:93], v83
	v_add_nc_u32_e32 v83, 8, v83
	s_waitcnt lgkmcnt(0)
	v_cmp_lt_f64_e64 vcc_lo, |v[0:1]|, |v[92:93]|
	v_cndmask_b32_e32 v1, v1, v93, vcc_lo
	v_cndmask_b32_e32 v0, v0, v92, vcc_lo
	v_cndmask_b32_e64 v82, v82, s0, vcc_lo
	s_add_i32 s0, s0, 1
	s_cmp_lg_u32 s7, s0
	s_cbranch_scc1 .LBB74_167
.LBB74_168:
	s_mov_b32 s0, exec_lo
	s_waitcnt lgkmcnt(0)
	v_cmpx_eq_f64_e32 0, v[0:1]
	s_xor_b32 s0, exec_lo, s0
; %bb.169:
	v_cmp_ne_u32_e32 vcc_lo, 0, v90
	v_cndmask_b32_e32 v90, 11, v90, vcc_lo
; %bb.170:
	s_andn2_saveexec_b32 s0, s0
	s_cbranch_execz .LBB74_172
; %bb.171:
	v_div_scale_f64 v[83:84], null, v[0:1], v[0:1], 1.0
	v_rcp_f64_e32 v[92:93], v[83:84]
	v_fma_f64 v[94:95], -v[83:84], v[92:93], 1.0
	v_fma_f64 v[92:93], v[92:93], v[94:95], v[92:93]
	v_fma_f64 v[94:95], -v[83:84], v[92:93], 1.0
	v_fma_f64 v[92:93], v[92:93], v[94:95], v[92:93]
	v_div_scale_f64 v[94:95], vcc_lo, 1.0, v[0:1], 1.0
	v_mul_f64 v[96:97], v[94:95], v[92:93]
	v_fma_f64 v[83:84], -v[83:84], v[96:97], v[94:95]
	v_div_fmas_f64 v[83:84], v[83:84], v[92:93], v[96:97]
	v_div_fixup_f64 v[0:1], v[83:84], v[0:1], 1.0
.LBB74_172:
	s_or_b32 exec_lo, exec_lo, s0
	s_mov_b32 s0, exec_lo
	v_cmpx_ne_u32_e64 v91, v82
	s_xor_b32 s0, exec_lo, s0
	s_cbranch_execz .LBB74_178
; %bb.173:
	s_mov_b32 s1, exec_lo
	v_cmpx_eq_u32_e32 10, v91
	s_cbranch_execz .LBB74_177
; %bb.174:
	v_cmp_ne_u32_e32 vcc_lo, 10, v82
	s_xor_b32 s2, s6, -1
	s_and_b32 s3, s2, vcc_lo
	s_and_saveexec_b32 s2, s3
	s_cbranch_execz .LBB74_176
; %bb.175:
	v_ashrrev_i32_e32 v83, 31, v82
	v_lshlrev_b64 v[83:84], 2, v[82:83]
	v_add_co_u32 v83, vcc_lo, v4, v83
	v_add_co_ci_u32_e64 v84, null, v5, v84, vcc_lo
	s_clause 0x1
	global_load_dword v85, v[83:84], off
	global_load_dword v91, v[4:5], off offset:40
	s_waitcnt vmcnt(1)
	global_store_dword v[4:5], v85, off offset:40
	s_waitcnt vmcnt(0)
	global_store_dword v[83:84], v91, off
.LBB74_176:
	s_or_b32 exec_lo, exec_lo, s2
	v_mov_b32_e32 v85, v82
	v_mov_b32_e32 v91, v82
.LBB74_177:
	s_or_b32 exec_lo, exec_lo, s1
.LBB74_178:
	s_andn2_saveexec_b32 s0, s0
	s_cbranch_execz .LBB74_180
; %bb.179:
	v_mov_b32_e32 v91, 10
	ds_write2_b64 v88, v[54:55], v[56:57] offset0:11 offset1:12
	ds_write2_b64 v88, v[52:53], v[50:51] offset0:13 offset1:14
	;; [unrolled: 1-line block ×13, first 2 shown]
	ds_write_b64 v88, v[80:81] offset:296
.LBB74_180:
	s_or_b32 exec_lo, exec_lo, s0
	s_mov_b32 s0, exec_lo
	s_waitcnt lgkmcnt(0)
	s_waitcnt_vscnt null, 0x0
	s_barrier
	buffer_gl0_inv
	v_cmpx_lt_i32_e32 10, v91
	s_cbranch_execz .LBB74_182
; %bb.181:
	v_mul_f64 v[60:61], v[0:1], v[60:61]
	ds_read2_b64 v[92:95], v88 offset0:11 offset1:12
	ds_read2_b64 v[96:99], v88 offset0:13 offset1:14
	;; [unrolled: 1-line block ×13, first 2 shown]
	ds_read_b64 v[0:1], v88 offset:296
	s_waitcnt lgkmcnt(13)
	v_fma_f64 v[54:55], -v[60:61], v[92:93], v[54:55]
	v_fma_f64 v[56:57], -v[60:61], v[94:95], v[56:57]
	s_waitcnt lgkmcnt(12)
	v_fma_f64 v[52:53], -v[60:61], v[96:97], v[52:53]
	v_fma_f64 v[50:51], -v[60:61], v[98:99], v[50:51]
	;; [unrolled: 3-line block ×13, first 2 shown]
	s_waitcnt lgkmcnt(0)
	v_fma_f64 v[80:81], -v[60:61], v[0:1], v[80:81]
.LBB74_182:
	s_or_b32 exec_lo, exec_lo, s0
	v_lshl_add_u32 v0, v91, 3, v88
	s_barrier
	buffer_gl0_inv
	v_mov_b32_e32 v82, 11
	ds_write_b64 v0, v[54:55]
	s_waitcnt lgkmcnt(0)
	s_barrier
	buffer_gl0_inv
	ds_read_b64 v[0:1], v88 offset:88
	s_cmp_lt_i32 s7, 13
	s_cbranch_scc1 .LBB74_185
; %bb.183:
	v_add3_u32 v83, v89, 0, 0x60
	v_mov_b32_e32 v82, 11
	s_mov_b32 s0, 12
.LBB74_184:                             ; =>This Inner Loop Header: Depth=1
	ds_read_b64 v[92:93], v83
	v_add_nc_u32_e32 v83, 8, v83
	s_waitcnt lgkmcnt(0)
	v_cmp_lt_f64_e64 vcc_lo, |v[0:1]|, |v[92:93]|
	v_cndmask_b32_e32 v1, v1, v93, vcc_lo
	v_cndmask_b32_e32 v0, v0, v92, vcc_lo
	v_cndmask_b32_e64 v82, v82, s0, vcc_lo
	s_add_i32 s0, s0, 1
	s_cmp_lg_u32 s7, s0
	s_cbranch_scc1 .LBB74_184
.LBB74_185:
	s_mov_b32 s0, exec_lo
	s_waitcnt lgkmcnt(0)
	v_cmpx_eq_f64_e32 0, v[0:1]
	s_xor_b32 s0, exec_lo, s0
; %bb.186:
	v_cmp_ne_u32_e32 vcc_lo, 0, v90
	v_cndmask_b32_e32 v90, 12, v90, vcc_lo
; %bb.187:
	s_andn2_saveexec_b32 s0, s0
	s_cbranch_execz .LBB74_189
; %bb.188:
	v_div_scale_f64 v[83:84], null, v[0:1], v[0:1], 1.0
	v_rcp_f64_e32 v[92:93], v[83:84]
	v_fma_f64 v[94:95], -v[83:84], v[92:93], 1.0
	v_fma_f64 v[92:93], v[92:93], v[94:95], v[92:93]
	v_fma_f64 v[94:95], -v[83:84], v[92:93], 1.0
	v_fma_f64 v[92:93], v[92:93], v[94:95], v[92:93]
	v_div_scale_f64 v[94:95], vcc_lo, 1.0, v[0:1], 1.0
	v_mul_f64 v[96:97], v[94:95], v[92:93]
	v_fma_f64 v[83:84], -v[83:84], v[96:97], v[94:95]
	v_div_fmas_f64 v[83:84], v[83:84], v[92:93], v[96:97]
	v_div_fixup_f64 v[0:1], v[83:84], v[0:1], 1.0
.LBB74_189:
	s_or_b32 exec_lo, exec_lo, s0
	s_mov_b32 s0, exec_lo
	v_cmpx_ne_u32_e64 v91, v82
	s_xor_b32 s0, exec_lo, s0
	s_cbranch_execz .LBB74_195
; %bb.190:
	s_mov_b32 s1, exec_lo
	v_cmpx_eq_u32_e32 11, v91
	s_cbranch_execz .LBB74_194
; %bb.191:
	v_cmp_ne_u32_e32 vcc_lo, 11, v82
	s_xor_b32 s2, s6, -1
	s_and_b32 s3, s2, vcc_lo
	s_and_saveexec_b32 s2, s3
	s_cbranch_execz .LBB74_193
; %bb.192:
	v_ashrrev_i32_e32 v83, 31, v82
	v_lshlrev_b64 v[83:84], 2, v[82:83]
	v_add_co_u32 v83, vcc_lo, v4, v83
	v_add_co_ci_u32_e64 v84, null, v5, v84, vcc_lo
	s_clause 0x1
	global_load_dword v85, v[83:84], off
	global_load_dword v91, v[4:5], off offset:44
	s_waitcnt vmcnt(1)
	global_store_dword v[4:5], v85, off offset:44
	s_waitcnt vmcnt(0)
	global_store_dword v[83:84], v91, off
.LBB74_193:
	s_or_b32 exec_lo, exec_lo, s2
	v_mov_b32_e32 v85, v82
	v_mov_b32_e32 v91, v82
.LBB74_194:
	s_or_b32 exec_lo, exec_lo, s1
.LBB74_195:
	s_andn2_saveexec_b32 s0, s0
	s_cbranch_execz .LBB74_197
; %bb.196:
	v_mov_b32_e32 v82, v56
	v_mov_b32_e32 v83, v57
	;; [unrolled: 1-line block ×16, first 2 shown]
	ds_write2_b64 v88, v[82:83], v[91:92] offset0:12 offset1:13
	ds_write2_b64 v88, v[93:94], v[95:96] offset0:14 offset1:15
	;; [unrolled: 1-line block ×4, first 2 shown]
	v_mov_b32_e32 v82, v40
	v_mov_b32_e32 v83, v41
	;; [unrolled: 1-line block ×20, first 2 shown]
	ds_write2_b64 v88, v[82:83], v[91:92] offset0:20 offset1:21
	ds_write2_b64 v88, v[93:94], v[95:96] offset0:22 offset1:23
	;; [unrolled: 1-line block ×5, first 2 shown]
	v_mov_b32_e32 v82, v20
	v_mov_b32_e32 v83, v21
	;; [unrolled: 1-line block ×15, first 2 shown]
	ds_write2_b64 v88, v[82:83], v[92:93] offset0:30 offset1:31
	ds_write2_b64 v88, v[94:95], v[96:97] offset0:32 offset1:33
	;; [unrolled: 1-line block ×4, first 2 shown]
.LBB74_197:
	s_or_b32 exec_lo, exec_lo, s0
	s_mov_b32 s0, exec_lo
	s_waitcnt lgkmcnt(0)
	s_waitcnt_vscnt null, 0x0
	s_barrier
	buffer_gl0_inv
	v_cmpx_lt_i32_e32 11, v91
	s_cbranch_execz .LBB74_199
; %bb.198:
	v_mul_f64 v[54:55], v[0:1], v[54:55]
	ds_read2_b64 v[92:95], v88 offset0:12 offset1:13
	ds_read2_b64 v[96:99], v88 offset0:14 offset1:15
	;; [unrolled: 1-line block ×13, first 2 shown]
	s_waitcnt lgkmcnt(12)
	v_fma_f64 v[56:57], -v[54:55], v[92:93], v[56:57]
	v_fma_f64 v[52:53], -v[54:55], v[94:95], v[52:53]
	s_waitcnt lgkmcnt(11)
	v_fma_f64 v[50:51], -v[54:55], v[96:97], v[50:51]
	v_fma_f64 v[48:49], -v[54:55], v[98:99], v[48:49]
	;; [unrolled: 3-line block ×13, first 2 shown]
.LBB74_199:
	s_or_b32 exec_lo, exec_lo, s0
	v_lshl_add_u32 v0, v91, 3, v88
	s_barrier
	buffer_gl0_inv
	v_mov_b32_e32 v82, 12
	ds_write_b64 v0, v[56:57]
	s_waitcnt lgkmcnt(0)
	s_barrier
	buffer_gl0_inv
	ds_read_b64 v[0:1], v88 offset:96
	s_cmp_lt_i32 s7, 14
	s_cbranch_scc1 .LBB74_202
; %bb.200:
	v_add3_u32 v83, v89, 0, 0x68
	v_mov_b32_e32 v82, 12
	s_mov_b32 s0, 13
.LBB74_201:                             ; =>This Inner Loop Header: Depth=1
	ds_read_b64 v[92:93], v83
	v_add_nc_u32_e32 v83, 8, v83
	s_waitcnt lgkmcnt(0)
	v_cmp_lt_f64_e64 vcc_lo, |v[0:1]|, |v[92:93]|
	v_cndmask_b32_e32 v1, v1, v93, vcc_lo
	v_cndmask_b32_e32 v0, v0, v92, vcc_lo
	v_cndmask_b32_e64 v82, v82, s0, vcc_lo
	s_add_i32 s0, s0, 1
	s_cmp_lg_u32 s7, s0
	s_cbranch_scc1 .LBB74_201
.LBB74_202:
	s_mov_b32 s0, exec_lo
	s_waitcnt lgkmcnt(0)
	v_cmpx_eq_f64_e32 0, v[0:1]
	s_xor_b32 s0, exec_lo, s0
; %bb.203:
	v_cmp_ne_u32_e32 vcc_lo, 0, v90
	v_cndmask_b32_e32 v90, 13, v90, vcc_lo
; %bb.204:
	s_andn2_saveexec_b32 s0, s0
	s_cbranch_execz .LBB74_206
; %bb.205:
	v_div_scale_f64 v[83:84], null, v[0:1], v[0:1], 1.0
	v_rcp_f64_e32 v[92:93], v[83:84]
	v_fma_f64 v[94:95], -v[83:84], v[92:93], 1.0
	v_fma_f64 v[92:93], v[92:93], v[94:95], v[92:93]
	v_fma_f64 v[94:95], -v[83:84], v[92:93], 1.0
	v_fma_f64 v[92:93], v[92:93], v[94:95], v[92:93]
	v_div_scale_f64 v[94:95], vcc_lo, 1.0, v[0:1], 1.0
	v_mul_f64 v[96:97], v[94:95], v[92:93]
	v_fma_f64 v[83:84], -v[83:84], v[96:97], v[94:95]
	v_div_fmas_f64 v[83:84], v[83:84], v[92:93], v[96:97]
	v_div_fixup_f64 v[0:1], v[83:84], v[0:1], 1.0
.LBB74_206:
	s_or_b32 exec_lo, exec_lo, s0
	s_mov_b32 s0, exec_lo
	v_cmpx_ne_u32_e64 v91, v82
	s_xor_b32 s0, exec_lo, s0
	s_cbranch_execz .LBB74_212
; %bb.207:
	s_mov_b32 s1, exec_lo
	v_cmpx_eq_u32_e32 12, v91
	s_cbranch_execz .LBB74_211
; %bb.208:
	v_cmp_ne_u32_e32 vcc_lo, 12, v82
	s_xor_b32 s2, s6, -1
	s_and_b32 s3, s2, vcc_lo
	s_and_saveexec_b32 s2, s3
	s_cbranch_execz .LBB74_210
; %bb.209:
	v_ashrrev_i32_e32 v83, 31, v82
	v_lshlrev_b64 v[83:84], 2, v[82:83]
	v_add_co_u32 v83, vcc_lo, v4, v83
	v_add_co_ci_u32_e64 v84, null, v5, v84, vcc_lo
	s_clause 0x1
	global_load_dword v85, v[83:84], off
	global_load_dword v91, v[4:5], off offset:48
	s_waitcnt vmcnt(1)
	global_store_dword v[4:5], v85, off offset:48
	s_waitcnt vmcnt(0)
	global_store_dword v[83:84], v91, off
.LBB74_210:
	s_or_b32 exec_lo, exec_lo, s2
	v_mov_b32_e32 v85, v82
	v_mov_b32_e32 v91, v82
.LBB74_211:
	s_or_b32 exec_lo, exec_lo, s1
.LBB74_212:
	s_andn2_saveexec_b32 s0, s0
	s_cbranch_execz .LBB74_214
; %bb.213:
	v_mov_b32_e32 v91, 12
	ds_write2_b64 v88, v[52:53], v[50:51] offset0:13 offset1:14
	ds_write2_b64 v88, v[48:49], v[46:47] offset0:15 offset1:16
	;; [unrolled: 1-line block ×12, first 2 shown]
	ds_write_b64 v88, v[80:81] offset:296
.LBB74_214:
	s_or_b32 exec_lo, exec_lo, s0
	s_mov_b32 s0, exec_lo
	s_waitcnt lgkmcnt(0)
	s_waitcnt_vscnt null, 0x0
	s_barrier
	buffer_gl0_inv
	v_cmpx_lt_i32_e32 12, v91
	s_cbranch_execz .LBB74_216
; %bb.215:
	v_mul_f64 v[56:57], v[0:1], v[56:57]
	ds_read2_b64 v[92:95], v88 offset0:13 offset1:14
	ds_read2_b64 v[96:99], v88 offset0:15 offset1:16
	;; [unrolled: 1-line block ×12, first 2 shown]
	ds_read_b64 v[0:1], v88 offset:296
	s_waitcnt lgkmcnt(12)
	v_fma_f64 v[52:53], -v[56:57], v[92:93], v[52:53]
	v_fma_f64 v[50:51], -v[56:57], v[94:95], v[50:51]
	s_waitcnt lgkmcnt(11)
	v_fma_f64 v[48:49], -v[56:57], v[96:97], v[48:49]
	v_fma_f64 v[46:47], -v[56:57], v[98:99], v[46:47]
	;; [unrolled: 3-line block ×12, first 2 shown]
	s_waitcnt lgkmcnt(0)
	v_fma_f64 v[80:81], -v[56:57], v[0:1], v[80:81]
.LBB74_216:
	s_or_b32 exec_lo, exec_lo, s0
	v_lshl_add_u32 v0, v91, 3, v88
	s_barrier
	buffer_gl0_inv
	v_mov_b32_e32 v82, 13
	ds_write_b64 v0, v[52:53]
	s_waitcnt lgkmcnt(0)
	s_barrier
	buffer_gl0_inv
	ds_read_b64 v[0:1], v88 offset:104
	s_cmp_lt_i32 s7, 15
	s_cbranch_scc1 .LBB74_219
; %bb.217:
	v_add3_u32 v83, v89, 0, 0x70
	v_mov_b32_e32 v82, 13
	s_mov_b32 s0, 14
.LBB74_218:                             ; =>This Inner Loop Header: Depth=1
	ds_read_b64 v[92:93], v83
	v_add_nc_u32_e32 v83, 8, v83
	s_waitcnt lgkmcnt(0)
	v_cmp_lt_f64_e64 vcc_lo, |v[0:1]|, |v[92:93]|
	v_cndmask_b32_e32 v1, v1, v93, vcc_lo
	v_cndmask_b32_e32 v0, v0, v92, vcc_lo
	v_cndmask_b32_e64 v82, v82, s0, vcc_lo
	s_add_i32 s0, s0, 1
	s_cmp_lg_u32 s7, s0
	s_cbranch_scc1 .LBB74_218
.LBB74_219:
	s_mov_b32 s0, exec_lo
	s_waitcnt lgkmcnt(0)
	v_cmpx_eq_f64_e32 0, v[0:1]
	s_xor_b32 s0, exec_lo, s0
; %bb.220:
	v_cmp_ne_u32_e32 vcc_lo, 0, v90
	v_cndmask_b32_e32 v90, 14, v90, vcc_lo
; %bb.221:
	s_andn2_saveexec_b32 s0, s0
	s_cbranch_execz .LBB74_223
; %bb.222:
	v_div_scale_f64 v[83:84], null, v[0:1], v[0:1], 1.0
	v_rcp_f64_e32 v[92:93], v[83:84]
	v_fma_f64 v[94:95], -v[83:84], v[92:93], 1.0
	v_fma_f64 v[92:93], v[92:93], v[94:95], v[92:93]
	v_fma_f64 v[94:95], -v[83:84], v[92:93], 1.0
	v_fma_f64 v[92:93], v[92:93], v[94:95], v[92:93]
	v_div_scale_f64 v[94:95], vcc_lo, 1.0, v[0:1], 1.0
	v_mul_f64 v[96:97], v[94:95], v[92:93]
	v_fma_f64 v[83:84], -v[83:84], v[96:97], v[94:95]
	v_div_fmas_f64 v[83:84], v[83:84], v[92:93], v[96:97]
	v_div_fixup_f64 v[0:1], v[83:84], v[0:1], 1.0
.LBB74_223:
	s_or_b32 exec_lo, exec_lo, s0
	s_mov_b32 s0, exec_lo
	v_cmpx_ne_u32_e64 v91, v82
	s_xor_b32 s0, exec_lo, s0
	s_cbranch_execz .LBB74_229
; %bb.224:
	s_mov_b32 s1, exec_lo
	v_cmpx_eq_u32_e32 13, v91
	s_cbranch_execz .LBB74_228
; %bb.225:
	v_cmp_ne_u32_e32 vcc_lo, 13, v82
	s_xor_b32 s2, s6, -1
	s_and_b32 s3, s2, vcc_lo
	s_and_saveexec_b32 s2, s3
	s_cbranch_execz .LBB74_227
; %bb.226:
	v_ashrrev_i32_e32 v83, 31, v82
	v_lshlrev_b64 v[83:84], 2, v[82:83]
	v_add_co_u32 v83, vcc_lo, v4, v83
	v_add_co_ci_u32_e64 v84, null, v5, v84, vcc_lo
	s_clause 0x1
	global_load_dword v85, v[83:84], off
	global_load_dword v91, v[4:5], off offset:52
	s_waitcnt vmcnt(1)
	global_store_dword v[4:5], v85, off offset:52
	s_waitcnt vmcnt(0)
	global_store_dword v[83:84], v91, off
.LBB74_227:
	s_or_b32 exec_lo, exec_lo, s2
	v_mov_b32_e32 v85, v82
	v_mov_b32_e32 v91, v82
.LBB74_228:
	s_or_b32 exec_lo, exec_lo, s1
.LBB74_229:
	s_andn2_saveexec_b32 s0, s0
	s_cbranch_execz .LBB74_231
; %bb.230:
	v_mov_b32_e32 v82, v50
	v_mov_b32_e32 v83, v51
	;; [unrolled: 1-line block ×12, first 2 shown]
	ds_write2_b64 v88, v[82:83], v[91:92] offset0:14 offset1:15
	ds_write2_b64 v88, v[93:94], v[95:96] offset0:16 offset1:17
	;; [unrolled: 1-line block ×3, first 2 shown]
	v_mov_b32_e32 v82, v40
	v_mov_b32_e32 v83, v41
	;; [unrolled: 1-line block ×20, first 2 shown]
	ds_write2_b64 v88, v[82:83], v[91:92] offset0:20 offset1:21
	ds_write2_b64 v88, v[93:94], v[95:96] offset0:22 offset1:23
	;; [unrolled: 1-line block ×5, first 2 shown]
	v_mov_b32_e32 v82, v20
	v_mov_b32_e32 v83, v21
	v_mov_b32_e32 v92, v16
	v_mov_b32_e32 v93, v17
	v_mov_b32_e32 v91, 13
	v_mov_b32_e32 v94, v14
	v_mov_b32_e32 v95, v15
	v_mov_b32_e32 v96, v8
	v_mov_b32_e32 v97, v9
	v_mov_b32_e32 v98, v12
	v_mov_b32_e32 v99, v13
	v_mov_b32_e32 v100, v6
	v_mov_b32_e32 v101, v7
	v_mov_b32_e32 v102, v10
	v_mov_b32_e32 v103, v11
	ds_write2_b64 v88, v[82:83], v[92:93] offset0:30 offset1:31
	ds_write2_b64 v88, v[94:95], v[96:97] offset0:32 offset1:33
	;; [unrolled: 1-line block ×4, first 2 shown]
.LBB74_231:
	s_or_b32 exec_lo, exec_lo, s0
	s_mov_b32 s0, exec_lo
	s_waitcnt lgkmcnt(0)
	s_waitcnt_vscnt null, 0x0
	s_barrier
	buffer_gl0_inv
	v_cmpx_lt_i32_e32 13, v91
	s_cbranch_execz .LBB74_233
; %bb.232:
	v_mul_f64 v[52:53], v[0:1], v[52:53]
	ds_read2_b64 v[92:95], v88 offset0:14 offset1:15
	ds_read2_b64 v[96:99], v88 offset0:16 offset1:17
	;; [unrolled: 1-line block ×12, first 2 shown]
	s_waitcnt lgkmcnt(11)
	v_fma_f64 v[50:51], -v[52:53], v[92:93], v[50:51]
	v_fma_f64 v[48:49], -v[52:53], v[94:95], v[48:49]
	s_waitcnt lgkmcnt(10)
	v_fma_f64 v[46:47], -v[52:53], v[96:97], v[46:47]
	v_fma_f64 v[44:45], -v[52:53], v[98:99], v[44:45]
	;; [unrolled: 3-line block ×12, first 2 shown]
.LBB74_233:
	s_or_b32 exec_lo, exec_lo, s0
	v_lshl_add_u32 v0, v91, 3, v88
	s_barrier
	buffer_gl0_inv
	v_mov_b32_e32 v82, 14
	ds_write_b64 v0, v[50:51]
	s_waitcnt lgkmcnt(0)
	s_barrier
	buffer_gl0_inv
	ds_read_b64 v[0:1], v88 offset:112
	s_cmp_lt_i32 s7, 16
	s_cbranch_scc1 .LBB74_236
; %bb.234:
	v_add3_u32 v83, v89, 0, 0x78
	v_mov_b32_e32 v82, 14
	s_mov_b32 s0, 15
.LBB74_235:                             ; =>This Inner Loop Header: Depth=1
	ds_read_b64 v[92:93], v83
	v_add_nc_u32_e32 v83, 8, v83
	s_waitcnt lgkmcnt(0)
	v_cmp_lt_f64_e64 vcc_lo, |v[0:1]|, |v[92:93]|
	v_cndmask_b32_e32 v1, v1, v93, vcc_lo
	v_cndmask_b32_e32 v0, v0, v92, vcc_lo
	v_cndmask_b32_e64 v82, v82, s0, vcc_lo
	s_add_i32 s0, s0, 1
	s_cmp_lg_u32 s7, s0
	s_cbranch_scc1 .LBB74_235
.LBB74_236:
	s_mov_b32 s0, exec_lo
	s_waitcnt lgkmcnt(0)
	v_cmpx_eq_f64_e32 0, v[0:1]
	s_xor_b32 s0, exec_lo, s0
; %bb.237:
	v_cmp_ne_u32_e32 vcc_lo, 0, v90
	v_cndmask_b32_e32 v90, 15, v90, vcc_lo
; %bb.238:
	s_andn2_saveexec_b32 s0, s0
	s_cbranch_execz .LBB74_240
; %bb.239:
	v_div_scale_f64 v[83:84], null, v[0:1], v[0:1], 1.0
	v_rcp_f64_e32 v[92:93], v[83:84]
	v_fma_f64 v[94:95], -v[83:84], v[92:93], 1.0
	v_fma_f64 v[92:93], v[92:93], v[94:95], v[92:93]
	v_fma_f64 v[94:95], -v[83:84], v[92:93], 1.0
	v_fma_f64 v[92:93], v[92:93], v[94:95], v[92:93]
	v_div_scale_f64 v[94:95], vcc_lo, 1.0, v[0:1], 1.0
	v_mul_f64 v[96:97], v[94:95], v[92:93]
	v_fma_f64 v[83:84], -v[83:84], v[96:97], v[94:95]
	v_div_fmas_f64 v[83:84], v[83:84], v[92:93], v[96:97]
	v_div_fixup_f64 v[0:1], v[83:84], v[0:1], 1.0
.LBB74_240:
	s_or_b32 exec_lo, exec_lo, s0
	s_mov_b32 s0, exec_lo
	v_cmpx_ne_u32_e64 v91, v82
	s_xor_b32 s0, exec_lo, s0
	s_cbranch_execz .LBB74_246
; %bb.241:
	s_mov_b32 s1, exec_lo
	v_cmpx_eq_u32_e32 14, v91
	s_cbranch_execz .LBB74_245
; %bb.242:
	v_cmp_ne_u32_e32 vcc_lo, 14, v82
	s_xor_b32 s2, s6, -1
	s_and_b32 s3, s2, vcc_lo
	s_and_saveexec_b32 s2, s3
	s_cbranch_execz .LBB74_244
; %bb.243:
	v_ashrrev_i32_e32 v83, 31, v82
	v_lshlrev_b64 v[83:84], 2, v[82:83]
	v_add_co_u32 v83, vcc_lo, v4, v83
	v_add_co_ci_u32_e64 v84, null, v5, v84, vcc_lo
	s_clause 0x1
	global_load_dword v85, v[83:84], off
	global_load_dword v91, v[4:5], off offset:56
	s_waitcnt vmcnt(1)
	global_store_dword v[4:5], v85, off offset:56
	s_waitcnt vmcnt(0)
	global_store_dword v[83:84], v91, off
.LBB74_244:
	s_or_b32 exec_lo, exec_lo, s2
	v_mov_b32_e32 v85, v82
	v_mov_b32_e32 v91, v82
.LBB74_245:
	s_or_b32 exec_lo, exec_lo, s1
.LBB74_246:
	s_andn2_saveexec_b32 s0, s0
	s_cbranch_execz .LBB74_248
; %bb.247:
	v_mov_b32_e32 v91, 14
	ds_write2_b64 v88, v[48:49], v[46:47] offset0:15 offset1:16
	ds_write2_b64 v88, v[44:45], v[42:43] offset0:17 offset1:18
	;; [unrolled: 1-line block ×11, first 2 shown]
	ds_write_b64 v88, v[80:81] offset:296
.LBB74_248:
	s_or_b32 exec_lo, exec_lo, s0
	s_mov_b32 s0, exec_lo
	s_waitcnt lgkmcnt(0)
	s_waitcnt_vscnt null, 0x0
	s_barrier
	buffer_gl0_inv
	v_cmpx_lt_i32_e32 14, v91
	s_cbranch_execz .LBB74_250
; %bb.249:
	v_mul_f64 v[50:51], v[0:1], v[50:51]
	ds_read2_b64 v[92:95], v88 offset0:15 offset1:16
	ds_read2_b64 v[96:99], v88 offset0:17 offset1:18
	;; [unrolled: 1-line block ×11, first 2 shown]
	ds_read_b64 v[0:1], v88 offset:296
	s_waitcnt lgkmcnt(11)
	v_fma_f64 v[48:49], -v[50:51], v[92:93], v[48:49]
	v_fma_f64 v[46:47], -v[50:51], v[94:95], v[46:47]
	s_waitcnt lgkmcnt(10)
	v_fma_f64 v[44:45], -v[50:51], v[96:97], v[44:45]
	v_fma_f64 v[42:43], -v[50:51], v[98:99], v[42:43]
	;; [unrolled: 3-line block ×11, first 2 shown]
	s_waitcnt lgkmcnt(0)
	v_fma_f64 v[80:81], -v[50:51], v[0:1], v[80:81]
.LBB74_250:
	s_or_b32 exec_lo, exec_lo, s0
	v_lshl_add_u32 v0, v91, 3, v88
	s_barrier
	buffer_gl0_inv
	v_mov_b32_e32 v82, 15
	ds_write_b64 v0, v[48:49]
	s_waitcnt lgkmcnt(0)
	s_barrier
	buffer_gl0_inv
	ds_read_b64 v[0:1], v88 offset:120
	s_cmp_lt_i32 s7, 17
	s_cbranch_scc1 .LBB74_253
; %bb.251:
	v_add3_u32 v83, v89, 0, 0x80
	v_mov_b32_e32 v82, 15
	s_mov_b32 s0, 16
.LBB74_252:                             ; =>This Inner Loop Header: Depth=1
	ds_read_b64 v[92:93], v83
	v_add_nc_u32_e32 v83, 8, v83
	s_waitcnt lgkmcnt(0)
	v_cmp_lt_f64_e64 vcc_lo, |v[0:1]|, |v[92:93]|
	v_cndmask_b32_e32 v1, v1, v93, vcc_lo
	v_cndmask_b32_e32 v0, v0, v92, vcc_lo
	v_cndmask_b32_e64 v82, v82, s0, vcc_lo
	s_add_i32 s0, s0, 1
	s_cmp_lg_u32 s7, s0
	s_cbranch_scc1 .LBB74_252
.LBB74_253:
	s_mov_b32 s0, exec_lo
	s_waitcnt lgkmcnt(0)
	v_cmpx_eq_f64_e32 0, v[0:1]
	s_xor_b32 s0, exec_lo, s0
; %bb.254:
	v_cmp_ne_u32_e32 vcc_lo, 0, v90
	v_cndmask_b32_e32 v90, 16, v90, vcc_lo
; %bb.255:
	s_andn2_saveexec_b32 s0, s0
	s_cbranch_execz .LBB74_257
; %bb.256:
	v_div_scale_f64 v[83:84], null, v[0:1], v[0:1], 1.0
	v_rcp_f64_e32 v[92:93], v[83:84]
	v_fma_f64 v[94:95], -v[83:84], v[92:93], 1.0
	v_fma_f64 v[92:93], v[92:93], v[94:95], v[92:93]
	v_fma_f64 v[94:95], -v[83:84], v[92:93], 1.0
	v_fma_f64 v[92:93], v[92:93], v[94:95], v[92:93]
	v_div_scale_f64 v[94:95], vcc_lo, 1.0, v[0:1], 1.0
	v_mul_f64 v[96:97], v[94:95], v[92:93]
	v_fma_f64 v[83:84], -v[83:84], v[96:97], v[94:95]
	v_div_fmas_f64 v[83:84], v[83:84], v[92:93], v[96:97]
	v_div_fixup_f64 v[0:1], v[83:84], v[0:1], 1.0
.LBB74_257:
	s_or_b32 exec_lo, exec_lo, s0
	s_mov_b32 s0, exec_lo
	v_cmpx_ne_u32_e64 v91, v82
	s_xor_b32 s0, exec_lo, s0
	s_cbranch_execz .LBB74_263
; %bb.258:
	s_mov_b32 s1, exec_lo
	v_cmpx_eq_u32_e32 15, v91
	s_cbranch_execz .LBB74_262
; %bb.259:
	v_cmp_ne_u32_e32 vcc_lo, 15, v82
	s_xor_b32 s2, s6, -1
	s_and_b32 s3, s2, vcc_lo
	s_and_saveexec_b32 s2, s3
	s_cbranch_execz .LBB74_261
; %bb.260:
	v_ashrrev_i32_e32 v83, 31, v82
	v_lshlrev_b64 v[83:84], 2, v[82:83]
	v_add_co_u32 v83, vcc_lo, v4, v83
	v_add_co_ci_u32_e64 v84, null, v5, v84, vcc_lo
	s_clause 0x1
	global_load_dword v85, v[83:84], off
	global_load_dword v91, v[4:5], off offset:60
	s_waitcnt vmcnt(1)
	global_store_dword v[4:5], v85, off offset:60
	s_waitcnt vmcnt(0)
	global_store_dword v[83:84], v91, off
.LBB74_261:
	s_or_b32 exec_lo, exec_lo, s2
	v_mov_b32_e32 v85, v82
	v_mov_b32_e32 v91, v82
.LBB74_262:
	s_or_b32 exec_lo, exec_lo, s1
.LBB74_263:
	s_andn2_saveexec_b32 s0, s0
	s_cbranch_execz .LBB74_265
; %bb.264:
	v_mov_b32_e32 v82, v46
	v_mov_b32_e32 v83, v47
	;; [unrolled: 1-line block ×8, first 2 shown]
	ds_write2_b64 v88, v[82:83], v[91:92] offset0:16 offset1:17
	ds_write2_b64 v88, v[93:94], v[95:96] offset0:18 offset1:19
	v_mov_b32_e32 v82, v40
	v_mov_b32_e32 v83, v41
	v_mov_b32_e32 v91, v34
	v_mov_b32_e32 v92, v35
	v_mov_b32_e32 v93, v36
	v_mov_b32_e32 v94, v37
	v_mov_b32_e32 v95, v32
	v_mov_b32_e32 v96, v33
	v_mov_b32_e32 v97, v30
	v_mov_b32_e32 v98, v31
	v_mov_b32_e32 v99, v28
	v_mov_b32_e32 v100, v29
	v_mov_b32_e32 v101, v26
	v_mov_b32_e32 v102, v27
	v_mov_b32_e32 v103, v24
	v_mov_b32_e32 v104, v25
	v_mov_b32_e32 v105, v22
	v_mov_b32_e32 v106, v23
	v_mov_b32_e32 v107, v18
	v_mov_b32_e32 v108, v19
	ds_write2_b64 v88, v[82:83], v[91:92] offset0:20 offset1:21
	ds_write2_b64 v88, v[93:94], v[95:96] offset0:22 offset1:23
	;; [unrolled: 1-line block ×5, first 2 shown]
	v_mov_b32_e32 v82, v20
	v_mov_b32_e32 v83, v21
	;; [unrolled: 1-line block ×15, first 2 shown]
	ds_write2_b64 v88, v[82:83], v[92:93] offset0:30 offset1:31
	ds_write2_b64 v88, v[94:95], v[96:97] offset0:32 offset1:33
	ds_write2_b64 v88, v[98:99], v[100:101] offset0:34 offset1:35
	ds_write2_b64 v88, v[102:103], v[80:81] offset0:36 offset1:37
.LBB74_265:
	s_or_b32 exec_lo, exec_lo, s0
	s_mov_b32 s0, exec_lo
	s_waitcnt lgkmcnt(0)
	s_waitcnt_vscnt null, 0x0
	s_barrier
	buffer_gl0_inv
	v_cmpx_lt_i32_e32 15, v91
	s_cbranch_execz .LBB74_267
; %bb.266:
	v_mul_f64 v[48:49], v[0:1], v[48:49]
	ds_read2_b64 v[92:95], v88 offset0:16 offset1:17
	ds_read2_b64 v[96:99], v88 offset0:18 offset1:19
	;; [unrolled: 1-line block ×11, first 2 shown]
	s_waitcnt lgkmcnt(10)
	v_fma_f64 v[46:47], -v[48:49], v[92:93], v[46:47]
	v_fma_f64 v[44:45], -v[48:49], v[94:95], v[44:45]
	s_waitcnt lgkmcnt(9)
	v_fma_f64 v[42:43], -v[48:49], v[96:97], v[42:43]
	v_fma_f64 v[38:39], -v[48:49], v[98:99], v[38:39]
	s_waitcnt lgkmcnt(8)
	v_fma_f64 v[40:41], -v[48:49], v[100:101], v[40:41]
	v_fma_f64 v[34:35], -v[48:49], v[102:103], v[34:35]
	s_waitcnt lgkmcnt(7)
	v_fma_f64 v[36:37], -v[48:49], v[104:105], v[36:37]
	v_fma_f64 v[32:33], -v[48:49], v[106:107], v[32:33]
	s_waitcnt lgkmcnt(6)
	v_fma_f64 v[30:31], -v[48:49], v[108:109], v[30:31]
	v_fma_f64 v[28:29], -v[48:49], v[110:111], v[28:29]
	s_waitcnt lgkmcnt(5)
	v_fma_f64 v[26:27], -v[48:49], v[112:113], v[26:27]
	v_fma_f64 v[24:25], -v[48:49], v[114:115], v[24:25]
	s_waitcnt lgkmcnt(4)
	v_fma_f64 v[22:23], -v[48:49], v[116:117], v[22:23]
	v_fma_f64 v[18:19], -v[48:49], v[118:119], v[18:19]
	s_waitcnt lgkmcnt(3)
	v_fma_f64 v[20:21], -v[48:49], v[120:121], v[20:21]
	v_fma_f64 v[16:17], -v[48:49], v[122:123], v[16:17]
	s_waitcnt lgkmcnt(2)
	v_fma_f64 v[14:15], -v[48:49], v[124:125], v[14:15]
	v_fma_f64 v[8:9], -v[48:49], v[126:127], v[8:9]
	s_waitcnt lgkmcnt(1)
	v_fma_f64 v[12:13], -v[48:49], v[128:129], v[12:13]
	v_fma_f64 v[6:7], -v[48:49], v[130:131], v[6:7]
	s_waitcnt lgkmcnt(0)
	v_fma_f64 v[10:11], -v[48:49], v[132:133], v[10:11]
	v_fma_f64 v[80:81], -v[48:49], v[134:135], v[80:81]
.LBB74_267:
	s_or_b32 exec_lo, exec_lo, s0
	v_lshl_add_u32 v0, v91, 3, v88
	s_barrier
	buffer_gl0_inv
	v_mov_b32_e32 v82, 16
	ds_write_b64 v0, v[46:47]
	s_waitcnt lgkmcnt(0)
	s_barrier
	buffer_gl0_inv
	ds_read_b64 v[0:1], v88 offset:128
	s_cmp_lt_i32 s7, 18
	s_cbranch_scc1 .LBB74_270
; %bb.268:
	v_add3_u32 v83, v89, 0, 0x88
	v_mov_b32_e32 v82, 16
	s_mov_b32 s0, 17
.LBB74_269:                             ; =>This Inner Loop Header: Depth=1
	ds_read_b64 v[92:93], v83
	v_add_nc_u32_e32 v83, 8, v83
	s_waitcnt lgkmcnt(0)
	v_cmp_lt_f64_e64 vcc_lo, |v[0:1]|, |v[92:93]|
	v_cndmask_b32_e32 v1, v1, v93, vcc_lo
	v_cndmask_b32_e32 v0, v0, v92, vcc_lo
	v_cndmask_b32_e64 v82, v82, s0, vcc_lo
	s_add_i32 s0, s0, 1
	s_cmp_lg_u32 s7, s0
	s_cbranch_scc1 .LBB74_269
.LBB74_270:
	s_mov_b32 s0, exec_lo
	s_waitcnt lgkmcnt(0)
	v_cmpx_eq_f64_e32 0, v[0:1]
	s_xor_b32 s0, exec_lo, s0
; %bb.271:
	v_cmp_ne_u32_e32 vcc_lo, 0, v90
	v_cndmask_b32_e32 v90, 17, v90, vcc_lo
; %bb.272:
	s_andn2_saveexec_b32 s0, s0
	s_cbranch_execz .LBB74_274
; %bb.273:
	v_div_scale_f64 v[83:84], null, v[0:1], v[0:1], 1.0
	v_rcp_f64_e32 v[92:93], v[83:84]
	v_fma_f64 v[94:95], -v[83:84], v[92:93], 1.0
	v_fma_f64 v[92:93], v[92:93], v[94:95], v[92:93]
	v_fma_f64 v[94:95], -v[83:84], v[92:93], 1.0
	v_fma_f64 v[92:93], v[92:93], v[94:95], v[92:93]
	v_div_scale_f64 v[94:95], vcc_lo, 1.0, v[0:1], 1.0
	v_mul_f64 v[96:97], v[94:95], v[92:93]
	v_fma_f64 v[83:84], -v[83:84], v[96:97], v[94:95]
	v_div_fmas_f64 v[83:84], v[83:84], v[92:93], v[96:97]
	v_div_fixup_f64 v[0:1], v[83:84], v[0:1], 1.0
.LBB74_274:
	s_or_b32 exec_lo, exec_lo, s0
	s_mov_b32 s0, exec_lo
	v_cmpx_ne_u32_e64 v91, v82
	s_xor_b32 s0, exec_lo, s0
	s_cbranch_execz .LBB74_280
; %bb.275:
	s_mov_b32 s1, exec_lo
	v_cmpx_eq_u32_e32 16, v91
	s_cbranch_execz .LBB74_279
; %bb.276:
	v_cmp_ne_u32_e32 vcc_lo, 16, v82
	s_xor_b32 s2, s6, -1
	s_and_b32 s3, s2, vcc_lo
	s_and_saveexec_b32 s2, s3
	s_cbranch_execz .LBB74_278
; %bb.277:
	v_ashrrev_i32_e32 v83, 31, v82
	v_lshlrev_b64 v[83:84], 2, v[82:83]
	v_add_co_u32 v83, vcc_lo, v4, v83
	v_add_co_ci_u32_e64 v84, null, v5, v84, vcc_lo
	s_clause 0x1
	global_load_dword v85, v[83:84], off
	global_load_dword v91, v[4:5], off offset:64
	s_waitcnt vmcnt(1)
	global_store_dword v[4:5], v85, off offset:64
	s_waitcnt vmcnt(0)
	global_store_dword v[83:84], v91, off
.LBB74_278:
	s_or_b32 exec_lo, exec_lo, s2
	v_mov_b32_e32 v85, v82
	v_mov_b32_e32 v91, v82
.LBB74_279:
	s_or_b32 exec_lo, exec_lo, s1
.LBB74_280:
	s_andn2_saveexec_b32 s0, s0
	s_cbranch_execz .LBB74_282
; %bb.281:
	v_mov_b32_e32 v91, 16
	ds_write2_b64 v88, v[44:45], v[42:43] offset0:17 offset1:18
	ds_write2_b64 v88, v[38:39], v[40:41] offset0:19 offset1:20
	;; [unrolled: 1-line block ×10, first 2 shown]
	ds_write_b64 v88, v[80:81] offset:296
.LBB74_282:
	s_or_b32 exec_lo, exec_lo, s0
	s_mov_b32 s0, exec_lo
	s_waitcnt lgkmcnt(0)
	s_waitcnt_vscnt null, 0x0
	s_barrier
	buffer_gl0_inv
	v_cmpx_lt_i32_e32 16, v91
	s_cbranch_execz .LBB74_284
; %bb.283:
	v_mul_f64 v[46:47], v[0:1], v[46:47]
	ds_read2_b64 v[92:95], v88 offset0:17 offset1:18
	ds_read2_b64 v[96:99], v88 offset0:19 offset1:20
	;; [unrolled: 1-line block ×10, first 2 shown]
	ds_read_b64 v[0:1], v88 offset:296
	s_waitcnt lgkmcnt(10)
	v_fma_f64 v[44:45], -v[46:47], v[92:93], v[44:45]
	v_fma_f64 v[42:43], -v[46:47], v[94:95], v[42:43]
	s_waitcnt lgkmcnt(9)
	v_fma_f64 v[38:39], -v[46:47], v[96:97], v[38:39]
	v_fma_f64 v[40:41], -v[46:47], v[98:99], v[40:41]
	;; [unrolled: 3-line block ×10, first 2 shown]
	s_waitcnt lgkmcnt(0)
	v_fma_f64 v[80:81], -v[46:47], v[0:1], v[80:81]
.LBB74_284:
	s_or_b32 exec_lo, exec_lo, s0
	v_lshl_add_u32 v0, v91, 3, v88
	s_barrier
	buffer_gl0_inv
	v_mov_b32_e32 v82, 17
	ds_write_b64 v0, v[44:45]
	s_waitcnt lgkmcnt(0)
	s_barrier
	buffer_gl0_inv
	ds_read_b64 v[0:1], v88 offset:136
	s_cmp_lt_i32 s7, 19
	s_cbranch_scc1 .LBB74_287
; %bb.285:
	v_add3_u32 v83, v89, 0, 0x90
	v_mov_b32_e32 v82, 17
	s_mov_b32 s0, 18
.LBB74_286:                             ; =>This Inner Loop Header: Depth=1
	ds_read_b64 v[92:93], v83
	v_add_nc_u32_e32 v83, 8, v83
	s_waitcnt lgkmcnt(0)
	v_cmp_lt_f64_e64 vcc_lo, |v[0:1]|, |v[92:93]|
	v_cndmask_b32_e32 v1, v1, v93, vcc_lo
	v_cndmask_b32_e32 v0, v0, v92, vcc_lo
	v_cndmask_b32_e64 v82, v82, s0, vcc_lo
	s_add_i32 s0, s0, 1
	s_cmp_lg_u32 s7, s0
	s_cbranch_scc1 .LBB74_286
.LBB74_287:
	s_mov_b32 s0, exec_lo
	s_waitcnt lgkmcnt(0)
	v_cmpx_eq_f64_e32 0, v[0:1]
	s_xor_b32 s0, exec_lo, s0
; %bb.288:
	v_cmp_ne_u32_e32 vcc_lo, 0, v90
	v_cndmask_b32_e32 v90, 18, v90, vcc_lo
; %bb.289:
	s_andn2_saveexec_b32 s0, s0
	s_cbranch_execz .LBB74_291
; %bb.290:
	v_div_scale_f64 v[83:84], null, v[0:1], v[0:1], 1.0
	v_rcp_f64_e32 v[92:93], v[83:84]
	v_fma_f64 v[94:95], -v[83:84], v[92:93], 1.0
	v_fma_f64 v[92:93], v[92:93], v[94:95], v[92:93]
	v_fma_f64 v[94:95], -v[83:84], v[92:93], 1.0
	v_fma_f64 v[92:93], v[92:93], v[94:95], v[92:93]
	v_div_scale_f64 v[94:95], vcc_lo, 1.0, v[0:1], 1.0
	v_mul_f64 v[96:97], v[94:95], v[92:93]
	v_fma_f64 v[83:84], -v[83:84], v[96:97], v[94:95]
	v_div_fmas_f64 v[83:84], v[83:84], v[92:93], v[96:97]
	v_div_fixup_f64 v[0:1], v[83:84], v[0:1], 1.0
.LBB74_291:
	s_or_b32 exec_lo, exec_lo, s0
	s_mov_b32 s0, exec_lo
	v_cmpx_ne_u32_e64 v91, v82
	s_xor_b32 s0, exec_lo, s0
	s_cbranch_execz .LBB74_297
; %bb.292:
	s_mov_b32 s1, exec_lo
	v_cmpx_eq_u32_e32 17, v91
	s_cbranch_execz .LBB74_296
; %bb.293:
	v_cmp_ne_u32_e32 vcc_lo, 17, v82
	s_xor_b32 s2, s6, -1
	s_and_b32 s3, s2, vcc_lo
	s_and_saveexec_b32 s2, s3
	s_cbranch_execz .LBB74_295
; %bb.294:
	v_ashrrev_i32_e32 v83, 31, v82
	v_lshlrev_b64 v[83:84], 2, v[82:83]
	v_add_co_u32 v83, vcc_lo, v4, v83
	v_add_co_ci_u32_e64 v84, null, v5, v84, vcc_lo
	s_clause 0x1
	global_load_dword v85, v[83:84], off
	global_load_dword v91, v[4:5], off offset:68
	s_waitcnt vmcnt(1)
	global_store_dword v[4:5], v85, off offset:68
	s_waitcnt vmcnt(0)
	global_store_dword v[83:84], v91, off
.LBB74_295:
	s_or_b32 exec_lo, exec_lo, s2
	v_mov_b32_e32 v85, v82
	v_mov_b32_e32 v91, v82
.LBB74_296:
	s_or_b32 exec_lo, exec_lo, s1
.LBB74_297:
	s_andn2_saveexec_b32 s0, s0
	s_cbranch_execz .LBB74_299
; %bb.298:
	v_mov_b32_e32 v82, v42
	v_mov_b32_e32 v83, v43
	;; [unrolled: 1-line block ×8, first 2 shown]
	ds_write2_b64 v88, v[82:83], v[91:92] offset0:18 offset1:19
	v_mov_b32_e32 v82, v34
	v_mov_b32_e32 v83, v35
	;; [unrolled: 1-line block ×16, first 2 shown]
	ds_write2_b64 v88, v[93:94], v[82:83] offset0:20 offset1:21
	ds_write2_b64 v88, v[91:92], v[95:96] offset0:22 offset1:23
	;; [unrolled: 1-line block ×5, first 2 shown]
	v_mov_b32_e32 v82, v20
	v_mov_b32_e32 v83, v21
	;; [unrolled: 1-line block ×15, first 2 shown]
	ds_write2_b64 v88, v[82:83], v[92:93] offset0:30 offset1:31
	ds_write2_b64 v88, v[94:95], v[96:97] offset0:32 offset1:33
	;; [unrolled: 1-line block ×4, first 2 shown]
.LBB74_299:
	s_or_b32 exec_lo, exec_lo, s0
	s_mov_b32 s0, exec_lo
	s_waitcnt lgkmcnt(0)
	s_waitcnt_vscnt null, 0x0
	s_barrier
	buffer_gl0_inv
	v_cmpx_lt_i32_e32 17, v91
	s_cbranch_execz .LBB74_301
; %bb.300:
	v_mul_f64 v[44:45], v[0:1], v[44:45]
	ds_read2_b64 v[92:95], v88 offset0:18 offset1:19
	ds_read2_b64 v[96:99], v88 offset0:20 offset1:21
	;; [unrolled: 1-line block ×10, first 2 shown]
	s_waitcnt lgkmcnt(9)
	v_fma_f64 v[42:43], -v[44:45], v[92:93], v[42:43]
	v_fma_f64 v[38:39], -v[44:45], v[94:95], v[38:39]
	s_waitcnt lgkmcnt(8)
	v_fma_f64 v[40:41], -v[44:45], v[96:97], v[40:41]
	v_fma_f64 v[34:35], -v[44:45], v[98:99], v[34:35]
	;; [unrolled: 3-line block ×10, first 2 shown]
.LBB74_301:
	s_or_b32 exec_lo, exec_lo, s0
	v_lshl_add_u32 v0, v91, 3, v88
	s_barrier
	buffer_gl0_inv
	v_mov_b32_e32 v82, 18
	ds_write_b64 v0, v[42:43]
	s_waitcnt lgkmcnt(0)
	s_barrier
	buffer_gl0_inv
	ds_read_b64 v[0:1], v88 offset:144
	s_cmp_lt_i32 s7, 20
	s_cbranch_scc1 .LBB74_304
; %bb.302:
	v_add3_u32 v83, v89, 0, 0x98
	v_mov_b32_e32 v82, 18
	s_mov_b32 s0, 19
.LBB74_303:                             ; =>This Inner Loop Header: Depth=1
	ds_read_b64 v[92:93], v83
	v_add_nc_u32_e32 v83, 8, v83
	s_waitcnt lgkmcnt(0)
	v_cmp_lt_f64_e64 vcc_lo, |v[0:1]|, |v[92:93]|
	v_cndmask_b32_e32 v1, v1, v93, vcc_lo
	v_cndmask_b32_e32 v0, v0, v92, vcc_lo
	v_cndmask_b32_e64 v82, v82, s0, vcc_lo
	s_add_i32 s0, s0, 1
	s_cmp_lg_u32 s7, s0
	s_cbranch_scc1 .LBB74_303
.LBB74_304:
	s_mov_b32 s0, exec_lo
	s_waitcnt lgkmcnt(0)
	v_cmpx_eq_f64_e32 0, v[0:1]
	s_xor_b32 s0, exec_lo, s0
; %bb.305:
	v_cmp_ne_u32_e32 vcc_lo, 0, v90
	v_cndmask_b32_e32 v90, 19, v90, vcc_lo
; %bb.306:
	s_andn2_saveexec_b32 s0, s0
	s_cbranch_execz .LBB74_308
; %bb.307:
	v_div_scale_f64 v[83:84], null, v[0:1], v[0:1], 1.0
	v_rcp_f64_e32 v[92:93], v[83:84]
	v_fma_f64 v[94:95], -v[83:84], v[92:93], 1.0
	v_fma_f64 v[92:93], v[92:93], v[94:95], v[92:93]
	v_fma_f64 v[94:95], -v[83:84], v[92:93], 1.0
	v_fma_f64 v[92:93], v[92:93], v[94:95], v[92:93]
	v_div_scale_f64 v[94:95], vcc_lo, 1.0, v[0:1], 1.0
	v_mul_f64 v[96:97], v[94:95], v[92:93]
	v_fma_f64 v[83:84], -v[83:84], v[96:97], v[94:95]
	v_div_fmas_f64 v[83:84], v[83:84], v[92:93], v[96:97]
	v_div_fixup_f64 v[0:1], v[83:84], v[0:1], 1.0
.LBB74_308:
	s_or_b32 exec_lo, exec_lo, s0
	s_mov_b32 s0, exec_lo
	v_cmpx_ne_u32_e64 v91, v82
	s_xor_b32 s0, exec_lo, s0
	s_cbranch_execz .LBB74_314
; %bb.309:
	s_mov_b32 s1, exec_lo
	v_cmpx_eq_u32_e32 18, v91
	s_cbranch_execz .LBB74_313
; %bb.310:
	v_cmp_ne_u32_e32 vcc_lo, 18, v82
	s_xor_b32 s2, s6, -1
	s_and_b32 s3, s2, vcc_lo
	s_and_saveexec_b32 s2, s3
	s_cbranch_execz .LBB74_312
; %bb.311:
	v_ashrrev_i32_e32 v83, 31, v82
	v_lshlrev_b64 v[83:84], 2, v[82:83]
	v_add_co_u32 v83, vcc_lo, v4, v83
	v_add_co_ci_u32_e64 v84, null, v5, v84, vcc_lo
	s_clause 0x1
	global_load_dword v85, v[83:84], off
	global_load_dword v91, v[4:5], off offset:72
	s_waitcnt vmcnt(1)
	global_store_dword v[4:5], v85, off offset:72
	s_waitcnt vmcnt(0)
	global_store_dword v[83:84], v91, off
.LBB74_312:
	s_or_b32 exec_lo, exec_lo, s2
	v_mov_b32_e32 v85, v82
	v_mov_b32_e32 v91, v82
.LBB74_313:
	s_or_b32 exec_lo, exec_lo, s1
.LBB74_314:
	s_andn2_saveexec_b32 s0, s0
	s_cbranch_execz .LBB74_316
; %bb.315:
	v_mov_b32_e32 v91, 18
	ds_write2_b64 v88, v[38:39], v[40:41] offset0:19 offset1:20
	ds_write2_b64 v88, v[34:35], v[36:37] offset0:21 offset1:22
	;; [unrolled: 1-line block ×9, first 2 shown]
	ds_write_b64 v88, v[80:81] offset:296
.LBB74_316:
	s_or_b32 exec_lo, exec_lo, s0
	s_mov_b32 s0, exec_lo
	s_waitcnt lgkmcnt(0)
	s_waitcnt_vscnt null, 0x0
	s_barrier
	buffer_gl0_inv
	v_cmpx_lt_i32_e32 18, v91
	s_cbranch_execz .LBB74_318
; %bb.317:
	v_mul_f64 v[42:43], v[0:1], v[42:43]
	ds_read2_b64 v[92:95], v88 offset0:19 offset1:20
	ds_read2_b64 v[96:99], v88 offset0:21 offset1:22
	;; [unrolled: 1-line block ×9, first 2 shown]
	ds_read_b64 v[0:1], v88 offset:296
	s_waitcnt lgkmcnt(9)
	v_fma_f64 v[38:39], -v[42:43], v[92:93], v[38:39]
	v_fma_f64 v[40:41], -v[42:43], v[94:95], v[40:41]
	s_waitcnt lgkmcnt(8)
	v_fma_f64 v[34:35], -v[42:43], v[96:97], v[34:35]
	v_fma_f64 v[36:37], -v[42:43], v[98:99], v[36:37]
	;; [unrolled: 3-line block ×9, first 2 shown]
	s_waitcnt lgkmcnt(0)
	v_fma_f64 v[80:81], -v[42:43], v[0:1], v[80:81]
.LBB74_318:
	s_or_b32 exec_lo, exec_lo, s0
	v_lshl_add_u32 v0, v91, 3, v88
	s_barrier
	buffer_gl0_inv
	v_mov_b32_e32 v82, 19
	ds_write_b64 v0, v[38:39]
	s_waitcnt lgkmcnt(0)
	s_barrier
	buffer_gl0_inv
	ds_read_b64 v[0:1], v88 offset:152
	s_cmp_lt_i32 s7, 21
	s_cbranch_scc1 .LBB74_321
; %bb.319:
	v_add3_u32 v83, v89, 0, 0xa0
	v_mov_b32_e32 v82, 19
	s_mov_b32 s0, 20
.LBB74_320:                             ; =>This Inner Loop Header: Depth=1
	ds_read_b64 v[92:93], v83
	v_add_nc_u32_e32 v83, 8, v83
	s_waitcnt lgkmcnt(0)
	v_cmp_lt_f64_e64 vcc_lo, |v[0:1]|, |v[92:93]|
	v_cndmask_b32_e32 v1, v1, v93, vcc_lo
	v_cndmask_b32_e32 v0, v0, v92, vcc_lo
	v_cndmask_b32_e64 v82, v82, s0, vcc_lo
	s_add_i32 s0, s0, 1
	s_cmp_lg_u32 s7, s0
	s_cbranch_scc1 .LBB74_320
.LBB74_321:
	s_mov_b32 s0, exec_lo
	s_waitcnt lgkmcnt(0)
	v_cmpx_eq_f64_e32 0, v[0:1]
	s_xor_b32 s0, exec_lo, s0
; %bb.322:
	v_cmp_ne_u32_e32 vcc_lo, 0, v90
	v_cndmask_b32_e32 v90, 20, v90, vcc_lo
; %bb.323:
	s_andn2_saveexec_b32 s0, s0
	s_cbranch_execz .LBB74_325
; %bb.324:
	v_div_scale_f64 v[83:84], null, v[0:1], v[0:1], 1.0
	v_rcp_f64_e32 v[92:93], v[83:84]
	v_fma_f64 v[94:95], -v[83:84], v[92:93], 1.0
	v_fma_f64 v[92:93], v[92:93], v[94:95], v[92:93]
	v_fma_f64 v[94:95], -v[83:84], v[92:93], 1.0
	v_fma_f64 v[92:93], v[92:93], v[94:95], v[92:93]
	v_div_scale_f64 v[94:95], vcc_lo, 1.0, v[0:1], 1.0
	v_mul_f64 v[96:97], v[94:95], v[92:93]
	v_fma_f64 v[83:84], -v[83:84], v[96:97], v[94:95]
	v_div_fmas_f64 v[83:84], v[83:84], v[92:93], v[96:97]
	v_div_fixup_f64 v[0:1], v[83:84], v[0:1], 1.0
.LBB74_325:
	s_or_b32 exec_lo, exec_lo, s0
	s_mov_b32 s0, exec_lo
	v_cmpx_ne_u32_e64 v91, v82
	s_xor_b32 s0, exec_lo, s0
	s_cbranch_execz .LBB74_331
; %bb.326:
	s_mov_b32 s1, exec_lo
	v_cmpx_eq_u32_e32 19, v91
	s_cbranch_execz .LBB74_330
; %bb.327:
	v_cmp_ne_u32_e32 vcc_lo, 19, v82
	s_xor_b32 s2, s6, -1
	s_and_b32 s3, s2, vcc_lo
	s_and_saveexec_b32 s2, s3
	s_cbranch_execz .LBB74_329
; %bb.328:
	v_ashrrev_i32_e32 v83, 31, v82
	v_lshlrev_b64 v[83:84], 2, v[82:83]
	v_add_co_u32 v83, vcc_lo, v4, v83
	v_add_co_ci_u32_e64 v84, null, v5, v84, vcc_lo
	s_clause 0x1
	global_load_dword v85, v[83:84], off
	global_load_dword v91, v[4:5], off offset:76
	s_waitcnt vmcnt(1)
	global_store_dword v[4:5], v85, off offset:76
	s_waitcnt vmcnt(0)
	global_store_dword v[83:84], v91, off
.LBB74_329:
	s_or_b32 exec_lo, exec_lo, s2
	v_mov_b32_e32 v85, v82
	v_mov_b32_e32 v91, v82
.LBB74_330:
	s_or_b32 exec_lo, exec_lo, s1
.LBB74_331:
	s_andn2_saveexec_b32 s0, s0
	s_cbranch_execz .LBB74_333
; %bb.332:
	v_mov_b32_e32 v82, v40
	v_mov_b32_e32 v83, v41
	;; [unrolled: 1-line block ×20, first 2 shown]
	ds_write2_b64 v88, v[82:83], v[91:92] offset0:20 offset1:21
	ds_write2_b64 v88, v[93:94], v[95:96] offset0:22 offset1:23
	;; [unrolled: 1-line block ×5, first 2 shown]
	v_mov_b32_e32 v82, v20
	v_mov_b32_e32 v83, v21
	;; [unrolled: 1-line block ×15, first 2 shown]
	ds_write2_b64 v88, v[82:83], v[92:93] offset0:30 offset1:31
	ds_write2_b64 v88, v[94:95], v[96:97] offset0:32 offset1:33
	;; [unrolled: 1-line block ×4, first 2 shown]
.LBB74_333:
	s_or_b32 exec_lo, exec_lo, s0
	s_mov_b32 s0, exec_lo
	s_waitcnt lgkmcnt(0)
	s_waitcnt_vscnt null, 0x0
	s_barrier
	buffer_gl0_inv
	v_cmpx_lt_i32_e32 19, v91
	s_cbranch_execz .LBB74_335
; %bb.334:
	v_mul_f64 v[38:39], v[0:1], v[38:39]
	ds_read2_b64 v[92:95], v88 offset0:20 offset1:21
	ds_read2_b64 v[96:99], v88 offset0:22 offset1:23
	;; [unrolled: 1-line block ×9, first 2 shown]
	s_waitcnt lgkmcnt(8)
	v_fma_f64 v[40:41], -v[38:39], v[92:93], v[40:41]
	v_fma_f64 v[34:35], -v[38:39], v[94:95], v[34:35]
	s_waitcnt lgkmcnt(7)
	v_fma_f64 v[36:37], -v[38:39], v[96:97], v[36:37]
	v_fma_f64 v[32:33], -v[38:39], v[98:99], v[32:33]
	;; [unrolled: 3-line block ×9, first 2 shown]
.LBB74_335:
	s_or_b32 exec_lo, exec_lo, s0
	v_lshl_add_u32 v0, v91, 3, v88
	s_barrier
	buffer_gl0_inv
	v_mov_b32_e32 v82, 20
	ds_write_b64 v0, v[40:41]
	s_waitcnt lgkmcnt(0)
	s_barrier
	buffer_gl0_inv
	ds_read_b64 v[0:1], v88 offset:160
	s_cmp_lt_i32 s7, 22
	s_cbranch_scc1 .LBB74_338
; %bb.336:
	v_add3_u32 v83, v89, 0, 0xa8
	v_mov_b32_e32 v82, 20
	s_mov_b32 s0, 21
.LBB74_337:                             ; =>This Inner Loop Header: Depth=1
	ds_read_b64 v[92:93], v83
	v_add_nc_u32_e32 v83, 8, v83
	s_waitcnt lgkmcnt(0)
	v_cmp_lt_f64_e64 vcc_lo, |v[0:1]|, |v[92:93]|
	v_cndmask_b32_e32 v1, v1, v93, vcc_lo
	v_cndmask_b32_e32 v0, v0, v92, vcc_lo
	v_cndmask_b32_e64 v82, v82, s0, vcc_lo
	s_add_i32 s0, s0, 1
	s_cmp_lg_u32 s7, s0
	s_cbranch_scc1 .LBB74_337
.LBB74_338:
	s_mov_b32 s0, exec_lo
	s_waitcnt lgkmcnt(0)
	v_cmpx_eq_f64_e32 0, v[0:1]
	s_xor_b32 s0, exec_lo, s0
; %bb.339:
	v_cmp_ne_u32_e32 vcc_lo, 0, v90
	v_cndmask_b32_e32 v90, 21, v90, vcc_lo
; %bb.340:
	s_andn2_saveexec_b32 s0, s0
	s_cbranch_execz .LBB74_342
; %bb.341:
	v_div_scale_f64 v[83:84], null, v[0:1], v[0:1], 1.0
	v_rcp_f64_e32 v[92:93], v[83:84]
	v_fma_f64 v[94:95], -v[83:84], v[92:93], 1.0
	v_fma_f64 v[92:93], v[92:93], v[94:95], v[92:93]
	v_fma_f64 v[94:95], -v[83:84], v[92:93], 1.0
	v_fma_f64 v[92:93], v[92:93], v[94:95], v[92:93]
	v_div_scale_f64 v[94:95], vcc_lo, 1.0, v[0:1], 1.0
	v_mul_f64 v[96:97], v[94:95], v[92:93]
	v_fma_f64 v[83:84], -v[83:84], v[96:97], v[94:95]
	v_div_fmas_f64 v[83:84], v[83:84], v[92:93], v[96:97]
	v_div_fixup_f64 v[0:1], v[83:84], v[0:1], 1.0
.LBB74_342:
	s_or_b32 exec_lo, exec_lo, s0
	s_mov_b32 s0, exec_lo
	v_cmpx_ne_u32_e64 v91, v82
	s_xor_b32 s0, exec_lo, s0
	s_cbranch_execz .LBB74_348
; %bb.343:
	s_mov_b32 s1, exec_lo
	v_cmpx_eq_u32_e32 20, v91
	s_cbranch_execz .LBB74_347
; %bb.344:
	v_cmp_ne_u32_e32 vcc_lo, 20, v82
	s_xor_b32 s2, s6, -1
	s_and_b32 s3, s2, vcc_lo
	s_and_saveexec_b32 s2, s3
	s_cbranch_execz .LBB74_346
; %bb.345:
	v_ashrrev_i32_e32 v83, 31, v82
	v_lshlrev_b64 v[83:84], 2, v[82:83]
	v_add_co_u32 v83, vcc_lo, v4, v83
	v_add_co_ci_u32_e64 v84, null, v5, v84, vcc_lo
	s_clause 0x1
	global_load_dword v85, v[83:84], off
	global_load_dword v91, v[4:5], off offset:80
	s_waitcnt vmcnt(1)
	global_store_dword v[4:5], v85, off offset:80
	s_waitcnt vmcnt(0)
	global_store_dword v[83:84], v91, off
.LBB74_346:
	s_or_b32 exec_lo, exec_lo, s2
	v_mov_b32_e32 v85, v82
	v_mov_b32_e32 v91, v82
.LBB74_347:
	s_or_b32 exec_lo, exec_lo, s1
.LBB74_348:
	s_andn2_saveexec_b32 s0, s0
	s_cbranch_execz .LBB74_350
; %bb.349:
	v_mov_b32_e32 v91, 20
	ds_write2_b64 v88, v[34:35], v[36:37] offset0:21 offset1:22
	ds_write2_b64 v88, v[32:33], v[30:31] offset0:23 offset1:24
	;; [unrolled: 1-line block ×8, first 2 shown]
	ds_write_b64 v88, v[80:81] offset:296
.LBB74_350:
	s_or_b32 exec_lo, exec_lo, s0
	s_mov_b32 s0, exec_lo
	s_waitcnt lgkmcnt(0)
	s_waitcnt_vscnt null, 0x0
	s_barrier
	buffer_gl0_inv
	v_cmpx_lt_i32_e32 20, v91
	s_cbranch_execz .LBB74_352
; %bb.351:
	v_mul_f64 v[40:41], v[0:1], v[40:41]
	ds_read2_b64 v[92:95], v88 offset0:21 offset1:22
	ds_read2_b64 v[96:99], v88 offset0:23 offset1:24
	;; [unrolled: 1-line block ×8, first 2 shown]
	ds_read_b64 v[0:1], v88 offset:296
	s_waitcnt lgkmcnt(8)
	v_fma_f64 v[34:35], -v[40:41], v[92:93], v[34:35]
	v_fma_f64 v[36:37], -v[40:41], v[94:95], v[36:37]
	s_waitcnt lgkmcnt(7)
	v_fma_f64 v[32:33], -v[40:41], v[96:97], v[32:33]
	v_fma_f64 v[30:31], -v[40:41], v[98:99], v[30:31]
	;; [unrolled: 3-line block ×8, first 2 shown]
	s_waitcnt lgkmcnt(0)
	v_fma_f64 v[80:81], -v[40:41], v[0:1], v[80:81]
.LBB74_352:
	s_or_b32 exec_lo, exec_lo, s0
	v_lshl_add_u32 v0, v91, 3, v88
	s_barrier
	buffer_gl0_inv
	v_mov_b32_e32 v82, 21
	ds_write_b64 v0, v[34:35]
	s_waitcnt lgkmcnt(0)
	s_barrier
	buffer_gl0_inv
	ds_read_b64 v[0:1], v88 offset:168
	s_cmp_lt_i32 s7, 23
	s_cbranch_scc1 .LBB74_355
; %bb.353:
	v_add3_u32 v83, v89, 0, 0xb0
	v_mov_b32_e32 v82, 21
	s_mov_b32 s0, 22
.LBB74_354:                             ; =>This Inner Loop Header: Depth=1
	ds_read_b64 v[92:93], v83
	v_add_nc_u32_e32 v83, 8, v83
	s_waitcnt lgkmcnt(0)
	v_cmp_lt_f64_e64 vcc_lo, |v[0:1]|, |v[92:93]|
	v_cndmask_b32_e32 v1, v1, v93, vcc_lo
	v_cndmask_b32_e32 v0, v0, v92, vcc_lo
	v_cndmask_b32_e64 v82, v82, s0, vcc_lo
	s_add_i32 s0, s0, 1
	s_cmp_lg_u32 s7, s0
	s_cbranch_scc1 .LBB74_354
.LBB74_355:
	s_mov_b32 s0, exec_lo
	s_waitcnt lgkmcnt(0)
	v_cmpx_eq_f64_e32 0, v[0:1]
	s_xor_b32 s0, exec_lo, s0
; %bb.356:
	v_cmp_ne_u32_e32 vcc_lo, 0, v90
	v_cndmask_b32_e32 v90, 22, v90, vcc_lo
; %bb.357:
	s_andn2_saveexec_b32 s0, s0
	s_cbranch_execz .LBB74_359
; %bb.358:
	v_div_scale_f64 v[83:84], null, v[0:1], v[0:1], 1.0
	v_rcp_f64_e32 v[92:93], v[83:84]
	v_fma_f64 v[94:95], -v[83:84], v[92:93], 1.0
	v_fma_f64 v[92:93], v[92:93], v[94:95], v[92:93]
	v_fma_f64 v[94:95], -v[83:84], v[92:93], 1.0
	v_fma_f64 v[92:93], v[92:93], v[94:95], v[92:93]
	v_div_scale_f64 v[94:95], vcc_lo, 1.0, v[0:1], 1.0
	v_mul_f64 v[96:97], v[94:95], v[92:93]
	v_fma_f64 v[83:84], -v[83:84], v[96:97], v[94:95]
	v_div_fmas_f64 v[83:84], v[83:84], v[92:93], v[96:97]
	v_div_fixup_f64 v[0:1], v[83:84], v[0:1], 1.0
.LBB74_359:
	s_or_b32 exec_lo, exec_lo, s0
	s_mov_b32 s0, exec_lo
	v_cmpx_ne_u32_e64 v91, v82
	s_xor_b32 s0, exec_lo, s0
	s_cbranch_execz .LBB74_365
; %bb.360:
	s_mov_b32 s1, exec_lo
	v_cmpx_eq_u32_e32 21, v91
	s_cbranch_execz .LBB74_364
; %bb.361:
	v_cmp_ne_u32_e32 vcc_lo, 21, v82
	s_xor_b32 s2, s6, -1
	s_and_b32 s3, s2, vcc_lo
	s_and_saveexec_b32 s2, s3
	s_cbranch_execz .LBB74_363
; %bb.362:
	v_ashrrev_i32_e32 v83, 31, v82
	v_lshlrev_b64 v[83:84], 2, v[82:83]
	v_add_co_u32 v83, vcc_lo, v4, v83
	v_add_co_ci_u32_e64 v84, null, v5, v84, vcc_lo
	s_clause 0x1
	global_load_dword v85, v[83:84], off
	global_load_dword v91, v[4:5], off offset:84
	s_waitcnt vmcnt(1)
	global_store_dword v[4:5], v85, off offset:84
	s_waitcnt vmcnt(0)
	global_store_dword v[83:84], v91, off
.LBB74_363:
	s_or_b32 exec_lo, exec_lo, s2
	v_mov_b32_e32 v85, v82
	v_mov_b32_e32 v91, v82
.LBB74_364:
	s_or_b32 exec_lo, exec_lo, s1
.LBB74_365:
	s_andn2_saveexec_b32 s0, s0
	s_cbranch_execz .LBB74_367
; %bb.366:
	v_mov_b32_e32 v82, v36
	v_mov_b32_e32 v83, v37
	;; [unrolled: 1-line block ×16, first 2 shown]
	ds_write2_b64 v88, v[82:83], v[91:92] offset0:22 offset1:23
	ds_write2_b64 v88, v[93:94], v[95:96] offset0:24 offset1:25
	;; [unrolled: 1-line block ×4, first 2 shown]
	v_mov_b32_e32 v82, v20
	v_mov_b32_e32 v83, v21
	v_mov_b32_e32 v92, v16
	v_mov_b32_e32 v93, v17
	v_mov_b32_e32 v91, 21
	v_mov_b32_e32 v94, v14
	v_mov_b32_e32 v95, v15
	v_mov_b32_e32 v96, v8
	v_mov_b32_e32 v97, v9
	v_mov_b32_e32 v98, v12
	v_mov_b32_e32 v99, v13
	v_mov_b32_e32 v100, v6
	v_mov_b32_e32 v101, v7
	v_mov_b32_e32 v102, v10
	v_mov_b32_e32 v103, v11
	ds_write2_b64 v88, v[82:83], v[92:93] offset0:30 offset1:31
	ds_write2_b64 v88, v[94:95], v[96:97] offset0:32 offset1:33
	;; [unrolled: 1-line block ×4, first 2 shown]
.LBB74_367:
	s_or_b32 exec_lo, exec_lo, s0
	s_mov_b32 s0, exec_lo
	s_waitcnt lgkmcnt(0)
	s_waitcnt_vscnt null, 0x0
	s_barrier
	buffer_gl0_inv
	v_cmpx_lt_i32_e32 21, v91
	s_cbranch_execz .LBB74_369
; %bb.368:
	v_mul_f64 v[34:35], v[0:1], v[34:35]
	ds_read2_b64 v[92:95], v88 offset0:22 offset1:23
	ds_read2_b64 v[96:99], v88 offset0:24 offset1:25
	ds_read2_b64 v[100:103], v88 offset0:26 offset1:27
	ds_read2_b64 v[104:107], v88 offset0:28 offset1:29
	ds_read2_b64 v[108:111], v88 offset0:30 offset1:31
	ds_read2_b64 v[112:115], v88 offset0:32 offset1:33
	ds_read2_b64 v[116:119], v88 offset0:34 offset1:35
	ds_read2_b64 v[120:123], v88 offset0:36 offset1:37
	s_waitcnt lgkmcnt(7)
	v_fma_f64 v[36:37], -v[34:35], v[92:93], v[36:37]
	v_fma_f64 v[32:33], -v[34:35], v[94:95], v[32:33]
	s_waitcnt lgkmcnt(6)
	v_fma_f64 v[30:31], -v[34:35], v[96:97], v[30:31]
	v_fma_f64 v[28:29], -v[34:35], v[98:99], v[28:29]
	;; [unrolled: 3-line block ×8, first 2 shown]
.LBB74_369:
	s_or_b32 exec_lo, exec_lo, s0
	v_lshl_add_u32 v0, v91, 3, v88
	s_barrier
	buffer_gl0_inv
	v_mov_b32_e32 v82, 22
	ds_write_b64 v0, v[36:37]
	s_waitcnt lgkmcnt(0)
	s_barrier
	buffer_gl0_inv
	ds_read_b64 v[0:1], v88 offset:176
	s_cmp_lt_i32 s7, 24
	s_cbranch_scc1 .LBB74_372
; %bb.370:
	v_add3_u32 v83, v89, 0, 0xb8
	v_mov_b32_e32 v82, 22
	s_mov_b32 s0, 23
.LBB74_371:                             ; =>This Inner Loop Header: Depth=1
	ds_read_b64 v[92:93], v83
	v_add_nc_u32_e32 v83, 8, v83
	s_waitcnt lgkmcnt(0)
	v_cmp_lt_f64_e64 vcc_lo, |v[0:1]|, |v[92:93]|
	v_cndmask_b32_e32 v1, v1, v93, vcc_lo
	v_cndmask_b32_e32 v0, v0, v92, vcc_lo
	v_cndmask_b32_e64 v82, v82, s0, vcc_lo
	s_add_i32 s0, s0, 1
	s_cmp_lg_u32 s7, s0
	s_cbranch_scc1 .LBB74_371
.LBB74_372:
	s_mov_b32 s0, exec_lo
	s_waitcnt lgkmcnt(0)
	v_cmpx_eq_f64_e32 0, v[0:1]
	s_xor_b32 s0, exec_lo, s0
; %bb.373:
	v_cmp_ne_u32_e32 vcc_lo, 0, v90
	v_cndmask_b32_e32 v90, 23, v90, vcc_lo
; %bb.374:
	s_andn2_saveexec_b32 s0, s0
	s_cbranch_execz .LBB74_376
; %bb.375:
	v_div_scale_f64 v[83:84], null, v[0:1], v[0:1], 1.0
	v_rcp_f64_e32 v[92:93], v[83:84]
	v_fma_f64 v[94:95], -v[83:84], v[92:93], 1.0
	v_fma_f64 v[92:93], v[92:93], v[94:95], v[92:93]
	v_fma_f64 v[94:95], -v[83:84], v[92:93], 1.0
	v_fma_f64 v[92:93], v[92:93], v[94:95], v[92:93]
	v_div_scale_f64 v[94:95], vcc_lo, 1.0, v[0:1], 1.0
	v_mul_f64 v[96:97], v[94:95], v[92:93]
	v_fma_f64 v[83:84], -v[83:84], v[96:97], v[94:95]
	v_div_fmas_f64 v[83:84], v[83:84], v[92:93], v[96:97]
	v_div_fixup_f64 v[0:1], v[83:84], v[0:1], 1.0
.LBB74_376:
	s_or_b32 exec_lo, exec_lo, s0
	s_mov_b32 s0, exec_lo
	v_cmpx_ne_u32_e64 v91, v82
	s_xor_b32 s0, exec_lo, s0
	s_cbranch_execz .LBB74_382
; %bb.377:
	s_mov_b32 s1, exec_lo
	v_cmpx_eq_u32_e32 22, v91
	s_cbranch_execz .LBB74_381
; %bb.378:
	v_cmp_ne_u32_e32 vcc_lo, 22, v82
	s_xor_b32 s2, s6, -1
	s_and_b32 s3, s2, vcc_lo
	s_and_saveexec_b32 s2, s3
	s_cbranch_execz .LBB74_380
; %bb.379:
	v_ashrrev_i32_e32 v83, 31, v82
	v_lshlrev_b64 v[83:84], 2, v[82:83]
	v_add_co_u32 v83, vcc_lo, v4, v83
	v_add_co_ci_u32_e64 v84, null, v5, v84, vcc_lo
	s_clause 0x1
	global_load_dword v85, v[83:84], off
	global_load_dword v91, v[4:5], off offset:88
	s_waitcnt vmcnt(1)
	global_store_dword v[4:5], v85, off offset:88
	s_waitcnt vmcnt(0)
	global_store_dword v[83:84], v91, off
.LBB74_380:
	s_or_b32 exec_lo, exec_lo, s2
	v_mov_b32_e32 v85, v82
	v_mov_b32_e32 v91, v82
.LBB74_381:
	s_or_b32 exec_lo, exec_lo, s1
.LBB74_382:
	s_andn2_saveexec_b32 s0, s0
	s_cbranch_execz .LBB74_384
; %bb.383:
	v_mov_b32_e32 v91, 22
	ds_write2_b64 v88, v[32:33], v[30:31] offset0:23 offset1:24
	ds_write2_b64 v88, v[28:29], v[26:27] offset0:25 offset1:26
	;; [unrolled: 1-line block ×7, first 2 shown]
	ds_write_b64 v88, v[80:81] offset:296
.LBB74_384:
	s_or_b32 exec_lo, exec_lo, s0
	s_mov_b32 s0, exec_lo
	s_waitcnt lgkmcnt(0)
	s_waitcnt_vscnt null, 0x0
	s_barrier
	buffer_gl0_inv
	v_cmpx_lt_i32_e32 22, v91
	s_cbranch_execz .LBB74_386
; %bb.385:
	v_mul_f64 v[36:37], v[0:1], v[36:37]
	ds_read2_b64 v[92:95], v88 offset0:23 offset1:24
	ds_read2_b64 v[96:99], v88 offset0:25 offset1:26
	;; [unrolled: 1-line block ×7, first 2 shown]
	ds_read_b64 v[0:1], v88 offset:296
	s_waitcnt lgkmcnt(7)
	v_fma_f64 v[32:33], -v[36:37], v[92:93], v[32:33]
	v_fma_f64 v[30:31], -v[36:37], v[94:95], v[30:31]
	s_waitcnt lgkmcnt(6)
	v_fma_f64 v[28:29], -v[36:37], v[96:97], v[28:29]
	v_fma_f64 v[26:27], -v[36:37], v[98:99], v[26:27]
	;; [unrolled: 3-line block ×7, first 2 shown]
	s_waitcnt lgkmcnt(0)
	v_fma_f64 v[80:81], -v[36:37], v[0:1], v[80:81]
.LBB74_386:
	s_or_b32 exec_lo, exec_lo, s0
	v_lshl_add_u32 v0, v91, 3, v88
	s_barrier
	buffer_gl0_inv
	v_mov_b32_e32 v82, 23
	ds_write_b64 v0, v[32:33]
	s_waitcnt lgkmcnt(0)
	s_barrier
	buffer_gl0_inv
	ds_read_b64 v[0:1], v88 offset:184
	s_cmp_lt_i32 s7, 25
	s_cbranch_scc1 .LBB74_389
; %bb.387:
	v_add3_u32 v83, v89, 0, 0xc0
	v_mov_b32_e32 v82, 23
	s_mov_b32 s0, 24
.LBB74_388:                             ; =>This Inner Loop Header: Depth=1
	ds_read_b64 v[92:93], v83
	v_add_nc_u32_e32 v83, 8, v83
	s_waitcnt lgkmcnt(0)
	v_cmp_lt_f64_e64 vcc_lo, |v[0:1]|, |v[92:93]|
	v_cndmask_b32_e32 v1, v1, v93, vcc_lo
	v_cndmask_b32_e32 v0, v0, v92, vcc_lo
	v_cndmask_b32_e64 v82, v82, s0, vcc_lo
	s_add_i32 s0, s0, 1
	s_cmp_lg_u32 s7, s0
	s_cbranch_scc1 .LBB74_388
.LBB74_389:
	s_mov_b32 s0, exec_lo
	s_waitcnt lgkmcnt(0)
	v_cmpx_eq_f64_e32 0, v[0:1]
	s_xor_b32 s0, exec_lo, s0
; %bb.390:
	v_cmp_ne_u32_e32 vcc_lo, 0, v90
	v_cndmask_b32_e32 v90, 24, v90, vcc_lo
; %bb.391:
	s_andn2_saveexec_b32 s0, s0
	s_cbranch_execz .LBB74_393
; %bb.392:
	v_div_scale_f64 v[83:84], null, v[0:1], v[0:1], 1.0
	v_rcp_f64_e32 v[92:93], v[83:84]
	v_fma_f64 v[94:95], -v[83:84], v[92:93], 1.0
	v_fma_f64 v[92:93], v[92:93], v[94:95], v[92:93]
	v_fma_f64 v[94:95], -v[83:84], v[92:93], 1.0
	v_fma_f64 v[92:93], v[92:93], v[94:95], v[92:93]
	v_div_scale_f64 v[94:95], vcc_lo, 1.0, v[0:1], 1.0
	v_mul_f64 v[96:97], v[94:95], v[92:93]
	v_fma_f64 v[83:84], -v[83:84], v[96:97], v[94:95]
	v_div_fmas_f64 v[83:84], v[83:84], v[92:93], v[96:97]
	v_div_fixup_f64 v[0:1], v[83:84], v[0:1], 1.0
.LBB74_393:
	s_or_b32 exec_lo, exec_lo, s0
	s_mov_b32 s0, exec_lo
	v_cmpx_ne_u32_e64 v91, v82
	s_xor_b32 s0, exec_lo, s0
	s_cbranch_execz .LBB74_399
; %bb.394:
	s_mov_b32 s1, exec_lo
	v_cmpx_eq_u32_e32 23, v91
	s_cbranch_execz .LBB74_398
; %bb.395:
	v_cmp_ne_u32_e32 vcc_lo, 23, v82
	s_xor_b32 s2, s6, -1
	s_and_b32 s3, s2, vcc_lo
	s_and_saveexec_b32 s2, s3
	s_cbranch_execz .LBB74_397
; %bb.396:
	v_ashrrev_i32_e32 v83, 31, v82
	v_lshlrev_b64 v[83:84], 2, v[82:83]
	v_add_co_u32 v83, vcc_lo, v4, v83
	v_add_co_ci_u32_e64 v84, null, v5, v84, vcc_lo
	s_clause 0x1
	global_load_dword v85, v[83:84], off
	global_load_dword v91, v[4:5], off offset:92
	s_waitcnt vmcnt(1)
	global_store_dword v[4:5], v85, off offset:92
	s_waitcnt vmcnt(0)
	global_store_dword v[83:84], v91, off
.LBB74_397:
	s_or_b32 exec_lo, exec_lo, s2
	v_mov_b32_e32 v85, v82
	v_mov_b32_e32 v91, v82
.LBB74_398:
	s_or_b32 exec_lo, exec_lo, s1
.LBB74_399:
	s_andn2_saveexec_b32 s0, s0
	s_cbranch_execz .LBB74_401
; %bb.400:
	v_mov_b32_e32 v82, v30
	v_mov_b32_e32 v83, v31
	;; [unrolled: 1-line block ×12, first 2 shown]
	ds_write2_b64 v88, v[82:83], v[91:92] offset0:24 offset1:25
	ds_write2_b64 v88, v[93:94], v[95:96] offset0:26 offset1:27
	;; [unrolled: 1-line block ×3, first 2 shown]
	v_mov_b32_e32 v82, v20
	v_mov_b32_e32 v83, v21
	;; [unrolled: 1-line block ×15, first 2 shown]
	ds_write2_b64 v88, v[82:83], v[92:93] offset0:30 offset1:31
	ds_write2_b64 v88, v[94:95], v[96:97] offset0:32 offset1:33
	;; [unrolled: 1-line block ×4, first 2 shown]
.LBB74_401:
	s_or_b32 exec_lo, exec_lo, s0
	s_mov_b32 s0, exec_lo
	s_waitcnt lgkmcnt(0)
	s_waitcnt_vscnt null, 0x0
	s_barrier
	buffer_gl0_inv
	v_cmpx_lt_i32_e32 23, v91
	s_cbranch_execz .LBB74_403
; %bb.402:
	v_mul_f64 v[32:33], v[0:1], v[32:33]
	ds_read2_b64 v[92:95], v88 offset0:24 offset1:25
	ds_read2_b64 v[96:99], v88 offset0:26 offset1:27
	;; [unrolled: 1-line block ×7, first 2 shown]
	s_waitcnt lgkmcnt(6)
	v_fma_f64 v[30:31], -v[32:33], v[92:93], v[30:31]
	v_fma_f64 v[28:29], -v[32:33], v[94:95], v[28:29]
	s_waitcnt lgkmcnt(5)
	v_fma_f64 v[26:27], -v[32:33], v[96:97], v[26:27]
	v_fma_f64 v[24:25], -v[32:33], v[98:99], v[24:25]
	;; [unrolled: 3-line block ×7, first 2 shown]
.LBB74_403:
	s_or_b32 exec_lo, exec_lo, s0
	v_lshl_add_u32 v0, v91, 3, v88
	s_barrier
	buffer_gl0_inv
	v_mov_b32_e32 v82, 24
	ds_write_b64 v0, v[30:31]
	s_waitcnt lgkmcnt(0)
	s_barrier
	buffer_gl0_inv
	ds_read_b64 v[0:1], v88 offset:192
	s_cmp_lt_i32 s7, 26
	s_cbranch_scc1 .LBB74_406
; %bb.404:
	v_add3_u32 v83, v89, 0, 0xc8
	v_mov_b32_e32 v82, 24
	s_mov_b32 s0, 25
.LBB74_405:                             ; =>This Inner Loop Header: Depth=1
	ds_read_b64 v[92:93], v83
	v_add_nc_u32_e32 v83, 8, v83
	s_waitcnt lgkmcnt(0)
	v_cmp_lt_f64_e64 vcc_lo, |v[0:1]|, |v[92:93]|
	v_cndmask_b32_e32 v1, v1, v93, vcc_lo
	v_cndmask_b32_e32 v0, v0, v92, vcc_lo
	v_cndmask_b32_e64 v82, v82, s0, vcc_lo
	s_add_i32 s0, s0, 1
	s_cmp_lg_u32 s7, s0
	s_cbranch_scc1 .LBB74_405
.LBB74_406:
	s_mov_b32 s0, exec_lo
	s_waitcnt lgkmcnt(0)
	v_cmpx_eq_f64_e32 0, v[0:1]
	s_xor_b32 s0, exec_lo, s0
; %bb.407:
	v_cmp_ne_u32_e32 vcc_lo, 0, v90
	v_cndmask_b32_e32 v90, 25, v90, vcc_lo
; %bb.408:
	s_andn2_saveexec_b32 s0, s0
	s_cbranch_execz .LBB74_410
; %bb.409:
	v_div_scale_f64 v[83:84], null, v[0:1], v[0:1], 1.0
	v_rcp_f64_e32 v[92:93], v[83:84]
	v_fma_f64 v[94:95], -v[83:84], v[92:93], 1.0
	v_fma_f64 v[92:93], v[92:93], v[94:95], v[92:93]
	v_fma_f64 v[94:95], -v[83:84], v[92:93], 1.0
	v_fma_f64 v[92:93], v[92:93], v[94:95], v[92:93]
	v_div_scale_f64 v[94:95], vcc_lo, 1.0, v[0:1], 1.0
	v_mul_f64 v[96:97], v[94:95], v[92:93]
	v_fma_f64 v[83:84], -v[83:84], v[96:97], v[94:95]
	v_div_fmas_f64 v[83:84], v[83:84], v[92:93], v[96:97]
	v_div_fixup_f64 v[0:1], v[83:84], v[0:1], 1.0
.LBB74_410:
	s_or_b32 exec_lo, exec_lo, s0
	s_mov_b32 s0, exec_lo
	v_cmpx_ne_u32_e64 v91, v82
	s_xor_b32 s0, exec_lo, s0
	s_cbranch_execz .LBB74_416
; %bb.411:
	s_mov_b32 s1, exec_lo
	v_cmpx_eq_u32_e32 24, v91
	s_cbranch_execz .LBB74_415
; %bb.412:
	v_cmp_ne_u32_e32 vcc_lo, 24, v82
	s_xor_b32 s2, s6, -1
	s_and_b32 s3, s2, vcc_lo
	s_and_saveexec_b32 s2, s3
	s_cbranch_execz .LBB74_414
; %bb.413:
	v_ashrrev_i32_e32 v83, 31, v82
	v_lshlrev_b64 v[83:84], 2, v[82:83]
	v_add_co_u32 v83, vcc_lo, v4, v83
	v_add_co_ci_u32_e64 v84, null, v5, v84, vcc_lo
	s_clause 0x1
	global_load_dword v85, v[83:84], off
	global_load_dword v91, v[4:5], off offset:96
	s_waitcnt vmcnt(1)
	global_store_dword v[4:5], v85, off offset:96
	s_waitcnt vmcnt(0)
	global_store_dword v[83:84], v91, off
.LBB74_414:
	s_or_b32 exec_lo, exec_lo, s2
	v_mov_b32_e32 v85, v82
	v_mov_b32_e32 v91, v82
.LBB74_415:
	s_or_b32 exec_lo, exec_lo, s1
.LBB74_416:
	s_andn2_saveexec_b32 s0, s0
	s_cbranch_execz .LBB74_418
; %bb.417:
	v_mov_b32_e32 v91, 24
	ds_write2_b64 v88, v[28:29], v[26:27] offset0:25 offset1:26
	ds_write2_b64 v88, v[24:25], v[22:23] offset0:27 offset1:28
	;; [unrolled: 1-line block ×6, first 2 shown]
	ds_write_b64 v88, v[80:81] offset:296
.LBB74_418:
	s_or_b32 exec_lo, exec_lo, s0
	s_mov_b32 s0, exec_lo
	s_waitcnt lgkmcnt(0)
	s_waitcnt_vscnt null, 0x0
	s_barrier
	buffer_gl0_inv
	v_cmpx_lt_i32_e32 24, v91
	s_cbranch_execz .LBB74_420
; %bb.419:
	v_mul_f64 v[30:31], v[0:1], v[30:31]
	ds_read2_b64 v[92:95], v88 offset0:25 offset1:26
	ds_read2_b64 v[96:99], v88 offset0:27 offset1:28
	;; [unrolled: 1-line block ×6, first 2 shown]
	ds_read_b64 v[0:1], v88 offset:296
	s_waitcnt lgkmcnt(6)
	v_fma_f64 v[28:29], -v[30:31], v[92:93], v[28:29]
	v_fma_f64 v[26:27], -v[30:31], v[94:95], v[26:27]
	s_waitcnt lgkmcnt(5)
	v_fma_f64 v[24:25], -v[30:31], v[96:97], v[24:25]
	v_fma_f64 v[22:23], -v[30:31], v[98:99], v[22:23]
	;; [unrolled: 3-line block ×6, first 2 shown]
	s_waitcnt lgkmcnt(0)
	v_fma_f64 v[80:81], -v[30:31], v[0:1], v[80:81]
.LBB74_420:
	s_or_b32 exec_lo, exec_lo, s0
	v_lshl_add_u32 v0, v91, 3, v88
	s_barrier
	buffer_gl0_inv
	v_mov_b32_e32 v82, 25
	ds_write_b64 v0, v[28:29]
	s_waitcnt lgkmcnt(0)
	s_barrier
	buffer_gl0_inv
	ds_read_b64 v[0:1], v88 offset:200
	s_cmp_lt_i32 s7, 27
	s_cbranch_scc1 .LBB74_423
; %bb.421:
	v_add3_u32 v83, v89, 0, 0xd0
	v_mov_b32_e32 v82, 25
	s_mov_b32 s0, 26
.LBB74_422:                             ; =>This Inner Loop Header: Depth=1
	ds_read_b64 v[92:93], v83
	v_add_nc_u32_e32 v83, 8, v83
	s_waitcnt lgkmcnt(0)
	v_cmp_lt_f64_e64 vcc_lo, |v[0:1]|, |v[92:93]|
	v_cndmask_b32_e32 v1, v1, v93, vcc_lo
	v_cndmask_b32_e32 v0, v0, v92, vcc_lo
	v_cndmask_b32_e64 v82, v82, s0, vcc_lo
	s_add_i32 s0, s0, 1
	s_cmp_lg_u32 s7, s0
	s_cbranch_scc1 .LBB74_422
.LBB74_423:
	s_mov_b32 s0, exec_lo
	s_waitcnt lgkmcnt(0)
	v_cmpx_eq_f64_e32 0, v[0:1]
	s_xor_b32 s0, exec_lo, s0
; %bb.424:
	v_cmp_ne_u32_e32 vcc_lo, 0, v90
	v_cndmask_b32_e32 v90, 26, v90, vcc_lo
; %bb.425:
	s_andn2_saveexec_b32 s0, s0
	s_cbranch_execz .LBB74_427
; %bb.426:
	v_div_scale_f64 v[83:84], null, v[0:1], v[0:1], 1.0
	v_rcp_f64_e32 v[92:93], v[83:84]
	v_fma_f64 v[94:95], -v[83:84], v[92:93], 1.0
	v_fma_f64 v[92:93], v[92:93], v[94:95], v[92:93]
	v_fma_f64 v[94:95], -v[83:84], v[92:93], 1.0
	v_fma_f64 v[92:93], v[92:93], v[94:95], v[92:93]
	v_div_scale_f64 v[94:95], vcc_lo, 1.0, v[0:1], 1.0
	v_mul_f64 v[96:97], v[94:95], v[92:93]
	v_fma_f64 v[83:84], -v[83:84], v[96:97], v[94:95]
	v_div_fmas_f64 v[83:84], v[83:84], v[92:93], v[96:97]
	v_div_fixup_f64 v[0:1], v[83:84], v[0:1], 1.0
.LBB74_427:
	s_or_b32 exec_lo, exec_lo, s0
	s_mov_b32 s0, exec_lo
	v_cmpx_ne_u32_e64 v91, v82
	s_xor_b32 s0, exec_lo, s0
	s_cbranch_execz .LBB74_433
; %bb.428:
	s_mov_b32 s1, exec_lo
	v_cmpx_eq_u32_e32 25, v91
	s_cbranch_execz .LBB74_432
; %bb.429:
	v_cmp_ne_u32_e32 vcc_lo, 25, v82
	s_xor_b32 s2, s6, -1
	s_and_b32 s3, s2, vcc_lo
	s_and_saveexec_b32 s2, s3
	s_cbranch_execz .LBB74_431
; %bb.430:
	v_ashrrev_i32_e32 v83, 31, v82
	v_lshlrev_b64 v[83:84], 2, v[82:83]
	v_add_co_u32 v83, vcc_lo, v4, v83
	v_add_co_ci_u32_e64 v84, null, v5, v84, vcc_lo
	s_clause 0x1
	global_load_dword v85, v[83:84], off
	global_load_dword v91, v[4:5], off offset:100
	s_waitcnt vmcnt(1)
	global_store_dword v[4:5], v85, off offset:100
	s_waitcnt vmcnt(0)
	global_store_dword v[83:84], v91, off
.LBB74_431:
	s_or_b32 exec_lo, exec_lo, s2
	v_mov_b32_e32 v85, v82
	v_mov_b32_e32 v91, v82
.LBB74_432:
	s_or_b32 exec_lo, exec_lo, s1
.LBB74_433:
	s_andn2_saveexec_b32 s0, s0
	s_cbranch_execz .LBB74_435
; %bb.434:
	v_mov_b32_e32 v82, v26
	v_mov_b32_e32 v83, v27
	;; [unrolled: 1-line block ×8, first 2 shown]
	ds_write2_b64 v88, v[82:83], v[91:92] offset0:26 offset1:27
	ds_write2_b64 v88, v[93:94], v[95:96] offset0:28 offset1:29
	v_mov_b32_e32 v82, v20
	v_mov_b32_e32 v83, v21
	;; [unrolled: 1-line block ×15, first 2 shown]
	ds_write2_b64 v88, v[82:83], v[92:93] offset0:30 offset1:31
	ds_write2_b64 v88, v[94:95], v[96:97] offset0:32 offset1:33
	ds_write2_b64 v88, v[98:99], v[100:101] offset0:34 offset1:35
	ds_write2_b64 v88, v[102:103], v[80:81] offset0:36 offset1:37
.LBB74_435:
	s_or_b32 exec_lo, exec_lo, s0
	s_mov_b32 s0, exec_lo
	s_waitcnt lgkmcnt(0)
	s_waitcnt_vscnt null, 0x0
	s_barrier
	buffer_gl0_inv
	v_cmpx_lt_i32_e32 25, v91
	s_cbranch_execz .LBB74_437
; %bb.436:
	v_mul_f64 v[28:29], v[0:1], v[28:29]
	ds_read2_b64 v[92:95], v88 offset0:26 offset1:27
	ds_read2_b64 v[96:99], v88 offset0:28 offset1:29
	;; [unrolled: 1-line block ×6, first 2 shown]
	s_waitcnt lgkmcnt(5)
	v_fma_f64 v[26:27], -v[28:29], v[92:93], v[26:27]
	v_fma_f64 v[24:25], -v[28:29], v[94:95], v[24:25]
	s_waitcnt lgkmcnt(4)
	v_fma_f64 v[22:23], -v[28:29], v[96:97], v[22:23]
	v_fma_f64 v[18:19], -v[28:29], v[98:99], v[18:19]
	;; [unrolled: 3-line block ×6, first 2 shown]
.LBB74_437:
	s_or_b32 exec_lo, exec_lo, s0
	v_lshl_add_u32 v0, v91, 3, v88
	s_barrier
	buffer_gl0_inv
	v_mov_b32_e32 v82, 26
	ds_write_b64 v0, v[26:27]
	s_waitcnt lgkmcnt(0)
	s_barrier
	buffer_gl0_inv
	ds_read_b64 v[0:1], v88 offset:208
	s_cmp_lt_i32 s7, 28
	s_cbranch_scc1 .LBB74_440
; %bb.438:
	v_add3_u32 v83, v89, 0, 0xd8
	v_mov_b32_e32 v82, 26
	s_mov_b32 s0, 27
.LBB74_439:                             ; =>This Inner Loop Header: Depth=1
	ds_read_b64 v[92:93], v83
	v_add_nc_u32_e32 v83, 8, v83
	s_waitcnt lgkmcnt(0)
	v_cmp_lt_f64_e64 vcc_lo, |v[0:1]|, |v[92:93]|
	v_cndmask_b32_e32 v1, v1, v93, vcc_lo
	v_cndmask_b32_e32 v0, v0, v92, vcc_lo
	v_cndmask_b32_e64 v82, v82, s0, vcc_lo
	s_add_i32 s0, s0, 1
	s_cmp_lg_u32 s7, s0
	s_cbranch_scc1 .LBB74_439
.LBB74_440:
	s_mov_b32 s0, exec_lo
	s_waitcnt lgkmcnt(0)
	v_cmpx_eq_f64_e32 0, v[0:1]
	s_xor_b32 s0, exec_lo, s0
; %bb.441:
	v_cmp_ne_u32_e32 vcc_lo, 0, v90
	v_cndmask_b32_e32 v90, 27, v90, vcc_lo
; %bb.442:
	s_andn2_saveexec_b32 s0, s0
	s_cbranch_execz .LBB74_444
; %bb.443:
	v_div_scale_f64 v[83:84], null, v[0:1], v[0:1], 1.0
	v_rcp_f64_e32 v[92:93], v[83:84]
	v_fma_f64 v[94:95], -v[83:84], v[92:93], 1.0
	v_fma_f64 v[92:93], v[92:93], v[94:95], v[92:93]
	v_fma_f64 v[94:95], -v[83:84], v[92:93], 1.0
	v_fma_f64 v[92:93], v[92:93], v[94:95], v[92:93]
	v_div_scale_f64 v[94:95], vcc_lo, 1.0, v[0:1], 1.0
	v_mul_f64 v[96:97], v[94:95], v[92:93]
	v_fma_f64 v[83:84], -v[83:84], v[96:97], v[94:95]
	v_div_fmas_f64 v[83:84], v[83:84], v[92:93], v[96:97]
	v_div_fixup_f64 v[0:1], v[83:84], v[0:1], 1.0
.LBB74_444:
	s_or_b32 exec_lo, exec_lo, s0
	s_mov_b32 s0, exec_lo
	v_cmpx_ne_u32_e64 v91, v82
	s_xor_b32 s0, exec_lo, s0
	s_cbranch_execz .LBB74_450
; %bb.445:
	s_mov_b32 s1, exec_lo
	v_cmpx_eq_u32_e32 26, v91
	s_cbranch_execz .LBB74_449
; %bb.446:
	v_cmp_ne_u32_e32 vcc_lo, 26, v82
	s_xor_b32 s2, s6, -1
	s_and_b32 s3, s2, vcc_lo
	s_and_saveexec_b32 s2, s3
	s_cbranch_execz .LBB74_448
; %bb.447:
	v_ashrrev_i32_e32 v83, 31, v82
	v_lshlrev_b64 v[83:84], 2, v[82:83]
	v_add_co_u32 v83, vcc_lo, v4, v83
	v_add_co_ci_u32_e64 v84, null, v5, v84, vcc_lo
	s_clause 0x1
	global_load_dword v85, v[83:84], off
	global_load_dword v91, v[4:5], off offset:104
	s_waitcnt vmcnt(1)
	global_store_dword v[4:5], v85, off offset:104
	s_waitcnt vmcnt(0)
	global_store_dword v[83:84], v91, off
.LBB74_448:
	s_or_b32 exec_lo, exec_lo, s2
	v_mov_b32_e32 v85, v82
	v_mov_b32_e32 v91, v82
.LBB74_449:
	s_or_b32 exec_lo, exec_lo, s1
.LBB74_450:
	s_andn2_saveexec_b32 s0, s0
	s_cbranch_execz .LBB74_452
; %bb.451:
	v_mov_b32_e32 v91, 26
	ds_write2_b64 v88, v[24:25], v[22:23] offset0:27 offset1:28
	ds_write2_b64 v88, v[18:19], v[20:21] offset0:29 offset1:30
	;; [unrolled: 1-line block ×5, first 2 shown]
	ds_write_b64 v88, v[80:81] offset:296
.LBB74_452:
	s_or_b32 exec_lo, exec_lo, s0
	s_mov_b32 s0, exec_lo
	s_waitcnt lgkmcnt(0)
	s_waitcnt_vscnt null, 0x0
	s_barrier
	buffer_gl0_inv
	v_cmpx_lt_i32_e32 26, v91
	s_cbranch_execz .LBB74_454
; %bb.453:
	v_mul_f64 v[26:27], v[0:1], v[26:27]
	ds_read2_b64 v[92:95], v88 offset0:27 offset1:28
	ds_read2_b64 v[96:99], v88 offset0:29 offset1:30
	;; [unrolled: 1-line block ×5, first 2 shown]
	ds_read_b64 v[0:1], v88 offset:296
	s_waitcnt lgkmcnt(5)
	v_fma_f64 v[24:25], -v[26:27], v[92:93], v[24:25]
	v_fma_f64 v[22:23], -v[26:27], v[94:95], v[22:23]
	s_waitcnt lgkmcnt(4)
	v_fma_f64 v[18:19], -v[26:27], v[96:97], v[18:19]
	v_fma_f64 v[20:21], -v[26:27], v[98:99], v[20:21]
	;; [unrolled: 3-line block ×5, first 2 shown]
	s_waitcnt lgkmcnt(0)
	v_fma_f64 v[80:81], -v[26:27], v[0:1], v[80:81]
.LBB74_454:
	s_or_b32 exec_lo, exec_lo, s0
	v_lshl_add_u32 v0, v91, 3, v88
	s_barrier
	buffer_gl0_inv
	v_mov_b32_e32 v82, 27
	ds_write_b64 v0, v[24:25]
	s_waitcnt lgkmcnt(0)
	s_barrier
	buffer_gl0_inv
	ds_read_b64 v[0:1], v88 offset:216
	s_cmp_lt_i32 s7, 29
	s_cbranch_scc1 .LBB74_457
; %bb.455:
	v_add3_u32 v83, v89, 0, 0xe0
	v_mov_b32_e32 v82, 27
	s_mov_b32 s0, 28
.LBB74_456:                             ; =>This Inner Loop Header: Depth=1
	ds_read_b64 v[92:93], v83
	v_add_nc_u32_e32 v83, 8, v83
	s_waitcnt lgkmcnt(0)
	v_cmp_lt_f64_e64 vcc_lo, |v[0:1]|, |v[92:93]|
	v_cndmask_b32_e32 v1, v1, v93, vcc_lo
	v_cndmask_b32_e32 v0, v0, v92, vcc_lo
	v_cndmask_b32_e64 v82, v82, s0, vcc_lo
	s_add_i32 s0, s0, 1
	s_cmp_lg_u32 s7, s0
	s_cbranch_scc1 .LBB74_456
.LBB74_457:
	s_mov_b32 s0, exec_lo
	s_waitcnt lgkmcnt(0)
	v_cmpx_eq_f64_e32 0, v[0:1]
	s_xor_b32 s0, exec_lo, s0
; %bb.458:
	v_cmp_ne_u32_e32 vcc_lo, 0, v90
	v_cndmask_b32_e32 v90, 28, v90, vcc_lo
; %bb.459:
	s_andn2_saveexec_b32 s0, s0
	s_cbranch_execz .LBB74_461
; %bb.460:
	v_div_scale_f64 v[83:84], null, v[0:1], v[0:1], 1.0
	v_rcp_f64_e32 v[92:93], v[83:84]
	v_fma_f64 v[94:95], -v[83:84], v[92:93], 1.0
	v_fma_f64 v[92:93], v[92:93], v[94:95], v[92:93]
	v_fma_f64 v[94:95], -v[83:84], v[92:93], 1.0
	v_fma_f64 v[92:93], v[92:93], v[94:95], v[92:93]
	v_div_scale_f64 v[94:95], vcc_lo, 1.0, v[0:1], 1.0
	v_mul_f64 v[96:97], v[94:95], v[92:93]
	v_fma_f64 v[83:84], -v[83:84], v[96:97], v[94:95]
	v_div_fmas_f64 v[83:84], v[83:84], v[92:93], v[96:97]
	v_div_fixup_f64 v[0:1], v[83:84], v[0:1], 1.0
.LBB74_461:
	s_or_b32 exec_lo, exec_lo, s0
	s_mov_b32 s0, exec_lo
	v_cmpx_ne_u32_e64 v91, v82
	s_xor_b32 s0, exec_lo, s0
	s_cbranch_execz .LBB74_467
; %bb.462:
	s_mov_b32 s1, exec_lo
	v_cmpx_eq_u32_e32 27, v91
	s_cbranch_execz .LBB74_466
; %bb.463:
	v_cmp_ne_u32_e32 vcc_lo, 27, v82
	s_xor_b32 s2, s6, -1
	s_and_b32 s3, s2, vcc_lo
	s_and_saveexec_b32 s2, s3
	s_cbranch_execz .LBB74_465
; %bb.464:
	v_ashrrev_i32_e32 v83, 31, v82
	v_lshlrev_b64 v[83:84], 2, v[82:83]
	v_add_co_u32 v83, vcc_lo, v4, v83
	v_add_co_ci_u32_e64 v84, null, v5, v84, vcc_lo
	s_clause 0x1
	global_load_dword v85, v[83:84], off
	global_load_dword v91, v[4:5], off offset:108
	s_waitcnt vmcnt(1)
	global_store_dword v[4:5], v85, off offset:108
	s_waitcnt vmcnt(0)
	global_store_dword v[83:84], v91, off
.LBB74_465:
	s_or_b32 exec_lo, exec_lo, s2
	v_mov_b32_e32 v85, v82
	v_mov_b32_e32 v91, v82
.LBB74_466:
	s_or_b32 exec_lo, exec_lo, s1
.LBB74_467:
	s_andn2_saveexec_b32 s0, s0
	s_cbranch_execz .LBB74_469
; %bb.468:
	v_mov_b32_e32 v82, v22
	v_mov_b32_e32 v83, v23
	;; [unrolled: 1-line block ×8, first 2 shown]
	ds_write2_b64 v88, v[82:83], v[91:92] offset0:28 offset1:29
	v_mov_b32_e32 v82, v16
	v_mov_b32_e32 v83, v17
	;; [unrolled: 1-line block ×11, first 2 shown]
	ds_write2_b64 v88, v[93:94], v[82:83] offset0:30 offset1:31
	ds_write2_b64 v88, v[95:96], v[97:98] offset0:32 offset1:33
	;; [unrolled: 1-line block ×4, first 2 shown]
.LBB74_469:
	s_or_b32 exec_lo, exec_lo, s0
	s_mov_b32 s0, exec_lo
	s_waitcnt lgkmcnt(0)
	s_waitcnt_vscnt null, 0x0
	s_barrier
	buffer_gl0_inv
	v_cmpx_lt_i32_e32 27, v91
	s_cbranch_execz .LBB74_471
; %bb.470:
	v_mul_f64 v[24:25], v[0:1], v[24:25]
	ds_read2_b64 v[92:95], v88 offset0:28 offset1:29
	ds_read2_b64 v[96:99], v88 offset0:30 offset1:31
	;; [unrolled: 1-line block ×5, first 2 shown]
	s_waitcnt lgkmcnt(4)
	v_fma_f64 v[22:23], -v[24:25], v[92:93], v[22:23]
	v_fma_f64 v[18:19], -v[24:25], v[94:95], v[18:19]
	s_waitcnt lgkmcnt(3)
	v_fma_f64 v[20:21], -v[24:25], v[96:97], v[20:21]
	v_fma_f64 v[16:17], -v[24:25], v[98:99], v[16:17]
	;; [unrolled: 3-line block ×5, first 2 shown]
.LBB74_471:
	s_or_b32 exec_lo, exec_lo, s0
	v_lshl_add_u32 v0, v91, 3, v88
	s_barrier
	buffer_gl0_inv
	v_mov_b32_e32 v82, 28
	ds_write_b64 v0, v[22:23]
	s_waitcnt lgkmcnt(0)
	s_barrier
	buffer_gl0_inv
	ds_read_b64 v[0:1], v88 offset:224
	s_cmp_lt_i32 s7, 30
	s_cbranch_scc1 .LBB74_474
; %bb.472:
	v_add3_u32 v83, v89, 0, 0xe8
	v_mov_b32_e32 v82, 28
	s_mov_b32 s0, 29
.LBB74_473:                             ; =>This Inner Loop Header: Depth=1
	ds_read_b64 v[92:93], v83
	v_add_nc_u32_e32 v83, 8, v83
	s_waitcnt lgkmcnt(0)
	v_cmp_lt_f64_e64 vcc_lo, |v[0:1]|, |v[92:93]|
	v_cndmask_b32_e32 v1, v1, v93, vcc_lo
	v_cndmask_b32_e32 v0, v0, v92, vcc_lo
	v_cndmask_b32_e64 v82, v82, s0, vcc_lo
	s_add_i32 s0, s0, 1
	s_cmp_lg_u32 s7, s0
	s_cbranch_scc1 .LBB74_473
.LBB74_474:
	s_mov_b32 s0, exec_lo
	s_waitcnt lgkmcnt(0)
	v_cmpx_eq_f64_e32 0, v[0:1]
	s_xor_b32 s0, exec_lo, s0
; %bb.475:
	v_cmp_ne_u32_e32 vcc_lo, 0, v90
	v_cndmask_b32_e32 v90, 29, v90, vcc_lo
; %bb.476:
	s_andn2_saveexec_b32 s0, s0
	s_cbranch_execz .LBB74_478
; %bb.477:
	v_div_scale_f64 v[83:84], null, v[0:1], v[0:1], 1.0
	v_rcp_f64_e32 v[92:93], v[83:84]
	v_fma_f64 v[94:95], -v[83:84], v[92:93], 1.0
	v_fma_f64 v[92:93], v[92:93], v[94:95], v[92:93]
	v_fma_f64 v[94:95], -v[83:84], v[92:93], 1.0
	v_fma_f64 v[92:93], v[92:93], v[94:95], v[92:93]
	v_div_scale_f64 v[94:95], vcc_lo, 1.0, v[0:1], 1.0
	v_mul_f64 v[96:97], v[94:95], v[92:93]
	v_fma_f64 v[83:84], -v[83:84], v[96:97], v[94:95]
	v_div_fmas_f64 v[83:84], v[83:84], v[92:93], v[96:97]
	v_div_fixup_f64 v[0:1], v[83:84], v[0:1], 1.0
.LBB74_478:
	s_or_b32 exec_lo, exec_lo, s0
	s_mov_b32 s0, exec_lo
	v_cmpx_ne_u32_e64 v91, v82
	s_xor_b32 s0, exec_lo, s0
	s_cbranch_execz .LBB74_484
; %bb.479:
	s_mov_b32 s1, exec_lo
	v_cmpx_eq_u32_e32 28, v91
	s_cbranch_execz .LBB74_483
; %bb.480:
	v_cmp_ne_u32_e32 vcc_lo, 28, v82
	s_xor_b32 s2, s6, -1
	s_and_b32 s3, s2, vcc_lo
	s_and_saveexec_b32 s2, s3
	s_cbranch_execz .LBB74_482
; %bb.481:
	v_ashrrev_i32_e32 v83, 31, v82
	v_lshlrev_b64 v[83:84], 2, v[82:83]
	v_add_co_u32 v83, vcc_lo, v4, v83
	v_add_co_ci_u32_e64 v84, null, v5, v84, vcc_lo
	s_clause 0x1
	global_load_dword v85, v[83:84], off
	global_load_dword v91, v[4:5], off offset:112
	s_waitcnt vmcnt(1)
	global_store_dword v[4:5], v85, off offset:112
	s_waitcnt vmcnt(0)
	global_store_dword v[83:84], v91, off
.LBB74_482:
	s_or_b32 exec_lo, exec_lo, s2
	v_mov_b32_e32 v85, v82
	v_mov_b32_e32 v91, v82
.LBB74_483:
	s_or_b32 exec_lo, exec_lo, s1
.LBB74_484:
	s_andn2_saveexec_b32 s0, s0
	s_cbranch_execz .LBB74_486
; %bb.485:
	v_mov_b32_e32 v91, 28
	ds_write2_b64 v88, v[18:19], v[20:21] offset0:29 offset1:30
	ds_write2_b64 v88, v[16:17], v[14:15] offset0:31 offset1:32
	;; [unrolled: 1-line block ×4, first 2 shown]
	ds_write_b64 v88, v[80:81] offset:296
.LBB74_486:
	s_or_b32 exec_lo, exec_lo, s0
	s_mov_b32 s0, exec_lo
	s_waitcnt lgkmcnt(0)
	s_waitcnt_vscnt null, 0x0
	s_barrier
	buffer_gl0_inv
	v_cmpx_lt_i32_e32 28, v91
	s_cbranch_execz .LBB74_488
; %bb.487:
	v_mul_f64 v[22:23], v[0:1], v[22:23]
	ds_read2_b64 v[92:95], v88 offset0:29 offset1:30
	ds_read2_b64 v[96:99], v88 offset0:31 offset1:32
	;; [unrolled: 1-line block ×4, first 2 shown]
	ds_read_b64 v[0:1], v88 offset:296
	s_waitcnt lgkmcnt(4)
	v_fma_f64 v[18:19], -v[22:23], v[92:93], v[18:19]
	v_fma_f64 v[20:21], -v[22:23], v[94:95], v[20:21]
	s_waitcnt lgkmcnt(3)
	v_fma_f64 v[16:17], -v[22:23], v[96:97], v[16:17]
	v_fma_f64 v[14:15], -v[22:23], v[98:99], v[14:15]
	;; [unrolled: 3-line block ×4, first 2 shown]
	s_waitcnt lgkmcnt(0)
	v_fma_f64 v[80:81], -v[22:23], v[0:1], v[80:81]
.LBB74_488:
	s_or_b32 exec_lo, exec_lo, s0
	v_lshl_add_u32 v0, v91, 3, v88
	s_barrier
	buffer_gl0_inv
	v_mov_b32_e32 v82, 29
	ds_write_b64 v0, v[18:19]
	s_waitcnt lgkmcnt(0)
	s_barrier
	buffer_gl0_inv
	ds_read_b64 v[0:1], v88 offset:232
	s_cmp_lt_i32 s7, 31
	s_cbranch_scc1 .LBB74_491
; %bb.489:
	v_add3_u32 v83, v89, 0, 0xf0
	v_mov_b32_e32 v82, 29
	s_mov_b32 s0, 30
.LBB74_490:                             ; =>This Inner Loop Header: Depth=1
	ds_read_b64 v[92:93], v83
	v_add_nc_u32_e32 v83, 8, v83
	s_waitcnt lgkmcnt(0)
	v_cmp_lt_f64_e64 vcc_lo, |v[0:1]|, |v[92:93]|
	v_cndmask_b32_e32 v1, v1, v93, vcc_lo
	v_cndmask_b32_e32 v0, v0, v92, vcc_lo
	v_cndmask_b32_e64 v82, v82, s0, vcc_lo
	s_add_i32 s0, s0, 1
	s_cmp_lg_u32 s7, s0
	s_cbranch_scc1 .LBB74_490
.LBB74_491:
	s_mov_b32 s0, exec_lo
	s_waitcnt lgkmcnt(0)
	v_cmpx_eq_f64_e32 0, v[0:1]
	s_xor_b32 s0, exec_lo, s0
; %bb.492:
	v_cmp_ne_u32_e32 vcc_lo, 0, v90
	v_cndmask_b32_e32 v90, 30, v90, vcc_lo
; %bb.493:
	s_andn2_saveexec_b32 s0, s0
	s_cbranch_execz .LBB74_495
; %bb.494:
	v_div_scale_f64 v[83:84], null, v[0:1], v[0:1], 1.0
	v_rcp_f64_e32 v[92:93], v[83:84]
	v_fma_f64 v[94:95], -v[83:84], v[92:93], 1.0
	v_fma_f64 v[92:93], v[92:93], v[94:95], v[92:93]
	v_fma_f64 v[94:95], -v[83:84], v[92:93], 1.0
	v_fma_f64 v[92:93], v[92:93], v[94:95], v[92:93]
	v_div_scale_f64 v[94:95], vcc_lo, 1.0, v[0:1], 1.0
	v_mul_f64 v[96:97], v[94:95], v[92:93]
	v_fma_f64 v[83:84], -v[83:84], v[96:97], v[94:95]
	v_div_fmas_f64 v[83:84], v[83:84], v[92:93], v[96:97]
	v_div_fixup_f64 v[0:1], v[83:84], v[0:1], 1.0
.LBB74_495:
	s_or_b32 exec_lo, exec_lo, s0
	s_mov_b32 s0, exec_lo
	v_cmpx_ne_u32_e64 v91, v82
	s_xor_b32 s0, exec_lo, s0
	s_cbranch_execz .LBB74_501
; %bb.496:
	s_mov_b32 s1, exec_lo
	v_cmpx_eq_u32_e32 29, v91
	s_cbranch_execz .LBB74_500
; %bb.497:
	v_cmp_ne_u32_e32 vcc_lo, 29, v82
	s_xor_b32 s2, s6, -1
	s_and_b32 s3, s2, vcc_lo
	s_and_saveexec_b32 s2, s3
	s_cbranch_execz .LBB74_499
; %bb.498:
	v_ashrrev_i32_e32 v83, 31, v82
	v_lshlrev_b64 v[83:84], 2, v[82:83]
	v_add_co_u32 v83, vcc_lo, v4, v83
	v_add_co_ci_u32_e64 v84, null, v5, v84, vcc_lo
	s_clause 0x1
	global_load_dword v85, v[83:84], off
	global_load_dword v91, v[4:5], off offset:116
	s_waitcnt vmcnt(1)
	global_store_dword v[4:5], v85, off offset:116
	s_waitcnt vmcnt(0)
	global_store_dword v[83:84], v91, off
.LBB74_499:
	s_or_b32 exec_lo, exec_lo, s2
	v_mov_b32_e32 v85, v82
	v_mov_b32_e32 v91, v82
.LBB74_500:
	s_or_b32 exec_lo, exec_lo, s1
.LBB74_501:
	s_andn2_saveexec_b32 s0, s0
	s_cbranch_execz .LBB74_503
; %bb.502:
	v_mov_b32_e32 v82, v20
	v_mov_b32_e32 v83, v21
	;; [unrolled: 1-line block ×15, first 2 shown]
	ds_write2_b64 v88, v[82:83], v[92:93] offset0:30 offset1:31
	ds_write2_b64 v88, v[94:95], v[96:97] offset0:32 offset1:33
	;; [unrolled: 1-line block ×4, first 2 shown]
.LBB74_503:
	s_or_b32 exec_lo, exec_lo, s0
	s_mov_b32 s0, exec_lo
	s_waitcnt lgkmcnt(0)
	s_waitcnt_vscnt null, 0x0
	s_barrier
	buffer_gl0_inv
	v_cmpx_lt_i32_e32 29, v91
	s_cbranch_execz .LBB74_505
; %bb.504:
	v_mul_f64 v[18:19], v[0:1], v[18:19]
	ds_read2_b64 v[92:95], v88 offset0:30 offset1:31
	ds_read2_b64 v[96:99], v88 offset0:32 offset1:33
	ds_read2_b64 v[100:103], v88 offset0:34 offset1:35
	ds_read2_b64 v[104:107], v88 offset0:36 offset1:37
	s_waitcnt lgkmcnt(3)
	v_fma_f64 v[20:21], -v[18:19], v[92:93], v[20:21]
	v_fma_f64 v[16:17], -v[18:19], v[94:95], v[16:17]
	s_waitcnt lgkmcnt(2)
	v_fma_f64 v[14:15], -v[18:19], v[96:97], v[14:15]
	v_fma_f64 v[8:9], -v[18:19], v[98:99], v[8:9]
	;; [unrolled: 3-line block ×4, first 2 shown]
.LBB74_505:
	s_or_b32 exec_lo, exec_lo, s0
	v_lshl_add_u32 v0, v91, 3, v88
	s_barrier
	buffer_gl0_inv
	v_mov_b32_e32 v82, 30
	ds_write_b64 v0, v[20:21]
	s_waitcnt lgkmcnt(0)
	s_barrier
	buffer_gl0_inv
	ds_read_b64 v[0:1], v88 offset:240
	s_cmp_lt_i32 s7, 32
	s_cbranch_scc1 .LBB74_508
; %bb.506:
	v_add3_u32 v83, v89, 0, 0xf8
	v_mov_b32_e32 v82, 30
	s_mov_b32 s0, 31
.LBB74_507:                             ; =>This Inner Loop Header: Depth=1
	ds_read_b64 v[92:93], v83
	v_add_nc_u32_e32 v83, 8, v83
	s_waitcnt lgkmcnt(0)
	v_cmp_lt_f64_e64 vcc_lo, |v[0:1]|, |v[92:93]|
	v_cndmask_b32_e32 v1, v1, v93, vcc_lo
	v_cndmask_b32_e32 v0, v0, v92, vcc_lo
	v_cndmask_b32_e64 v82, v82, s0, vcc_lo
	s_add_i32 s0, s0, 1
	s_cmp_lg_u32 s7, s0
	s_cbranch_scc1 .LBB74_507
.LBB74_508:
	s_mov_b32 s0, exec_lo
	s_waitcnt lgkmcnt(0)
	v_cmpx_eq_f64_e32 0, v[0:1]
	s_xor_b32 s0, exec_lo, s0
; %bb.509:
	v_cmp_ne_u32_e32 vcc_lo, 0, v90
	v_cndmask_b32_e32 v90, 31, v90, vcc_lo
; %bb.510:
	s_andn2_saveexec_b32 s0, s0
	s_cbranch_execz .LBB74_512
; %bb.511:
	v_div_scale_f64 v[83:84], null, v[0:1], v[0:1], 1.0
	v_rcp_f64_e32 v[92:93], v[83:84]
	v_fma_f64 v[94:95], -v[83:84], v[92:93], 1.0
	v_fma_f64 v[92:93], v[92:93], v[94:95], v[92:93]
	v_fma_f64 v[94:95], -v[83:84], v[92:93], 1.0
	v_fma_f64 v[92:93], v[92:93], v[94:95], v[92:93]
	v_div_scale_f64 v[94:95], vcc_lo, 1.0, v[0:1], 1.0
	v_mul_f64 v[96:97], v[94:95], v[92:93]
	v_fma_f64 v[83:84], -v[83:84], v[96:97], v[94:95]
	v_div_fmas_f64 v[83:84], v[83:84], v[92:93], v[96:97]
	v_div_fixup_f64 v[0:1], v[83:84], v[0:1], 1.0
.LBB74_512:
	s_or_b32 exec_lo, exec_lo, s0
	s_mov_b32 s0, exec_lo
	v_cmpx_ne_u32_e64 v91, v82
	s_xor_b32 s0, exec_lo, s0
	s_cbranch_execz .LBB74_518
; %bb.513:
	s_mov_b32 s1, exec_lo
	v_cmpx_eq_u32_e32 30, v91
	s_cbranch_execz .LBB74_517
; %bb.514:
	v_cmp_ne_u32_e32 vcc_lo, 30, v82
	s_xor_b32 s2, s6, -1
	s_and_b32 s3, s2, vcc_lo
	s_and_saveexec_b32 s2, s3
	s_cbranch_execz .LBB74_516
; %bb.515:
	v_ashrrev_i32_e32 v83, 31, v82
	v_lshlrev_b64 v[83:84], 2, v[82:83]
	v_add_co_u32 v83, vcc_lo, v4, v83
	v_add_co_ci_u32_e64 v84, null, v5, v84, vcc_lo
	s_clause 0x1
	global_load_dword v85, v[83:84], off
	global_load_dword v91, v[4:5], off offset:120
	s_waitcnt vmcnt(1)
	global_store_dword v[4:5], v85, off offset:120
	s_waitcnt vmcnt(0)
	global_store_dword v[83:84], v91, off
.LBB74_516:
	s_or_b32 exec_lo, exec_lo, s2
	v_mov_b32_e32 v85, v82
	v_mov_b32_e32 v91, v82
.LBB74_517:
	s_or_b32 exec_lo, exec_lo, s1
.LBB74_518:
	s_andn2_saveexec_b32 s0, s0
	s_cbranch_execz .LBB74_520
; %bb.519:
	v_mov_b32_e32 v91, 30
	ds_write2_b64 v88, v[16:17], v[14:15] offset0:31 offset1:32
	ds_write2_b64 v88, v[8:9], v[12:13] offset0:33 offset1:34
	;; [unrolled: 1-line block ×3, first 2 shown]
	ds_write_b64 v88, v[80:81] offset:296
.LBB74_520:
	s_or_b32 exec_lo, exec_lo, s0
	s_mov_b32 s0, exec_lo
	s_waitcnt lgkmcnt(0)
	s_waitcnt_vscnt null, 0x0
	s_barrier
	buffer_gl0_inv
	v_cmpx_lt_i32_e32 30, v91
	s_cbranch_execz .LBB74_522
; %bb.521:
	v_mul_f64 v[20:21], v[0:1], v[20:21]
	ds_read2_b64 v[92:95], v88 offset0:31 offset1:32
	ds_read2_b64 v[96:99], v88 offset0:33 offset1:34
	;; [unrolled: 1-line block ×3, first 2 shown]
	ds_read_b64 v[0:1], v88 offset:296
	s_waitcnt lgkmcnt(3)
	v_fma_f64 v[16:17], -v[20:21], v[92:93], v[16:17]
	v_fma_f64 v[14:15], -v[20:21], v[94:95], v[14:15]
	s_waitcnt lgkmcnt(2)
	v_fma_f64 v[8:9], -v[20:21], v[96:97], v[8:9]
	v_fma_f64 v[12:13], -v[20:21], v[98:99], v[12:13]
	s_waitcnt lgkmcnt(1)
	v_fma_f64 v[6:7], -v[20:21], v[100:101], v[6:7]
	v_fma_f64 v[10:11], -v[20:21], v[102:103], v[10:11]
	s_waitcnt lgkmcnt(0)
	v_fma_f64 v[80:81], -v[20:21], v[0:1], v[80:81]
.LBB74_522:
	s_or_b32 exec_lo, exec_lo, s0
	v_lshl_add_u32 v0, v91, 3, v88
	s_barrier
	buffer_gl0_inv
	v_mov_b32_e32 v82, 31
	ds_write_b64 v0, v[16:17]
	s_waitcnt lgkmcnt(0)
	s_barrier
	buffer_gl0_inv
	ds_read_b64 v[0:1], v88 offset:248
	s_cmp_lt_i32 s7, 33
	s_cbranch_scc1 .LBB74_525
; %bb.523:
	v_add3_u32 v83, v89, 0, 0x100
	v_mov_b32_e32 v82, 31
	s_mov_b32 s0, 32
.LBB74_524:                             ; =>This Inner Loop Header: Depth=1
	ds_read_b64 v[92:93], v83
	v_add_nc_u32_e32 v83, 8, v83
	s_waitcnt lgkmcnt(0)
	v_cmp_lt_f64_e64 vcc_lo, |v[0:1]|, |v[92:93]|
	v_cndmask_b32_e32 v1, v1, v93, vcc_lo
	v_cndmask_b32_e32 v0, v0, v92, vcc_lo
	v_cndmask_b32_e64 v82, v82, s0, vcc_lo
	s_add_i32 s0, s0, 1
	s_cmp_lg_u32 s7, s0
	s_cbranch_scc1 .LBB74_524
.LBB74_525:
	s_mov_b32 s0, exec_lo
	s_waitcnt lgkmcnt(0)
	v_cmpx_eq_f64_e32 0, v[0:1]
	s_xor_b32 s0, exec_lo, s0
; %bb.526:
	v_cmp_ne_u32_e32 vcc_lo, 0, v90
	v_cndmask_b32_e32 v90, 32, v90, vcc_lo
; %bb.527:
	s_andn2_saveexec_b32 s0, s0
	s_cbranch_execz .LBB74_529
; %bb.528:
	v_div_scale_f64 v[83:84], null, v[0:1], v[0:1], 1.0
	v_rcp_f64_e32 v[92:93], v[83:84]
	v_fma_f64 v[94:95], -v[83:84], v[92:93], 1.0
	v_fma_f64 v[92:93], v[92:93], v[94:95], v[92:93]
	v_fma_f64 v[94:95], -v[83:84], v[92:93], 1.0
	v_fma_f64 v[92:93], v[92:93], v[94:95], v[92:93]
	v_div_scale_f64 v[94:95], vcc_lo, 1.0, v[0:1], 1.0
	v_mul_f64 v[96:97], v[94:95], v[92:93]
	v_fma_f64 v[83:84], -v[83:84], v[96:97], v[94:95]
	v_div_fmas_f64 v[83:84], v[83:84], v[92:93], v[96:97]
	v_div_fixup_f64 v[0:1], v[83:84], v[0:1], 1.0
.LBB74_529:
	s_or_b32 exec_lo, exec_lo, s0
	s_mov_b32 s0, exec_lo
	v_cmpx_ne_u32_e64 v91, v82
	s_xor_b32 s0, exec_lo, s0
	s_cbranch_execz .LBB74_535
; %bb.530:
	s_mov_b32 s1, exec_lo
	v_cmpx_eq_u32_e32 31, v91
	s_cbranch_execz .LBB74_534
; %bb.531:
	v_cmp_ne_u32_e32 vcc_lo, 31, v82
	s_xor_b32 s2, s6, -1
	s_and_b32 s3, s2, vcc_lo
	s_and_saveexec_b32 s2, s3
	s_cbranch_execz .LBB74_533
; %bb.532:
	v_ashrrev_i32_e32 v83, 31, v82
	v_lshlrev_b64 v[83:84], 2, v[82:83]
	v_add_co_u32 v83, vcc_lo, v4, v83
	v_add_co_ci_u32_e64 v84, null, v5, v84, vcc_lo
	s_clause 0x1
	global_load_dword v85, v[83:84], off
	global_load_dword v91, v[4:5], off offset:124
	s_waitcnt vmcnt(1)
	global_store_dword v[4:5], v85, off offset:124
	s_waitcnt vmcnt(0)
	global_store_dword v[83:84], v91, off
.LBB74_533:
	s_or_b32 exec_lo, exec_lo, s2
	v_mov_b32_e32 v85, v82
	v_mov_b32_e32 v91, v82
.LBB74_534:
	s_or_b32 exec_lo, exec_lo, s1
.LBB74_535:
	s_andn2_saveexec_b32 s0, s0
	s_cbranch_execz .LBB74_537
; %bb.536:
	v_mov_b32_e32 v82, v14
	v_mov_b32_e32 v83, v15
	;; [unrolled: 1-line block ×11, first 2 shown]
	ds_write2_b64 v88, v[82:83], v[92:93] offset0:32 offset1:33
	ds_write2_b64 v88, v[94:95], v[96:97] offset0:34 offset1:35
	;; [unrolled: 1-line block ×3, first 2 shown]
.LBB74_537:
	s_or_b32 exec_lo, exec_lo, s0
	s_mov_b32 s0, exec_lo
	s_waitcnt lgkmcnt(0)
	s_waitcnt_vscnt null, 0x0
	s_barrier
	buffer_gl0_inv
	v_cmpx_lt_i32_e32 31, v91
	s_cbranch_execz .LBB74_539
; %bb.538:
	v_mul_f64 v[16:17], v[0:1], v[16:17]
	ds_read2_b64 v[92:95], v88 offset0:32 offset1:33
	ds_read2_b64 v[96:99], v88 offset0:34 offset1:35
	;; [unrolled: 1-line block ×3, first 2 shown]
	s_waitcnt lgkmcnt(2)
	v_fma_f64 v[14:15], -v[16:17], v[92:93], v[14:15]
	v_fma_f64 v[8:9], -v[16:17], v[94:95], v[8:9]
	s_waitcnt lgkmcnt(1)
	v_fma_f64 v[12:13], -v[16:17], v[96:97], v[12:13]
	v_fma_f64 v[6:7], -v[16:17], v[98:99], v[6:7]
	;; [unrolled: 3-line block ×3, first 2 shown]
.LBB74_539:
	s_or_b32 exec_lo, exec_lo, s0
	v_lshl_add_u32 v0, v91, 3, v88
	s_barrier
	buffer_gl0_inv
	v_mov_b32_e32 v82, 32
	ds_write_b64 v0, v[14:15]
	s_waitcnt lgkmcnt(0)
	s_barrier
	buffer_gl0_inv
	ds_read_b64 v[0:1], v88 offset:256
	s_cmp_lt_i32 s7, 34
	s_cbranch_scc1 .LBB74_542
; %bb.540:
	v_add3_u32 v83, v89, 0, 0x108
	v_mov_b32_e32 v82, 32
	s_mov_b32 s0, 33
.LBB74_541:                             ; =>This Inner Loop Header: Depth=1
	ds_read_b64 v[92:93], v83
	v_add_nc_u32_e32 v83, 8, v83
	s_waitcnt lgkmcnt(0)
	v_cmp_lt_f64_e64 vcc_lo, |v[0:1]|, |v[92:93]|
	v_cndmask_b32_e32 v1, v1, v93, vcc_lo
	v_cndmask_b32_e32 v0, v0, v92, vcc_lo
	v_cndmask_b32_e64 v82, v82, s0, vcc_lo
	s_add_i32 s0, s0, 1
	s_cmp_lg_u32 s7, s0
	s_cbranch_scc1 .LBB74_541
.LBB74_542:
	s_mov_b32 s0, exec_lo
	s_waitcnt lgkmcnt(0)
	v_cmpx_eq_f64_e32 0, v[0:1]
	s_xor_b32 s0, exec_lo, s0
; %bb.543:
	v_cmp_ne_u32_e32 vcc_lo, 0, v90
	v_cndmask_b32_e32 v90, 33, v90, vcc_lo
; %bb.544:
	s_andn2_saveexec_b32 s0, s0
	s_cbranch_execz .LBB74_546
; %bb.545:
	v_div_scale_f64 v[83:84], null, v[0:1], v[0:1], 1.0
	v_rcp_f64_e32 v[92:93], v[83:84]
	v_fma_f64 v[94:95], -v[83:84], v[92:93], 1.0
	v_fma_f64 v[92:93], v[92:93], v[94:95], v[92:93]
	v_fma_f64 v[94:95], -v[83:84], v[92:93], 1.0
	v_fma_f64 v[92:93], v[92:93], v[94:95], v[92:93]
	v_div_scale_f64 v[94:95], vcc_lo, 1.0, v[0:1], 1.0
	v_mul_f64 v[96:97], v[94:95], v[92:93]
	v_fma_f64 v[83:84], -v[83:84], v[96:97], v[94:95]
	v_div_fmas_f64 v[83:84], v[83:84], v[92:93], v[96:97]
	v_div_fixup_f64 v[0:1], v[83:84], v[0:1], 1.0
.LBB74_546:
	s_or_b32 exec_lo, exec_lo, s0
	s_mov_b32 s0, exec_lo
	v_cmpx_ne_u32_e64 v91, v82
	s_xor_b32 s0, exec_lo, s0
	s_cbranch_execz .LBB74_552
; %bb.547:
	s_mov_b32 s1, exec_lo
	v_cmpx_eq_u32_e32 32, v91
	s_cbranch_execz .LBB74_551
; %bb.548:
	v_cmp_ne_u32_e32 vcc_lo, 32, v82
	s_xor_b32 s2, s6, -1
	s_and_b32 s3, s2, vcc_lo
	s_and_saveexec_b32 s2, s3
	s_cbranch_execz .LBB74_550
; %bb.549:
	v_ashrrev_i32_e32 v83, 31, v82
	v_lshlrev_b64 v[83:84], 2, v[82:83]
	v_add_co_u32 v83, vcc_lo, v4, v83
	v_add_co_ci_u32_e64 v84, null, v5, v84, vcc_lo
	s_clause 0x1
	global_load_dword v85, v[83:84], off
	global_load_dword v91, v[4:5], off offset:128
	s_waitcnt vmcnt(1)
	global_store_dword v[4:5], v85, off offset:128
	s_waitcnt vmcnt(0)
	global_store_dword v[83:84], v91, off
.LBB74_550:
	s_or_b32 exec_lo, exec_lo, s2
	v_mov_b32_e32 v85, v82
	v_mov_b32_e32 v91, v82
.LBB74_551:
	s_or_b32 exec_lo, exec_lo, s1
.LBB74_552:
	s_andn2_saveexec_b32 s0, s0
	s_cbranch_execz .LBB74_554
; %bb.553:
	v_mov_b32_e32 v91, 32
	ds_write2_b64 v88, v[8:9], v[12:13] offset0:33 offset1:34
	ds_write2_b64 v88, v[6:7], v[10:11] offset0:35 offset1:36
	ds_write_b64 v88, v[80:81] offset:296
.LBB74_554:
	s_or_b32 exec_lo, exec_lo, s0
	s_mov_b32 s0, exec_lo
	s_waitcnt lgkmcnt(0)
	s_waitcnt_vscnt null, 0x0
	s_barrier
	buffer_gl0_inv
	v_cmpx_lt_i32_e32 32, v91
	s_cbranch_execz .LBB74_556
; %bb.555:
	v_mul_f64 v[14:15], v[0:1], v[14:15]
	ds_read2_b64 v[92:95], v88 offset0:33 offset1:34
	ds_read2_b64 v[96:99], v88 offset0:35 offset1:36
	ds_read_b64 v[0:1], v88 offset:296
	s_waitcnt lgkmcnt(2)
	v_fma_f64 v[8:9], -v[14:15], v[92:93], v[8:9]
	v_fma_f64 v[12:13], -v[14:15], v[94:95], v[12:13]
	s_waitcnt lgkmcnt(1)
	v_fma_f64 v[6:7], -v[14:15], v[96:97], v[6:7]
	v_fma_f64 v[10:11], -v[14:15], v[98:99], v[10:11]
	s_waitcnt lgkmcnt(0)
	v_fma_f64 v[80:81], -v[14:15], v[0:1], v[80:81]
.LBB74_556:
	s_or_b32 exec_lo, exec_lo, s0
	v_lshl_add_u32 v0, v91, 3, v88
	s_barrier
	buffer_gl0_inv
	v_mov_b32_e32 v82, 33
	ds_write_b64 v0, v[8:9]
	s_waitcnt lgkmcnt(0)
	s_barrier
	buffer_gl0_inv
	ds_read_b64 v[0:1], v88 offset:264
	s_cmp_lt_i32 s7, 35
	s_cbranch_scc1 .LBB74_559
; %bb.557:
	v_add3_u32 v83, v89, 0, 0x110
	v_mov_b32_e32 v82, 33
	s_mov_b32 s0, 34
.LBB74_558:                             ; =>This Inner Loop Header: Depth=1
	ds_read_b64 v[92:93], v83
	v_add_nc_u32_e32 v83, 8, v83
	s_waitcnt lgkmcnt(0)
	v_cmp_lt_f64_e64 vcc_lo, |v[0:1]|, |v[92:93]|
	v_cndmask_b32_e32 v1, v1, v93, vcc_lo
	v_cndmask_b32_e32 v0, v0, v92, vcc_lo
	v_cndmask_b32_e64 v82, v82, s0, vcc_lo
	s_add_i32 s0, s0, 1
	s_cmp_lg_u32 s7, s0
	s_cbranch_scc1 .LBB74_558
.LBB74_559:
	s_mov_b32 s0, exec_lo
	s_waitcnt lgkmcnt(0)
	v_cmpx_eq_f64_e32 0, v[0:1]
	s_xor_b32 s0, exec_lo, s0
; %bb.560:
	v_cmp_ne_u32_e32 vcc_lo, 0, v90
	v_cndmask_b32_e32 v90, 34, v90, vcc_lo
; %bb.561:
	s_andn2_saveexec_b32 s0, s0
	s_cbranch_execz .LBB74_563
; %bb.562:
	v_div_scale_f64 v[83:84], null, v[0:1], v[0:1], 1.0
	v_rcp_f64_e32 v[92:93], v[83:84]
	v_fma_f64 v[94:95], -v[83:84], v[92:93], 1.0
	v_fma_f64 v[92:93], v[92:93], v[94:95], v[92:93]
	v_fma_f64 v[94:95], -v[83:84], v[92:93], 1.0
	v_fma_f64 v[92:93], v[92:93], v[94:95], v[92:93]
	v_div_scale_f64 v[94:95], vcc_lo, 1.0, v[0:1], 1.0
	v_mul_f64 v[96:97], v[94:95], v[92:93]
	v_fma_f64 v[83:84], -v[83:84], v[96:97], v[94:95]
	v_div_fmas_f64 v[83:84], v[83:84], v[92:93], v[96:97]
	v_div_fixup_f64 v[0:1], v[83:84], v[0:1], 1.0
.LBB74_563:
	s_or_b32 exec_lo, exec_lo, s0
	s_mov_b32 s0, exec_lo
	v_cmpx_ne_u32_e64 v91, v82
	s_xor_b32 s0, exec_lo, s0
	s_cbranch_execz .LBB74_569
; %bb.564:
	s_mov_b32 s1, exec_lo
	v_cmpx_eq_u32_e32 33, v91
	s_cbranch_execz .LBB74_568
; %bb.565:
	v_cmp_ne_u32_e32 vcc_lo, 33, v82
	s_xor_b32 s2, s6, -1
	s_and_b32 s3, s2, vcc_lo
	s_and_saveexec_b32 s2, s3
	s_cbranch_execz .LBB74_567
; %bb.566:
	v_ashrrev_i32_e32 v83, 31, v82
	v_lshlrev_b64 v[83:84], 2, v[82:83]
	v_add_co_u32 v83, vcc_lo, v4, v83
	v_add_co_ci_u32_e64 v84, null, v5, v84, vcc_lo
	s_clause 0x1
	global_load_dword v85, v[83:84], off
	global_load_dword v91, v[4:5], off offset:132
	s_waitcnt vmcnt(1)
	global_store_dword v[4:5], v85, off offset:132
	s_waitcnt vmcnt(0)
	global_store_dword v[83:84], v91, off
.LBB74_567:
	s_or_b32 exec_lo, exec_lo, s2
	v_mov_b32_e32 v85, v82
	v_mov_b32_e32 v91, v82
.LBB74_568:
	s_or_b32 exec_lo, exec_lo, s1
.LBB74_569:
	s_andn2_saveexec_b32 s0, s0
	s_cbranch_execz .LBB74_571
; %bb.570:
	v_mov_b32_e32 v82, v12
	v_mov_b32_e32 v83, v13
	;; [unrolled: 1-line block ×7, first 2 shown]
	ds_write2_b64 v88, v[82:83], v[92:93] offset0:34 offset1:35
	ds_write2_b64 v88, v[94:95], v[80:81] offset0:36 offset1:37
.LBB74_571:
	s_or_b32 exec_lo, exec_lo, s0
	s_mov_b32 s0, exec_lo
	s_waitcnt lgkmcnt(0)
	s_waitcnt_vscnt null, 0x0
	s_barrier
	buffer_gl0_inv
	v_cmpx_lt_i32_e32 33, v91
	s_cbranch_execz .LBB74_573
; %bb.572:
	v_mul_f64 v[8:9], v[0:1], v[8:9]
	ds_read2_b64 v[92:95], v88 offset0:34 offset1:35
	ds_read2_b64 v[96:99], v88 offset0:36 offset1:37
	s_waitcnt lgkmcnt(1)
	v_fma_f64 v[12:13], -v[8:9], v[92:93], v[12:13]
	v_fma_f64 v[6:7], -v[8:9], v[94:95], v[6:7]
	s_waitcnt lgkmcnt(0)
	v_fma_f64 v[10:11], -v[8:9], v[96:97], v[10:11]
	v_fma_f64 v[80:81], -v[8:9], v[98:99], v[80:81]
.LBB74_573:
	s_or_b32 exec_lo, exec_lo, s0
	v_lshl_add_u32 v0, v91, 3, v88
	s_barrier
	buffer_gl0_inv
	v_mov_b32_e32 v82, 34
	ds_write_b64 v0, v[12:13]
	s_waitcnt lgkmcnt(0)
	s_barrier
	buffer_gl0_inv
	ds_read_b64 v[0:1], v88 offset:272
	s_cmp_lt_i32 s7, 36
	s_cbranch_scc1 .LBB74_576
; %bb.574:
	v_add3_u32 v83, v89, 0, 0x118
	v_mov_b32_e32 v82, 34
	s_mov_b32 s0, 35
.LBB74_575:                             ; =>This Inner Loop Header: Depth=1
	ds_read_b64 v[92:93], v83
	v_add_nc_u32_e32 v83, 8, v83
	s_waitcnt lgkmcnt(0)
	v_cmp_lt_f64_e64 vcc_lo, |v[0:1]|, |v[92:93]|
	v_cndmask_b32_e32 v1, v1, v93, vcc_lo
	v_cndmask_b32_e32 v0, v0, v92, vcc_lo
	v_cndmask_b32_e64 v82, v82, s0, vcc_lo
	s_add_i32 s0, s0, 1
	s_cmp_lg_u32 s7, s0
	s_cbranch_scc1 .LBB74_575
.LBB74_576:
	s_mov_b32 s0, exec_lo
	s_waitcnt lgkmcnt(0)
	v_cmpx_eq_f64_e32 0, v[0:1]
	s_xor_b32 s0, exec_lo, s0
; %bb.577:
	v_cmp_ne_u32_e32 vcc_lo, 0, v90
	v_cndmask_b32_e32 v90, 35, v90, vcc_lo
; %bb.578:
	s_andn2_saveexec_b32 s0, s0
	s_cbranch_execz .LBB74_580
; %bb.579:
	v_div_scale_f64 v[83:84], null, v[0:1], v[0:1], 1.0
	v_rcp_f64_e32 v[92:93], v[83:84]
	v_fma_f64 v[94:95], -v[83:84], v[92:93], 1.0
	v_fma_f64 v[92:93], v[92:93], v[94:95], v[92:93]
	v_fma_f64 v[94:95], -v[83:84], v[92:93], 1.0
	v_fma_f64 v[92:93], v[92:93], v[94:95], v[92:93]
	v_div_scale_f64 v[94:95], vcc_lo, 1.0, v[0:1], 1.0
	v_mul_f64 v[96:97], v[94:95], v[92:93]
	v_fma_f64 v[83:84], -v[83:84], v[96:97], v[94:95]
	v_div_fmas_f64 v[83:84], v[83:84], v[92:93], v[96:97]
	v_div_fixup_f64 v[0:1], v[83:84], v[0:1], 1.0
.LBB74_580:
	s_or_b32 exec_lo, exec_lo, s0
	s_mov_b32 s0, exec_lo
	v_cmpx_ne_u32_e64 v91, v82
	s_xor_b32 s0, exec_lo, s0
	s_cbranch_execz .LBB74_586
; %bb.581:
	s_mov_b32 s1, exec_lo
	v_cmpx_eq_u32_e32 34, v91
	s_cbranch_execz .LBB74_585
; %bb.582:
	v_cmp_ne_u32_e32 vcc_lo, 34, v82
	s_xor_b32 s2, s6, -1
	s_and_b32 s3, s2, vcc_lo
	s_and_saveexec_b32 s2, s3
	s_cbranch_execz .LBB74_584
; %bb.583:
	v_ashrrev_i32_e32 v83, 31, v82
	v_lshlrev_b64 v[83:84], 2, v[82:83]
	v_add_co_u32 v83, vcc_lo, v4, v83
	v_add_co_ci_u32_e64 v84, null, v5, v84, vcc_lo
	s_clause 0x1
	global_load_dword v85, v[83:84], off
	global_load_dword v91, v[4:5], off offset:136
	s_waitcnt vmcnt(1)
	global_store_dword v[4:5], v85, off offset:136
	s_waitcnt vmcnt(0)
	global_store_dword v[83:84], v91, off
.LBB74_584:
	s_or_b32 exec_lo, exec_lo, s2
	v_mov_b32_e32 v85, v82
	v_mov_b32_e32 v91, v82
.LBB74_585:
	s_or_b32 exec_lo, exec_lo, s1
.LBB74_586:
	s_andn2_saveexec_b32 s0, s0
	s_cbranch_execz .LBB74_588
; %bb.587:
	v_mov_b32_e32 v91, 34
	ds_write2_b64 v88, v[6:7], v[10:11] offset0:35 offset1:36
	ds_write_b64 v88, v[80:81] offset:296
.LBB74_588:
	s_or_b32 exec_lo, exec_lo, s0
	s_mov_b32 s0, exec_lo
	s_waitcnt lgkmcnt(0)
	s_waitcnt_vscnt null, 0x0
	s_barrier
	buffer_gl0_inv
	v_cmpx_lt_i32_e32 34, v91
	s_cbranch_execz .LBB74_590
; %bb.589:
	v_mul_f64 v[12:13], v[0:1], v[12:13]
	ds_read2_b64 v[92:95], v88 offset0:35 offset1:36
	ds_read_b64 v[0:1], v88 offset:296
	s_waitcnt lgkmcnt(1)
	v_fma_f64 v[6:7], -v[12:13], v[92:93], v[6:7]
	v_fma_f64 v[10:11], -v[12:13], v[94:95], v[10:11]
	s_waitcnt lgkmcnt(0)
	v_fma_f64 v[80:81], -v[12:13], v[0:1], v[80:81]
.LBB74_590:
	s_or_b32 exec_lo, exec_lo, s0
	v_lshl_add_u32 v0, v91, 3, v88
	s_barrier
	buffer_gl0_inv
	v_mov_b32_e32 v82, 35
	ds_write_b64 v0, v[6:7]
	s_waitcnt lgkmcnt(0)
	s_barrier
	buffer_gl0_inv
	ds_read_b64 v[0:1], v88 offset:280
	s_cmp_lt_i32 s7, 37
	s_cbranch_scc1 .LBB74_593
; %bb.591:
	v_add3_u32 v83, v89, 0, 0x120
	v_mov_b32_e32 v82, 35
	s_mov_b32 s0, 36
.LBB74_592:                             ; =>This Inner Loop Header: Depth=1
	ds_read_b64 v[92:93], v83
	v_add_nc_u32_e32 v83, 8, v83
	s_waitcnt lgkmcnt(0)
	v_cmp_lt_f64_e64 vcc_lo, |v[0:1]|, |v[92:93]|
	v_cndmask_b32_e32 v1, v1, v93, vcc_lo
	v_cndmask_b32_e32 v0, v0, v92, vcc_lo
	v_cndmask_b32_e64 v82, v82, s0, vcc_lo
	s_add_i32 s0, s0, 1
	s_cmp_lg_u32 s7, s0
	s_cbranch_scc1 .LBB74_592
.LBB74_593:
	s_mov_b32 s0, exec_lo
	s_waitcnt lgkmcnt(0)
	v_cmpx_eq_f64_e32 0, v[0:1]
	s_xor_b32 s0, exec_lo, s0
; %bb.594:
	v_cmp_ne_u32_e32 vcc_lo, 0, v90
	v_cndmask_b32_e32 v90, 36, v90, vcc_lo
; %bb.595:
	s_andn2_saveexec_b32 s0, s0
	s_cbranch_execz .LBB74_597
; %bb.596:
	v_div_scale_f64 v[83:84], null, v[0:1], v[0:1], 1.0
	v_rcp_f64_e32 v[92:93], v[83:84]
	v_fma_f64 v[94:95], -v[83:84], v[92:93], 1.0
	v_fma_f64 v[92:93], v[92:93], v[94:95], v[92:93]
	v_fma_f64 v[94:95], -v[83:84], v[92:93], 1.0
	v_fma_f64 v[92:93], v[92:93], v[94:95], v[92:93]
	v_div_scale_f64 v[94:95], vcc_lo, 1.0, v[0:1], 1.0
	v_mul_f64 v[96:97], v[94:95], v[92:93]
	v_fma_f64 v[83:84], -v[83:84], v[96:97], v[94:95]
	v_div_fmas_f64 v[83:84], v[83:84], v[92:93], v[96:97]
	v_div_fixup_f64 v[0:1], v[83:84], v[0:1], 1.0
.LBB74_597:
	s_or_b32 exec_lo, exec_lo, s0
	s_mov_b32 s0, exec_lo
	v_cmpx_ne_u32_e64 v91, v82
	s_xor_b32 s0, exec_lo, s0
	s_cbranch_execz .LBB74_603
; %bb.598:
	s_mov_b32 s1, exec_lo
	v_cmpx_eq_u32_e32 35, v91
	s_cbranch_execz .LBB74_602
; %bb.599:
	v_cmp_ne_u32_e32 vcc_lo, 35, v82
	s_xor_b32 s2, s6, -1
	s_and_b32 s3, s2, vcc_lo
	s_and_saveexec_b32 s2, s3
	s_cbranch_execz .LBB74_601
; %bb.600:
	v_ashrrev_i32_e32 v83, 31, v82
	v_lshlrev_b64 v[83:84], 2, v[82:83]
	v_add_co_u32 v83, vcc_lo, v4, v83
	v_add_co_ci_u32_e64 v84, null, v5, v84, vcc_lo
	s_clause 0x1
	global_load_dword v85, v[83:84], off
	global_load_dword v91, v[4:5], off offset:140
	s_waitcnt vmcnt(1)
	global_store_dword v[4:5], v85, off offset:140
	s_waitcnt vmcnt(0)
	global_store_dword v[83:84], v91, off
.LBB74_601:
	s_or_b32 exec_lo, exec_lo, s2
	v_mov_b32_e32 v85, v82
	v_mov_b32_e32 v91, v82
.LBB74_602:
	s_or_b32 exec_lo, exec_lo, s1
.LBB74_603:
	s_andn2_saveexec_b32 s0, s0
	s_cbranch_execz .LBB74_605
; %bb.604:
	v_mov_b32_e32 v82, v10
	v_mov_b32_e32 v83, v11
	;; [unrolled: 1-line block ×3, first 2 shown]
	ds_write2_b64 v88, v[82:83], v[80:81] offset0:36 offset1:37
.LBB74_605:
	s_or_b32 exec_lo, exec_lo, s0
	s_mov_b32 s0, exec_lo
	s_waitcnt lgkmcnt(0)
	s_waitcnt_vscnt null, 0x0
	s_barrier
	buffer_gl0_inv
	v_cmpx_lt_i32_e32 35, v91
	s_cbranch_execz .LBB74_607
; %bb.606:
	v_mul_f64 v[6:7], v[0:1], v[6:7]
	ds_read2_b64 v[92:95], v88 offset0:36 offset1:37
	s_waitcnt lgkmcnt(0)
	v_fma_f64 v[10:11], -v[6:7], v[92:93], v[10:11]
	v_fma_f64 v[80:81], -v[6:7], v[94:95], v[80:81]
.LBB74_607:
	s_or_b32 exec_lo, exec_lo, s0
	v_lshl_add_u32 v0, v91, 3, v88
	s_barrier
	buffer_gl0_inv
	v_mov_b32_e32 v82, 36
	ds_write_b64 v0, v[10:11]
	s_waitcnt lgkmcnt(0)
	s_barrier
	buffer_gl0_inv
	ds_read_b64 v[0:1], v88 offset:288
	s_cmp_lt_i32 s7, 38
	s_cbranch_scc1 .LBB74_610
; %bb.608:
	v_add3_u32 v83, v89, 0, 0x128
	v_mov_b32_e32 v82, 36
	s_mov_b32 s0, 37
.LBB74_609:                             ; =>This Inner Loop Header: Depth=1
	ds_read_b64 v[92:93], v83
	v_add_nc_u32_e32 v83, 8, v83
	s_waitcnt lgkmcnt(0)
	v_cmp_lt_f64_e64 vcc_lo, |v[0:1]|, |v[92:93]|
	v_cndmask_b32_e32 v1, v1, v93, vcc_lo
	v_cndmask_b32_e32 v0, v0, v92, vcc_lo
	v_cndmask_b32_e64 v82, v82, s0, vcc_lo
	s_add_i32 s0, s0, 1
	s_cmp_lg_u32 s7, s0
	s_cbranch_scc1 .LBB74_609
.LBB74_610:
	s_mov_b32 s0, exec_lo
	s_waitcnt lgkmcnt(0)
	v_cmpx_eq_f64_e32 0, v[0:1]
	s_xor_b32 s0, exec_lo, s0
; %bb.611:
	v_cmp_ne_u32_e32 vcc_lo, 0, v90
	v_cndmask_b32_e32 v90, 37, v90, vcc_lo
; %bb.612:
	s_andn2_saveexec_b32 s0, s0
	s_cbranch_execz .LBB74_614
; %bb.613:
	v_div_scale_f64 v[83:84], null, v[0:1], v[0:1], 1.0
	v_rcp_f64_e32 v[92:93], v[83:84]
	v_fma_f64 v[94:95], -v[83:84], v[92:93], 1.0
	v_fma_f64 v[92:93], v[92:93], v[94:95], v[92:93]
	v_fma_f64 v[94:95], -v[83:84], v[92:93], 1.0
	v_fma_f64 v[92:93], v[92:93], v[94:95], v[92:93]
	v_div_scale_f64 v[94:95], vcc_lo, 1.0, v[0:1], 1.0
	v_mul_f64 v[96:97], v[94:95], v[92:93]
	v_fma_f64 v[83:84], -v[83:84], v[96:97], v[94:95]
	v_div_fmas_f64 v[83:84], v[83:84], v[92:93], v[96:97]
	v_div_fixup_f64 v[0:1], v[83:84], v[0:1], 1.0
.LBB74_614:
	s_or_b32 exec_lo, exec_lo, s0
	s_mov_b32 s0, exec_lo
	v_cmpx_ne_u32_e64 v91, v82
	s_xor_b32 s0, exec_lo, s0
	s_cbranch_execz .LBB74_620
; %bb.615:
	s_mov_b32 s1, exec_lo
	v_cmpx_eq_u32_e32 36, v91
	s_cbranch_execz .LBB74_619
; %bb.616:
	v_cmp_ne_u32_e32 vcc_lo, 36, v82
	s_xor_b32 s2, s6, -1
	s_and_b32 s3, s2, vcc_lo
	s_and_saveexec_b32 s2, s3
	s_cbranch_execz .LBB74_618
; %bb.617:
	v_ashrrev_i32_e32 v83, 31, v82
	v_lshlrev_b64 v[83:84], 2, v[82:83]
	v_add_co_u32 v83, vcc_lo, v4, v83
	v_add_co_ci_u32_e64 v84, null, v5, v84, vcc_lo
	s_clause 0x1
	global_load_dword v85, v[83:84], off
	global_load_dword v91, v[4:5], off offset:144
	s_waitcnt vmcnt(1)
	global_store_dword v[4:5], v85, off offset:144
	s_waitcnt vmcnt(0)
	global_store_dword v[83:84], v91, off
.LBB74_618:
	s_or_b32 exec_lo, exec_lo, s2
	v_mov_b32_e32 v85, v82
	v_mov_b32_e32 v91, v82
.LBB74_619:
	s_or_b32 exec_lo, exec_lo, s1
.LBB74_620:
	s_andn2_saveexec_b32 s0, s0
; %bb.621:
	v_mov_b32_e32 v91, 36
	ds_write_b64 v88, v[80:81] offset:296
; %bb.622:
	s_or_b32 exec_lo, exec_lo, s0
	s_mov_b32 s0, exec_lo
	s_waitcnt lgkmcnt(0)
	s_waitcnt_vscnt null, 0x0
	s_barrier
	buffer_gl0_inv
	v_cmpx_lt_i32_e32 36, v91
	s_cbranch_execz .LBB74_624
; %bb.623:
	v_mul_f64 v[10:11], v[0:1], v[10:11]
	ds_read_b64 v[0:1], v88 offset:296
	s_waitcnt lgkmcnt(0)
	v_fma_f64 v[80:81], -v[10:11], v[0:1], v[80:81]
.LBB74_624:
	s_or_b32 exec_lo, exec_lo, s0
	v_lshl_add_u32 v0, v91, 3, v88
	s_barrier
	buffer_gl0_inv
	v_mov_b32_e32 v82, 37
	ds_write_b64 v0, v[80:81]
	s_waitcnt lgkmcnt(0)
	s_barrier
	buffer_gl0_inv
	ds_read_b64 v[0:1], v88 offset:296
	s_cmp_lt_i32 s7, 39
	s_cbranch_scc1 .LBB74_627
; %bb.625:
	v_add3_u32 v83, v89, 0, 0x130
	v_mov_b32_e32 v82, 37
	s_mov_b32 s0, 38
.LBB74_626:                             ; =>This Inner Loop Header: Depth=1
	ds_read_b64 v[88:89], v83
	v_add_nc_u32_e32 v83, 8, v83
	s_waitcnt lgkmcnt(0)
	v_cmp_lt_f64_e64 vcc_lo, |v[0:1]|, |v[88:89]|
	v_cndmask_b32_e32 v1, v1, v89, vcc_lo
	v_cndmask_b32_e32 v0, v0, v88, vcc_lo
	v_cndmask_b32_e64 v82, v82, s0, vcc_lo
	s_add_i32 s0, s0, 1
	s_cmp_lg_u32 s7, s0
	s_cbranch_scc1 .LBB74_626
.LBB74_627:
	s_mov_b32 s0, exec_lo
	s_waitcnt lgkmcnt(0)
	v_cmpx_eq_f64_e32 0, v[0:1]
	s_xor_b32 s0, exec_lo, s0
; %bb.628:
	v_cmp_ne_u32_e32 vcc_lo, 0, v90
	v_cndmask_b32_e32 v90, 38, v90, vcc_lo
; %bb.629:
	s_andn2_saveexec_b32 s0, s0
	s_cbranch_execz .LBB74_631
; %bb.630:
	v_div_scale_f64 v[83:84], null, v[0:1], v[0:1], 1.0
	v_rcp_f64_e32 v[88:89], v[83:84]
	v_fma_f64 v[92:93], -v[83:84], v[88:89], 1.0
	v_fma_f64 v[88:89], v[88:89], v[92:93], v[88:89]
	v_fma_f64 v[92:93], -v[83:84], v[88:89], 1.0
	v_fma_f64 v[88:89], v[88:89], v[92:93], v[88:89]
	v_div_scale_f64 v[92:93], vcc_lo, 1.0, v[0:1], 1.0
	v_mul_f64 v[94:95], v[92:93], v[88:89]
	v_fma_f64 v[83:84], -v[83:84], v[94:95], v[92:93]
	v_div_fmas_f64 v[83:84], v[83:84], v[88:89], v[94:95]
	v_div_fixup_f64 v[0:1], v[83:84], v[0:1], 1.0
.LBB74_631:
	s_or_b32 exec_lo, exec_lo, s0
	v_mov_b32_e32 v83, 37
	s_mov_b32 s0, exec_lo
	v_cmpx_ne_u32_e64 v91, v82
	s_cbranch_execz .LBB74_637
; %bb.632:
	s_mov_b32 s1, exec_lo
	v_cmpx_eq_u32_e32 37, v91
	s_cbranch_execz .LBB74_636
; %bb.633:
	v_cmp_ne_u32_e32 vcc_lo, 37, v82
	s_xor_b32 s2, s6, -1
	s_and_b32 s3, s2, vcc_lo
	s_and_saveexec_b32 s2, s3
	s_cbranch_execz .LBB74_635
; %bb.634:
	v_ashrrev_i32_e32 v83, 31, v82
	v_lshlrev_b64 v[83:84], 2, v[82:83]
	v_add_co_u32 v83, vcc_lo, v4, v83
	v_add_co_ci_u32_e64 v84, null, v5, v84, vcc_lo
	s_clause 0x1
	global_load_dword v85, v[83:84], off
	global_load_dword v88, v[4:5], off offset:148
	s_waitcnt vmcnt(1)
	global_store_dword v[4:5], v85, off offset:148
	s_waitcnt vmcnt(0)
	global_store_dword v[83:84], v88, off
.LBB74_635:
	s_or_b32 exec_lo, exec_lo, s2
	v_mov_b32_e32 v85, v82
	v_mov_b32_e32 v91, v82
.LBB74_636:
	s_or_b32 exec_lo, exec_lo, s1
	v_mov_b32_e32 v83, v91
.LBB74_637:
	s_or_b32 exec_lo, exec_lo, s0
	s_load_dwordx8 s[0:7], s[4:5], 0x28
	v_ashrrev_i32_e32 v84, 31, v83
	s_mov_b32 s9, exec_lo
	s_waitcnt lgkmcnt(0)
	s_waitcnt_vscnt null, 0x0
	s_barrier
	buffer_gl0_inv
	s_barrier
	buffer_gl0_inv
	v_cmpx_gt_i32_e32 38, v83
	s_cbranch_execz .LBB74_639
; %bb.638:
	v_mul_lo_u32 v82, s5, v2
	v_mul_lo_u32 v88, s4, v3
	v_mad_u64_u32 v[4:5], null, s4, v2, 0
	s_lshl_b64 s[2:3], s[2:3], 2
	v_add3_u32 v5, v5, v88, v82
	v_lshlrev_b64 v[4:5], 2, v[4:5]
	v_add_co_u32 v82, vcc_lo, s0, v4
	v_add_co_ci_u32_e64 v88, null, s1, v5, vcc_lo
	v_lshlrev_b64 v[4:5], 2, v[83:84]
	v_add_co_u32 v82, vcc_lo, v82, s2
	v_add_co_ci_u32_e64 v88, null, s3, v88, vcc_lo
	v_add_co_u32 v4, vcc_lo, v82, v4
	v_add_co_ci_u32_e64 v5, null, v88, v5, vcc_lo
	v_add3_u32 v82, v85, s13, 1
	global_store_dword v[4:5], v82, off
.LBB74_639:
	s_or_b32 exec_lo, exec_lo, s9
	s_mov_b32 s1, exec_lo
	v_cmpx_eq_u32_e32 0, v83
	s_cbranch_execz .LBB74_642
; %bb.640:
	v_lshlrev_b64 v[2:3], 2, v[2:3]
	v_cmp_ne_u32_e64 s0, 0, v90
	v_add_co_u32 v2, vcc_lo, s6, v2
	v_add_co_ci_u32_e64 v3, null, s7, v3, vcc_lo
	global_load_dword v4, v[2:3], off
	s_waitcnt vmcnt(0)
	v_cmp_eq_u32_e32 vcc_lo, 0, v4
	s_and_b32 s0, vcc_lo, s0
	s_and_b32 exec_lo, exec_lo, s0
	s_cbranch_execz .LBB74_642
; %bb.641:
	v_add_nc_u32_e32 v4, s13, v90
	global_store_dword v[2:3], v4, off
.LBB74_642:
	s_or_b32 exec_lo, exec_lo, s1
	v_mul_f64 v[0:1], v[0:1], v[80:81]
	v_add3_u32 v2, s8, s8, v83
	v_lshlrev_b64 v[4:5], 3, v[83:84]
	v_add_nc_u32_e32 v82, s8, v2
	v_ashrrev_i32_e32 v3, 31, v2
	v_add_co_u32 v4, vcc_lo, v86, v4
	v_add_co_ci_u32_e64 v5, null, v87, v5, vcc_lo
	v_add_nc_u32_e32 v84, s8, v82
	v_lshlrev_b64 v[2:3], 3, v[2:3]
	v_cmp_lt_i32_e32 vcc_lo, 37, v83
	flat_store_dwordx2 v[4:5], v[78:79]
	v_ashrrev_i32_e32 v83, 31, v82
	v_add_nc_u32_e32 v78, s8, v84
	v_add_co_u32 v4, s0, v4, s10
	v_add_co_ci_u32_e64 v5, null, s11, v5, s0
	v_cndmask_b32_e32 v1, v81, v1, vcc_lo
	v_cndmask_b32_e32 v0, v80, v0, vcc_lo
	v_add_co_u32 v2, vcc_lo, v86, v2
	v_ashrrev_i32_e32 v85, 31, v84
	v_add_co_ci_u32_e64 v3, null, v87, v3, vcc_lo
	v_ashrrev_i32_e32 v79, 31, v78
	v_lshlrev_b64 v[80:81], 3, v[82:83]
	flat_store_dwordx2 v[4:5], v[74:75]
	flat_store_dwordx2 v[2:3], v[76:77]
	v_lshlrev_b64 v[2:3], 3, v[84:85]
	v_add_nc_u32_e32 v76, s8, v78
	v_lshlrev_b64 v[74:75], 3, v[78:79]
	v_add_co_u32 v4, vcc_lo, v86, v80
	v_add_co_ci_u32_e64 v5, null, v87, v81, vcc_lo
	v_add_co_u32 v2, vcc_lo, v86, v2
	v_add_co_ci_u32_e64 v3, null, v87, v3, vcc_lo
	v_add_co_u32 v74, vcc_lo, v86, v74
	v_add_nc_u32_e32 v78, s8, v76
	v_add_co_ci_u32_e64 v75, null, v87, v75, vcc_lo
	v_ashrrev_i32_e32 v77, 31, v76
	flat_store_dwordx2 v[4:5], v[72:73]
	flat_store_dwordx2 v[2:3], v[70:71]
	flat_store_dwordx2 v[74:75], v[68:69]
	v_add_nc_u32_e32 v68, s8, v78
	v_ashrrev_i32_e32 v79, 31, v78
	v_lshlrev_b64 v[4:5], 3, v[76:77]
	v_add_nc_u32_e32 v70, s8, v68
	v_lshlrev_b64 v[2:3], 3, v[78:79]
	v_ashrrev_i32_e32 v69, 31, v68
	v_add_co_u32 v4, vcc_lo, v86, v4
	v_add_nc_u32_e32 v72, s8, v70
	v_add_co_ci_u32_e64 v5, null, v87, v5, vcc_lo
	v_add_co_u32 v2, vcc_lo, v86, v2
	v_ashrrev_i32_e32 v71, 31, v70
	v_add_co_ci_u32_e64 v3, null, v87, v3, vcc_lo
	v_ashrrev_i32_e32 v73, 31, v72
	v_lshlrev_b64 v[68:69], 3, v[68:69]
	flat_store_dwordx2 v[4:5], v[66:67]
	flat_store_dwordx2 v[2:3], v[64:65]
	v_lshlrev_b64 v[2:3], 3, v[70:71]
	v_add_nc_u32_e32 v66, s8, v72
	v_lshlrev_b64 v[64:65], 3, v[72:73]
	v_add_co_u32 v4, vcc_lo, v86, v68
	v_add_co_ci_u32_e64 v5, null, v87, v69, vcc_lo
	v_add_co_u32 v2, vcc_lo, v86, v2
	v_add_co_ci_u32_e64 v3, null, v87, v3, vcc_lo
	v_add_co_u32 v64, vcc_lo, v86, v64
	v_add_nc_u32_e32 v68, s8, v66
	v_add_co_ci_u32_e64 v65, null, v87, v65, vcc_lo
	v_ashrrev_i32_e32 v67, 31, v66
	flat_store_dwordx2 v[4:5], v[62:63]
	flat_store_dwordx2 v[2:3], v[58:59]
	flat_store_dwordx2 v[64:65], v[60:61]
	v_add_nc_u32_e32 v58, s8, v68
	v_ashrrev_i32_e32 v69, 31, v68
	v_lshlrev_b64 v[4:5], 3, v[66:67]
	v_add_nc_u32_e32 v60, s8, v58
	v_lshlrev_b64 v[2:3], 3, v[68:69]
	v_ashrrev_i32_e32 v59, 31, v58
	v_add_co_u32 v4, vcc_lo, v86, v4
	v_add_nc_u32_e32 v62, s8, v60
	v_add_co_ci_u32_e64 v5, null, v87, v5, vcc_lo
	;; [unrolled: 30-line block ×5, first 2 shown]
	v_add_co_u32 v2, vcc_lo, v86, v2
	v_ashrrev_i32_e32 v31, 31, v30
	v_add_co_ci_u32_e64 v3, null, v87, v3, vcc_lo
	v_ashrrev_i32_e32 v33, 31, v32
	v_lshlrev_b64 v[28:29], 3, v[28:29]
	flat_store_dwordx2 v[4:5], v[26:27]
	flat_store_dwordx2 v[2:3], v[24:25]
	v_lshlrev_b64 v[2:3], 3, v[30:31]
	v_add_nc_u32_e32 v26, s8, v32
	v_lshlrev_b64 v[24:25], 3, v[32:33]
	v_add_co_u32 v4, vcc_lo, v86, v28
	v_add_co_ci_u32_e64 v5, null, v87, v29, vcc_lo
	v_add_co_u32 v2, vcc_lo, v86, v2
	v_add_nc_u32_e32 v28, s8, v26
	v_add_co_ci_u32_e64 v3, null, v87, v3, vcc_lo
	v_add_co_u32 v24, vcc_lo, v86, v24
	v_ashrrev_i32_e32 v27, 31, v26
	v_add_co_ci_u32_e64 v25, null, v87, v25, vcc_lo
	v_ashrrev_i32_e32 v29, 31, v28
	flat_store_dwordx2 v[4:5], v[22:23]
	v_lshlrev_b64 v[4:5], 3, v[26:27]
	flat_store_dwordx2 v[2:3], v[18:19]
	flat_store_dwordx2 v[24:25], v[20:21]
	v_add_nc_u32_e32 v18, s8, v28
	v_lshlrev_b64 v[2:3], 3, v[28:29]
	v_add_co_u32 v4, vcc_lo, v86, v4
	v_add_nc_u32_e32 v20, s8, v18
	v_add_co_ci_u32_e64 v5, null, v87, v5, vcc_lo
	v_add_co_u32 v2, vcc_lo, v86, v2
	v_add_co_ci_u32_e64 v3, null, v87, v3, vcc_lo
	v_add_nc_u32_e32 v22, s8, v20
	v_ashrrev_i32_e32 v19, 31, v18
	flat_store_dwordx2 v[4:5], v[16:17]
	flat_store_dwordx2 v[2:3], v[14:15]
	v_ashrrev_i32_e32 v21, 31, v20
	v_add_nc_u32_e32 v14, s8, v22
	v_lshlrev_b64 v[4:5], 3, v[18:19]
	v_ashrrev_i32_e32 v23, 31, v22
	v_lshlrev_b64 v[2:3], 3, v[20:21]
	v_add_nc_u32_e32 v18, s8, v14
	v_ashrrev_i32_e32 v15, 31, v14
	v_lshlrev_b64 v[16:17], 3, v[22:23]
	v_add_co_u32 v4, vcc_lo, v86, v4
	v_ashrrev_i32_e32 v19, 31, v18
	v_lshlrev_b64 v[14:15], 3, v[14:15]
	v_add_co_ci_u32_e64 v5, null, v87, v5, vcc_lo
	v_add_co_u32 v2, vcc_lo, v86, v2
	v_lshlrev_b64 v[18:19], 3, v[18:19]
	v_add_co_ci_u32_e64 v3, null, v87, v3, vcc_lo
	v_add_co_u32 v16, vcc_lo, v86, v16
	v_add_co_ci_u32_e64 v17, null, v87, v17, vcc_lo
	v_add_co_u32 v14, vcc_lo, v86, v14
	;; [unrolled: 2-line block ×3, first 2 shown]
	v_add_co_ci_u32_e64 v19, null, v87, v19, vcc_lo
	flat_store_dwordx2 v[4:5], v[8:9]
	flat_store_dwordx2 v[2:3], v[12:13]
	;; [unrolled: 1-line block ×5, first 2 shown]
.LBB74_643:
	s_endpgm
	.section	.rodata,"a",@progbits
	.p2align	6, 0x0
	.amdhsa_kernel _ZN9rocsolver6v33100L18getf2_small_kernelILi38EdiiPKPdEEvT1_T3_lS5_lPS5_llPT2_S5_S5_S7_l
		.amdhsa_group_segment_fixed_size 0
		.amdhsa_private_segment_fixed_size 0
		.amdhsa_kernarg_size 352
		.amdhsa_user_sgpr_count 6
		.amdhsa_user_sgpr_private_segment_buffer 1
		.amdhsa_user_sgpr_dispatch_ptr 0
		.amdhsa_user_sgpr_queue_ptr 0
		.amdhsa_user_sgpr_kernarg_segment_ptr 1
		.amdhsa_user_sgpr_dispatch_id 0
		.amdhsa_user_sgpr_flat_scratch_init 0
		.amdhsa_user_sgpr_private_segment_size 0
		.amdhsa_wavefront_size32 1
		.amdhsa_uses_dynamic_stack 0
		.amdhsa_system_sgpr_private_segment_wavefront_offset 0
		.amdhsa_system_sgpr_workgroup_id_x 1
		.amdhsa_system_sgpr_workgroup_id_y 1
		.amdhsa_system_sgpr_workgroup_id_z 0
		.amdhsa_system_sgpr_workgroup_info 0
		.amdhsa_system_vgpr_workitem_id 1
		.amdhsa_next_free_vgpr 164
		.amdhsa_next_free_sgpr 14
		.amdhsa_reserve_vcc 1
		.amdhsa_reserve_flat_scratch 1
		.amdhsa_float_round_mode_32 0
		.amdhsa_float_round_mode_16_64 0
		.amdhsa_float_denorm_mode_32 3
		.amdhsa_float_denorm_mode_16_64 3
		.amdhsa_dx10_clamp 1
		.amdhsa_ieee_mode 1
		.amdhsa_fp16_overflow 0
		.amdhsa_workgroup_processor_mode 1
		.amdhsa_memory_ordered 1
		.amdhsa_forward_progress 1
		.amdhsa_shared_vgpr_count 0
		.amdhsa_exception_fp_ieee_invalid_op 0
		.amdhsa_exception_fp_denorm_src 0
		.amdhsa_exception_fp_ieee_div_zero 0
		.amdhsa_exception_fp_ieee_overflow 0
		.amdhsa_exception_fp_ieee_underflow 0
		.amdhsa_exception_fp_ieee_inexact 0
		.amdhsa_exception_int_div_zero 0
	.end_amdhsa_kernel
	.section	.text._ZN9rocsolver6v33100L18getf2_small_kernelILi38EdiiPKPdEEvT1_T3_lS5_lPS5_llPT2_S5_S5_S7_l,"axG",@progbits,_ZN9rocsolver6v33100L18getf2_small_kernelILi38EdiiPKPdEEvT1_T3_lS5_lPS5_llPT2_S5_S5_S7_l,comdat
.Lfunc_end74:
	.size	_ZN9rocsolver6v33100L18getf2_small_kernelILi38EdiiPKPdEEvT1_T3_lS5_lPS5_llPT2_S5_S5_S7_l, .Lfunc_end74-_ZN9rocsolver6v33100L18getf2_small_kernelILi38EdiiPKPdEEvT1_T3_lS5_lPS5_llPT2_S5_S5_S7_l
                                        ; -- End function
	.set _ZN9rocsolver6v33100L18getf2_small_kernelILi38EdiiPKPdEEvT1_T3_lS5_lPS5_llPT2_S5_S5_S7_l.num_vgpr, 164
	.set _ZN9rocsolver6v33100L18getf2_small_kernelILi38EdiiPKPdEEvT1_T3_lS5_lPS5_llPT2_S5_S5_S7_l.num_agpr, 0
	.set _ZN9rocsolver6v33100L18getf2_small_kernelILi38EdiiPKPdEEvT1_T3_lS5_lPS5_llPT2_S5_S5_S7_l.numbered_sgpr, 14
	.set _ZN9rocsolver6v33100L18getf2_small_kernelILi38EdiiPKPdEEvT1_T3_lS5_lPS5_llPT2_S5_S5_S7_l.num_named_barrier, 0
	.set _ZN9rocsolver6v33100L18getf2_small_kernelILi38EdiiPKPdEEvT1_T3_lS5_lPS5_llPT2_S5_S5_S7_l.private_seg_size, 0
	.set _ZN9rocsolver6v33100L18getf2_small_kernelILi38EdiiPKPdEEvT1_T3_lS5_lPS5_llPT2_S5_S5_S7_l.uses_vcc, 1
	.set _ZN9rocsolver6v33100L18getf2_small_kernelILi38EdiiPKPdEEvT1_T3_lS5_lPS5_llPT2_S5_S5_S7_l.uses_flat_scratch, 1
	.set _ZN9rocsolver6v33100L18getf2_small_kernelILi38EdiiPKPdEEvT1_T3_lS5_lPS5_llPT2_S5_S5_S7_l.has_dyn_sized_stack, 0
	.set _ZN9rocsolver6v33100L18getf2_small_kernelILi38EdiiPKPdEEvT1_T3_lS5_lPS5_llPT2_S5_S5_S7_l.has_recursion, 0
	.set _ZN9rocsolver6v33100L18getf2_small_kernelILi38EdiiPKPdEEvT1_T3_lS5_lPS5_llPT2_S5_S5_S7_l.has_indirect_call, 0
	.section	.AMDGPU.csdata,"",@progbits
; Kernel info:
; codeLenInByte = 36228
; TotalNumSgprs: 16
; NumVgprs: 164
; ScratchSize: 0
; MemoryBound: 0
; FloatMode: 240
; IeeeMode: 1
; LDSByteSize: 0 bytes/workgroup (compile time only)
; SGPRBlocks: 0
; VGPRBlocks: 20
; NumSGPRsForWavesPerEU: 16
; NumVGPRsForWavesPerEU: 164
; Occupancy: 5
; WaveLimiterHint : 1
; COMPUTE_PGM_RSRC2:SCRATCH_EN: 0
; COMPUTE_PGM_RSRC2:USER_SGPR: 6
; COMPUTE_PGM_RSRC2:TRAP_HANDLER: 0
; COMPUTE_PGM_RSRC2:TGID_X_EN: 1
; COMPUTE_PGM_RSRC2:TGID_Y_EN: 1
; COMPUTE_PGM_RSRC2:TGID_Z_EN: 0
; COMPUTE_PGM_RSRC2:TIDIG_COMP_CNT: 1
	.section	.text._ZN9rocsolver6v33100L23getf2_npvt_small_kernelILi38EdiiPKPdEEvT1_T3_lS5_lPT2_S5_S5_,"axG",@progbits,_ZN9rocsolver6v33100L23getf2_npvt_small_kernelILi38EdiiPKPdEEvT1_T3_lS5_lPT2_S5_S5_,comdat
	.globl	_ZN9rocsolver6v33100L23getf2_npvt_small_kernelILi38EdiiPKPdEEvT1_T3_lS5_lPT2_S5_S5_ ; -- Begin function _ZN9rocsolver6v33100L23getf2_npvt_small_kernelILi38EdiiPKPdEEvT1_T3_lS5_lPT2_S5_S5_
	.p2align	8
	.type	_ZN9rocsolver6v33100L23getf2_npvt_small_kernelILi38EdiiPKPdEEvT1_T3_lS5_lPT2_S5_S5_,@function
_ZN9rocsolver6v33100L23getf2_npvt_small_kernelILi38EdiiPKPdEEvT1_T3_lS5_lPT2_S5_S5_: ; @_ZN9rocsolver6v33100L23getf2_npvt_small_kernelILi38EdiiPKPdEEvT1_T3_lS5_lPT2_S5_S5_
; %bb.0:
	s_clause 0x1
	s_load_dword s0, s[4:5], 0x44
	s_load_dwordx2 s[8:9], s[4:5], 0x30
	s_waitcnt lgkmcnt(0)
	s_lshr_b32 s10, s0, 16
	s_mov_b32 s0, exec_lo
	v_mad_u64_u32 v[2:3], null, s7, s10, v[1:2]
	v_cmpx_gt_i32_e64 s8, v2
	s_cbranch_execz .LBB75_193
; %bb.1:
	s_clause 0x1
	s_load_dwordx4 s[0:3], s[4:5], 0x8
	s_load_dword s6, s[4:5], 0x18
	v_ashrrev_i32_e32 v3, 31, v2
	v_lshlrev_b32_e32 v80, 3, v0
	v_lshlrev_b32_e32 v156, 3, v1
	s_mulk_i32 s10, 0x130
	v_mad_u32_u24 v230, 0x130, v1, 0
	v_lshlrev_b64 v[4:5], 3, v[2:3]
	v_add3_u32 v1, 0, s10, v156
	s_waitcnt lgkmcnt(0)
	v_add_co_u32 v4, vcc_lo, s0, v4
	v_add_co_ci_u32_e64 v5, null, s1, v5, vcc_lo
	v_add3_u32 v6, s6, s6, v0
	s_lshl_b64 s[2:3], s[2:3], 3
	s_ashr_i32 s7, s6, 31
	global_load_dwordx2 v[4:5], v[4:5], off
	s_lshl_b64 s[0:1], s[6:7], 3
	v_add_nc_u32_e32 v8, s6, v6
	v_ashrrev_i32_e32 v7, 31, v6
	v_add_nc_u32_e32 v10, s6, v8
	v_ashrrev_i32_e32 v9, 31, v8
	v_lshlrev_b64 v[6:7], 3, v[6:7]
	v_add_nc_u32_e32 v12, s6, v10
	v_ashrrev_i32_e32 v11, 31, v10
	v_lshlrev_b64 v[8:9], 3, v[8:9]
	;; [unrolled: 3-line block ×33, first 2 shown]
	v_ashrrev_i32_e32 v75, 31, v74
	v_add_nc_u32_e32 v76, s6, v74
	v_lshlrev_b64 v[72:73], 3, v[72:73]
	v_lshlrev_b64 v[74:75], 3, v[74:75]
	v_ashrrev_i32_e32 v77, 31, v76
	v_lshlrev_b64 v[78:79], 3, v[76:77]
	s_waitcnt vmcnt(0)
	v_add_co_u32 v81, vcc_lo, v4, s2
	v_add_co_ci_u32_e64 v82, null, s3, v5, vcc_lo
	v_add_co_u32 v4, vcc_lo, v81, v6
	v_add_co_ci_u32_e64 v5, null, v82, v7, vcc_lo
	;; [unrolled: 2-line block ×39, first 2 shown]
	s_clause 0x25
	flat_load_dwordx2 v[140:141], v[8:9]
	flat_load_dwordx2 v[124:125], v[10:11]
	;; [unrolled: 1-line block ×38, first 2 shown]
	v_cmp_ne_u32_e64 s1, 0, v0
	v_cmp_eq_u32_e64 s0, 0, v0
	s_and_saveexec_b32 s2, s0
	s_cbranch_execz .LBB75_4
; %bb.2:
	s_waitcnt vmcnt(5) lgkmcnt(5)
	ds_write_b64 v1, v[148:149]
	s_waitcnt vmcnt(3) lgkmcnt(4)
	ds_write2_b64 v230, v[152:153], v[154:155] offset0:1 offset1:2
	s_waitcnt vmcnt(2) lgkmcnt(4)
	ds_write2_b64 v230, v[150:151], v[140:141] offset0:3 offset1:4
	ds_write2_b64 v230, v[124:125], v[138:139] offset0:5 offset1:6
	;; [unrolled: 1-line block ×16, first 2 shown]
	s_waitcnt vmcnt(1) lgkmcnt(19)
	ds_write2_b64 v230, v[78:79], v[144:145] offset0:35 offset1:36
	s_waitcnt vmcnt(0) lgkmcnt(19)
	ds_write_b64 v230, v[146:147] offset:296
	ds_read_b64 v[156:157], v1
	s_waitcnt lgkmcnt(0)
	v_cmp_neq_f64_e32 vcc_lo, 0, v[156:157]
	s_and_b32 exec_lo, exec_lo, vcc_lo
	s_cbranch_execz .LBB75_4
; %bb.3:
	v_div_scale_f64 v[158:159], null, v[156:157], v[156:157], 1.0
	v_rcp_f64_e32 v[160:161], v[158:159]
	v_fma_f64 v[162:163], -v[158:159], v[160:161], 1.0
	v_fma_f64 v[160:161], v[160:161], v[162:163], v[160:161]
	v_fma_f64 v[162:163], -v[158:159], v[160:161], 1.0
	v_fma_f64 v[160:161], v[160:161], v[162:163], v[160:161]
	v_div_scale_f64 v[162:163], vcc_lo, 1.0, v[156:157], 1.0
	v_mul_f64 v[164:165], v[162:163], v[160:161]
	v_fma_f64 v[158:159], -v[158:159], v[164:165], v[162:163]
	v_div_fmas_f64 v[158:159], v[158:159], v[160:161], v[164:165]
	v_div_fixup_f64 v[156:157], v[158:159], v[156:157], 1.0
	ds_write_b64 v1, v[156:157]
.LBB75_4:
	s_or_b32 exec_lo, exec_lo, s2
	s_waitcnt vmcnt(0) lgkmcnt(0)
	s_barrier
	buffer_gl0_inv
	ds_read_b64 v[156:157], v1
	s_and_saveexec_b32 s2, s1
	s_cbranch_execz .LBB75_6
; %bb.5:
	s_waitcnt lgkmcnt(0)
	v_mul_f64 v[148:149], v[156:157], v[148:149]
	ds_read2_b64 v[158:161], v230 offset0:1 offset1:2
	ds_read2_b64 v[162:165], v230 offset0:3 offset1:4
	;; [unrolled: 1-line block ×12, first 2 shown]
	s_waitcnt lgkmcnt(11)
	v_fma_f64 v[152:153], -v[148:149], v[158:159], v[152:153]
	v_fma_f64 v[154:155], -v[148:149], v[160:161], v[154:155]
	s_waitcnt lgkmcnt(10)
	v_fma_f64 v[150:151], -v[148:149], v[162:163], v[150:151]
	v_fma_f64 v[140:141], -v[148:149], v[164:165], v[140:141]
	;; [unrolled: 3-line block ×5, first 2 shown]
	s_waitcnt lgkmcnt(6)
	v_fma_f64 v[118:119], -v[148:149], v[178:179], v[118:119]
	ds_read2_b64 v[158:161], v230 offset0:25 offset1:26
	ds_read2_b64 v[162:165], v230 offset0:27 offset1:28
	v_fma_f64 v[132:133], -v[148:149], v[180:181], v[132:133]
	s_waitcnt lgkmcnt(7)
	v_fma_f64 v[116:117], -v[148:149], v[182:183], v[116:117]
	ds_read2_b64 v[166:169], v230 offset0:29 offset1:30
	ds_read2_b64 v[170:173], v230 offset0:31 offset1:32
	;; [unrolled: 1-line block ×4, first 2 shown]
	ds_read_b64 v[182:183], v230 offset:296
	v_fma_f64 v[130:131], -v[148:149], v[184:185], v[130:131]
	s_waitcnt lgkmcnt(11)
	v_fma_f64 v[114:115], -v[148:149], v[186:187], v[114:115]
	v_fma_f64 v[128:129], -v[148:149], v[188:189], v[128:129]
	s_waitcnt lgkmcnt(10)
	v_fma_f64 v[112:113], -v[148:149], v[190:191], v[112:113]
	;; [unrolled: 3-line block ×12, first 2 shown]
.LBB75_6:
	s_or_b32 exec_lo, exec_lo, s2
	s_mov_b32 s1, exec_lo
	s_waitcnt lgkmcnt(0)
	s_barrier
	buffer_gl0_inv
	v_cmpx_eq_u32_e32 1, v0
	s_cbranch_execz .LBB75_9
; %bb.7:
	v_mov_b32_e32 v158, v154
	v_mov_b32_e32 v159, v155
	;; [unrolled: 1-line block ×12, first 2 shown]
	ds_write_b64 v1, v[152:153]
	ds_write2_b64 v230, v[158:159], v[160:161] offset0:2 offset1:3
	ds_write2_b64 v230, v[162:163], v[164:165] offset0:4 offset1:5
	;; [unrolled: 1-line block ×3, first 2 shown]
	v_mov_b32_e32 v158, v136
	v_mov_b32_e32 v159, v137
	;; [unrolled: 1-line block ×20, first 2 shown]
	ds_write2_b64 v230, v[158:159], v[160:161] offset0:8 offset1:9
	ds_write2_b64 v230, v[162:163], v[164:165] offset0:10 offset1:11
	;; [unrolled: 1-line block ×5, first 2 shown]
	v_mov_b32_e32 v158, v126
	v_mov_b32_e32 v159, v127
	;; [unrolled: 1-line block ×20, first 2 shown]
	ds_write2_b64 v230, v[158:159], v[160:161] offset0:18 offset1:19
	ds_write2_b64 v230, v[162:163], v[164:165] offset0:20 offset1:21
	;; [unrolled: 1-line block ×5, first 2 shown]
	v_mov_b32_e32 v158, v102
	v_mov_b32_e32 v159, v103
	;; [unrolled: 1-line block ×18, first 2 shown]
	ds_write2_b64 v230, v[158:159], v[160:161] offset0:28 offset1:29
	ds_write2_b64 v230, v[162:163], v[164:165] offset0:30 offset1:31
	;; [unrolled: 1-line block ×5, first 2 shown]
	ds_read_b64 v[158:159], v1
	s_waitcnt lgkmcnt(0)
	v_cmp_neq_f64_e32 vcc_lo, 0, v[158:159]
	s_and_b32 exec_lo, exec_lo, vcc_lo
	s_cbranch_execz .LBB75_9
; %bb.8:
	v_div_scale_f64 v[160:161], null, v[158:159], v[158:159], 1.0
	v_rcp_f64_e32 v[162:163], v[160:161]
	v_fma_f64 v[164:165], -v[160:161], v[162:163], 1.0
	v_fma_f64 v[162:163], v[162:163], v[164:165], v[162:163]
	v_fma_f64 v[164:165], -v[160:161], v[162:163], 1.0
	v_fma_f64 v[162:163], v[162:163], v[164:165], v[162:163]
	v_div_scale_f64 v[164:165], vcc_lo, 1.0, v[158:159], 1.0
	v_mul_f64 v[166:167], v[164:165], v[162:163]
	v_fma_f64 v[160:161], -v[160:161], v[166:167], v[164:165]
	v_div_fmas_f64 v[160:161], v[160:161], v[162:163], v[166:167]
	v_div_fixup_f64 v[158:159], v[160:161], v[158:159], 1.0
	ds_write_b64 v1, v[158:159]
.LBB75_9:
	s_or_b32 exec_lo, exec_lo, s1
	s_waitcnt lgkmcnt(0)
	s_barrier
	buffer_gl0_inv
	ds_read_b64 v[158:159], v1
	s_mov_b32 s1, exec_lo
	v_cmpx_lt_u32_e32 1, v0
	s_cbranch_execz .LBB75_11
; %bb.10:
	s_waitcnt lgkmcnt(0)
	v_mul_f64 v[152:153], v[158:159], v[152:153]
	ds_read2_b64 v[160:163], v230 offset0:2 offset1:3
	ds_read2_b64 v[164:167], v230 offset0:4 offset1:5
	;; [unrolled: 1-line block ×12, first 2 shown]
	s_waitcnt lgkmcnt(11)
	v_fma_f64 v[154:155], -v[152:153], v[160:161], v[154:155]
	v_fma_f64 v[150:151], -v[152:153], v[162:163], v[150:151]
	s_waitcnt lgkmcnt(10)
	v_fma_f64 v[140:141], -v[152:153], v[164:165], v[140:141]
	v_fma_f64 v[124:125], -v[152:153], v[166:167], v[124:125]
	;; [unrolled: 3-line block ×5, first 2 shown]
	ds_read2_b64 v[160:163], v230 offset0:26 offset1:27
	ds_read2_b64 v[164:167], v230 offset0:28 offset1:29
	s_waitcnt lgkmcnt(8)
	v_fma_f64 v[132:133], -v[152:153], v[180:181], v[132:133]
	v_fma_f64 v[116:117], -v[152:153], v[182:183], v[116:117]
	ds_read2_b64 v[168:171], v230 offset0:30 offset1:31
	ds_read2_b64 v[172:175], v230 offset0:32 offset1:33
	;; [unrolled: 1-line block ×4, first 2 shown]
	s_waitcnt lgkmcnt(11)
	v_fma_f64 v[130:131], -v[152:153], v[184:185], v[130:131]
	v_fma_f64 v[114:115], -v[152:153], v[186:187], v[114:115]
	s_waitcnt lgkmcnt(10)
	v_fma_f64 v[128:129], -v[152:153], v[188:189], v[128:129]
	v_fma_f64 v[112:113], -v[152:153], v[190:191], v[112:113]
	;; [unrolled: 3-line block ×12, first 2 shown]
.LBB75_11:
	s_or_b32 exec_lo, exec_lo, s1
	s_mov_b32 s1, exec_lo
	s_waitcnt lgkmcnt(0)
	s_barrier
	buffer_gl0_inv
	v_cmpx_eq_u32_e32 2, v0
	s_cbranch_execz .LBB75_14
; %bb.12:
	ds_write_b64 v1, v[154:155]
	ds_write2_b64 v230, v[150:151], v[140:141] offset0:3 offset1:4
	ds_write2_b64 v230, v[124:125], v[138:139] offset0:5 offset1:6
	;; [unrolled: 1-line block ×17, first 2 shown]
	ds_write_b64 v230, v[146:147] offset:296
	ds_read_b64 v[160:161], v1
	s_waitcnt lgkmcnt(0)
	v_cmp_neq_f64_e32 vcc_lo, 0, v[160:161]
	s_and_b32 exec_lo, exec_lo, vcc_lo
	s_cbranch_execz .LBB75_14
; %bb.13:
	v_div_scale_f64 v[162:163], null, v[160:161], v[160:161], 1.0
	v_rcp_f64_e32 v[164:165], v[162:163]
	v_fma_f64 v[166:167], -v[162:163], v[164:165], 1.0
	v_fma_f64 v[164:165], v[164:165], v[166:167], v[164:165]
	v_fma_f64 v[166:167], -v[162:163], v[164:165], 1.0
	v_fma_f64 v[164:165], v[164:165], v[166:167], v[164:165]
	v_div_scale_f64 v[166:167], vcc_lo, 1.0, v[160:161], 1.0
	v_mul_f64 v[168:169], v[166:167], v[164:165]
	v_fma_f64 v[162:163], -v[162:163], v[168:169], v[166:167]
	v_div_fmas_f64 v[162:163], v[162:163], v[164:165], v[168:169]
	v_div_fixup_f64 v[160:161], v[162:163], v[160:161], 1.0
	ds_write_b64 v1, v[160:161]
.LBB75_14:
	s_or_b32 exec_lo, exec_lo, s1
	s_waitcnt lgkmcnt(0)
	s_barrier
	buffer_gl0_inv
	ds_read_b64 v[160:161], v1
	s_mov_b32 s1, exec_lo
	v_cmpx_lt_u32_e32 2, v0
	s_cbranch_execz .LBB75_16
; %bb.15:
	s_waitcnt lgkmcnt(0)
	v_mul_f64 v[154:155], v[160:161], v[154:155]
	ds_read2_b64 v[162:165], v230 offset0:3 offset1:4
	ds_read2_b64 v[166:169], v230 offset0:5 offset1:6
	ds_read2_b64 v[170:173], v230 offset0:7 offset1:8
	ds_read2_b64 v[174:177], v230 offset0:9 offset1:10
	ds_read2_b64 v[178:181], v230 offset0:11 offset1:12
	ds_read2_b64 v[182:185], v230 offset0:13 offset1:14
	ds_read2_b64 v[186:189], v230 offset0:15 offset1:16
	ds_read2_b64 v[190:193], v230 offset0:17 offset1:18
	ds_read2_b64 v[194:197], v230 offset0:19 offset1:20
	ds_read2_b64 v[198:201], v230 offset0:21 offset1:22
	ds_read2_b64 v[202:205], v230 offset0:23 offset1:24
	ds_read2_b64 v[206:209], v230 offset0:25 offset1:26
	s_waitcnt lgkmcnt(11)
	v_fma_f64 v[150:151], -v[154:155], v[162:163], v[150:151]
	v_fma_f64 v[140:141], -v[154:155], v[164:165], v[140:141]
	s_waitcnt lgkmcnt(10)
	v_fma_f64 v[124:125], -v[154:155], v[166:167], v[124:125]
	v_fma_f64 v[138:139], -v[154:155], v[168:169], v[138:139]
	;; [unrolled: 3-line block ×5, first 2 shown]
	ds_read2_b64 v[162:165], v230 offset0:27 offset1:28
	ds_read2_b64 v[166:169], v230 offset0:29 offset1:30
	s_waitcnt lgkmcnt(8)
	v_fma_f64 v[116:117], -v[154:155], v[182:183], v[116:117]
	ds_read2_b64 v[170:173], v230 offset0:31 offset1:32
	ds_read2_b64 v[174:177], v230 offset0:33 offset1:34
	;; [unrolled: 1-line block ×3, first 2 shown]
	ds_read_b64 v[182:183], v230 offset:296
	v_fma_f64 v[130:131], -v[154:155], v[184:185], v[130:131]
	s_waitcnt lgkmcnt(11)
	v_fma_f64 v[114:115], -v[154:155], v[186:187], v[114:115]
	v_fma_f64 v[128:129], -v[154:155], v[188:189], v[128:129]
	s_waitcnt lgkmcnt(10)
	v_fma_f64 v[112:113], -v[154:155], v[190:191], v[112:113]
	;; [unrolled: 3-line block ×12, first 2 shown]
.LBB75_16:
	s_or_b32 exec_lo, exec_lo, s1
	s_mov_b32 s1, exec_lo
	s_waitcnt lgkmcnt(0)
	s_barrier
	buffer_gl0_inv
	v_cmpx_eq_u32_e32 3, v0
	s_cbranch_execz .LBB75_19
; %bb.17:
	v_mov_b32_e32 v162, v140
	v_mov_b32_e32 v163, v141
	;; [unrolled: 1-line block ×8, first 2 shown]
	ds_write_b64 v1, v[150:151]
	ds_write2_b64 v230, v[162:163], v[164:165] offset0:4 offset1:5
	ds_write2_b64 v230, v[166:167], v[168:169] offset0:6 offset1:7
	v_mov_b32_e32 v162, v136
	v_mov_b32_e32 v163, v137
	;; [unrolled: 1-line block ×20, first 2 shown]
	ds_write2_b64 v230, v[162:163], v[164:165] offset0:8 offset1:9
	ds_write2_b64 v230, v[166:167], v[168:169] offset0:10 offset1:11
	;; [unrolled: 1-line block ×5, first 2 shown]
	v_mov_b32_e32 v162, v126
	v_mov_b32_e32 v163, v127
	;; [unrolled: 1-line block ×20, first 2 shown]
	ds_write2_b64 v230, v[162:163], v[164:165] offset0:18 offset1:19
	ds_write2_b64 v230, v[166:167], v[168:169] offset0:20 offset1:21
	;; [unrolled: 1-line block ×5, first 2 shown]
	v_mov_b32_e32 v162, v102
	v_mov_b32_e32 v163, v103
	;; [unrolled: 1-line block ×18, first 2 shown]
	ds_write2_b64 v230, v[162:163], v[164:165] offset0:28 offset1:29
	ds_write2_b64 v230, v[166:167], v[168:169] offset0:30 offset1:31
	;; [unrolled: 1-line block ×5, first 2 shown]
	ds_read_b64 v[162:163], v1
	s_waitcnt lgkmcnt(0)
	v_cmp_neq_f64_e32 vcc_lo, 0, v[162:163]
	s_and_b32 exec_lo, exec_lo, vcc_lo
	s_cbranch_execz .LBB75_19
; %bb.18:
	v_div_scale_f64 v[164:165], null, v[162:163], v[162:163], 1.0
	v_rcp_f64_e32 v[166:167], v[164:165]
	v_fma_f64 v[168:169], -v[164:165], v[166:167], 1.0
	v_fma_f64 v[166:167], v[166:167], v[168:169], v[166:167]
	v_fma_f64 v[168:169], -v[164:165], v[166:167], 1.0
	v_fma_f64 v[166:167], v[166:167], v[168:169], v[166:167]
	v_div_scale_f64 v[168:169], vcc_lo, 1.0, v[162:163], 1.0
	v_mul_f64 v[170:171], v[168:169], v[166:167]
	v_fma_f64 v[164:165], -v[164:165], v[170:171], v[168:169]
	v_div_fmas_f64 v[164:165], v[164:165], v[166:167], v[170:171]
	v_div_fixup_f64 v[162:163], v[164:165], v[162:163], 1.0
	ds_write_b64 v1, v[162:163]
.LBB75_19:
	s_or_b32 exec_lo, exec_lo, s1
	s_waitcnt lgkmcnt(0)
	s_barrier
	buffer_gl0_inv
	ds_read_b64 v[162:163], v1
	s_mov_b32 s1, exec_lo
	v_cmpx_lt_u32_e32 3, v0
	s_cbranch_execz .LBB75_21
; %bb.20:
	s_waitcnt lgkmcnt(0)
	v_mul_f64 v[150:151], v[162:163], v[150:151]
	ds_read2_b64 v[164:167], v230 offset0:4 offset1:5
	ds_read2_b64 v[168:171], v230 offset0:6 offset1:7
	;; [unrolled: 1-line block ×13, first 2 shown]
	s_waitcnt lgkmcnt(12)
	v_fma_f64 v[140:141], -v[150:151], v[164:165], v[140:141]
	v_fma_f64 v[124:125], -v[150:151], v[166:167], v[124:125]
	s_waitcnt lgkmcnt(11)
	v_fma_f64 v[138:139], -v[150:151], v[168:169], v[138:139]
	v_fma_f64 v[122:123], -v[150:151], v[170:171], v[122:123]
	;; [unrolled: 3-line block ×4, first 2 shown]
	ds_read2_b64 v[164:167], v230 offset0:30 offset1:31
	ds_read2_b64 v[168:171], v230 offset0:32 offset1:33
	;; [unrolled: 1-line block ×4, first 2 shown]
	s_waitcnt lgkmcnt(12)
	v_fma_f64 v[132:133], -v[150:151], v[180:181], v[132:133]
	v_fma_f64 v[116:117], -v[150:151], v[182:183], v[116:117]
	s_waitcnt lgkmcnt(11)
	v_fma_f64 v[130:131], -v[150:151], v[184:185], v[130:131]
	v_fma_f64 v[114:115], -v[150:151], v[186:187], v[114:115]
	s_waitcnt lgkmcnt(10)
	v_fma_f64 v[128:129], -v[150:151], v[188:189], v[128:129]
	v_fma_f64 v[112:113], -v[150:151], v[190:191], v[112:113]
	s_waitcnt lgkmcnt(9)
	v_fma_f64 v[126:127], -v[150:151], v[192:193], v[126:127]
	v_fma_f64 v[94:95], -v[150:151], v[194:195], v[94:95]
	s_waitcnt lgkmcnt(8)
	v_fma_f64 v[110:111], -v[150:151], v[196:197], v[110:111]
	v_fma_f64 v[92:93], -v[150:151], v[198:199], v[92:93]
	s_waitcnt lgkmcnt(7)
	v_fma_f64 v[108:109], -v[150:151], v[200:201], v[108:109]
	v_fma_f64 v[90:91], -v[150:151], v[202:203], v[90:91]
	s_waitcnt lgkmcnt(6)
	v_fma_f64 v[106:107], -v[150:151], v[204:205], v[106:107]
	v_fma_f64 v[88:89], -v[150:151], v[206:207], v[88:89]
	s_waitcnt lgkmcnt(5)
	v_fma_f64 v[104:105], -v[150:151], v[208:209], v[104:105]
	v_fma_f64 v[86:87], -v[150:151], v[210:211], v[86:87]
	s_waitcnt lgkmcnt(4)
	v_fma_f64 v[102:103], -v[150:151], v[212:213], v[102:103]
	v_fma_f64 v[84:85], -v[150:151], v[214:215], v[84:85]
	s_waitcnt lgkmcnt(3)
	v_fma_f64 v[100:101], -v[150:151], v[164:165], v[100:101]
	v_fma_f64 v[82:83], -v[150:151], v[166:167], v[82:83]
	s_waitcnt lgkmcnt(2)
	v_fma_f64 v[98:99], -v[150:151], v[168:169], v[98:99]
	v_fma_f64 v[80:81], -v[150:151], v[170:171], v[80:81]
	s_waitcnt lgkmcnt(1)
	v_fma_f64 v[96:97], -v[150:151], v[172:173], v[96:97]
	v_fma_f64 v[78:79], -v[150:151], v[174:175], v[78:79]
	s_waitcnt lgkmcnt(0)
	v_fma_f64 v[144:145], -v[150:151], v[176:177], v[144:145]
	v_fma_f64 v[146:147], -v[150:151], v[178:179], v[146:147]
.LBB75_21:
	s_or_b32 exec_lo, exec_lo, s1
	s_mov_b32 s1, exec_lo
	s_waitcnt lgkmcnt(0)
	s_barrier
	buffer_gl0_inv
	v_cmpx_eq_u32_e32 4, v0
	s_cbranch_execz .LBB75_24
; %bb.22:
	ds_write_b64 v1, v[140:141]
	ds_write2_b64 v230, v[124:125], v[138:139] offset0:5 offset1:6
	ds_write2_b64 v230, v[122:123], v[136:137] offset0:7 offset1:8
	;; [unrolled: 1-line block ×16, first 2 shown]
	ds_write_b64 v230, v[146:147] offset:296
	ds_read_b64 v[164:165], v1
	s_waitcnt lgkmcnt(0)
	v_cmp_neq_f64_e32 vcc_lo, 0, v[164:165]
	s_and_b32 exec_lo, exec_lo, vcc_lo
	s_cbranch_execz .LBB75_24
; %bb.23:
	v_div_scale_f64 v[166:167], null, v[164:165], v[164:165], 1.0
	v_rcp_f64_e32 v[168:169], v[166:167]
	v_fma_f64 v[170:171], -v[166:167], v[168:169], 1.0
	v_fma_f64 v[168:169], v[168:169], v[170:171], v[168:169]
	v_fma_f64 v[170:171], -v[166:167], v[168:169], 1.0
	v_fma_f64 v[168:169], v[168:169], v[170:171], v[168:169]
	v_div_scale_f64 v[170:171], vcc_lo, 1.0, v[164:165], 1.0
	v_mul_f64 v[172:173], v[170:171], v[168:169]
	v_fma_f64 v[166:167], -v[166:167], v[172:173], v[170:171]
	v_div_fmas_f64 v[166:167], v[166:167], v[168:169], v[172:173]
	v_div_fixup_f64 v[164:165], v[166:167], v[164:165], 1.0
	ds_write_b64 v1, v[164:165]
.LBB75_24:
	s_or_b32 exec_lo, exec_lo, s1
	s_waitcnt lgkmcnt(0)
	s_barrier
	buffer_gl0_inv
	ds_read_b64 v[164:165], v1
	s_mov_b32 s1, exec_lo
	v_cmpx_lt_u32_e32 4, v0
	s_cbranch_execz .LBB75_26
; %bb.25:
	s_waitcnt lgkmcnt(0)
	v_mul_f64 v[140:141], v[164:165], v[140:141]
	ds_read2_b64 v[166:169], v230 offset0:5 offset1:6
	ds_read2_b64 v[170:173], v230 offset0:7 offset1:8
	;; [unrolled: 1-line block ×13, first 2 shown]
	s_waitcnt lgkmcnt(12)
	v_fma_f64 v[124:125], -v[140:141], v[166:167], v[124:125]
	v_fma_f64 v[138:139], -v[140:141], v[168:169], v[138:139]
	s_waitcnt lgkmcnt(11)
	v_fma_f64 v[122:123], -v[140:141], v[170:171], v[122:123]
	v_fma_f64 v[136:137], -v[140:141], v[172:173], v[136:137]
	;; [unrolled: 3-line block ×3, first 2 shown]
	s_waitcnt lgkmcnt(9)
	v_fma_f64 v[118:119], -v[140:141], v[178:179], v[118:119]
	ds_read2_b64 v[166:169], v230 offset0:31 offset1:32
	ds_read2_b64 v[170:173], v230 offset0:33 offset1:34
	;; [unrolled: 1-line block ×3, first 2 shown]
	ds_read_b64 v[178:179], v230 offset:296
	v_fma_f64 v[132:133], -v[140:141], v[180:181], v[132:133]
	s_waitcnt lgkmcnt(12)
	v_fma_f64 v[116:117], -v[140:141], v[182:183], v[116:117]
	v_fma_f64 v[130:131], -v[140:141], v[184:185], v[130:131]
	s_waitcnt lgkmcnt(11)
	v_fma_f64 v[114:115], -v[140:141], v[186:187], v[114:115]
	;; [unrolled: 3-line block ×13, first 2 shown]
.LBB75_26:
	s_or_b32 exec_lo, exec_lo, s1
	s_mov_b32 s1, exec_lo
	s_waitcnt lgkmcnt(0)
	s_barrier
	buffer_gl0_inv
	v_cmpx_eq_u32_e32 5, v0
	s_cbranch_execz .LBB75_29
; %bb.27:
	v_mov_b32_e32 v166, v138
	v_mov_b32_e32 v167, v139
	;; [unrolled: 1-line block ×4, first 2 shown]
	ds_write_b64 v1, v[124:125]
	ds_write2_b64 v230, v[166:167], v[168:169] offset0:6 offset1:7
	v_mov_b32_e32 v166, v136
	v_mov_b32_e32 v167, v137
	;; [unrolled: 1-line block ×20, first 2 shown]
	ds_write2_b64 v230, v[166:167], v[168:169] offset0:8 offset1:9
	ds_write2_b64 v230, v[170:171], v[172:173] offset0:10 offset1:11
	;; [unrolled: 1-line block ×5, first 2 shown]
	v_mov_b32_e32 v166, v126
	v_mov_b32_e32 v167, v127
	;; [unrolled: 1-line block ×20, first 2 shown]
	ds_write2_b64 v230, v[166:167], v[168:169] offset0:18 offset1:19
	ds_write2_b64 v230, v[170:171], v[172:173] offset0:20 offset1:21
	ds_write2_b64 v230, v[174:175], v[176:177] offset0:22 offset1:23
	ds_write2_b64 v230, v[178:179], v[180:181] offset0:24 offset1:25
	ds_write2_b64 v230, v[182:183], v[184:185] offset0:26 offset1:27
	v_mov_b32_e32 v166, v102
	v_mov_b32_e32 v167, v103
	;; [unrolled: 1-line block ×18, first 2 shown]
	ds_write2_b64 v230, v[166:167], v[168:169] offset0:28 offset1:29
	ds_write2_b64 v230, v[170:171], v[172:173] offset0:30 offset1:31
	;; [unrolled: 1-line block ×5, first 2 shown]
	ds_read_b64 v[166:167], v1
	s_waitcnt lgkmcnt(0)
	v_cmp_neq_f64_e32 vcc_lo, 0, v[166:167]
	s_and_b32 exec_lo, exec_lo, vcc_lo
	s_cbranch_execz .LBB75_29
; %bb.28:
	v_div_scale_f64 v[168:169], null, v[166:167], v[166:167], 1.0
	v_rcp_f64_e32 v[170:171], v[168:169]
	v_fma_f64 v[172:173], -v[168:169], v[170:171], 1.0
	v_fma_f64 v[170:171], v[170:171], v[172:173], v[170:171]
	v_fma_f64 v[172:173], -v[168:169], v[170:171], 1.0
	v_fma_f64 v[170:171], v[170:171], v[172:173], v[170:171]
	v_div_scale_f64 v[172:173], vcc_lo, 1.0, v[166:167], 1.0
	v_mul_f64 v[174:175], v[172:173], v[170:171]
	v_fma_f64 v[168:169], -v[168:169], v[174:175], v[172:173]
	v_div_fmas_f64 v[168:169], v[168:169], v[170:171], v[174:175]
	v_div_fixup_f64 v[166:167], v[168:169], v[166:167], 1.0
	ds_write_b64 v1, v[166:167]
.LBB75_29:
	s_or_b32 exec_lo, exec_lo, s1
	s_waitcnt lgkmcnt(0)
	s_barrier
	buffer_gl0_inv
	ds_read_b64 v[166:167], v1
	s_mov_b32 s1, exec_lo
	v_cmpx_lt_u32_e32 5, v0
	s_cbranch_execz .LBB75_31
; %bb.30:
	s_waitcnt lgkmcnt(0)
	v_mul_f64 v[124:125], v[166:167], v[124:125]
	ds_read2_b64 v[168:171], v230 offset0:6 offset1:7
	ds_read2_b64 v[172:175], v230 offset0:8 offset1:9
	;; [unrolled: 1-line block ×13, first 2 shown]
	s_waitcnt lgkmcnt(12)
	v_fma_f64 v[138:139], -v[124:125], v[168:169], v[138:139]
	v_fma_f64 v[122:123], -v[124:125], v[170:171], v[122:123]
	s_waitcnt lgkmcnt(11)
	v_fma_f64 v[136:137], -v[124:125], v[172:173], v[136:137]
	v_fma_f64 v[120:121], -v[124:125], v[174:175], v[120:121]
	s_waitcnt lgkmcnt(10)
	v_fma_f64 v[134:135], -v[124:125], v[176:177], v[134:135]
	v_fma_f64 v[118:119], -v[124:125], v[178:179], v[118:119]
	ds_read2_b64 v[168:171], v230 offset0:32 offset1:33
	ds_read2_b64 v[172:175], v230 offset0:34 offset1:35
	;; [unrolled: 1-line block ×3, first 2 shown]
	s_waitcnt lgkmcnt(12)
	v_fma_f64 v[132:133], -v[124:125], v[180:181], v[132:133]
	v_fma_f64 v[116:117], -v[124:125], v[182:183], v[116:117]
	s_waitcnt lgkmcnt(11)
	v_fma_f64 v[130:131], -v[124:125], v[184:185], v[130:131]
	v_fma_f64 v[114:115], -v[124:125], v[186:187], v[114:115]
	;; [unrolled: 3-line block ×13, first 2 shown]
.LBB75_31:
	s_or_b32 exec_lo, exec_lo, s1
	s_mov_b32 s1, exec_lo
	s_waitcnt lgkmcnt(0)
	s_barrier
	buffer_gl0_inv
	v_cmpx_eq_u32_e32 6, v0
	s_cbranch_execz .LBB75_34
; %bb.32:
	ds_write_b64 v1, v[138:139]
	ds_write2_b64 v230, v[122:123], v[136:137] offset0:7 offset1:8
	ds_write2_b64 v230, v[120:121], v[134:135] offset0:9 offset1:10
	;; [unrolled: 1-line block ×15, first 2 shown]
	ds_write_b64 v230, v[146:147] offset:296
	ds_read_b64 v[168:169], v1
	s_waitcnt lgkmcnt(0)
	v_cmp_neq_f64_e32 vcc_lo, 0, v[168:169]
	s_and_b32 exec_lo, exec_lo, vcc_lo
	s_cbranch_execz .LBB75_34
; %bb.33:
	v_div_scale_f64 v[170:171], null, v[168:169], v[168:169], 1.0
	v_rcp_f64_e32 v[172:173], v[170:171]
	v_fma_f64 v[174:175], -v[170:171], v[172:173], 1.0
	v_fma_f64 v[172:173], v[172:173], v[174:175], v[172:173]
	v_fma_f64 v[174:175], -v[170:171], v[172:173], 1.0
	v_fma_f64 v[172:173], v[172:173], v[174:175], v[172:173]
	v_div_scale_f64 v[174:175], vcc_lo, 1.0, v[168:169], 1.0
	v_mul_f64 v[176:177], v[174:175], v[172:173]
	v_fma_f64 v[170:171], -v[170:171], v[176:177], v[174:175]
	v_div_fmas_f64 v[170:171], v[170:171], v[172:173], v[176:177]
	v_div_fixup_f64 v[168:169], v[170:171], v[168:169], 1.0
	ds_write_b64 v1, v[168:169]
.LBB75_34:
	s_or_b32 exec_lo, exec_lo, s1
	s_waitcnt lgkmcnt(0)
	s_barrier
	buffer_gl0_inv
	ds_read_b64 v[168:169], v1
	s_mov_b32 s1, exec_lo
	v_cmpx_lt_u32_e32 6, v0
	s_cbranch_execz .LBB75_36
; %bb.35:
	s_waitcnt lgkmcnt(0)
	v_mul_f64 v[138:139], v[168:169], v[138:139]
	ds_read2_b64 v[170:173], v230 offset0:7 offset1:8
	ds_read2_b64 v[174:177], v230 offset0:9 offset1:10
	;; [unrolled: 1-line block ×13, first 2 shown]
	s_waitcnt lgkmcnt(12)
	v_fma_f64 v[122:123], -v[138:139], v[170:171], v[122:123]
	v_fma_f64 v[136:137], -v[138:139], v[172:173], v[136:137]
	s_waitcnt lgkmcnt(11)
	v_fma_f64 v[120:121], -v[138:139], v[174:175], v[120:121]
	v_fma_f64 v[134:135], -v[138:139], v[176:177], v[134:135]
	s_waitcnt lgkmcnt(10)
	v_fma_f64 v[118:119], -v[138:139], v[178:179], v[118:119]
	ds_read2_b64 v[170:173], v230 offset0:33 offset1:34
	ds_read2_b64 v[174:177], v230 offset0:35 offset1:36
	ds_read_b64 v[178:179], v230 offset:296
	v_fma_f64 v[132:133], -v[138:139], v[180:181], v[132:133]
	s_waitcnt lgkmcnt(12)
	v_fma_f64 v[116:117], -v[138:139], v[182:183], v[116:117]
	v_fma_f64 v[130:131], -v[138:139], v[184:185], v[130:131]
	s_waitcnt lgkmcnt(11)
	v_fma_f64 v[114:115], -v[138:139], v[186:187], v[114:115]
	;; [unrolled: 3-line block ×13, first 2 shown]
.LBB75_36:
	s_or_b32 exec_lo, exec_lo, s1
	s_mov_b32 s1, exec_lo
	s_waitcnt lgkmcnt(0)
	s_barrier
	buffer_gl0_inv
	v_cmpx_eq_u32_e32 7, v0
	s_cbranch_execz .LBB75_39
; %bb.37:
	v_mov_b32_e32 v170, v136
	v_mov_b32_e32 v171, v137
	;; [unrolled: 1-line block ×20, first 2 shown]
	ds_write_b64 v1, v[122:123]
	ds_write2_b64 v230, v[170:171], v[172:173] offset0:8 offset1:9
	ds_write2_b64 v230, v[174:175], v[176:177] offset0:10 offset1:11
	;; [unrolled: 1-line block ×5, first 2 shown]
	v_mov_b32_e32 v170, v126
	v_mov_b32_e32 v171, v127
	;; [unrolled: 1-line block ×20, first 2 shown]
	ds_write2_b64 v230, v[170:171], v[172:173] offset0:18 offset1:19
	ds_write2_b64 v230, v[174:175], v[176:177] offset0:20 offset1:21
	;; [unrolled: 1-line block ×5, first 2 shown]
	v_mov_b32_e32 v170, v102
	v_mov_b32_e32 v171, v103
	;; [unrolled: 1-line block ×18, first 2 shown]
	ds_write2_b64 v230, v[170:171], v[172:173] offset0:28 offset1:29
	ds_write2_b64 v230, v[174:175], v[176:177] offset0:30 offset1:31
	ds_write2_b64 v230, v[178:179], v[180:181] offset0:32 offset1:33
	ds_write2_b64 v230, v[182:183], v[184:185] offset0:34 offset1:35
	ds_write2_b64 v230, v[186:187], v[146:147] offset0:36 offset1:37
	ds_read_b64 v[170:171], v1
	s_waitcnt lgkmcnt(0)
	v_cmp_neq_f64_e32 vcc_lo, 0, v[170:171]
	s_and_b32 exec_lo, exec_lo, vcc_lo
	s_cbranch_execz .LBB75_39
; %bb.38:
	v_div_scale_f64 v[172:173], null, v[170:171], v[170:171], 1.0
	v_rcp_f64_e32 v[174:175], v[172:173]
	v_fma_f64 v[176:177], -v[172:173], v[174:175], 1.0
	v_fma_f64 v[174:175], v[174:175], v[176:177], v[174:175]
	v_fma_f64 v[176:177], -v[172:173], v[174:175], 1.0
	v_fma_f64 v[174:175], v[174:175], v[176:177], v[174:175]
	v_div_scale_f64 v[176:177], vcc_lo, 1.0, v[170:171], 1.0
	v_mul_f64 v[178:179], v[176:177], v[174:175]
	v_fma_f64 v[172:173], -v[172:173], v[178:179], v[176:177]
	v_div_fmas_f64 v[172:173], v[172:173], v[174:175], v[178:179]
	v_div_fixup_f64 v[170:171], v[172:173], v[170:171], 1.0
	ds_write_b64 v1, v[170:171]
.LBB75_39:
	s_or_b32 exec_lo, exec_lo, s1
	s_waitcnt lgkmcnt(0)
	s_barrier
	buffer_gl0_inv
	ds_read_b64 v[170:171], v1
	s_mov_b32 s1, exec_lo
	v_cmpx_lt_u32_e32 7, v0
	s_cbranch_execz .LBB75_41
; %bb.40:
	s_waitcnt lgkmcnt(0)
	v_mul_f64 v[122:123], v[170:171], v[122:123]
	ds_read2_b64 v[172:175], v230 offset0:8 offset1:9
	ds_read2_b64 v[176:179], v230 offset0:10 offset1:11
	ds_read2_b64 v[180:183], v230 offset0:12 offset1:13
	ds_read2_b64 v[184:187], v230 offset0:14 offset1:15
	ds_read2_b64 v[188:191], v230 offset0:16 offset1:17
	ds_read2_b64 v[192:195], v230 offset0:18 offset1:19
	ds_read2_b64 v[196:199], v230 offset0:20 offset1:21
	ds_read2_b64 v[200:203], v230 offset0:22 offset1:23
	ds_read2_b64 v[204:207], v230 offset0:24 offset1:25
	ds_read2_b64 v[208:211], v230 offset0:26 offset1:27
	ds_read2_b64 v[212:215], v230 offset0:28 offset1:29
	ds_read2_b64 v[216:219], v230 offset0:30 offset1:31
	ds_read2_b64 v[220:223], v230 offset0:32 offset1:33
	ds_read2_b64 v[224:227], v230 offset0:34 offset1:35
	s_waitcnt lgkmcnt(13)
	v_fma_f64 v[136:137], -v[122:123], v[172:173], v[136:137]
	v_fma_f64 v[120:121], -v[122:123], v[174:175], v[120:121]
	ds_read2_b64 v[172:175], v230 offset0:36 offset1:37
	s_waitcnt lgkmcnt(13)
	v_fma_f64 v[134:135], -v[122:123], v[176:177], v[134:135]
	v_fma_f64 v[118:119], -v[122:123], v[178:179], v[118:119]
	s_waitcnt lgkmcnt(12)
	v_fma_f64 v[132:133], -v[122:123], v[180:181], v[132:133]
	v_fma_f64 v[116:117], -v[122:123], v[182:183], v[116:117]
	;; [unrolled: 3-line block ×14, first 2 shown]
.LBB75_41:
	s_or_b32 exec_lo, exec_lo, s1
	s_mov_b32 s1, exec_lo
	s_waitcnt lgkmcnt(0)
	s_barrier
	buffer_gl0_inv
	v_cmpx_eq_u32_e32 8, v0
	s_cbranch_execz .LBB75_44
; %bb.42:
	ds_write_b64 v1, v[136:137]
	ds_write2_b64 v230, v[120:121], v[134:135] offset0:9 offset1:10
	ds_write2_b64 v230, v[118:119], v[132:133] offset0:11 offset1:12
	;; [unrolled: 1-line block ×14, first 2 shown]
	ds_write_b64 v230, v[146:147] offset:296
	ds_read_b64 v[172:173], v1
	s_waitcnt lgkmcnt(0)
	v_cmp_neq_f64_e32 vcc_lo, 0, v[172:173]
	s_and_b32 exec_lo, exec_lo, vcc_lo
	s_cbranch_execz .LBB75_44
; %bb.43:
	v_div_scale_f64 v[174:175], null, v[172:173], v[172:173], 1.0
	v_rcp_f64_e32 v[176:177], v[174:175]
	v_fma_f64 v[178:179], -v[174:175], v[176:177], 1.0
	v_fma_f64 v[176:177], v[176:177], v[178:179], v[176:177]
	v_fma_f64 v[178:179], -v[174:175], v[176:177], 1.0
	v_fma_f64 v[176:177], v[176:177], v[178:179], v[176:177]
	v_div_scale_f64 v[178:179], vcc_lo, 1.0, v[172:173], 1.0
	v_mul_f64 v[180:181], v[178:179], v[176:177]
	v_fma_f64 v[174:175], -v[174:175], v[180:181], v[178:179]
	v_div_fmas_f64 v[174:175], v[174:175], v[176:177], v[180:181]
	v_div_fixup_f64 v[172:173], v[174:175], v[172:173], 1.0
	ds_write_b64 v1, v[172:173]
.LBB75_44:
	s_or_b32 exec_lo, exec_lo, s1
	s_waitcnt lgkmcnt(0)
	s_barrier
	buffer_gl0_inv
	ds_read_b64 v[172:173], v1
	s_mov_b32 s1, exec_lo
	v_cmpx_lt_u32_e32 8, v0
	s_cbranch_execz .LBB75_46
; %bb.45:
	s_waitcnt lgkmcnt(0)
	v_mul_f64 v[136:137], v[172:173], v[136:137]
	ds_read2_b64 v[174:177], v230 offset0:9 offset1:10
	ds_read2_b64 v[178:181], v230 offset0:11 offset1:12
	;; [unrolled: 1-line block ×14, first 2 shown]
	s_waitcnt lgkmcnt(13)
	v_fma_f64 v[120:121], -v[136:137], v[174:175], v[120:121]
	ds_read_b64 v[174:175], v230 offset:296
	v_fma_f64 v[134:135], -v[136:137], v[176:177], v[134:135]
	s_waitcnt lgkmcnt(13)
	v_fma_f64 v[118:119], -v[136:137], v[178:179], v[118:119]
	v_fma_f64 v[132:133], -v[136:137], v[180:181], v[132:133]
	s_waitcnt lgkmcnt(12)
	v_fma_f64 v[116:117], -v[136:137], v[182:183], v[116:117]
	;; [unrolled: 3-line block ×14, first 2 shown]
.LBB75_46:
	s_or_b32 exec_lo, exec_lo, s1
	s_mov_b32 s1, exec_lo
	s_waitcnt lgkmcnt(0)
	s_barrier
	buffer_gl0_inv
	v_cmpx_eq_u32_e32 9, v0
	s_cbranch_execz .LBB75_49
; %bb.47:
	v_mov_b32_e32 v174, v134
	v_mov_b32_e32 v175, v135
	;; [unrolled: 1-line block ×16, first 2 shown]
	ds_write_b64 v1, v[120:121]
	ds_write2_b64 v230, v[174:175], v[176:177] offset0:10 offset1:11
	ds_write2_b64 v230, v[178:179], v[180:181] offset0:12 offset1:13
	;; [unrolled: 1-line block ×4, first 2 shown]
	v_mov_b32_e32 v174, v126
	v_mov_b32_e32 v175, v127
	;; [unrolled: 1-line block ×20, first 2 shown]
	ds_write2_b64 v230, v[174:175], v[176:177] offset0:18 offset1:19
	ds_write2_b64 v230, v[178:179], v[180:181] offset0:20 offset1:21
	;; [unrolled: 1-line block ×5, first 2 shown]
	v_mov_b32_e32 v174, v102
	v_mov_b32_e32 v175, v103
	;; [unrolled: 1-line block ×18, first 2 shown]
	ds_write2_b64 v230, v[174:175], v[176:177] offset0:28 offset1:29
	ds_write2_b64 v230, v[178:179], v[180:181] offset0:30 offset1:31
	;; [unrolled: 1-line block ×5, first 2 shown]
	ds_read_b64 v[174:175], v1
	s_waitcnt lgkmcnt(0)
	v_cmp_neq_f64_e32 vcc_lo, 0, v[174:175]
	s_and_b32 exec_lo, exec_lo, vcc_lo
	s_cbranch_execz .LBB75_49
; %bb.48:
	v_div_scale_f64 v[176:177], null, v[174:175], v[174:175], 1.0
	v_rcp_f64_e32 v[178:179], v[176:177]
	v_fma_f64 v[180:181], -v[176:177], v[178:179], 1.0
	v_fma_f64 v[178:179], v[178:179], v[180:181], v[178:179]
	v_fma_f64 v[180:181], -v[176:177], v[178:179], 1.0
	v_fma_f64 v[178:179], v[178:179], v[180:181], v[178:179]
	v_div_scale_f64 v[180:181], vcc_lo, 1.0, v[174:175], 1.0
	v_mul_f64 v[182:183], v[180:181], v[178:179]
	v_fma_f64 v[176:177], -v[176:177], v[182:183], v[180:181]
	v_div_fmas_f64 v[176:177], v[176:177], v[178:179], v[182:183]
	v_div_fixup_f64 v[174:175], v[176:177], v[174:175], 1.0
	ds_write_b64 v1, v[174:175]
.LBB75_49:
	s_or_b32 exec_lo, exec_lo, s1
	s_waitcnt lgkmcnt(0)
	s_barrier
	buffer_gl0_inv
	ds_read_b64 v[174:175], v1
	s_mov_b32 s1, exec_lo
	v_cmpx_lt_u32_e32 9, v0
	s_cbranch_execz .LBB75_51
; %bb.50:
	s_waitcnt lgkmcnt(0)
	v_mul_f64 v[120:121], v[174:175], v[120:121]
	ds_read2_b64 v[176:179], v230 offset0:10 offset1:11
	ds_read2_b64 v[180:183], v230 offset0:12 offset1:13
	;; [unrolled: 1-line block ×14, first 2 shown]
	s_waitcnt lgkmcnt(13)
	v_fma_f64 v[134:135], -v[120:121], v[176:177], v[134:135]
	v_fma_f64 v[118:119], -v[120:121], v[178:179], v[118:119]
	s_waitcnt lgkmcnt(12)
	v_fma_f64 v[132:133], -v[120:121], v[180:181], v[132:133]
	v_fma_f64 v[116:117], -v[120:121], v[182:183], v[116:117]
	;; [unrolled: 3-line block ×14, first 2 shown]
.LBB75_51:
	s_or_b32 exec_lo, exec_lo, s1
	s_mov_b32 s1, exec_lo
	s_waitcnt lgkmcnt(0)
	s_barrier
	buffer_gl0_inv
	v_cmpx_eq_u32_e32 10, v0
	s_cbranch_execz .LBB75_54
; %bb.52:
	ds_write_b64 v1, v[134:135]
	ds_write2_b64 v230, v[118:119], v[132:133] offset0:11 offset1:12
	ds_write2_b64 v230, v[116:117], v[130:131] offset0:13 offset1:14
	;; [unrolled: 1-line block ×13, first 2 shown]
	ds_write_b64 v230, v[146:147] offset:296
	ds_read_b64 v[176:177], v1
	s_waitcnt lgkmcnt(0)
	v_cmp_neq_f64_e32 vcc_lo, 0, v[176:177]
	s_and_b32 exec_lo, exec_lo, vcc_lo
	s_cbranch_execz .LBB75_54
; %bb.53:
	v_div_scale_f64 v[178:179], null, v[176:177], v[176:177], 1.0
	v_rcp_f64_e32 v[180:181], v[178:179]
	v_fma_f64 v[182:183], -v[178:179], v[180:181], 1.0
	v_fma_f64 v[180:181], v[180:181], v[182:183], v[180:181]
	v_fma_f64 v[182:183], -v[178:179], v[180:181], 1.0
	v_fma_f64 v[180:181], v[180:181], v[182:183], v[180:181]
	v_div_scale_f64 v[182:183], vcc_lo, 1.0, v[176:177], 1.0
	v_mul_f64 v[184:185], v[182:183], v[180:181]
	v_fma_f64 v[178:179], -v[178:179], v[184:185], v[182:183]
	v_div_fmas_f64 v[178:179], v[178:179], v[180:181], v[184:185]
	v_div_fixup_f64 v[176:177], v[178:179], v[176:177], 1.0
	ds_write_b64 v1, v[176:177]
.LBB75_54:
	s_or_b32 exec_lo, exec_lo, s1
	s_waitcnt lgkmcnt(0)
	s_barrier
	buffer_gl0_inv
	ds_read_b64 v[176:177], v1
	s_mov_b32 s1, exec_lo
	v_cmpx_lt_u32_e32 10, v0
	s_cbranch_execz .LBB75_56
; %bb.55:
	s_waitcnt lgkmcnt(0)
	v_mul_f64 v[134:135], v[176:177], v[134:135]
	ds_read2_b64 v[178:181], v230 offset0:11 offset1:12
	ds_read2_b64 v[182:185], v230 offset0:13 offset1:14
	;; [unrolled: 1-line block ×13, first 2 shown]
	ds_read_b64 v[231:232], v230 offset:296
	s_waitcnt lgkmcnt(13)
	v_fma_f64 v[118:119], -v[134:135], v[178:179], v[118:119]
	v_fma_f64 v[132:133], -v[134:135], v[180:181], v[132:133]
	s_waitcnt lgkmcnt(12)
	v_fma_f64 v[116:117], -v[134:135], v[182:183], v[116:117]
	v_fma_f64 v[130:131], -v[134:135], v[184:185], v[130:131]
	;; [unrolled: 3-line block ×13, first 2 shown]
	s_waitcnt lgkmcnt(0)
	v_fma_f64 v[146:147], -v[134:135], v[231:232], v[146:147]
.LBB75_56:
	s_or_b32 exec_lo, exec_lo, s1
	s_mov_b32 s1, exec_lo
	s_waitcnt lgkmcnt(0)
	s_barrier
	buffer_gl0_inv
	v_cmpx_eq_u32_e32 11, v0
	s_cbranch_execz .LBB75_59
; %bb.57:
	v_mov_b32_e32 v178, v132
	v_mov_b32_e32 v179, v133
	;; [unrolled: 1-line block ×12, first 2 shown]
	ds_write_b64 v1, v[118:119]
	ds_write2_b64 v230, v[178:179], v[180:181] offset0:12 offset1:13
	ds_write2_b64 v230, v[182:183], v[184:185] offset0:14 offset1:15
	;; [unrolled: 1-line block ×3, first 2 shown]
	v_mov_b32_e32 v178, v126
	v_mov_b32_e32 v179, v127
	v_mov_b32_e32 v180, v94
	v_mov_b32_e32 v181, v95
	v_mov_b32_e32 v182, v110
	v_mov_b32_e32 v183, v111
	v_mov_b32_e32 v184, v92
	v_mov_b32_e32 v185, v93
	v_mov_b32_e32 v186, v108
	v_mov_b32_e32 v187, v109
	v_mov_b32_e32 v188, v90
	v_mov_b32_e32 v189, v91
	v_mov_b32_e32 v190, v106
	v_mov_b32_e32 v191, v107
	v_mov_b32_e32 v192, v88
	v_mov_b32_e32 v193, v89
	v_mov_b32_e32 v194, v104
	v_mov_b32_e32 v195, v105
	v_mov_b32_e32 v196, v86
	v_mov_b32_e32 v197, v87
	ds_write2_b64 v230, v[178:179], v[180:181] offset0:18 offset1:19
	ds_write2_b64 v230, v[182:183], v[184:185] offset0:20 offset1:21
	;; [unrolled: 1-line block ×5, first 2 shown]
	v_mov_b32_e32 v178, v102
	v_mov_b32_e32 v179, v103
	;; [unrolled: 1-line block ×18, first 2 shown]
	ds_write2_b64 v230, v[178:179], v[180:181] offset0:28 offset1:29
	ds_write2_b64 v230, v[182:183], v[184:185] offset0:30 offset1:31
	;; [unrolled: 1-line block ×5, first 2 shown]
	ds_read_b64 v[178:179], v1
	s_waitcnt lgkmcnt(0)
	v_cmp_neq_f64_e32 vcc_lo, 0, v[178:179]
	s_and_b32 exec_lo, exec_lo, vcc_lo
	s_cbranch_execz .LBB75_59
; %bb.58:
	v_div_scale_f64 v[180:181], null, v[178:179], v[178:179], 1.0
	v_rcp_f64_e32 v[182:183], v[180:181]
	v_fma_f64 v[184:185], -v[180:181], v[182:183], 1.0
	v_fma_f64 v[182:183], v[182:183], v[184:185], v[182:183]
	v_fma_f64 v[184:185], -v[180:181], v[182:183], 1.0
	v_fma_f64 v[182:183], v[182:183], v[184:185], v[182:183]
	v_div_scale_f64 v[184:185], vcc_lo, 1.0, v[178:179], 1.0
	v_mul_f64 v[186:187], v[184:185], v[182:183]
	v_fma_f64 v[180:181], -v[180:181], v[186:187], v[184:185]
	v_div_fmas_f64 v[180:181], v[180:181], v[182:183], v[186:187]
	v_div_fixup_f64 v[178:179], v[180:181], v[178:179], 1.0
	ds_write_b64 v1, v[178:179]
.LBB75_59:
	s_or_b32 exec_lo, exec_lo, s1
	s_waitcnt lgkmcnt(0)
	s_barrier
	buffer_gl0_inv
	ds_read_b64 v[178:179], v1
	s_mov_b32 s1, exec_lo
	v_cmpx_lt_u32_e32 11, v0
	s_cbranch_execz .LBB75_61
; %bb.60:
	s_waitcnt lgkmcnt(0)
	v_mul_f64 v[118:119], v[178:179], v[118:119]
	ds_read2_b64 v[180:183], v230 offset0:12 offset1:13
	ds_read2_b64 v[184:187], v230 offset0:14 offset1:15
	;; [unrolled: 1-line block ×13, first 2 shown]
	s_waitcnt lgkmcnt(12)
	v_fma_f64 v[132:133], -v[118:119], v[180:181], v[132:133]
	v_fma_f64 v[116:117], -v[118:119], v[182:183], v[116:117]
	s_waitcnt lgkmcnt(11)
	v_fma_f64 v[130:131], -v[118:119], v[184:185], v[130:131]
	v_fma_f64 v[114:115], -v[118:119], v[186:187], v[114:115]
	;; [unrolled: 3-line block ×13, first 2 shown]
.LBB75_61:
	s_or_b32 exec_lo, exec_lo, s1
	s_mov_b32 s1, exec_lo
	s_waitcnt lgkmcnt(0)
	s_barrier
	buffer_gl0_inv
	v_cmpx_eq_u32_e32 12, v0
	s_cbranch_execz .LBB75_64
; %bb.62:
	ds_write_b64 v1, v[132:133]
	ds_write2_b64 v230, v[116:117], v[130:131] offset0:13 offset1:14
	ds_write2_b64 v230, v[114:115], v[128:129] offset0:15 offset1:16
	;; [unrolled: 1-line block ×12, first 2 shown]
	ds_write_b64 v230, v[146:147] offset:296
	ds_read_b64 v[180:181], v1
	s_waitcnt lgkmcnt(0)
	v_cmp_neq_f64_e32 vcc_lo, 0, v[180:181]
	s_and_b32 exec_lo, exec_lo, vcc_lo
	s_cbranch_execz .LBB75_64
; %bb.63:
	v_div_scale_f64 v[182:183], null, v[180:181], v[180:181], 1.0
	v_rcp_f64_e32 v[184:185], v[182:183]
	v_fma_f64 v[186:187], -v[182:183], v[184:185], 1.0
	v_fma_f64 v[184:185], v[184:185], v[186:187], v[184:185]
	v_fma_f64 v[186:187], -v[182:183], v[184:185], 1.0
	v_fma_f64 v[184:185], v[184:185], v[186:187], v[184:185]
	v_div_scale_f64 v[186:187], vcc_lo, 1.0, v[180:181], 1.0
	v_mul_f64 v[188:189], v[186:187], v[184:185]
	v_fma_f64 v[182:183], -v[182:183], v[188:189], v[186:187]
	v_div_fmas_f64 v[182:183], v[182:183], v[184:185], v[188:189]
	v_div_fixup_f64 v[180:181], v[182:183], v[180:181], 1.0
	ds_write_b64 v1, v[180:181]
.LBB75_64:
	s_or_b32 exec_lo, exec_lo, s1
	s_waitcnt lgkmcnt(0)
	s_barrier
	buffer_gl0_inv
	ds_read_b64 v[180:181], v1
	s_mov_b32 s1, exec_lo
	v_cmpx_lt_u32_e32 12, v0
	s_cbranch_execz .LBB75_66
; %bb.65:
	s_waitcnt lgkmcnt(0)
	v_mul_f64 v[132:133], v[180:181], v[132:133]
	ds_read2_b64 v[182:185], v230 offset0:13 offset1:14
	ds_read2_b64 v[186:189], v230 offset0:15 offset1:16
	;; [unrolled: 1-line block ×12, first 2 shown]
	ds_read_b64 v[231:232], v230 offset:296
	s_waitcnt lgkmcnt(12)
	v_fma_f64 v[116:117], -v[132:133], v[182:183], v[116:117]
	v_fma_f64 v[130:131], -v[132:133], v[184:185], v[130:131]
	s_waitcnt lgkmcnt(11)
	v_fma_f64 v[114:115], -v[132:133], v[186:187], v[114:115]
	v_fma_f64 v[128:129], -v[132:133], v[188:189], v[128:129]
	;; [unrolled: 3-line block ×12, first 2 shown]
	s_waitcnt lgkmcnt(0)
	v_fma_f64 v[146:147], -v[132:133], v[231:232], v[146:147]
.LBB75_66:
	s_or_b32 exec_lo, exec_lo, s1
	s_mov_b32 s1, exec_lo
	s_waitcnt lgkmcnt(0)
	s_barrier
	buffer_gl0_inv
	v_cmpx_eq_u32_e32 13, v0
	s_cbranch_execz .LBB75_69
; %bb.67:
	v_mov_b32_e32 v182, v130
	v_mov_b32_e32 v183, v131
	;; [unrolled: 1-line block ×8, first 2 shown]
	ds_write_b64 v1, v[116:117]
	ds_write2_b64 v230, v[182:183], v[184:185] offset0:14 offset1:15
	ds_write2_b64 v230, v[186:187], v[188:189] offset0:16 offset1:17
	v_mov_b32_e32 v182, v126
	v_mov_b32_e32 v183, v127
	;; [unrolled: 1-line block ×20, first 2 shown]
	ds_write2_b64 v230, v[182:183], v[184:185] offset0:18 offset1:19
	ds_write2_b64 v230, v[186:187], v[188:189] offset0:20 offset1:21
	;; [unrolled: 1-line block ×5, first 2 shown]
	v_mov_b32_e32 v182, v102
	v_mov_b32_e32 v183, v103
	;; [unrolled: 1-line block ×18, first 2 shown]
	ds_write2_b64 v230, v[182:183], v[184:185] offset0:28 offset1:29
	ds_write2_b64 v230, v[186:187], v[188:189] offset0:30 offset1:31
	;; [unrolled: 1-line block ×5, first 2 shown]
	ds_read_b64 v[182:183], v1
	s_waitcnt lgkmcnt(0)
	v_cmp_neq_f64_e32 vcc_lo, 0, v[182:183]
	s_and_b32 exec_lo, exec_lo, vcc_lo
	s_cbranch_execz .LBB75_69
; %bb.68:
	v_div_scale_f64 v[184:185], null, v[182:183], v[182:183], 1.0
	v_rcp_f64_e32 v[186:187], v[184:185]
	v_fma_f64 v[188:189], -v[184:185], v[186:187], 1.0
	v_fma_f64 v[186:187], v[186:187], v[188:189], v[186:187]
	v_fma_f64 v[188:189], -v[184:185], v[186:187], 1.0
	v_fma_f64 v[186:187], v[186:187], v[188:189], v[186:187]
	v_div_scale_f64 v[188:189], vcc_lo, 1.0, v[182:183], 1.0
	v_mul_f64 v[190:191], v[188:189], v[186:187]
	v_fma_f64 v[184:185], -v[184:185], v[190:191], v[188:189]
	v_div_fmas_f64 v[184:185], v[184:185], v[186:187], v[190:191]
	v_div_fixup_f64 v[182:183], v[184:185], v[182:183], 1.0
	ds_write_b64 v1, v[182:183]
.LBB75_69:
	s_or_b32 exec_lo, exec_lo, s1
	s_waitcnt lgkmcnt(0)
	s_barrier
	buffer_gl0_inv
	ds_read_b64 v[182:183], v1
	s_mov_b32 s1, exec_lo
	v_cmpx_lt_u32_e32 13, v0
	s_cbranch_execz .LBB75_71
; %bb.70:
	s_waitcnt lgkmcnt(0)
	v_mul_f64 v[116:117], v[182:183], v[116:117]
	ds_read2_b64 v[184:187], v230 offset0:14 offset1:15
	ds_read2_b64 v[188:191], v230 offset0:16 offset1:17
	;; [unrolled: 1-line block ×12, first 2 shown]
	s_waitcnt lgkmcnt(11)
	v_fma_f64 v[130:131], -v[116:117], v[184:185], v[130:131]
	v_fma_f64 v[114:115], -v[116:117], v[186:187], v[114:115]
	s_waitcnt lgkmcnt(10)
	v_fma_f64 v[128:129], -v[116:117], v[188:189], v[128:129]
	v_fma_f64 v[112:113], -v[116:117], v[190:191], v[112:113]
	;; [unrolled: 3-line block ×12, first 2 shown]
.LBB75_71:
	s_or_b32 exec_lo, exec_lo, s1
	s_mov_b32 s1, exec_lo
	s_waitcnt lgkmcnt(0)
	s_barrier
	buffer_gl0_inv
	v_cmpx_eq_u32_e32 14, v0
	s_cbranch_execz .LBB75_74
; %bb.72:
	ds_write_b64 v1, v[130:131]
	ds_write2_b64 v230, v[114:115], v[128:129] offset0:15 offset1:16
	ds_write2_b64 v230, v[112:113], v[126:127] offset0:17 offset1:18
	;; [unrolled: 1-line block ×11, first 2 shown]
	ds_write_b64 v230, v[146:147] offset:296
	ds_read_b64 v[184:185], v1
	s_waitcnt lgkmcnt(0)
	v_cmp_neq_f64_e32 vcc_lo, 0, v[184:185]
	s_and_b32 exec_lo, exec_lo, vcc_lo
	s_cbranch_execz .LBB75_74
; %bb.73:
	v_div_scale_f64 v[186:187], null, v[184:185], v[184:185], 1.0
	v_rcp_f64_e32 v[188:189], v[186:187]
	v_fma_f64 v[190:191], -v[186:187], v[188:189], 1.0
	v_fma_f64 v[188:189], v[188:189], v[190:191], v[188:189]
	v_fma_f64 v[190:191], -v[186:187], v[188:189], 1.0
	v_fma_f64 v[188:189], v[188:189], v[190:191], v[188:189]
	v_div_scale_f64 v[190:191], vcc_lo, 1.0, v[184:185], 1.0
	v_mul_f64 v[192:193], v[190:191], v[188:189]
	v_fma_f64 v[186:187], -v[186:187], v[192:193], v[190:191]
	v_div_fmas_f64 v[186:187], v[186:187], v[188:189], v[192:193]
	v_div_fixup_f64 v[184:185], v[186:187], v[184:185], 1.0
	ds_write_b64 v1, v[184:185]
.LBB75_74:
	s_or_b32 exec_lo, exec_lo, s1
	s_waitcnt lgkmcnt(0)
	s_barrier
	buffer_gl0_inv
	ds_read_b64 v[184:185], v1
	s_mov_b32 s1, exec_lo
	v_cmpx_lt_u32_e32 14, v0
	s_cbranch_execz .LBB75_76
; %bb.75:
	s_waitcnt lgkmcnt(0)
	v_mul_f64 v[130:131], v[184:185], v[130:131]
	ds_read2_b64 v[186:189], v230 offset0:15 offset1:16
	ds_read2_b64 v[190:193], v230 offset0:17 offset1:18
	;; [unrolled: 1-line block ×11, first 2 shown]
	ds_read_b64 v[231:232], v230 offset:296
	s_waitcnt lgkmcnt(11)
	v_fma_f64 v[114:115], -v[130:131], v[186:187], v[114:115]
	v_fma_f64 v[128:129], -v[130:131], v[188:189], v[128:129]
	s_waitcnt lgkmcnt(10)
	v_fma_f64 v[112:113], -v[130:131], v[190:191], v[112:113]
	v_fma_f64 v[126:127], -v[130:131], v[192:193], v[126:127]
	;; [unrolled: 3-line block ×11, first 2 shown]
	s_waitcnt lgkmcnt(0)
	v_fma_f64 v[146:147], -v[130:131], v[231:232], v[146:147]
.LBB75_76:
	s_or_b32 exec_lo, exec_lo, s1
	s_mov_b32 s1, exec_lo
	s_waitcnt lgkmcnt(0)
	s_barrier
	buffer_gl0_inv
	v_cmpx_eq_u32_e32 15, v0
	s_cbranch_execz .LBB75_79
; %bb.77:
	v_mov_b32_e32 v186, v128
	v_mov_b32_e32 v187, v129
	v_mov_b32_e32 v188, v112
	v_mov_b32_e32 v189, v113
	ds_write_b64 v1, v[114:115]
	ds_write2_b64 v230, v[186:187], v[188:189] offset0:16 offset1:17
	v_mov_b32_e32 v186, v126
	v_mov_b32_e32 v187, v127
	;; [unrolled: 1-line block ×20, first 2 shown]
	ds_write2_b64 v230, v[186:187], v[188:189] offset0:18 offset1:19
	ds_write2_b64 v230, v[190:191], v[192:193] offset0:20 offset1:21
	;; [unrolled: 1-line block ×5, first 2 shown]
	v_mov_b32_e32 v186, v102
	v_mov_b32_e32 v187, v103
	;; [unrolled: 1-line block ×18, first 2 shown]
	ds_write2_b64 v230, v[186:187], v[188:189] offset0:28 offset1:29
	ds_write2_b64 v230, v[190:191], v[192:193] offset0:30 offset1:31
	;; [unrolled: 1-line block ×5, first 2 shown]
	ds_read_b64 v[186:187], v1
	s_waitcnt lgkmcnt(0)
	v_cmp_neq_f64_e32 vcc_lo, 0, v[186:187]
	s_and_b32 exec_lo, exec_lo, vcc_lo
	s_cbranch_execz .LBB75_79
; %bb.78:
	v_div_scale_f64 v[188:189], null, v[186:187], v[186:187], 1.0
	v_rcp_f64_e32 v[190:191], v[188:189]
	v_fma_f64 v[192:193], -v[188:189], v[190:191], 1.0
	v_fma_f64 v[190:191], v[190:191], v[192:193], v[190:191]
	v_fma_f64 v[192:193], -v[188:189], v[190:191], 1.0
	v_fma_f64 v[190:191], v[190:191], v[192:193], v[190:191]
	v_div_scale_f64 v[192:193], vcc_lo, 1.0, v[186:187], 1.0
	v_mul_f64 v[194:195], v[192:193], v[190:191]
	v_fma_f64 v[188:189], -v[188:189], v[194:195], v[192:193]
	v_div_fmas_f64 v[188:189], v[188:189], v[190:191], v[194:195]
	v_div_fixup_f64 v[186:187], v[188:189], v[186:187], 1.0
	ds_write_b64 v1, v[186:187]
.LBB75_79:
	s_or_b32 exec_lo, exec_lo, s1
	s_waitcnt lgkmcnt(0)
	s_barrier
	buffer_gl0_inv
	ds_read_b64 v[186:187], v1
	s_mov_b32 s1, exec_lo
	v_cmpx_lt_u32_e32 15, v0
	s_cbranch_execz .LBB75_81
; %bb.80:
	s_waitcnt lgkmcnt(0)
	v_mul_f64 v[114:115], v[186:187], v[114:115]
	ds_read2_b64 v[188:191], v230 offset0:16 offset1:17
	ds_read2_b64 v[192:195], v230 offset0:18 offset1:19
	ds_read2_b64 v[196:199], v230 offset0:20 offset1:21
	ds_read2_b64 v[200:203], v230 offset0:22 offset1:23
	ds_read2_b64 v[204:207], v230 offset0:24 offset1:25
	ds_read2_b64 v[208:211], v230 offset0:26 offset1:27
	ds_read2_b64 v[212:215], v230 offset0:28 offset1:29
	ds_read2_b64 v[216:219], v230 offset0:30 offset1:31
	ds_read2_b64 v[220:223], v230 offset0:32 offset1:33
	ds_read2_b64 v[224:227], v230 offset0:34 offset1:35
	ds_read2_b64 v[231:234], v230 offset0:36 offset1:37
	s_waitcnt lgkmcnt(10)
	v_fma_f64 v[128:129], -v[114:115], v[188:189], v[128:129]
	v_fma_f64 v[112:113], -v[114:115], v[190:191], v[112:113]
	s_waitcnt lgkmcnt(9)
	v_fma_f64 v[126:127], -v[114:115], v[192:193], v[126:127]
	v_fma_f64 v[94:95], -v[114:115], v[194:195], v[94:95]
	;; [unrolled: 3-line block ×11, first 2 shown]
.LBB75_81:
	s_or_b32 exec_lo, exec_lo, s1
	s_mov_b32 s1, exec_lo
	s_waitcnt lgkmcnt(0)
	s_barrier
	buffer_gl0_inv
	v_cmpx_eq_u32_e32 16, v0
	s_cbranch_execz .LBB75_84
; %bb.82:
	ds_write_b64 v1, v[128:129]
	ds_write2_b64 v230, v[112:113], v[126:127] offset0:17 offset1:18
	ds_write2_b64 v230, v[94:95], v[110:111] offset0:19 offset1:20
	;; [unrolled: 1-line block ×10, first 2 shown]
	ds_write_b64 v230, v[146:147] offset:296
	ds_read_b64 v[188:189], v1
	s_waitcnt lgkmcnt(0)
	v_cmp_neq_f64_e32 vcc_lo, 0, v[188:189]
	s_and_b32 exec_lo, exec_lo, vcc_lo
	s_cbranch_execz .LBB75_84
; %bb.83:
	v_div_scale_f64 v[190:191], null, v[188:189], v[188:189], 1.0
	v_rcp_f64_e32 v[192:193], v[190:191]
	v_fma_f64 v[194:195], -v[190:191], v[192:193], 1.0
	v_fma_f64 v[192:193], v[192:193], v[194:195], v[192:193]
	v_fma_f64 v[194:195], -v[190:191], v[192:193], 1.0
	v_fma_f64 v[192:193], v[192:193], v[194:195], v[192:193]
	v_div_scale_f64 v[194:195], vcc_lo, 1.0, v[188:189], 1.0
	v_mul_f64 v[196:197], v[194:195], v[192:193]
	v_fma_f64 v[190:191], -v[190:191], v[196:197], v[194:195]
	v_div_fmas_f64 v[190:191], v[190:191], v[192:193], v[196:197]
	v_div_fixup_f64 v[188:189], v[190:191], v[188:189], 1.0
	ds_write_b64 v1, v[188:189]
.LBB75_84:
	s_or_b32 exec_lo, exec_lo, s1
	s_waitcnt lgkmcnt(0)
	s_barrier
	buffer_gl0_inv
	ds_read_b64 v[188:189], v1
	s_mov_b32 s1, exec_lo
	v_cmpx_lt_u32_e32 16, v0
	s_cbranch_execz .LBB75_86
; %bb.85:
	s_waitcnt lgkmcnt(0)
	v_mul_f64 v[128:129], v[188:189], v[128:129]
	ds_read2_b64 v[190:193], v230 offset0:17 offset1:18
	ds_read2_b64 v[194:197], v230 offset0:19 offset1:20
	ds_read2_b64 v[198:201], v230 offset0:21 offset1:22
	ds_read2_b64 v[202:205], v230 offset0:23 offset1:24
	ds_read2_b64 v[206:209], v230 offset0:25 offset1:26
	ds_read2_b64 v[210:213], v230 offset0:27 offset1:28
	ds_read2_b64 v[214:217], v230 offset0:29 offset1:30
	ds_read2_b64 v[218:221], v230 offset0:31 offset1:32
	ds_read2_b64 v[222:225], v230 offset0:33 offset1:34
	ds_read2_b64 v[226:229], v230 offset0:35 offset1:36
	ds_read_b64 v[231:232], v230 offset:296
	s_waitcnt lgkmcnt(10)
	v_fma_f64 v[112:113], -v[128:129], v[190:191], v[112:113]
	v_fma_f64 v[126:127], -v[128:129], v[192:193], v[126:127]
	s_waitcnt lgkmcnt(9)
	v_fma_f64 v[94:95], -v[128:129], v[194:195], v[94:95]
	v_fma_f64 v[110:111], -v[128:129], v[196:197], v[110:111]
	;; [unrolled: 3-line block ×10, first 2 shown]
	s_waitcnt lgkmcnt(0)
	v_fma_f64 v[146:147], -v[128:129], v[231:232], v[146:147]
.LBB75_86:
	s_or_b32 exec_lo, exec_lo, s1
	s_mov_b32 s1, exec_lo
	s_waitcnt lgkmcnt(0)
	s_barrier
	buffer_gl0_inv
	v_cmpx_eq_u32_e32 17, v0
	s_cbranch_execz .LBB75_89
; %bb.87:
	v_mov_b32_e32 v190, v126
	v_mov_b32_e32 v191, v127
	v_mov_b32_e32 v192, v94
	v_mov_b32_e32 v193, v95
	v_mov_b32_e32 v194, v110
	v_mov_b32_e32 v195, v111
	v_mov_b32_e32 v196, v92
	v_mov_b32_e32 v197, v93
	v_mov_b32_e32 v198, v108
	v_mov_b32_e32 v199, v109
	v_mov_b32_e32 v200, v90
	v_mov_b32_e32 v201, v91
	v_mov_b32_e32 v202, v106
	v_mov_b32_e32 v203, v107
	v_mov_b32_e32 v204, v88
	v_mov_b32_e32 v205, v89
	v_mov_b32_e32 v206, v104
	v_mov_b32_e32 v207, v105
	v_mov_b32_e32 v208, v86
	v_mov_b32_e32 v209, v87
	ds_write_b64 v1, v[112:113]
	ds_write2_b64 v230, v[190:191], v[192:193] offset0:18 offset1:19
	ds_write2_b64 v230, v[194:195], v[196:197] offset0:20 offset1:21
	;; [unrolled: 1-line block ×5, first 2 shown]
	v_mov_b32_e32 v190, v102
	v_mov_b32_e32 v191, v103
	;; [unrolled: 1-line block ×18, first 2 shown]
	ds_write2_b64 v230, v[190:191], v[192:193] offset0:28 offset1:29
	ds_write2_b64 v230, v[194:195], v[196:197] offset0:30 offset1:31
	;; [unrolled: 1-line block ×5, first 2 shown]
	ds_read_b64 v[190:191], v1
	s_waitcnt lgkmcnt(0)
	v_cmp_neq_f64_e32 vcc_lo, 0, v[190:191]
	s_and_b32 exec_lo, exec_lo, vcc_lo
	s_cbranch_execz .LBB75_89
; %bb.88:
	v_div_scale_f64 v[192:193], null, v[190:191], v[190:191], 1.0
	v_rcp_f64_e32 v[194:195], v[192:193]
	v_fma_f64 v[196:197], -v[192:193], v[194:195], 1.0
	v_fma_f64 v[194:195], v[194:195], v[196:197], v[194:195]
	v_fma_f64 v[196:197], -v[192:193], v[194:195], 1.0
	v_fma_f64 v[194:195], v[194:195], v[196:197], v[194:195]
	v_div_scale_f64 v[196:197], vcc_lo, 1.0, v[190:191], 1.0
	v_mul_f64 v[198:199], v[196:197], v[194:195]
	v_fma_f64 v[192:193], -v[192:193], v[198:199], v[196:197]
	v_div_fmas_f64 v[192:193], v[192:193], v[194:195], v[198:199]
	v_div_fixup_f64 v[190:191], v[192:193], v[190:191], 1.0
	ds_write_b64 v1, v[190:191]
.LBB75_89:
	s_or_b32 exec_lo, exec_lo, s1
	s_waitcnt lgkmcnt(0)
	s_barrier
	buffer_gl0_inv
	ds_read_b64 v[190:191], v1
	s_mov_b32 s1, exec_lo
	v_cmpx_lt_u32_e32 17, v0
	s_cbranch_execz .LBB75_91
; %bb.90:
	s_waitcnt lgkmcnt(0)
	v_mul_f64 v[112:113], v[190:191], v[112:113]
	ds_read2_b64 v[192:195], v230 offset0:18 offset1:19
	ds_read2_b64 v[196:199], v230 offset0:20 offset1:21
	;; [unrolled: 1-line block ×10, first 2 shown]
	s_waitcnt lgkmcnt(9)
	v_fma_f64 v[126:127], -v[112:113], v[192:193], v[126:127]
	v_fma_f64 v[94:95], -v[112:113], v[194:195], v[94:95]
	s_waitcnt lgkmcnt(8)
	v_fma_f64 v[110:111], -v[112:113], v[196:197], v[110:111]
	v_fma_f64 v[92:93], -v[112:113], v[198:199], v[92:93]
	;; [unrolled: 3-line block ×10, first 2 shown]
.LBB75_91:
	s_or_b32 exec_lo, exec_lo, s1
	s_mov_b32 s1, exec_lo
	s_waitcnt lgkmcnt(0)
	s_barrier
	buffer_gl0_inv
	v_cmpx_eq_u32_e32 18, v0
	s_cbranch_execz .LBB75_94
; %bb.92:
	ds_write_b64 v1, v[126:127]
	ds_write2_b64 v230, v[94:95], v[110:111] offset0:19 offset1:20
	ds_write2_b64 v230, v[92:93], v[108:109] offset0:21 offset1:22
	;; [unrolled: 1-line block ×9, first 2 shown]
	ds_write_b64 v230, v[146:147] offset:296
	ds_read_b64 v[192:193], v1
	s_waitcnt lgkmcnt(0)
	v_cmp_neq_f64_e32 vcc_lo, 0, v[192:193]
	s_and_b32 exec_lo, exec_lo, vcc_lo
	s_cbranch_execz .LBB75_94
; %bb.93:
	v_div_scale_f64 v[194:195], null, v[192:193], v[192:193], 1.0
	v_rcp_f64_e32 v[196:197], v[194:195]
	v_fma_f64 v[198:199], -v[194:195], v[196:197], 1.0
	v_fma_f64 v[196:197], v[196:197], v[198:199], v[196:197]
	v_fma_f64 v[198:199], -v[194:195], v[196:197], 1.0
	v_fma_f64 v[196:197], v[196:197], v[198:199], v[196:197]
	v_div_scale_f64 v[198:199], vcc_lo, 1.0, v[192:193], 1.0
	v_mul_f64 v[200:201], v[198:199], v[196:197]
	v_fma_f64 v[194:195], -v[194:195], v[200:201], v[198:199]
	v_div_fmas_f64 v[194:195], v[194:195], v[196:197], v[200:201]
	v_div_fixup_f64 v[192:193], v[194:195], v[192:193], 1.0
	ds_write_b64 v1, v[192:193]
.LBB75_94:
	s_or_b32 exec_lo, exec_lo, s1
	s_waitcnt lgkmcnt(0)
	s_barrier
	buffer_gl0_inv
	ds_read_b64 v[192:193], v1
	s_mov_b32 s1, exec_lo
	v_cmpx_lt_u32_e32 18, v0
	s_cbranch_execz .LBB75_96
; %bb.95:
	s_waitcnt lgkmcnt(0)
	v_mul_f64 v[126:127], v[192:193], v[126:127]
	ds_read2_b64 v[194:197], v230 offset0:19 offset1:20
	ds_read2_b64 v[198:201], v230 offset0:21 offset1:22
	;; [unrolled: 1-line block ×9, first 2 shown]
	ds_read_b64 v[231:232], v230 offset:296
	s_waitcnt lgkmcnt(9)
	v_fma_f64 v[94:95], -v[126:127], v[194:195], v[94:95]
	v_fma_f64 v[110:111], -v[126:127], v[196:197], v[110:111]
	s_waitcnt lgkmcnt(8)
	v_fma_f64 v[92:93], -v[126:127], v[198:199], v[92:93]
	v_fma_f64 v[108:109], -v[126:127], v[200:201], v[108:109]
	;; [unrolled: 3-line block ×9, first 2 shown]
	s_waitcnt lgkmcnt(0)
	v_fma_f64 v[146:147], -v[126:127], v[231:232], v[146:147]
.LBB75_96:
	s_or_b32 exec_lo, exec_lo, s1
	s_mov_b32 s1, exec_lo
	s_waitcnt lgkmcnt(0)
	s_barrier
	buffer_gl0_inv
	v_cmpx_eq_u32_e32 19, v0
	s_cbranch_execz .LBB75_99
; %bb.97:
	v_mov_b32_e32 v194, v110
	v_mov_b32_e32 v195, v111
	;; [unrolled: 1-line block ×16, first 2 shown]
	ds_write_b64 v1, v[94:95]
	ds_write2_b64 v230, v[194:195], v[196:197] offset0:20 offset1:21
	ds_write2_b64 v230, v[198:199], v[200:201] offset0:22 offset1:23
	;; [unrolled: 1-line block ×4, first 2 shown]
	v_mov_b32_e32 v194, v102
	v_mov_b32_e32 v195, v103
	v_mov_b32_e32 v196, v84
	v_mov_b32_e32 v197, v85
	v_mov_b32_e32 v198, v100
	v_mov_b32_e32 v199, v101
	v_mov_b32_e32 v200, v82
	v_mov_b32_e32 v201, v83
	v_mov_b32_e32 v202, v98
	v_mov_b32_e32 v203, v99
	v_mov_b32_e32 v204, v80
	v_mov_b32_e32 v205, v81
	v_mov_b32_e32 v206, v96
	v_mov_b32_e32 v207, v97
	v_mov_b32_e32 v208, v78
	v_mov_b32_e32 v209, v79
	v_mov_b32_e32 v210, v144
	v_mov_b32_e32 v211, v145
	ds_write2_b64 v230, v[194:195], v[196:197] offset0:28 offset1:29
	ds_write2_b64 v230, v[198:199], v[200:201] offset0:30 offset1:31
	;; [unrolled: 1-line block ×5, first 2 shown]
	ds_read_b64 v[194:195], v1
	s_waitcnt lgkmcnt(0)
	v_cmp_neq_f64_e32 vcc_lo, 0, v[194:195]
	s_and_b32 exec_lo, exec_lo, vcc_lo
	s_cbranch_execz .LBB75_99
; %bb.98:
	v_div_scale_f64 v[196:197], null, v[194:195], v[194:195], 1.0
	v_rcp_f64_e32 v[198:199], v[196:197]
	v_fma_f64 v[200:201], -v[196:197], v[198:199], 1.0
	v_fma_f64 v[198:199], v[198:199], v[200:201], v[198:199]
	v_fma_f64 v[200:201], -v[196:197], v[198:199], 1.0
	v_fma_f64 v[198:199], v[198:199], v[200:201], v[198:199]
	v_div_scale_f64 v[200:201], vcc_lo, 1.0, v[194:195], 1.0
	v_mul_f64 v[202:203], v[200:201], v[198:199]
	v_fma_f64 v[196:197], -v[196:197], v[202:203], v[200:201]
	v_div_fmas_f64 v[196:197], v[196:197], v[198:199], v[202:203]
	v_div_fixup_f64 v[194:195], v[196:197], v[194:195], 1.0
	ds_write_b64 v1, v[194:195]
.LBB75_99:
	s_or_b32 exec_lo, exec_lo, s1
	s_waitcnt lgkmcnt(0)
	s_barrier
	buffer_gl0_inv
	ds_read_b64 v[194:195], v1
	s_mov_b32 s1, exec_lo
	v_cmpx_lt_u32_e32 19, v0
	s_cbranch_execz .LBB75_101
; %bb.100:
	s_waitcnt lgkmcnt(0)
	v_mul_f64 v[94:95], v[194:195], v[94:95]
	ds_read2_b64 v[196:199], v230 offset0:20 offset1:21
	ds_read2_b64 v[200:203], v230 offset0:22 offset1:23
	;; [unrolled: 1-line block ×9, first 2 shown]
	s_waitcnt lgkmcnt(8)
	v_fma_f64 v[110:111], -v[94:95], v[196:197], v[110:111]
	v_fma_f64 v[92:93], -v[94:95], v[198:199], v[92:93]
	s_waitcnt lgkmcnt(7)
	v_fma_f64 v[108:109], -v[94:95], v[200:201], v[108:109]
	v_fma_f64 v[90:91], -v[94:95], v[202:203], v[90:91]
	;; [unrolled: 3-line block ×9, first 2 shown]
.LBB75_101:
	s_or_b32 exec_lo, exec_lo, s1
	s_mov_b32 s1, exec_lo
	s_waitcnt lgkmcnt(0)
	s_barrier
	buffer_gl0_inv
	v_cmpx_eq_u32_e32 20, v0
	s_cbranch_execz .LBB75_104
; %bb.102:
	ds_write_b64 v1, v[110:111]
	ds_write2_b64 v230, v[92:93], v[108:109] offset0:21 offset1:22
	ds_write2_b64 v230, v[90:91], v[106:107] offset0:23 offset1:24
	;; [unrolled: 1-line block ×8, first 2 shown]
	ds_write_b64 v230, v[146:147] offset:296
	ds_read_b64 v[196:197], v1
	s_waitcnt lgkmcnt(0)
	v_cmp_neq_f64_e32 vcc_lo, 0, v[196:197]
	s_and_b32 exec_lo, exec_lo, vcc_lo
	s_cbranch_execz .LBB75_104
; %bb.103:
	v_div_scale_f64 v[198:199], null, v[196:197], v[196:197], 1.0
	v_rcp_f64_e32 v[200:201], v[198:199]
	v_fma_f64 v[202:203], -v[198:199], v[200:201], 1.0
	v_fma_f64 v[200:201], v[200:201], v[202:203], v[200:201]
	v_fma_f64 v[202:203], -v[198:199], v[200:201], 1.0
	v_fma_f64 v[200:201], v[200:201], v[202:203], v[200:201]
	v_div_scale_f64 v[202:203], vcc_lo, 1.0, v[196:197], 1.0
	v_mul_f64 v[204:205], v[202:203], v[200:201]
	v_fma_f64 v[198:199], -v[198:199], v[204:205], v[202:203]
	v_div_fmas_f64 v[198:199], v[198:199], v[200:201], v[204:205]
	v_div_fixup_f64 v[196:197], v[198:199], v[196:197], 1.0
	ds_write_b64 v1, v[196:197]
.LBB75_104:
	s_or_b32 exec_lo, exec_lo, s1
	s_waitcnt lgkmcnt(0)
	s_barrier
	buffer_gl0_inv
	ds_read_b64 v[196:197], v1
	s_mov_b32 s1, exec_lo
	v_cmpx_lt_u32_e32 20, v0
	s_cbranch_execz .LBB75_106
; %bb.105:
	s_waitcnt lgkmcnt(0)
	v_mul_f64 v[110:111], v[196:197], v[110:111]
	ds_read2_b64 v[198:201], v230 offset0:21 offset1:22
	ds_read2_b64 v[202:205], v230 offset0:23 offset1:24
	;; [unrolled: 1-line block ×8, first 2 shown]
	ds_read_b64 v[231:232], v230 offset:296
	s_waitcnt lgkmcnt(8)
	v_fma_f64 v[92:93], -v[110:111], v[198:199], v[92:93]
	v_fma_f64 v[108:109], -v[110:111], v[200:201], v[108:109]
	s_waitcnt lgkmcnt(7)
	v_fma_f64 v[90:91], -v[110:111], v[202:203], v[90:91]
	v_fma_f64 v[106:107], -v[110:111], v[204:205], v[106:107]
	s_waitcnt lgkmcnt(6)
	v_fma_f64 v[88:89], -v[110:111], v[206:207], v[88:89]
	v_fma_f64 v[104:105], -v[110:111], v[208:209], v[104:105]
	s_waitcnt lgkmcnt(5)
	v_fma_f64 v[86:87], -v[110:111], v[210:211], v[86:87]
	v_fma_f64 v[102:103], -v[110:111], v[212:213], v[102:103]
	s_waitcnt lgkmcnt(4)
	v_fma_f64 v[84:85], -v[110:111], v[214:215], v[84:85]
	v_fma_f64 v[100:101], -v[110:111], v[216:217], v[100:101]
	s_waitcnt lgkmcnt(3)
	v_fma_f64 v[82:83], -v[110:111], v[218:219], v[82:83]
	v_fma_f64 v[98:99], -v[110:111], v[220:221], v[98:99]
	s_waitcnt lgkmcnt(2)
	v_fma_f64 v[80:81], -v[110:111], v[222:223], v[80:81]
	v_fma_f64 v[96:97], -v[110:111], v[224:225], v[96:97]
	s_waitcnt lgkmcnt(1)
	v_fma_f64 v[78:79], -v[110:111], v[226:227], v[78:79]
	v_fma_f64 v[144:145], -v[110:111], v[228:229], v[144:145]
	s_waitcnt lgkmcnt(0)
	v_fma_f64 v[146:147], -v[110:111], v[231:232], v[146:147]
.LBB75_106:
	s_or_b32 exec_lo, exec_lo, s1
	s_mov_b32 s1, exec_lo
	s_waitcnt lgkmcnt(0)
	s_barrier
	buffer_gl0_inv
	v_cmpx_eq_u32_e32 21, v0
	s_cbranch_execz .LBB75_109
; %bb.107:
	v_mov_b32_e32 v198, v108
	v_mov_b32_e32 v199, v109
	;; [unrolled: 1-line block ×12, first 2 shown]
	ds_write_b64 v1, v[92:93]
	ds_write2_b64 v230, v[198:199], v[200:201] offset0:22 offset1:23
	ds_write2_b64 v230, v[202:203], v[204:205] offset0:24 offset1:25
	;; [unrolled: 1-line block ×3, first 2 shown]
	v_mov_b32_e32 v198, v102
	v_mov_b32_e32 v199, v103
	;; [unrolled: 1-line block ×18, first 2 shown]
	ds_write2_b64 v230, v[198:199], v[200:201] offset0:28 offset1:29
	ds_write2_b64 v230, v[202:203], v[204:205] offset0:30 offset1:31
	;; [unrolled: 1-line block ×5, first 2 shown]
	ds_read_b64 v[198:199], v1
	s_waitcnt lgkmcnt(0)
	v_cmp_neq_f64_e32 vcc_lo, 0, v[198:199]
	s_and_b32 exec_lo, exec_lo, vcc_lo
	s_cbranch_execz .LBB75_109
; %bb.108:
	v_div_scale_f64 v[200:201], null, v[198:199], v[198:199], 1.0
	v_rcp_f64_e32 v[202:203], v[200:201]
	v_fma_f64 v[204:205], -v[200:201], v[202:203], 1.0
	v_fma_f64 v[202:203], v[202:203], v[204:205], v[202:203]
	v_fma_f64 v[204:205], -v[200:201], v[202:203], 1.0
	v_fma_f64 v[202:203], v[202:203], v[204:205], v[202:203]
	v_div_scale_f64 v[204:205], vcc_lo, 1.0, v[198:199], 1.0
	v_mul_f64 v[206:207], v[204:205], v[202:203]
	v_fma_f64 v[200:201], -v[200:201], v[206:207], v[204:205]
	v_div_fmas_f64 v[200:201], v[200:201], v[202:203], v[206:207]
	v_div_fixup_f64 v[198:199], v[200:201], v[198:199], 1.0
	ds_write_b64 v1, v[198:199]
.LBB75_109:
	s_or_b32 exec_lo, exec_lo, s1
	s_waitcnt lgkmcnt(0)
	s_barrier
	buffer_gl0_inv
	ds_read_b64 v[198:199], v1
	s_mov_b32 s1, exec_lo
	v_cmpx_lt_u32_e32 21, v0
	s_cbranch_execz .LBB75_111
; %bb.110:
	s_waitcnt lgkmcnt(0)
	v_mul_f64 v[92:93], v[198:199], v[92:93]
	ds_read2_b64 v[200:203], v230 offset0:22 offset1:23
	ds_read2_b64 v[204:207], v230 offset0:24 offset1:25
	;; [unrolled: 1-line block ×8, first 2 shown]
	s_waitcnt lgkmcnt(7)
	v_fma_f64 v[108:109], -v[92:93], v[200:201], v[108:109]
	v_fma_f64 v[90:91], -v[92:93], v[202:203], v[90:91]
	s_waitcnt lgkmcnt(6)
	v_fma_f64 v[106:107], -v[92:93], v[204:205], v[106:107]
	v_fma_f64 v[88:89], -v[92:93], v[206:207], v[88:89]
	;; [unrolled: 3-line block ×8, first 2 shown]
.LBB75_111:
	s_or_b32 exec_lo, exec_lo, s1
	s_mov_b32 s1, exec_lo
	s_waitcnt lgkmcnt(0)
	s_barrier
	buffer_gl0_inv
	v_cmpx_eq_u32_e32 22, v0
	s_cbranch_execz .LBB75_114
; %bb.112:
	ds_write_b64 v1, v[108:109]
	ds_write2_b64 v230, v[90:91], v[106:107] offset0:23 offset1:24
	ds_write2_b64 v230, v[88:89], v[104:105] offset0:25 offset1:26
	;; [unrolled: 1-line block ×7, first 2 shown]
	ds_write_b64 v230, v[146:147] offset:296
	ds_read_b64 v[200:201], v1
	s_waitcnt lgkmcnt(0)
	v_cmp_neq_f64_e32 vcc_lo, 0, v[200:201]
	s_and_b32 exec_lo, exec_lo, vcc_lo
	s_cbranch_execz .LBB75_114
; %bb.113:
	v_div_scale_f64 v[202:203], null, v[200:201], v[200:201], 1.0
	v_rcp_f64_e32 v[204:205], v[202:203]
	v_fma_f64 v[206:207], -v[202:203], v[204:205], 1.0
	v_fma_f64 v[204:205], v[204:205], v[206:207], v[204:205]
	v_fma_f64 v[206:207], -v[202:203], v[204:205], 1.0
	v_fma_f64 v[204:205], v[204:205], v[206:207], v[204:205]
	v_div_scale_f64 v[206:207], vcc_lo, 1.0, v[200:201], 1.0
	v_mul_f64 v[208:209], v[206:207], v[204:205]
	v_fma_f64 v[202:203], -v[202:203], v[208:209], v[206:207]
	v_div_fmas_f64 v[202:203], v[202:203], v[204:205], v[208:209]
	v_div_fixup_f64 v[200:201], v[202:203], v[200:201], 1.0
	ds_write_b64 v1, v[200:201]
.LBB75_114:
	s_or_b32 exec_lo, exec_lo, s1
	s_waitcnt lgkmcnt(0)
	s_barrier
	buffer_gl0_inv
	ds_read_b64 v[200:201], v1
	s_mov_b32 s1, exec_lo
	v_cmpx_lt_u32_e32 22, v0
	s_cbranch_execz .LBB75_116
; %bb.115:
	s_waitcnt lgkmcnt(0)
	v_mul_f64 v[108:109], v[200:201], v[108:109]
	ds_read2_b64 v[202:205], v230 offset0:23 offset1:24
	ds_read2_b64 v[206:209], v230 offset0:25 offset1:26
	;; [unrolled: 1-line block ×7, first 2 shown]
	ds_read_b64 v[231:232], v230 offset:296
	s_waitcnt lgkmcnt(7)
	v_fma_f64 v[90:91], -v[108:109], v[202:203], v[90:91]
	v_fma_f64 v[106:107], -v[108:109], v[204:205], v[106:107]
	s_waitcnt lgkmcnt(6)
	v_fma_f64 v[88:89], -v[108:109], v[206:207], v[88:89]
	v_fma_f64 v[104:105], -v[108:109], v[208:209], v[104:105]
	;; [unrolled: 3-line block ×7, first 2 shown]
	s_waitcnt lgkmcnt(0)
	v_fma_f64 v[146:147], -v[108:109], v[231:232], v[146:147]
.LBB75_116:
	s_or_b32 exec_lo, exec_lo, s1
	s_mov_b32 s1, exec_lo
	s_waitcnt lgkmcnt(0)
	s_barrier
	buffer_gl0_inv
	v_cmpx_eq_u32_e32 23, v0
	s_cbranch_execz .LBB75_119
; %bb.117:
	v_mov_b32_e32 v202, v106
	v_mov_b32_e32 v203, v107
	;; [unrolled: 1-line block ×8, first 2 shown]
	ds_write_b64 v1, v[90:91]
	ds_write2_b64 v230, v[202:203], v[204:205] offset0:24 offset1:25
	ds_write2_b64 v230, v[206:207], v[208:209] offset0:26 offset1:27
	v_mov_b32_e32 v202, v102
	v_mov_b32_e32 v203, v103
	;; [unrolled: 1-line block ×18, first 2 shown]
	ds_write2_b64 v230, v[202:203], v[204:205] offset0:28 offset1:29
	ds_write2_b64 v230, v[206:207], v[208:209] offset0:30 offset1:31
	;; [unrolled: 1-line block ×5, first 2 shown]
	ds_read_b64 v[202:203], v1
	s_waitcnt lgkmcnt(0)
	v_cmp_neq_f64_e32 vcc_lo, 0, v[202:203]
	s_and_b32 exec_lo, exec_lo, vcc_lo
	s_cbranch_execz .LBB75_119
; %bb.118:
	v_div_scale_f64 v[204:205], null, v[202:203], v[202:203], 1.0
	v_rcp_f64_e32 v[206:207], v[204:205]
	v_fma_f64 v[208:209], -v[204:205], v[206:207], 1.0
	v_fma_f64 v[206:207], v[206:207], v[208:209], v[206:207]
	v_fma_f64 v[208:209], -v[204:205], v[206:207], 1.0
	v_fma_f64 v[206:207], v[206:207], v[208:209], v[206:207]
	v_div_scale_f64 v[208:209], vcc_lo, 1.0, v[202:203], 1.0
	v_mul_f64 v[210:211], v[208:209], v[206:207]
	v_fma_f64 v[204:205], -v[204:205], v[210:211], v[208:209]
	v_div_fmas_f64 v[204:205], v[204:205], v[206:207], v[210:211]
	v_div_fixup_f64 v[202:203], v[204:205], v[202:203], 1.0
	ds_write_b64 v1, v[202:203]
.LBB75_119:
	s_or_b32 exec_lo, exec_lo, s1
	s_waitcnt lgkmcnt(0)
	s_barrier
	buffer_gl0_inv
	ds_read_b64 v[202:203], v1
	s_mov_b32 s1, exec_lo
	v_cmpx_lt_u32_e32 23, v0
	s_cbranch_execz .LBB75_121
; %bb.120:
	s_waitcnt lgkmcnt(0)
	v_mul_f64 v[90:91], v[202:203], v[90:91]
	ds_read2_b64 v[204:207], v230 offset0:24 offset1:25
	ds_read2_b64 v[208:211], v230 offset0:26 offset1:27
	;; [unrolled: 1-line block ×7, first 2 shown]
	s_waitcnt lgkmcnt(6)
	v_fma_f64 v[106:107], -v[90:91], v[204:205], v[106:107]
	v_fma_f64 v[88:89], -v[90:91], v[206:207], v[88:89]
	s_waitcnt lgkmcnt(5)
	v_fma_f64 v[104:105], -v[90:91], v[208:209], v[104:105]
	v_fma_f64 v[86:87], -v[90:91], v[210:211], v[86:87]
	;; [unrolled: 3-line block ×7, first 2 shown]
.LBB75_121:
	s_or_b32 exec_lo, exec_lo, s1
	s_mov_b32 s1, exec_lo
	s_waitcnt lgkmcnt(0)
	s_barrier
	buffer_gl0_inv
	v_cmpx_eq_u32_e32 24, v0
	s_cbranch_execz .LBB75_124
; %bb.122:
	ds_write_b64 v1, v[106:107]
	ds_write2_b64 v230, v[88:89], v[104:105] offset0:25 offset1:26
	ds_write2_b64 v230, v[86:87], v[102:103] offset0:27 offset1:28
	;; [unrolled: 1-line block ×6, first 2 shown]
	ds_write_b64 v230, v[146:147] offset:296
	ds_read_b64 v[204:205], v1
	s_waitcnt lgkmcnt(0)
	v_cmp_neq_f64_e32 vcc_lo, 0, v[204:205]
	s_and_b32 exec_lo, exec_lo, vcc_lo
	s_cbranch_execz .LBB75_124
; %bb.123:
	v_div_scale_f64 v[206:207], null, v[204:205], v[204:205], 1.0
	v_rcp_f64_e32 v[208:209], v[206:207]
	v_fma_f64 v[210:211], -v[206:207], v[208:209], 1.0
	v_fma_f64 v[208:209], v[208:209], v[210:211], v[208:209]
	v_fma_f64 v[210:211], -v[206:207], v[208:209], 1.0
	v_fma_f64 v[208:209], v[208:209], v[210:211], v[208:209]
	v_div_scale_f64 v[210:211], vcc_lo, 1.0, v[204:205], 1.0
	v_mul_f64 v[212:213], v[210:211], v[208:209]
	v_fma_f64 v[206:207], -v[206:207], v[212:213], v[210:211]
	v_div_fmas_f64 v[206:207], v[206:207], v[208:209], v[212:213]
	v_div_fixup_f64 v[204:205], v[206:207], v[204:205], 1.0
	ds_write_b64 v1, v[204:205]
.LBB75_124:
	s_or_b32 exec_lo, exec_lo, s1
	s_waitcnt lgkmcnt(0)
	s_barrier
	buffer_gl0_inv
	ds_read_b64 v[204:205], v1
	s_mov_b32 s1, exec_lo
	v_cmpx_lt_u32_e32 24, v0
	s_cbranch_execz .LBB75_126
; %bb.125:
	s_waitcnt lgkmcnt(0)
	v_mul_f64 v[106:107], v[204:205], v[106:107]
	ds_read2_b64 v[206:209], v230 offset0:25 offset1:26
	ds_read2_b64 v[210:213], v230 offset0:27 offset1:28
	;; [unrolled: 1-line block ×6, first 2 shown]
	ds_read_b64 v[231:232], v230 offset:296
	s_waitcnt lgkmcnt(6)
	v_fma_f64 v[88:89], -v[106:107], v[206:207], v[88:89]
	v_fma_f64 v[104:105], -v[106:107], v[208:209], v[104:105]
	s_waitcnt lgkmcnt(5)
	v_fma_f64 v[86:87], -v[106:107], v[210:211], v[86:87]
	v_fma_f64 v[102:103], -v[106:107], v[212:213], v[102:103]
	;; [unrolled: 3-line block ×6, first 2 shown]
	s_waitcnt lgkmcnt(0)
	v_fma_f64 v[146:147], -v[106:107], v[231:232], v[146:147]
.LBB75_126:
	s_or_b32 exec_lo, exec_lo, s1
	s_mov_b32 s1, exec_lo
	s_waitcnt lgkmcnt(0)
	s_barrier
	buffer_gl0_inv
	v_cmpx_eq_u32_e32 25, v0
	s_cbranch_execz .LBB75_129
; %bb.127:
	v_mov_b32_e32 v206, v104
	v_mov_b32_e32 v207, v105
	;; [unrolled: 1-line block ×4, first 2 shown]
	ds_write_b64 v1, v[88:89]
	ds_write2_b64 v230, v[206:207], v[208:209] offset0:26 offset1:27
	v_mov_b32_e32 v206, v102
	v_mov_b32_e32 v207, v103
	;; [unrolled: 1-line block ×18, first 2 shown]
	ds_write2_b64 v230, v[206:207], v[208:209] offset0:28 offset1:29
	ds_write2_b64 v230, v[210:211], v[212:213] offset0:30 offset1:31
	;; [unrolled: 1-line block ×5, first 2 shown]
	ds_read_b64 v[206:207], v1
	s_waitcnt lgkmcnt(0)
	v_cmp_neq_f64_e32 vcc_lo, 0, v[206:207]
	s_and_b32 exec_lo, exec_lo, vcc_lo
	s_cbranch_execz .LBB75_129
; %bb.128:
	v_div_scale_f64 v[208:209], null, v[206:207], v[206:207], 1.0
	v_rcp_f64_e32 v[210:211], v[208:209]
	v_fma_f64 v[212:213], -v[208:209], v[210:211], 1.0
	v_fma_f64 v[210:211], v[210:211], v[212:213], v[210:211]
	v_fma_f64 v[212:213], -v[208:209], v[210:211], 1.0
	v_fma_f64 v[210:211], v[210:211], v[212:213], v[210:211]
	v_div_scale_f64 v[212:213], vcc_lo, 1.0, v[206:207], 1.0
	v_mul_f64 v[214:215], v[212:213], v[210:211]
	v_fma_f64 v[208:209], -v[208:209], v[214:215], v[212:213]
	v_div_fmas_f64 v[208:209], v[208:209], v[210:211], v[214:215]
	v_div_fixup_f64 v[206:207], v[208:209], v[206:207], 1.0
	ds_write_b64 v1, v[206:207]
.LBB75_129:
	s_or_b32 exec_lo, exec_lo, s1
	s_waitcnt lgkmcnt(0)
	s_barrier
	buffer_gl0_inv
	ds_read_b64 v[206:207], v1
	s_mov_b32 s1, exec_lo
	v_cmpx_lt_u32_e32 25, v0
	s_cbranch_execz .LBB75_131
; %bb.130:
	s_waitcnt lgkmcnt(0)
	v_mul_f64 v[88:89], v[206:207], v[88:89]
	ds_read2_b64 v[208:211], v230 offset0:26 offset1:27
	ds_read2_b64 v[212:215], v230 offset0:28 offset1:29
	;; [unrolled: 1-line block ×6, first 2 shown]
	s_waitcnt lgkmcnt(5)
	v_fma_f64 v[104:105], -v[88:89], v[208:209], v[104:105]
	v_fma_f64 v[86:87], -v[88:89], v[210:211], v[86:87]
	s_waitcnt lgkmcnt(4)
	v_fma_f64 v[102:103], -v[88:89], v[212:213], v[102:103]
	v_fma_f64 v[84:85], -v[88:89], v[214:215], v[84:85]
	;; [unrolled: 3-line block ×6, first 2 shown]
.LBB75_131:
	s_or_b32 exec_lo, exec_lo, s1
	s_mov_b32 s1, exec_lo
	s_waitcnt lgkmcnt(0)
	s_barrier
	buffer_gl0_inv
	v_cmpx_eq_u32_e32 26, v0
	s_cbranch_execz .LBB75_134
; %bb.132:
	ds_write_b64 v1, v[104:105]
	ds_write2_b64 v230, v[86:87], v[102:103] offset0:27 offset1:28
	ds_write2_b64 v230, v[84:85], v[100:101] offset0:29 offset1:30
	;; [unrolled: 1-line block ×5, first 2 shown]
	ds_write_b64 v230, v[146:147] offset:296
	ds_read_b64 v[208:209], v1
	s_waitcnt lgkmcnt(0)
	v_cmp_neq_f64_e32 vcc_lo, 0, v[208:209]
	s_and_b32 exec_lo, exec_lo, vcc_lo
	s_cbranch_execz .LBB75_134
; %bb.133:
	v_div_scale_f64 v[210:211], null, v[208:209], v[208:209], 1.0
	v_rcp_f64_e32 v[212:213], v[210:211]
	v_fma_f64 v[214:215], -v[210:211], v[212:213], 1.0
	v_fma_f64 v[212:213], v[212:213], v[214:215], v[212:213]
	v_fma_f64 v[214:215], -v[210:211], v[212:213], 1.0
	v_fma_f64 v[212:213], v[212:213], v[214:215], v[212:213]
	v_div_scale_f64 v[214:215], vcc_lo, 1.0, v[208:209], 1.0
	v_mul_f64 v[216:217], v[214:215], v[212:213]
	v_fma_f64 v[210:211], -v[210:211], v[216:217], v[214:215]
	v_div_fmas_f64 v[210:211], v[210:211], v[212:213], v[216:217]
	v_div_fixup_f64 v[208:209], v[210:211], v[208:209], 1.0
	ds_write_b64 v1, v[208:209]
.LBB75_134:
	s_or_b32 exec_lo, exec_lo, s1
	s_waitcnt lgkmcnt(0)
	s_barrier
	buffer_gl0_inv
	ds_read_b64 v[208:209], v1
	s_mov_b32 s1, exec_lo
	v_cmpx_lt_u32_e32 26, v0
	s_cbranch_execz .LBB75_136
; %bb.135:
	s_waitcnt lgkmcnt(0)
	v_mul_f64 v[104:105], v[208:209], v[104:105]
	ds_read2_b64 v[210:213], v230 offset0:27 offset1:28
	ds_read2_b64 v[214:217], v230 offset0:29 offset1:30
	;; [unrolled: 1-line block ×5, first 2 shown]
	ds_read_b64 v[231:232], v230 offset:296
	s_waitcnt lgkmcnt(5)
	v_fma_f64 v[86:87], -v[104:105], v[210:211], v[86:87]
	v_fma_f64 v[102:103], -v[104:105], v[212:213], v[102:103]
	s_waitcnt lgkmcnt(4)
	v_fma_f64 v[84:85], -v[104:105], v[214:215], v[84:85]
	v_fma_f64 v[100:101], -v[104:105], v[216:217], v[100:101]
	;; [unrolled: 3-line block ×5, first 2 shown]
	s_waitcnt lgkmcnt(0)
	v_fma_f64 v[146:147], -v[104:105], v[231:232], v[146:147]
.LBB75_136:
	s_or_b32 exec_lo, exec_lo, s1
	s_mov_b32 s1, exec_lo
	s_waitcnt lgkmcnt(0)
	s_barrier
	buffer_gl0_inv
	v_cmpx_eq_u32_e32 27, v0
	s_cbranch_execz .LBB75_139
; %bb.137:
	v_mov_b32_e32 v210, v102
	v_mov_b32_e32 v211, v103
	;; [unrolled: 1-line block ×18, first 2 shown]
	ds_write_b64 v1, v[86:87]
	ds_write2_b64 v230, v[210:211], v[212:213] offset0:28 offset1:29
	ds_write2_b64 v230, v[214:215], v[216:217] offset0:30 offset1:31
	;; [unrolled: 1-line block ×5, first 2 shown]
	ds_read_b64 v[210:211], v1
	s_waitcnt lgkmcnt(0)
	v_cmp_neq_f64_e32 vcc_lo, 0, v[210:211]
	s_and_b32 exec_lo, exec_lo, vcc_lo
	s_cbranch_execz .LBB75_139
; %bb.138:
	v_div_scale_f64 v[212:213], null, v[210:211], v[210:211], 1.0
	v_rcp_f64_e32 v[214:215], v[212:213]
	v_fma_f64 v[216:217], -v[212:213], v[214:215], 1.0
	v_fma_f64 v[214:215], v[214:215], v[216:217], v[214:215]
	v_fma_f64 v[216:217], -v[212:213], v[214:215], 1.0
	v_fma_f64 v[214:215], v[214:215], v[216:217], v[214:215]
	v_div_scale_f64 v[216:217], vcc_lo, 1.0, v[210:211], 1.0
	v_mul_f64 v[218:219], v[216:217], v[214:215]
	v_fma_f64 v[212:213], -v[212:213], v[218:219], v[216:217]
	v_div_fmas_f64 v[212:213], v[212:213], v[214:215], v[218:219]
	v_div_fixup_f64 v[210:211], v[212:213], v[210:211], 1.0
	ds_write_b64 v1, v[210:211]
.LBB75_139:
	s_or_b32 exec_lo, exec_lo, s1
	s_waitcnt lgkmcnt(0)
	s_barrier
	buffer_gl0_inv
	ds_read_b64 v[210:211], v1
	s_mov_b32 s1, exec_lo
	v_cmpx_lt_u32_e32 27, v0
	s_cbranch_execz .LBB75_141
; %bb.140:
	s_waitcnt lgkmcnt(0)
	v_mul_f64 v[86:87], v[210:211], v[86:87]
	ds_read2_b64 v[212:215], v230 offset0:28 offset1:29
	ds_read2_b64 v[216:219], v230 offset0:30 offset1:31
	;; [unrolled: 1-line block ×5, first 2 shown]
	s_waitcnt lgkmcnt(4)
	v_fma_f64 v[102:103], -v[86:87], v[212:213], v[102:103]
	v_fma_f64 v[84:85], -v[86:87], v[214:215], v[84:85]
	s_waitcnt lgkmcnt(3)
	v_fma_f64 v[100:101], -v[86:87], v[216:217], v[100:101]
	v_fma_f64 v[82:83], -v[86:87], v[218:219], v[82:83]
	;; [unrolled: 3-line block ×5, first 2 shown]
.LBB75_141:
	s_or_b32 exec_lo, exec_lo, s1
	s_mov_b32 s1, exec_lo
	s_waitcnt lgkmcnt(0)
	s_barrier
	buffer_gl0_inv
	v_cmpx_eq_u32_e32 28, v0
	s_cbranch_execz .LBB75_144
; %bb.142:
	ds_write_b64 v1, v[102:103]
	ds_write2_b64 v230, v[84:85], v[100:101] offset0:29 offset1:30
	ds_write2_b64 v230, v[82:83], v[98:99] offset0:31 offset1:32
	;; [unrolled: 1-line block ×4, first 2 shown]
	ds_write_b64 v230, v[146:147] offset:296
	ds_read_b64 v[212:213], v1
	s_waitcnt lgkmcnt(0)
	v_cmp_neq_f64_e32 vcc_lo, 0, v[212:213]
	s_and_b32 exec_lo, exec_lo, vcc_lo
	s_cbranch_execz .LBB75_144
; %bb.143:
	v_div_scale_f64 v[214:215], null, v[212:213], v[212:213], 1.0
	v_rcp_f64_e32 v[216:217], v[214:215]
	v_fma_f64 v[218:219], -v[214:215], v[216:217], 1.0
	v_fma_f64 v[216:217], v[216:217], v[218:219], v[216:217]
	v_fma_f64 v[218:219], -v[214:215], v[216:217], 1.0
	v_fma_f64 v[216:217], v[216:217], v[218:219], v[216:217]
	v_div_scale_f64 v[218:219], vcc_lo, 1.0, v[212:213], 1.0
	v_mul_f64 v[220:221], v[218:219], v[216:217]
	v_fma_f64 v[214:215], -v[214:215], v[220:221], v[218:219]
	v_div_fmas_f64 v[214:215], v[214:215], v[216:217], v[220:221]
	v_div_fixup_f64 v[212:213], v[214:215], v[212:213], 1.0
	ds_write_b64 v1, v[212:213]
.LBB75_144:
	s_or_b32 exec_lo, exec_lo, s1
	s_waitcnt lgkmcnt(0)
	s_barrier
	buffer_gl0_inv
	ds_read_b64 v[212:213], v1
	s_mov_b32 s1, exec_lo
	v_cmpx_lt_u32_e32 28, v0
	s_cbranch_execz .LBB75_146
; %bb.145:
	s_waitcnt lgkmcnt(0)
	v_mul_f64 v[102:103], v[212:213], v[102:103]
	ds_read2_b64 v[214:217], v230 offset0:29 offset1:30
	ds_read2_b64 v[218:221], v230 offset0:31 offset1:32
	;; [unrolled: 1-line block ×4, first 2 shown]
	ds_read_b64 v[231:232], v230 offset:296
	s_waitcnt lgkmcnt(4)
	v_fma_f64 v[84:85], -v[102:103], v[214:215], v[84:85]
	v_fma_f64 v[100:101], -v[102:103], v[216:217], v[100:101]
	s_waitcnt lgkmcnt(3)
	v_fma_f64 v[82:83], -v[102:103], v[218:219], v[82:83]
	v_fma_f64 v[98:99], -v[102:103], v[220:221], v[98:99]
	;; [unrolled: 3-line block ×4, first 2 shown]
	s_waitcnt lgkmcnt(0)
	v_fma_f64 v[146:147], -v[102:103], v[231:232], v[146:147]
.LBB75_146:
	s_or_b32 exec_lo, exec_lo, s1
	s_mov_b32 s1, exec_lo
	s_waitcnt lgkmcnt(0)
	s_barrier
	buffer_gl0_inv
	v_cmpx_eq_u32_e32 29, v0
	s_cbranch_execz .LBB75_149
; %bb.147:
	v_mov_b32_e32 v214, v100
	v_mov_b32_e32 v215, v101
	;; [unrolled: 1-line block ×14, first 2 shown]
	ds_write_b64 v1, v[84:85]
	ds_write2_b64 v230, v[214:215], v[216:217] offset0:30 offset1:31
	ds_write2_b64 v230, v[218:219], v[220:221] offset0:32 offset1:33
	;; [unrolled: 1-line block ×4, first 2 shown]
	ds_read_b64 v[214:215], v1
	s_waitcnt lgkmcnt(0)
	v_cmp_neq_f64_e32 vcc_lo, 0, v[214:215]
	s_and_b32 exec_lo, exec_lo, vcc_lo
	s_cbranch_execz .LBB75_149
; %bb.148:
	v_div_scale_f64 v[216:217], null, v[214:215], v[214:215], 1.0
	v_rcp_f64_e32 v[218:219], v[216:217]
	v_fma_f64 v[220:221], -v[216:217], v[218:219], 1.0
	v_fma_f64 v[218:219], v[218:219], v[220:221], v[218:219]
	v_fma_f64 v[220:221], -v[216:217], v[218:219], 1.0
	v_fma_f64 v[218:219], v[218:219], v[220:221], v[218:219]
	v_div_scale_f64 v[220:221], vcc_lo, 1.0, v[214:215], 1.0
	v_mul_f64 v[222:223], v[220:221], v[218:219]
	v_fma_f64 v[216:217], -v[216:217], v[222:223], v[220:221]
	v_div_fmas_f64 v[216:217], v[216:217], v[218:219], v[222:223]
	v_div_fixup_f64 v[214:215], v[216:217], v[214:215], 1.0
	ds_write_b64 v1, v[214:215]
.LBB75_149:
	s_or_b32 exec_lo, exec_lo, s1
	s_waitcnt lgkmcnt(0)
	s_barrier
	buffer_gl0_inv
	ds_read_b64 v[214:215], v1
	s_mov_b32 s1, exec_lo
	v_cmpx_lt_u32_e32 29, v0
	s_cbranch_execz .LBB75_151
; %bb.150:
	s_waitcnt lgkmcnt(0)
	v_mul_f64 v[84:85], v[214:215], v[84:85]
	ds_read2_b64 v[216:219], v230 offset0:30 offset1:31
	ds_read2_b64 v[220:223], v230 offset0:32 offset1:33
	;; [unrolled: 1-line block ×4, first 2 shown]
	s_waitcnt lgkmcnt(3)
	v_fma_f64 v[100:101], -v[84:85], v[216:217], v[100:101]
	v_fma_f64 v[82:83], -v[84:85], v[218:219], v[82:83]
	s_waitcnt lgkmcnt(2)
	v_fma_f64 v[98:99], -v[84:85], v[220:221], v[98:99]
	v_fma_f64 v[80:81], -v[84:85], v[222:223], v[80:81]
	;; [unrolled: 3-line block ×4, first 2 shown]
.LBB75_151:
	s_or_b32 exec_lo, exec_lo, s1
	s_mov_b32 s1, exec_lo
	s_waitcnt lgkmcnt(0)
	s_barrier
	buffer_gl0_inv
	v_cmpx_eq_u32_e32 30, v0
	s_cbranch_execz .LBB75_154
; %bb.152:
	ds_write_b64 v1, v[100:101]
	ds_write2_b64 v230, v[82:83], v[98:99] offset0:31 offset1:32
	ds_write2_b64 v230, v[80:81], v[96:97] offset0:33 offset1:34
	;; [unrolled: 1-line block ×3, first 2 shown]
	ds_write_b64 v230, v[146:147] offset:296
	ds_read_b64 v[216:217], v1
	s_waitcnt lgkmcnt(0)
	v_cmp_neq_f64_e32 vcc_lo, 0, v[216:217]
	s_and_b32 exec_lo, exec_lo, vcc_lo
	s_cbranch_execz .LBB75_154
; %bb.153:
	v_div_scale_f64 v[218:219], null, v[216:217], v[216:217], 1.0
	v_rcp_f64_e32 v[220:221], v[218:219]
	v_fma_f64 v[222:223], -v[218:219], v[220:221], 1.0
	v_fma_f64 v[220:221], v[220:221], v[222:223], v[220:221]
	v_fma_f64 v[222:223], -v[218:219], v[220:221], 1.0
	v_fma_f64 v[220:221], v[220:221], v[222:223], v[220:221]
	v_div_scale_f64 v[222:223], vcc_lo, 1.0, v[216:217], 1.0
	v_mul_f64 v[224:225], v[222:223], v[220:221]
	v_fma_f64 v[218:219], -v[218:219], v[224:225], v[222:223]
	v_div_fmas_f64 v[218:219], v[218:219], v[220:221], v[224:225]
	v_div_fixup_f64 v[216:217], v[218:219], v[216:217], 1.0
	ds_write_b64 v1, v[216:217]
.LBB75_154:
	s_or_b32 exec_lo, exec_lo, s1
	s_waitcnt lgkmcnt(0)
	s_barrier
	buffer_gl0_inv
	ds_read_b64 v[216:217], v1
	s_mov_b32 s1, exec_lo
	v_cmpx_lt_u32_e32 30, v0
	s_cbranch_execz .LBB75_156
; %bb.155:
	s_waitcnt lgkmcnt(0)
	v_mul_f64 v[100:101], v[216:217], v[100:101]
	ds_read2_b64 v[218:221], v230 offset0:31 offset1:32
	ds_read2_b64 v[222:225], v230 offset0:33 offset1:34
	;; [unrolled: 1-line block ×3, first 2 shown]
	ds_read_b64 v[231:232], v230 offset:296
	s_waitcnt lgkmcnt(3)
	v_fma_f64 v[82:83], -v[100:101], v[218:219], v[82:83]
	v_fma_f64 v[98:99], -v[100:101], v[220:221], v[98:99]
	s_waitcnt lgkmcnt(2)
	v_fma_f64 v[80:81], -v[100:101], v[222:223], v[80:81]
	v_fma_f64 v[96:97], -v[100:101], v[224:225], v[96:97]
	;; [unrolled: 3-line block ×3, first 2 shown]
	s_waitcnt lgkmcnt(0)
	v_fma_f64 v[146:147], -v[100:101], v[231:232], v[146:147]
.LBB75_156:
	s_or_b32 exec_lo, exec_lo, s1
	s_mov_b32 s1, exec_lo
	s_waitcnt lgkmcnt(0)
	s_barrier
	buffer_gl0_inv
	v_cmpx_eq_u32_e32 31, v0
	s_cbranch_execz .LBB75_159
; %bb.157:
	v_mov_b32_e32 v218, v98
	v_mov_b32_e32 v219, v99
	;; [unrolled: 1-line block ×10, first 2 shown]
	ds_write_b64 v1, v[82:83]
	ds_write2_b64 v230, v[218:219], v[220:221] offset0:32 offset1:33
	ds_write2_b64 v230, v[222:223], v[224:225] offset0:34 offset1:35
	;; [unrolled: 1-line block ×3, first 2 shown]
	ds_read_b64 v[218:219], v1
	s_waitcnt lgkmcnt(0)
	v_cmp_neq_f64_e32 vcc_lo, 0, v[218:219]
	s_and_b32 exec_lo, exec_lo, vcc_lo
	s_cbranch_execz .LBB75_159
; %bb.158:
	v_div_scale_f64 v[220:221], null, v[218:219], v[218:219], 1.0
	v_rcp_f64_e32 v[222:223], v[220:221]
	v_fma_f64 v[224:225], -v[220:221], v[222:223], 1.0
	v_fma_f64 v[222:223], v[222:223], v[224:225], v[222:223]
	v_fma_f64 v[224:225], -v[220:221], v[222:223], 1.0
	v_fma_f64 v[222:223], v[222:223], v[224:225], v[222:223]
	v_div_scale_f64 v[224:225], vcc_lo, 1.0, v[218:219], 1.0
	v_mul_f64 v[226:227], v[224:225], v[222:223]
	v_fma_f64 v[220:221], -v[220:221], v[226:227], v[224:225]
	v_div_fmas_f64 v[220:221], v[220:221], v[222:223], v[226:227]
	v_div_fixup_f64 v[218:219], v[220:221], v[218:219], 1.0
	ds_write_b64 v1, v[218:219]
.LBB75_159:
	s_or_b32 exec_lo, exec_lo, s1
	s_waitcnt lgkmcnt(0)
	s_barrier
	buffer_gl0_inv
	ds_read_b64 v[218:219], v1
	s_mov_b32 s1, exec_lo
	v_cmpx_lt_u32_e32 31, v0
	s_cbranch_execz .LBB75_161
; %bb.160:
	s_waitcnt lgkmcnt(0)
	v_mul_f64 v[82:83], v[218:219], v[82:83]
	ds_read2_b64 v[220:223], v230 offset0:32 offset1:33
	ds_read2_b64 v[224:227], v230 offset0:34 offset1:35
	;; [unrolled: 1-line block ×3, first 2 shown]
	s_waitcnt lgkmcnt(2)
	v_fma_f64 v[98:99], -v[82:83], v[220:221], v[98:99]
	v_fma_f64 v[80:81], -v[82:83], v[222:223], v[80:81]
	s_waitcnt lgkmcnt(1)
	v_fma_f64 v[96:97], -v[82:83], v[224:225], v[96:97]
	v_fma_f64 v[78:79], -v[82:83], v[226:227], v[78:79]
	;; [unrolled: 3-line block ×3, first 2 shown]
.LBB75_161:
	s_or_b32 exec_lo, exec_lo, s1
	s_mov_b32 s1, exec_lo
	s_waitcnt lgkmcnt(0)
	s_barrier
	buffer_gl0_inv
	v_cmpx_eq_u32_e32 32, v0
	s_cbranch_execz .LBB75_164
; %bb.162:
	ds_write_b64 v1, v[98:99]
	ds_write2_b64 v230, v[80:81], v[96:97] offset0:33 offset1:34
	ds_write2_b64 v230, v[78:79], v[144:145] offset0:35 offset1:36
	ds_write_b64 v230, v[146:147] offset:296
	ds_read_b64 v[220:221], v1
	s_waitcnt lgkmcnt(0)
	v_cmp_neq_f64_e32 vcc_lo, 0, v[220:221]
	s_and_b32 exec_lo, exec_lo, vcc_lo
	s_cbranch_execz .LBB75_164
; %bb.163:
	v_div_scale_f64 v[222:223], null, v[220:221], v[220:221], 1.0
	v_rcp_f64_e32 v[224:225], v[222:223]
	v_fma_f64 v[226:227], -v[222:223], v[224:225], 1.0
	v_fma_f64 v[224:225], v[224:225], v[226:227], v[224:225]
	v_fma_f64 v[226:227], -v[222:223], v[224:225], 1.0
	v_fma_f64 v[224:225], v[224:225], v[226:227], v[224:225]
	v_div_scale_f64 v[226:227], vcc_lo, 1.0, v[220:221], 1.0
	v_mul_f64 v[228:229], v[226:227], v[224:225]
	v_fma_f64 v[222:223], -v[222:223], v[228:229], v[226:227]
	v_div_fmas_f64 v[222:223], v[222:223], v[224:225], v[228:229]
	v_div_fixup_f64 v[220:221], v[222:223], v[220:221], 1.0
	ds_write_b64 v1, v[220:221]
.LBB75_164:
	s_or_b32 exec_lo, exec_lo, s1
	s_waitcnt lgkmcnt(0)
	s_barrier
	buffer_gl0_inv
	ds_read_b64 v[220:221], v1
	s_mov_b32 s1, exec_lo
	v_cmpx_lt_u32_e32 32, v0
	s_cbranch_execz .LBB75_166
; %bb.165:
	s_waitcnt lgkmcnt(0)
	v_mul_f64 v[98:99], v[220:221], v[98:99]
	ds_read2_b64 v[222:225], v230 offset0:33 offset1:34
	ds_read2_b64 v[226:229], v230 offset0:35 offset1:36
	ds_read_b64 v[231:232], v230 offset:296
	s_waitcnt lgkmcnt(2)
	v_fma_f64 v[80:81], -v[98:99], v[222:223], v[80:81]
	v_fma_f64 v[96:97], -v[98:99], v[224:225], v[96:97]
	s_waitcnt lgkmcnt(1)
	v_fma_f64 v[78:79], -v[98:99], v[226:227], v[78:79]
	v_fma_f64 v[144:145], -v[98:99], v[228:229], v[144:145]
	s_waitcnt lgkmcnt(0)
	v_fma_f64 v[146:147], -v[98:99], v[231:232], v[146:147]
.LBB75_166:
	s_or_b32 exec_lo, exec_lo, s1
	s_mov_b32 s1, exec_lo
	s_waitcnt lgkmcnt(0)
	s_barrier
	buffer_gl0_inv
	v_cmpx_eq_u32_e32 33, v0
	s_cbranch_execz .LBB75_169
; %bb.167:
	v_mov_b32_e32 v222, v96
	v_mov_b32_e32 v223, v97
	;; [unrolled: 1-line block ×6, first 2 shown]
	ds_write_b64 v1, v[80:81]
	ds_write2_b64 v230, v[222:223], v[224:225] offset0:34 offset1:35
	ds_write2_b64 v230, v[226:227], v[146:147] offset0:36 offset1:37
	ds_read_b64 v[222:223], v1
	s_waitcnt lgkmcnt(0)
	v_cmp_neq_f64_e32 vcc_lo, 0, v[222:223]
	s_and_b32 exec_lo, exec_lo, vcc_lo
	s_cbranch_execz .LBB75_169
; %bb.168:
	v_div_scale_f64 v[224:225], null, v[222:223], v[222:223], 1.0
	v_rcp_f64_e32 v[226:227], v[224:225]
	v_fma_f64 v[228:229], -v[224:225], v[226:227], 1.0
	v_fma_f64 v[226:227], v[226:227], v[228:229], v[226:227]
	v_fma_f64 v[228:229], -v[224:225], v[226:227], 1.0
	v_fma_f64 v[226:227], v[226:227], v[228:229], v[226:227]
	v_div_scale_f64 v[228:229], vcc_lo, 1.0, v[222:223], 1.0
	v_mul_f64 v[231:232], v[228:229], v[226:227]
	v_fma_f64 v[224:225], -v[224:225], v[231:232], v[228:229]
	v_div_fmas_f64 v[224:225], v[224:225], v[226:227], v[231:232]
	v_div_fixup_f64 v[222:223], v[224:225], v[222:223], 1.0
	ds_write_b64 v1, v[222:223]
.LBB75_169:
	s_or_b32 exec_lo, exec_lo, s1
	s_waitcnt lgkmcnt(0)
	s_barrier
	buffer_gl0_inv
	ds_read_b64 v[222:223], v1
	s_mov_b32 s1, exec_lo
	v_cmpx_lt_u32_e32 33, v0
	s_cbranch_execz .LBB75_171
; %bb.170:
	s_waitcnt lgkmcnt(0)
	v_mul_f64 v[80:81], v[222:223], v[80:81]
	ds_read2_b64 v[224:227], v230 offset0:34 offset1:35
	ds_read2_b64 v[231:234], v230 offset0:36 offset1:37
	s_waitcnt lgkmcnt(1)
	v_fma_f64 v[96:97], -v[80:81], v[224:225], v[96:97]
	v_fma_f64 v[78:79], -v[80:81], v[226:227], v[78:79]
	s_waitcnt lgkmcnt(0)
	v_fma_f64 v[144:145], -v[80:81], v[231:232], v[144:145]
	v_fma_f64 v[146:147], -v[80:81], v[233:234], v[146:147]
.LBB75_171:
	s_or_b32 exec_lo, exec_lo, s1
	s_mov_b32 s1, exec_lo
	s_waitcnt lgkmcnt(0)
	s_barrier
	buffer_gl0_inv
	v_cmpx_eq_u32_e32 34, v0
	s_cbranch_execz .LBB75_174
; %bb.172:
	ds_write_b64 v1, v[96:97]
	ds_write2_b64 v230, v[78:79], v[144:145] offset0:35 offset1:36
	ds_write_b64 v230, v[146:147] offset:296
	ds_read_b64 v[224:225], v1
	s_waitcnt lgkmcnt(0)
	v_cmp_neq_f64_e32 vcc_lo, 0, v[224:225]
	s_and_b32 exec_lo, exec_lo, vcc_lo
	s_cbranch_execz .LBB75_174
; %bb.173:
	v_div_scale_f64 v[226:227], null, v[224:225], v[224:225], 1.0
	v_rcp_f64_e32 v[228:229], v[226:227]
	v_fma_f64 v[231:232], -v[226:227], v[228:229], 1.0
	v_fma_f64 v[228:229], v[228:229], v[231:232], v[228:229]
	v_fma_f64 v[231:232], -v[226:227], v[228:229], 1.0
	v_fma_f64 v[228:229], v[228:229], v[231:232], v[228:229]
	v_div_scale_f64 v[231:232], vcc_lo, 1.0, v[224:225], 1.0
	v_mul_f64 v[233:234], v[231:232], v[228:229]
	v_fma_f64 v[226:227], -v[226:227], v[233:234], v[231:232]
	v_div_fmas_f64 v[226:227], v[226:227], v[228:229], v[233:234]
	v_div_fixup_f64 v[224:225], v[226:227], v[224:225], 1.0
	ds_write_b64 v1, v[224:225]
.LBB75_174:
	s_or_b32 exec_lo, exec_lo, s1
	s_waitcnt lgkmcnt(0)
	s_barrier
	buffer_gl0_inv
	ds_read_b64 v[224:225], v1
	s_mov_b32 s1, exec_lo
	v_cmpx_lt_u32_e32 34, v0
	s_cbranch_execz .LBB75_176
; %bb.175:
	s_waitcnt lgkmcnt(0)
	v_mul_f64 v[96:97], v[224:225], v[96:97]
	ds_read2_b64 v[226:229], v230 offset0:35 offset1:36
	ds_read_b64 v[231:232], v230 offset:296
	s_waitcnt lgkmcnt(1)
	v_fma_f64 v[78:79], -v[96:97], v[226:227], v[78:79]
	v_fma_f64 v[144:145], -v[96:97], v[228:229], v[144:145]
	s_waitcnt lgkmcnt(0)
	v_fma_f64 v[146:147], -v[96:97], v[231:232], v[146:147]
.LBB75_176:
	s_or_b32 exec_lo, exec_lo, s1
	s_mov_b32 s1, exec_lo
	s_waitcnt lgkmcnt(0)
	s_barrier
	buffer_gl0_inv
	v_cmpx_eq_u32_e32 35, v0
	s_cbranch_execz .LBB75_179
; %bb.177:
	v_mov_b32_e32 v226, v144
	v_mov_b32_e32 v227, v145
	ds_write_b64 v1, v[78:79]
	ds_write2_b64 v230, v[226:227], v[146:147] offset0:36 offset1:37
	ds_read_b64 v[226:227], v1
	s_waitcnt lgkmcnt(0)
	v_cmp_neq_f64_e32 vcc_lo, 0, v[226:227]
	s_and_b32 exec_lo, exec_lo, vcc_lo
	s_cbranch_execz .LBB75_179
; %bb.178:
	v_div_scale_f64 v[228:229], null, v[226:227], v[226:227], 1.0
	v_rcp_f64_e32 v[231:232], v[228:229]
	v_fma_f64 v[233:234], -v[228:229], v[231:232], 1.0
	v_fma_f64 v[231:232], v[231:232], v[233:234], v[231:232]
	v_fma_f64 v[233:234], -v[228:229], v[231:232], 1.0
	v_fma_f64 v[231:232], v[231:232], v[233:234], v[231:232]
	v_div_scale_f64 v[233:234], vcc_lo, 1.0, v[226:227], 1.0
	v_mul_f64 v[235:236], v[233:234], v[231:232]
	v_fma_f64 v[228:229], -v[228:229], v[235:236], v[233:234]
	v_div_fmas_f64 v[228:229], v[228:229], v[231:232], v[235:236]
	v_div_fixup_f64 v[226:227], v[228:229], v[226:227], 1.0
	ds_write_b64 v1, v[226:227]
.LBB75_179:
	s_or_b32 exec_lo, exec_lo, s1
	s_waitcnt lgkmcnt(0)
	s_barrier
	buffer_gl0_inv
	ds_read_b64 v[226:227], v1
	s_mov_b32 s1, exec_lo
	v_cmpx_lt_u32_e32 35, v0
	s_cbranch_execz .LBB75_181
; %bb.180:
	s_waitcnt lgkmcnt(0)
	v_mul_f64 v[78:79], v[226:227], v[78:79]
	ds_read2_b64 v[231:234], v230 offset0:36 offset1:37
	s_waitcnt lgkmcnt(0)
	v_fma_f64 v[144:145], -v[78:79], v[231:232], v[144:145]
	v_fma_f64 v[146:147], -v[78:79], v[233:234], v[146:147]
.LBB75_181:
	s_or_b32 exec_lo, exec_lo, s1
	s_mov_b32 s1, exec_lo
	s_waitcnt lgkmcnt(0)
	s_barrier
	buffer_gl0_inv
	v_cmpx_eq_u32_e32 36, v0
	s_cbranch_execz .LBB75_184
; %bb.182:
	ds_write_b64 v1, v[144:145]
	ds_write_b64 v230, v[146:147] offset:296
	ds_read_b64 v[228:229], v1
	s_waitcnt lgkmcnt(0)
	v_cmp_neq_f64_e32 vcc_lo, 0, v[228:229]
	s_and_b32 exec_lo, exec_lo, vcc_lo
	s_cbranch_execz .LBB75_184
; %bb.183:
	v_div_scale_f64 v[231:232], null, v[228:229], v[228:229], 1.0
	v_rcp_f64_e32 v[233:234], v[231:232]
	v_fma_f64 v[235:236], -v[231:232], v[233:234], 1.0
	v_fma_f64 v[233:234], v[233:234], v[235:236], v[233:234]
	v_fma_f64 v[235:236], -v[231:232], v[233:234], 1.0
	v_fma_f64 v[233:234], v[233:234], v[235:236], v[233:234]
	v_div_scale_f64 v[235:236], vcc_lo, 1.0, v[228:229], 1.0
	v_mul_f64 v[237:238], v[235:236], v[233:234]
	v_fma_f64 v[231:232], -v[231:232], v[237:238], v[235:236]
	v_div_fmas_f64 v[231:232], v[231:232], v[233:234], v[237:238]
	v_div_fixup_f64 v[228:229], v[231:232], v[228:229], 1.0
	ds_write_b64 v1, v[228:229]
.LBB75_184:
	s_or_b32 exec_lo, exec_lo, s1
	s_waitcnt lgkmcnt(0)
	s_barrier
	buffer_gl0_inv
	ds_read_b64 v[228:229], v1
	s_mov_b32 s1, exec_lo
	v_cmpx_lt_u32_e32 36, v0
	s_cbranch_execz .LBB75_186
; %bb.185:
	s_waitcnt lgkmcnt(0)
	v_mul_f64 v[144:145], v[228:229], v[144:145]
	ds_read_b64 v[230:231], v230 offset:296
	s_waitcnt lgkmcnt(0)
	v_fma_f64 v[146:147], -v[144:145], v[230:231], v[146:147]
.LBB75_186:
	s_or_b32 exec_lo, exec_lo, s1
	s_mov_b32 s1, exec_lo
	s_waitcnt lgkmcnt(0)
	s_barrier
	buffer_gl0_inv
	v_cmpx_eq_u32_e32 37, v0
	s_cbranch_execz .LBB75_189
; %bb.187:
	v_cmp_neq_f64_e32 vcc_lo, 0, v[146:147]
	ds_write_b64 v1, v[146:147]
	s_and_b32 exec_lo, exec_lo, vcc_lo
	s_cbranch_execz .LBB75_189
; %bb.188:
	v_div_scale_f64 v[230:231], null, v[146:147], v[146:147], 1.0
	v_rcp_f64_e32 v[232:233], v[230:231]
	v_fma_f64 v[234:235], -v[230:231], v[232:233], 1.0
	v_fma_f64 v[232:233], v[232:233], v[234:235], v[232:233]
	v_fma_f64 v[234:235], -v[230:231], v[232:233], 1.0
	v_fma_f64 v[232:233], v[232:233], v[234:235], v[232:233]
	v_div_scale_f64 v[234:235], vcc_lo, 1.0, v[146:147], 1.0
	v_mul_f64 v[236:237], v[234:235], v[232:233]
	v_fma_f64 v[230:231], -v[230:231], v[236:237], v[234:235]
	v_div_fmas_f64 v[230:231], v[230:231], v[232:233], v[236:237]
	v_div_fixup_f64 v[230:231], v[230:231], v[146:147], 1.0
	ds_write_b64 v1, v[230:231]
.LBB75_189:
	s_or_b32 exec_lo, exec_lo, s1
	s_waitcnt lgkmcnt(0)
	s_barrier
	buffer_gl0_inv
	ds_read_b64 v[230:231], v1
	s_waitcnt lgkmcnt(0)
	s_barrier
	buffer_gl0_inv
	s_and_saveexec_b32 s6, s0
	s_cbranch_execz .LBB75_192
; %bb.190:
	v_cmp_eq_f64_e32 vcc_lo, 0, v[156:157]
	v_cmp_neq_f64_e64 s0, 0, v[158:159]
	v_cmp_eq_f64_e64 s1, 0, v[160:161]
	v_cmp_eq_f64_e64 s2, 0, v[162:163]
	s_load_dwordx2 s[4:5], s[4:5], 0x28
	v_cndmask_b32_e64 v1, 0, 1, vcc_lo
	s_or_b32 vcc_lo, s0, vcc_lo
	v_cmp_eq_f64_e64 s0, 0, v[164:165]
	v_cndmask_b32_e32 v1, 2, v1, vcc_lo
	v_cmp_eq_u32_e32 vcc_lo, 0, v1
	s_and_b32 s1, s1, vcc_lo
	v_cndmask_b32_e64 v1, v1, 3, s1
	v_cmp_eq_f64_e64 s1, 0, v[166:167]
	v_cmp_eq_u32_e32 vcc_lo, 0, v1
	s_and_b32 s2, s2, vcc_lo
	v_cndmask_b32_e64 v1, v1, 4, s2
	v_cmp_eq_f64_e64 s2, 0, v[168:169]
	;; [unrolled: 4-line block ×5, first 2 shown]
	v_cmp_eq_u32_e32 vcc_lo, 0, v1
	s_and_b32 s0, s0, vcc_lo
	v_cmp_eq_f64_e32 vcc_lo, 0, v[176:177]
	v_cndmask_b32_e64 v156, v1, 8, s0
	v_lshlrev_b64 v[1:2], 2, v[2:3]
	v_cmp_eq_u32_e64 s0, 0, v156
	s_waitcnt lgkmcnt(0)
	v_add_co_u32 v1, s3, s4, v1
	v_add_co_ci_u32_e64 v2, null, s5, v2, s3
	s_and_b32 s0, s1, s0
	v_cmp_eq_f64_e64 s1, 0, v[178:179]
	v_cndmask_b32_e64 v3, v156, 9, s0
	global_load_dword v156, v[1:2], off
	v_cmp_eq_u32_e64 s0, 0, v3
	s_and_b32 s0, s2, s0
	v_cmp_eq_f64_e64 s2, 0, v[180:181]
	v_cndmask_b32_e64 v3, v3, 10, s0
	v_cmp_eq_u32_e64 s0, 0, v3
	s_and_b32 s0, vcc_lo, s0
	v_cndmask_b32_e64 v3, v3, 11, s0
	v_cmp_eq_f64_e64 s0, 0, v[182:183]
	v_cmp_eq_u32_e32 vcc_lo, 0, v3
	s_and_b32 s1, s1, vcc_lo
	v_cndmask_b32_e64 v3, v3, 12, s1
	v_cmp_eq_f64_e64 s1, 0, v[184:185]
	v_cmp_eq_u32_e32 vcc_lo, 0, v3
	s_and_b32 s2, s2, vcc_lo
	;; [unrolled: 4-line block ×25, first 2 shown]
	v_cndmask_b32_e64 v3, v3, 36, s1
	v_cmp_eq_u32_e32 vcc_lo, 0, v3
	s_and_b32 s1, s2, vcc_lo
	v_cndmask_b32_e64 v3, v3, 37, s1
	v_cmp_eq_u32_e32 vcc_lo, 0, v3
	s_and_b32 s0, s0, vcc_lo
	s_waitcnt vmcnt(0)
	v_cmp_eq_u32_e32 vcc_lo, 0, v156
	v_cndmask_b32_e64 v3, v3, 38, s0
	v_cmp_ne_u32_e64 s0, 0, v3
	s_and_b32 s0, vcc_lo, s0
	s_and_b32 exec_lo, exec_lo, s0
	s_cbranch_execz .LBB75_192
; %bb.191:
	v_add_nc_u32_e32 v3, s9, v3
	global_store_dword v[1:2], v3, off
.LBB75_192:
	s_or_b32 exec_lo, exec_lo, s6
	v_mul_f64 v[1:2], v[230:231], v[146:147]
	v_cmp_lt_u32_e32 vcc_lo, 37, v0
	flat_store_dwordx2 v[76:77], v[148:149]
	flat_store_dwordx2 v[142:143], v[152:153]
	;; [unrolled: 1-line block ×19, first 2 shown]
	v_cndmask_b32_e32 v2, v147, v2, vcc_lo
	v_cndmask_b32_e32 v1, v146, v1, vcc_lo
	flat_store_dwordx2 v[36:37], v[94:95]
	flat_store_dwordx2 v[40:41], v[110:111]
	;; [unrolled: 1-line block ×19, first 2 shown]
.LBB75_193:
	s_endpgm
	.section	.rodata,"a",@progbits
	.p2align	6, 0x0
	.amdhsa_kernel _ZN9rocsolver6v33100L23getf2_npvt_small_kernelILi38EdiiPKPdEEvT1_T3_lS5_lPT2_S5_S5_
		.amdhsa_group_segment_fixed_size 0
		.amdhsa_private_segment_fixed_size 0
		.amdhsa_kernarg_size 312
		.amdhsa_user_sgpr_count 6
		.amdhsa_user_sgpr_private_segment_buffer 1
		.amdhsa_user_sgpr_dispatch_ptr 0
		.amdhsa_user_sgpr_queue_ptr 0
		.amdhsa_user_sgpr_kernarg_segment_ptr 1
		.amdhsa_user_sgpr_dispatch_id 0
		.amdhsa_user_sgpr_flat_scratch_init 0
		.amdhsa_user_sgpr_private_segment_size 0
		.amdhsa_wavefront_size32 1
		.amdhsa_uses_dynamic_stack 0
		.amdhsa_system_sgpr_private_segment_wavefront_offset 0
		.amdhsa_system_sgpr_workgroup_id_x 1
		.amdhsa_system_sgpr_workgroup_id_y 1
		.amdhsa_system_sgpr_workgroup_id_z 0
		.amdhsa_system_sgpr_workgroup_info 0
		.amdhsa_system_vgpr_workitem_id 1
		.amdhsa_next_free_vgpr 239
		.amdhsa_next_free_sgpr 11
		.amdhsa_reserve_vcc 1
		.amdhsa_reserve_flat_scratch 1
		.amdhsa_float_round_mode_32 0
		.amdhsa_float_round_mode_16_64 0
		.amdhsa_float_denorm_mode_32 3
		.amdhsa_float_denorm_mode_16_64 3
		.amdhsa_dx10_clamp 1
		.amdhsa_ieee_mode 1
		.amdhsa_fp16_overflow 0
		.amdhsa_workgroup_processor_mode 1
		.amdhsa_memory_ordered 1
		.amdhsa_forward_progress 1
		.amdhsa_shared_vgpr_count 0
		.amdhsa_exception_fp_ieee_invalid_op 0
		.amdhsa_exception_fp_denorm_src 0
		.amdhsa_exception_fp_ieee_div_zero 0
		.amdhsa_exception_fp_ieee_overflow 0
		.amdhsa_exception_fp_ieee_underflow 0
		.amdhsa_exception_fp_ieee_inexact 0
		.amdhsa_exception_int_div_zero 0
	.end_amdhsa_kernel
	.section	.text._ZN9rocsolver6v33100L23getf2_npvt_small_kernelILi38EdiiPKPdEEvT1_T3_lS5_lPT2_S5_S5_,"axG",@progbits,_ZN9rocsolver6v33100L23getf2_npvt_small_kernelILi38EdiiPKPdEEvT1_T3_lS5_lPT2_S5_S5_,comdat
.Lfunc_end75:
	.size	_ZN9rocsolver6v33100L23getf2_npvt_small_kernelILi38EdiiPKPdEEvT1_T3_lS5_lPT2_S5_S5_, .Lfunc_end75-_ZN9rocsolver6v33100L23getf2_npvt_small_kernelILi38EdiiPKPdEEvT1_T3_lS5_lPT2_S5_S5_
                                        ; -- End function
	.set _ZN9rocsolver6v33100L23getf2_npvt_small_kernelILi38EdiiPKPdEEvT1_T3_lS5_lPT2_S5_S5_.num_vgpr, 239
	.set _ZN9rocsolver6v33100L23getf2_npvt_small_kernelILi38EdiiPKPdEEvT1_T3_lS5_lPT2_S5_S5_.num_agpr, 0
	.set _ZN9rocsolver6v33100L23getf2_npvt_small_kernelILi38EdiiPKPdEEvT1_T3_lS5_lPT2_S5_S5_.numbered_sgpr, 11
	.set _ZN9rocsolver6v33100L23getf2_npvt_small_kernelILi38EdiiPKPdEEvT1_T3_lS5_lPT2_S5_S5_.num_named_barrier, 0
	.set _ZN9rocsolver6v33100L23getf2_npvt_small_kernelILi38EdiiPKPdEEvT1_T3_lS5_lPT2_S5_S5_.private_seg_size, 0
	.set _ZN9rocsolver6v33100L23getf2_npvt_small_kernelILi38EdiiPKPdEEvT1_T3_lS5_lPT2_S5_S5_.uses_vcc, 1
	.set _ZN9rocsolver6v33100L23getf2_npvt_small_kernelILi38EdiiPKPdEEvT1_T3_lS5_lPT2_S5_S5_.uses_flat_scratch, 1
	.set _ZN9rocsolver6v33100L23getf2_npvt_small_kernelILi38EdiiPKPdEEvT1_T3_lS5_lPT2_S5_S5_.has_dyn_sized_stack, 0
	.set _ZN9rocsolver6v33100L23getf2_npvt_small_kernelILi38EdiiPKPdEEvT1_T3_lS5_lPT2_S5_S5_.has_recursion, 0
	.set _ZN9rocsolver6v33100L23getf2_npvt_small_kernelILi38EdiiPKPdEEvT1_T3_lS5_lPT2_S5_S5_.has_indirect_call, 0
	.section	.AMDGPU.csdata,"",@progbits
; Kernel info:
; codeLenInByte = 26324
; TotalNumSgprs: 13
; NumVgprs: 239
; ScratchSize: 0
; MemoryBound: 0
; FloatMode: 240
; IeeeMode: 1
; LDSByteSize: 0 bytes/workgroup (compile time only)
; SGPRBlocks: 0
; VGPRBlocks: 29
; NumSGPRsForWavesPerEU: 13
; NumVGPRsForWavesPerEU: 239
; Occupancy: 4
; WaveLimiterHint : 1
; COMPUTE_PGM_RSRC2:SCRATCH_EN: 0
; COMPUTE_PGM_RSRC2:USER_SGPR: 6
; COMPUTE_PGM_RSRC2:TRAP_HANDLER: 0
; COMPUTE_PGM_RSRC2:TGID_X_EN: 1
; COMPUTE_PGM_RSRC2:TGID_Y_EN: 1
; COMPUTE_PGM_RSRC2:TGID_Z_EN: 0
; COMPUTE_PGM_RSRC2:TIDIG_COMP_CNT: 1
	.section	.text._ZN9rocsolver6v33100L18getf2_small_kernelILi39EdiiPKPdEEvT1_T3_lS5_lPS5_llPT2_S5_S5_S7_l,"axG",@progbits,_ZN9rocsolver6v33100L18getf2_small_kernelILi39EdiiPKPdEEvT1_T3_lS5_lPS5_llPT2_S5_S5_S7_l,comdat
	.globl	_ZN9rocsolver6v33100L18getf2_small_kernelILi39EdiiPKPdEEvT1_T3_lS5_lPS5_llPT2_S5_S5_S7_l ; -- Begin function _ZN9rocsolver6v33100L18getf2_small_kernelILi39EdiiPKPdEEvT1_T3_lS5_lPS5_llPT2_S5_S5_S7_l
	.p2align	8
	.type	_ZN9rocsolver6v33100L18getf2_small_kernelILi39EdiiPKPdEEvT1_T3_lS5_lPS5_llPT2_S5_S5_S7_l,@function
_ZN9rocsolver6v33100L18getf2_small_kernelILi39EdiiPKPdEEvT1_T3_lS5_lPS5_llPT2_S5_S5_S7_l: ; @_ZN9rocsolver6v33100L18getf2_small_kernelILi39EdiiPKPdEEvT1_T3_lS5_lPS5_llPT2_S5_S5_S7_l
; %bb.0:
	s_clause 0x1
	s_load_dword s0, s[4:5], 0x6c
	s_load_dwordx2 s[12:13], s[4:5], 0x48
	s_waitcnt lgkmcnt(0)
	s_lshr_b32 s0, s0, 16
	v_mad_u64_u32 v[2:3], null, s7, s0, v[1:2]
	s_mov_b32 s0, exec_lo
	v_cmpx_gt_i32_e64 s12, v2
	s_cbranch_execz .LBB76_660
; %bb.1:
	s_clause 0x1
	s_load_dwordx4 s[0:3], s[4:5], 0x8
	s_load_dwordx4 s[8:11], s[4:5], 0x50
	v_ashrrev_i32_e32 v3, 31, v2
	v_lshlrev_b64 v[4:5], 3, v[2:3]
	s_waitcnt lgkmcnt(0)
	v_add_co_u32 v4, vcc_lo, s0, v4
	v_add_co_ci_u32_e64 v5, null, s1, v5, vcc_lo
	s_cmp_eq_u64 s[8:9], 0
	s_cselect_b32 s6, -1, 0
	global_load_dwordx2 v[6:7], v[4:5], off
	v_mov_b32_e32 v4, 0
	v_mov_b32_e32 v5, 0
	s_and_b32 vcc_lo, exec_lo, s6
	s_cbranch_vccnz .LBB76_3
; %bb.2:
	v_mul_lo_u32 v8, s11, v2
	v_mul_lo_u32 v9, s10, v3
	v_mad_u64_u32 v[4:5], null, s10, v2, 0
	v_add3_u32 v5, v5, v9, v8
	v_lshlrev_b64 v[4:5], 2, v[4:5]
	v_add_co_u32 v4, vcc_lo, s8, v4
	v_add_co_ci_u32_e64 v5, null, s9, v5, vcc_lo
.LBB76_3:
	s_clause 0x1
	s_load_dword s8, s[4:5], 0x18
	s_load_dword s7, s[4:5], 0x0
	s_lshl_b64 s[0:1], s[2:3], 3
	v_lshlrev_b32_e32 v122, 3, v0
	s_waitcnt vmcnt(0)
	v_add_co_u32 v88, vcc_lo, v6, s0
	v_add_co_ci_u32_e64 v89, null, s1, v7, vcc_lo
	s_waitcnt lgkmcnt(0)
	v_add3_u32 v8, s8, s8, v0
	s_ashr_i32 s9, s8, 31
	s_max_i32 s0, s7, 39
	s_lshl_b64 s[10:11], s[8:9], 3
	v_mul_lo_u32 v1, s0, v1
	v_add_nc_u32_e32 v10, s8, v8
	v_ashrrev_i32_e32 v9, 31, v8
	s_cmp_lt_i32 s7, 2
	v_ashrrev_i32_e32 v11, 31, v10
	v_add_nc_u32_e32 v12, s8, v10
	v_lshlrev_b64 v[8:9], 3, v[8:9]
	v_lshlrev_b64 v[6:7], 3, v[10:11]
	v_add_nc_u32_e32 v10, s8, v12
	v_ashrrev_i32_e32 v13, 31, v12
	v_add_co_u32 v8, vcc_lo, v88, v8
	v_add_co_ci_u32_e64 v9, null, v89, v9, vcc_lo
	v_add_nc_u32_e32 v14, s8, v10
	v_ashrrev_i32_e32 v11, 31, v10
	v_lshlrev_b64 v[12:13], 3, v[12:13]
	v_add_co_u32 v6, vcc_lo, v88, v6
	v_add_nc_u32_e32 v16, s8, v14
	v_ashrrev_i32_e32 v15, 31, v14
	v_lshlrev_b64 v[10:11], 3, v[10:11]
	v_add_co_ci_u32_e64 v7, null, v89, v7, vcc_lo
	v_add_nc_u32_e32 v18, s8, v16
	v_ashrrev_i32_e32 v17, 31, v16
	v_lshlrev_b64 v[14:15], 3, v[14:15]
	v_add_co_u32 v12, vcc_lo, v88, v12
	v_add_nc_u32_e32 v20, s8, v18
	v_ashrrev_i32_e32 v19, 31, v18
	v_lshlrev_b64 v[16:17], 3, v[16:17]
	v_add_co_ci_u32_e64 v13, null, v89, v13, vcc_lo
	v_add_nc_u32_e32 v22, s8, v20
	v_ashrrev_i32_e32 v21, 31, v20
	v_add_co_u32 v10, vcc_lo, v88, v10
	v_lshlrev_b64 v[18:19], 3, v[18:19]
	v_add_nc_u32_e32 v24, s8, v22
	v_ashrrev_i32_e32 v23, 31, v22
	v_add_co_ci_u32_e64 v11, null, v89, v11, vcc_lo
	v_add_co_u32 v14, vcc_lo, v88, v14
	v_add_nc_u32_e32 v26, s8, v24
	v_ashrrev_i32_e32 v25, 31, v24
	v_lshlrev_b64 v[20:21], 3, v[20:21]
	v_add_co_ci_u32_e64 v15, null, v89, v15, vcc_lo
	v_add_nc_u32_e32 v28, s8, v26
	v_ashrrev_i32_e32 v27, 31, v26
	v_add_co_u32 v16, vcc_lo, v88, v16
	v_lshlrev_b64 v[22:23], 3, v[22:23]
	v_add_nc_u32_e32 v30, s8, v28
	v_ashrrev_i32_e32 v29, 31, v28
	v_add_co_ci_u32_e64 v17, null, v89, v17, vcc_lo
	v_add_co_u32 v18, vcc_lo, v88, v18
	v_add_nc_u32_e32 v32, s8, v30
	v_lshlrev_b64 v[24:25], 3, v[24:25]
	v_ashrrev_i32_e32 v31, 31, v30
	v_add_co_ci_u32_e64 v19, null, v89, v19, vcc_lo
	v_add_nc_u32_e32 v34, s8, v32
	v_add_co_u32 v20, vcc_lo, v88, v20
	v_lshlrev_b64 v[26:27], 3, v[26:27]
	v_ashrrev_i32_e32 v33, 31, v32
	v_add_nc_u32_e32 v36, s8, v34
	v_add_co_ci_u32_e64 v21, null, v89, v21, vcc_lo
	v_add_co_u32 v22, vcc_lo, v88, v22
	v_add_nc_u32_e32 v38, s8, v36
	v_lshlrev_b64 v[28:29], 3, v[28:29]
	v_ashrrev_i32_e32 v35, 31, v34
	v_add_co_ci_u32_e64 v23, null, v89, v23, vcc_lo
	v_add_nc_u32_e32 v40, s8, v38
	v_add_co_u32 v24, vcc_lo, v88, v24
	v_lshlrev_b64 v[30:31], 3, v[30:31]
	v_ashrrev_i32_e32 v37, 31, v36
	v_add_nc_u32_e32 v42, s8, v40
	v_add_co_ci_u32_e64 v25, null, v89, v25, vcc_lo
	v_add_co_u32 v26, vcc_lo, v88, v26
	v_lshlrev_b64 v[32:33], 3, v[32:33]
	v_ashrrev_i32_e32 v39, 31, v38
	v_add_co_ci_u32_e64 v27, null, v89, v27, vcc_lo
	v_add_co_u32 v28, vcc_lo, v88, v28
	v_lshlrev_b64 v[34:35], 3, v[34:35]
	v_ashrrev_i32_e32 v41, 31, v40
	v_add_nc_u32_e32 v44, s8, v42
	v_add_co_ci_u32_e64 v29, null, v89, v29, vcc_lo
	v_add_co_u32 v30, vcc_lo, v88, v30
	v_lshlrev_b64 v[36:37], 3, v[36:37]
	v_ashrrev_i32_e32 v43, 31, v42
	v_add_co_ci_u32_e64 v31, null, v89, v31, vcc_lo
	v_add_co_u32 v32, vcc_lo, v88, v32
	v_lshlrev_b64 v[38:39], 3, v[38:39]
	v_add_co_ci_u32_e64 v33, null, v89, v33, vcc_lo
	v_add_co_u32 v34, vcc_lo, v88, v34
	v_lshlrev_b64 v[40:41], 3, v[40:41]
	v_add_nc_u32_e32 v46, s8, v44
	v_add_co_ci_u32_e64 v35, null, v89, v35, vcc_lo
	v_add_co_u32 v36, vcc_lo, v88, v36
	v_lshlrev_b64 v[42:43], 3, v[42:43]
	v_ashrrev_i32_e32 v45, 31, v44
	v_add_co_ci_u32_e64 v37, null, v89, v37, vcc_lo
	v_add_co_u32 v38, vcc_lo, v88, v38
	v_ashrrev_i32_e32 v47, 31, v46
	v_add_nc_u32_e32 v48, s8, v46
	v_add_co_ci_u32_e64 v39, null, v89, v39, vcc_lo
	v_add_co_u32 v40, vcc_lo, v88, v40
	v_lshlrev_b64 v[44:45], 3, v[44:45]
	v_add_co_ci_u32_e64 v41, null, v89, v41, vcc_lo
	v_add_co_u32 v82, vcc_lo, v88, v42
	v_add_co_ci_u32_e64 v83, null, v89, v43, vcc_lo
	v_lshlrev_b64 v[42:43], 3, v[46:47]
	v_ashrrev_i32_e32 v49, 31, v48
	v_add_nc_u32_e32 v46, s8, v48
	v_add_co_u32 v84, vcc_lo, v88, v44
	v_add_co_ci_u32_e64 v85, null, v89, v45, vcc_lo
	v_lshlrev_b64 v[44:45], 3, v[48:49]
	v_ashrrev_i32_e32 v47, 31, v46
	v_add_nc_u32_e32 v48, s8, v46
	;; [unrolled: 5-line block ×13, first 2 shown]
	v_add_co_u32 v110, vcc_lo, v88, v44
	v_add_co_ci_u32_e64 v111, null, v89, v45, vcc_lo
	v_lshlrev_b64 v[44:45], 3, v[48:49]
	v_add_nc_u32_e32 v48, s8, v46
	v_ashrrev_i32_e32 v47, 31, v46
	v_add_co_u32 v112, vcc_lo, v88, v42
	v_add_co_ci_u32_e64 v113, null, v89, v43, vcc_lo
	v_ashrrev_i32_e32 v49, 31, v48
	v_lshlrev_b64 v[42:43], 3, v[46:47]
	v_add_co_u32 v114, vcc_lo, v88, v44
	v_add_co_ci_u32_e64 v115, null, v89, v45, vcc_lo
	v_lshlrev_b64 v[44:45], 3, v[48:49]
	v_add_nc_u32_e32 v46, s8, v48
	v_add_co_u32 v116, vcc_lo, v88, v42
	v_add_co_ci_u32_e64 v117, null, v89, v43, vcc_lo
	v_ashrrev_i32_e32 v47, 31, v46
	v_add_co_u32 v118, vcc_lo, v88, v44
	v_add_co_ci_u32_e64 v119, null, v89, v45, vcc_lo
	v_add_co_u32 v44, vcc_lo, v88, v122
	v_add_co_ci_u32_e64 v45, null, 0, v89, vcc_lo
	v_lshlrev_b64 v[42:43], 3, v[46:47]
	v_add_co_u32 v46, vcc_lo, v44, s10
	v_add_co_ci_u32_e64 v47, null, s11, v45, vcc_lo
	v_add_co_u32 v120, vcc_lo, v88, v42
	v_add_co_ci_u32_e64 v121, null, v89, v43, vcc_lo
	s_clause 0x26
	flat_load_dwordx2 v[80:81], v[44:45]
	flat_load_dwordx2 v[78:79], v[46:47]
	flat_load_dwordx2 v[76:77], v[8:9]
	flat_load_dwordx2 v[74:75], v[6:7]
	flat_load_dwordx2 v[72:73], v[12:13]
	flat_load_dwordx2 v[68:69], v[10:11]
	flat_load_dwordx2 v[70:71], v[14:15]
	flat_load_dwordx2 v[64:65], v[16:17]
	flat_load_dwordx2 v[66:67], v[18:19]
	flat_load_dwordx2 v[62:63], v[20:21]
	flat_load_dwordx2 v[60:61], v[22:23]
	flat_load_dwordx2 v[58:59], v[24:25]
	flat_load_dwordx2 v[56:57], v[26:27]
	flat_load_dwordx2 v[54:55], v[28:29]
	flat_load_dwordx2 v[52:53], v[30:31]
	flat_load_dwordx2 v[48:49], v[32:33]
	flat_load_dwordx2 v[50:51], v[34:35]
	flat_load_dwordx2 v[44:45], v[36:37]
	flat_load_dwordx2 v[46:47], v[38:39]
	flat_load_dwordx2 v[42:43], v[40:41]
	flat_load_dwordx2 v[40:41], v[82:83]
	flat_load_dwordx2 v[38:39], v[84:85]
	flat_load_dwordx2 v[36:37], v[86:87]
	flat_load_dwordx2 v[34:35], v[90:91]
	flat_load_dwordx2 v[32:33], v[92:93]
	flat_load_dwordx2 v[28:29], v[94:95]
	flat_load_dwordx2 v[30:31], v[96:97]
	flat_load_dwordx2 v[24:25], v[98:99]
	flat_load_dwordx2 v[26:27], v[100:101]
	flat_load_dwordx2 v[22:23], v[102:103]
	flat_load_dwordx2 v[20:21], v[104:105]
	flat_load_dwordx2 v[18:19], v[106:107]
	flat_load_dwordx2 v[16:17], v[108:109]
	flat_load_dwordx2 v[14:15], v[110:111]
	flat_load_dwordx2 v[12:13], v[112:113]
	flat_load_dwordx2 v[8:9], v[114:115]
	flat_load_dwordx2 v[10:11], v[116:117]
	flat_load_dwordx2 v[6:7], v[118:119]
	flat_load_dwordx2 v[82:83], v[120:121]
	v_lshl_add_u32 v90, v1, 3, 0
	v_lshlrev_b32_e32 v91, 3, v1
	v_mov_b32_e32 v86, 0
	v_add_nc_u32_e32 v84, v90, v122
	s_waitcnt vmcnt(38) lgkmcnt(38)
	ds_write_b64 v84, v[80:81]
	s_waitcnt vmcnt(0) lgkmcnt(0)
	s_barrier
	buffer_gl0_inv
	ds_read_b64 v[84:85], v90
	s_cbranch_scc1 .LBB76_6
; %bb.4:
	v_add3_u32 v1, v91, 0, 8
	v_mov_b32_e32 v86, 0
	s_mov_b32 s0, 1
.LBB76_5:                               ; =>This Inner Loop Header: Depth=1
	ds_read_b64 v[92:93], v1
	v_add_nc_u32_e32 v1, 8, v1
	s_waitcnt lgkmcnt(0)
	v_cmp_lt_f64_e64 vcc_lo, |v[84:85]|, |v[92:93]|
	v_cndmask_b32_e32 v85, v85, v93, vcc_lo
	v_cndmask_b32_e32 v84, v84, v92, vcc_lo
	v_cndmask_b32_e64 v86, v86, s0, vcc_lo
	s_add_i32 s0, s0, 1
	s_cmp_eq_u32 s7, s0
	s_cbranch_scc0 .LBB76_5
.LBB76_6:
	s_mov_b32 s0, exec_lo
                                        ; implicit-def: $vgpr93
	v_cmpx_ne_u32_e64 v0, v86
	s_xor_b32 s0, exec_lo, s0
	s_cbranch_execz .LBB76_12
; %bb.7:
	s_mov_b32 s1, exec_lo
	v_cmpx_eq_u32_e32 0, v0
	s_cbranch_execz .LBB76_11
; %bb.8:
	v_cmp_ne_u32_e32 vcc_lo, 0, v86
	s_xor_b32 s2, s6, -1
	s_and_b32 s3, s2, vcc_lo
	s_and_saveexec_b32 s2, s3
	s_cbranch_execz .LBB76_10
; %bb.9:
	v_ashrrev_i32_e32 v87, 31, v86
	v_lshlrev_b64 v[0:1], 2, v[86:87]
	v_add_co_u32 v0, vcc_lo, v4, v0
	v_add_co_ci_u32_e64 v1, null, v5, v1, vcc_lo
	s_clause 0x1
	global_load_dword v87, v[0:1], off
	global_load_dword v92, v[4:5], off
	s_waitcnt vmcnt(1)
	global_store_dword v[4:5], v87, off
	s_waitcnt vmcnt(0)
	global_store_dword v[0:1], v92, off
.LBB76_10:
	s_or_b32 exec_lo, exec_lo, s2
	v_mov_b32_e32 v0, v86
.LBB76_11:
	s_or_b32 exec_lo, exec_lo, s1
	v_mov_b32_e32 v93, v0
                                        ; implicit-def: $vgpr0
.LBB76_12:
	s_or_saveexec_b32 s0, s0
	v_mov_b32_e32 v92, v93
	s_xor_b32 exec_lo, exec_lo, s0
	s_cbranch_execz .LBB76_14
; %bb.13:
	v_mov_b32_e32 v93, 0
	v_mov_b32_e32 v92, v0
	ds_write2_b64 v90, v[78:79], v[76:77] offset0:1 offset1:2
	ds_write2_b64 v90, v[74:75], v[72:73] offset0:3 offset1:4
	;; [unrolled: 1-line block ×19, first 2 shown]
.LBB76_14:
	s_or_b32 exec_lo, exec_lo, s0
	s_waitcnt lgkmcnt(0)
	v_cmp_eq_f64_e64 s0, 0, v[84:85]
	s_mov_b32 s1, exec_lo
	s_waitcnt_vscnt null, 0x0
	s_barrier
	buffer_gl0_inv
	v_cmpx_lt_i32_e32 0, v93
	s_cbranch_execz .LBB76_16
; %bb.15:
	v_div_scale_f64 v[0:1], null, v[84:85], v[84:85], 1.0
	v_div_scale_f64 v[96:97], vcc_lo, 1.0, v[84:85], 1.0
	v_rcp_f64_e32 v[86:87], v[0:1]
	v_fma_f64 v[94:95], -v[0:1], v[86:87], 1.0
	v_fma_f64 v[86:87], v[86:87], v[94:95], v[86:87]
	v_fma_f64 v[94:95], -v[0:1], v[86:87], 1.0
	v_fma_f64 v[86:87], v[86:87], v[94:95], v[86:87]
	v_mul_f64 v[94:95], v[96:97], v[86:87]
	v_fma_f64 v[0:1], -v[0:1], v[94:95], v[96:97]
	v_div_fmas_f64 v[0:1], v[0:1], v[86:87], v[94:95]
	v_div_fixup_f64 v[0:1], v[0:1], v[84:85], 1.0
	v_cndmask_b32_e64 v1, v1, v85, s0
	v_cndmask_b32_e64 v0, v0, v84, s0
	ds_read2_b64 v[84:87], v90 offset0:1 offset1:2
	ds_read2_b64 v[94:97], v90 offset0:3 offset1:4
	;; [unrolled: 1-line block ×19, first 2 shown]
	v_mul_f64 v[80:81], v[0:1], v[80:81]
	s_waitcnt lgkmcnt(18)
	v_fma_f64 v[78:79], -v[80:81], v[84:85], v[78:79]
	v_fma_f64 v[76:77], -v[80:81], v[86:87], v[76:77]
	s_waitcnt lgkmcnt(17)
	v_fma_f64 v[74:75], -v[80:81], v[94:95], v[74:75]
	v_fma_f64 v[72:73], -v[80:81], v[96:97], v[72:73]
	;; [unrolled: 3-line block ×19, first 2 shown]
.LBB76_16:
	s_or_b32 exec_lo, exec_lo, s1
	v_lshl_add_u32 v0, v93, 3, v90
	s_barrier
	buffer_gl0_inv
	v_mov_b32_e32 v84, 1
	ds_write_b64 v0, v[78:79]
	s_waitcnt lgkmcnt(0)
	s_barrier
	buffer_gl0_inv
	ds_read_b64 v[0:1], v90 offset:8
	s_cmp_lt_i32 s7, 3
	s_cbranch_scc1 .LBB76_19
; %bb.17:
	v_add3_u32 v85, v91, 0, 16
	v_mov_b32_e32 v84, 1
	s_mov_b32 s1, 2
.LBB76_18:                              ; =>This Inner Loop Header: Depth=1
	ds_read_b64 v[86:87], v85
	v_add_nc_u32_e32 v85, 8, v85
	s_waitcnt lgkmcnt(0)
	v_cmp_lt_f64_e64 vcc_lo, |v[0:1]|, |v[86:87]|
	v_cndmask_b32_e32 v1, v1, v87, vcc_lo
	v_cndmask_b32_e32 v0, v0, v86, vcc_lo
	v_cndmask_b32_e64 v84, v84, s1, vcc_lo
	s_add_i32 s1, s1, 1
	s_cmp_lg_u32 s7, s1
	s_cbranch_scc1 .LBB76_18
.LBB76_19:
	s_mov_b32 s1, exec_lo
	v_cmpx_ne_u32_e64 v93, v84
	s_xor_b32 s1, exec_lo, s1
	s_cbranch_execz .LBB76_25
; %bb.20:
	s_mov_b32 s2, exec_lo
	v_cmpx_eq_u32_e32 1, v93
	s_cbranch_execz .LBB76_24
; %bb.21:
	v_cmp_ne_u32_e32 vcc_lo, 1, v84
	s_xor_b32 s3, s6, -1
	s_and_b32 s9, s3, vcc_lo
	s_and_saveexec_b32 s3, s9
	s_cbranch_execz .LBB76_23
; %bb.22:
	v_ashrrev_i32_e32 v85, 31, v84
	v_lshlrev_b64 v[85:86], 2, v[84:85]
	v_add_co_u32 v85, vcc_lo, v4, v85
	v_add_co_ci_u32_e64 v86, null, v5, v86, vcc_lo
	s_clause 0x1
	global_load_dword v87, v[85:86], off
	global_load_dword v92, v[4:5], off offset:4
	s_waitcnt vmcnt(1)
	global_store_dword v[4:5], v87, off offset:4
	s_waitcnt vmcnt(0)
	global_store_dword v[85:86], v92, off
.LBB76_23:
	s_or_b32 exec_lo, exec_lo, s3
	v_mov_b32_e32 v92, v84
	v_mov_b32_e32 v93, v84
.LBB76_24:
	s_or_b32 exec_lo, exec_lo, s2
.LBB76_25:
	s_andn2_saveexec_b32 s1, s1
	s_cbranch_execz .LBB76_27
; %bb.26:
	v_mov_b32_e32 v84, v76
	v_mov_b32_e32 v85, v77
	;; [unrolled: 1-line block ×16, first 2 shown]
	ds_write2_b64 v90, v[84:85], v[86:87] offset0:2 offset1:3
	ds_write2_b64 v90, v[93:94], v[95:96] offset0:4 offset1:5
	;; [unrolled: 1-line block ×4, first 2 shown]
	v_mov_b32_e32 v84, v60
	v_mov_b32_e32 v85, v61
	;; [unrolled: 1-line block ×20, first 2 shown]
	ds_write2_b64 v90, v[84:85], v[86:87] offset0:10 offset1:11
	ds_write2_b64 v90, v[93:94], v[95:96] offset0:12 offset1:13
	;; [unrolled: 1-line block ×5, first 2 shown]
	v_mov_b32_e32 v84, v40
	v_mov_b32_e32 v85, v41
	;; [unrolled: 1-line block ×20, first 2 shown]
	ds_write2_b64 v90, v[84:85], v[86:87] offset0:20 offset1:21
	ds_write2_b64 v90, v[93:94], v[95:96] offset0:22 offset1:23
	;; [unrolled: 1-line block ×5, first 2 shown]
	v_mov_b32_e32 v84, v20
	v_mov_b32_e32 v85, v21
	;; [unrolled: 1-line block ×17, first 2 shown]
	ds_write2_b64 v90, v[84:85], v[86:87] offset0:30 offset1:31
	ds_write2_b64 v90, v[94:95], v[96:97] offset0:32 offset1:33
	;; [unrolled: 1-line block ×4, first 2 shown]
	ds_write_b64 v90, v[82:83] offset:304
.LBB76_27:
	s_or_b32 exec_lo, exec_lo, s1
	s_waitcnt lgkmcnt(0)
	v_cmp_neq_f64_e64 s1, 0, v[0:1]
	s_mov_b32 s2, exec_lo
	s_waitcnt_vscnt null, 0x0
	s_barrier
	buffer_gl0_inv
	v_cmpx_lt_i32_e32 1, v93
	s_cbranch_execz .LBB76_29
; %bb.28:
	v_div_scale_f64 v[84:85], null, v[0:1], v[0:1], 1.0
	v_div_scale_f64 v[96:97], vcc_lo, 1.0, v[0:1], 1.0
	v_rcp_f64_e32 v[86:87], v[84:85]
	v_fma_f64 v[94:95], -v[84:85], v[86:87], 1.0
	v_fma_f64 v[86:87], v[86:87], v[94:95], v[86:87]
	v_fma_f64 v[94:95], -v[84:85], v[86:87], 1.0
	v_fma_f64 v[86:87], v[86:87], v[94:95], v[86:87]
	v_mul_f64 v[94:95], v[96:97], v[86:87]
	v_fma_f64 v[84:85], -v[84:85], v[94:95], v[96:97]
	v_div_fmas_f64 v[84:85], v[84:85], v[86:87], v[94:95]
	v_div_fixup_f64 v[84:85], v[84:85], v[0:1], 1.0
	v_cndmask_b32_e64 v1, v1, v85, s1
	v_cndmask_b32_e64 v0, v0, v84, s1
	v_mul_f64 v[78:79], v[0:1], v[78:79]
	ds_read2_b64 v[84:87], v90 offset0:2 offset1:3
	ds_read2_b64 v[94:97], v90 offset0:4 offset1:5
	;; [unrolled: 1-line block ×18, first 2 shown]
	ds_read_b64 v[0:1], v90 offset:304
	s_waitcnt lgkmcnt(18)
	v_fma_f64 v[76:77], -v[78:79], v[84:85], v[76:77]
	v_fma_f64 v[74:75], -v[78:79], v[86:87], v[74:75]
	s_waitcnt lgkmcnt(17)
	v_fma_f64 v[72:73], -v[78:79], v[94:95], v[72:73]
	v_fma_f64 v[68:69], -v[78:79], v[96:97], v[68:69]
	s_waitcnt lgkmcnt(16)
	v_fma_f64 v[70:71], -v[78:79], v[98:99], v[70:71]
	v_fma_f64 v[64:65], -v[78:79], v[100:101], v[64:65]
	s_waitcnt lgkmcnt(15)
	v_fma_f64 v[66:67], -v[78:79], v[102:103], v[66:67]
	v_fma_f64 v[62:63], -v[78:79], v[104:105], v[62:63]
	s_waitcnt lgkmcnt(14)
	v_fma_f64 v[60:61], -v[78:79], v[106:107], v[60:61]
	v_fma_f64 v[58:59], -v[78:79], v[108:109], v[58:59]
	s_waitcnt lgkmcnt(13)
	v_fma_f64 v[56:57], -v[78:79], v[110:111], v[56:57]
	v_fma_f64 v[54:55], -v[78:79], v[112:113], v[54:55]
	s_waitcnt lgkmcnt(12)
	v_fma_f64 v[52:53], -v[78:79], v[114:115], v[52:53]
	v_fma_f64 v[48:49], -v[78:79], v[116:117], v[48:49]
	s_waitcnt lgkmcnt(11)
	v_fma_f64 v[50:51], -v[78:79], v[118:119], v[50:51]
	v_fma_f64 v[44:45], -v[78:79], v[120:121], v[44:45]
	s_waitcnt lgkmcnt(10)
	v_fma_f64 v[46:47], -v[78:79], v[122:123], v[46:47]
	v_fma_f64 v[42:43], -v[78:79], v[124:125], v[42:43]
	s_waitcnt lgkmcnt(9)
	v_fma_f64 v[40:41], -v[78:79], v[126:127], v[40:41]
	v_fma_f64 v[38:39], -v[78:79], v[128:129], v[38:39]
	s_waitcnt lgkmcnt(8)
	v_fma_f64 v[36:37], -v[78:79], v[130:131], v[36:37]
	v_fma_f64 v[34:35], -v[78:79], v[132:133], v[34:35]
	s_waitcnt lgkmcnt(7)
	v_fma_f64 v[32:33], -v[78:79], v[134:135], v[32:33]
	v_fma_f64 v[28:29], -v[78:79], v[136:137], v[28:29]
	s_waitcnt lgkmcnt(6)
	v_fma_f64 v[30:31], -v[78:79], v[138:139], v[30:31]
	v_fma_f64 v[24:25], -v[78:79], v[140:141], v[24:25]
	s_waitcnt lgkmcnt(5)
	v_fma_f64 v[26:27], -v[78:79], v[142:143], v[26:27]
	v_fma_f64 v[22:23], -v[78:79], v[144:145], v[22:23]
	s_waitcnt lgkmcnt(4)
	v_fma_f64 v[20:21], -v[78:79], v[146:147], v[20:21]
	v_fma_f64 v[18:19], -v[78:79], v[148:149], v[18:19]
	s_waitcnt lgkmcnt(3)
	v_fma_f64 v[16:17], -v[78:79], v[150:151], v[16:17]
	v_fma_f64 v[14:15], -v[78:79], v[152:153], v[14:15]
	s_waitcnt lgkmcnt(2)
	v_fma_f64 v[12:13], -v[78:79], v[154:155], v[12:13]
	v_fma_f64 v[8:9], -v[78:79], v[156:157], v[8:9]
	s_waitcnt lgkmcnt(1)
	v_fma_f64 v[10:11], -v[78:79], v[158:159], v[10:11]
	v_fma_f64 v[6:7], -v[78:79], v[160:161], v[6:7]
	s_waitcnt lgkmcnt(0)
	v_fma_f64 v[82:83], -v[78:79], v[0:1], v[82:83]
.LBB76_29:
	s_or_b32 exec_lo, exec_lo, s2
	v_lshl_add_u32 v0, v93, 3, v90
	s_barrier
	buffer_gl0_inv
	v_mov_b32_e32 v84, 2
	ds_write_b64 v0, v[76:77]
	s_waitcnt lgkmcnt(0)
	s_barrier
	buffer_gl0_inv
	ds_read_b64 v[0:1], v90 offset:16
	s_cmp_lt_i32 s7, 4
	s_mov_b32 s2, 3
	s_cbranch_scc1 .LBB76_32
; %bb.30:
	v_add3_u32 v85, v91, 0, 24
	v_mov_b32_e32 v84, 2
.LBB76_31:                              ; =>This Inner Loop Header: Depth=1
	ds_read_b64 v[86:87], v85
	v_add_nc_u32_e32 v85, 8, v85
	s_waitcnt lgkmcnt(0)
	v_cmp_lt_f64_e64 vcc_lo, |v[0:1]|, |v[86:87]|
	v_cndmask_b32_e32 v1, v1, v87, vcc_lo
	v_cndmask_b32_e32 v0, v0, v86, vcc_lo
	v_cndmask_b32_e64 v84, v84, s2, vcc_lo
	s_add_i32 s2, s2, 1
	s_cmp_lg_u32 s7, s2
	s_cbranch_scc1 .LBB76_31
.LBB76_32:
	v_cndmask_b32_e64 v85, 2, 1, s0
	v_cndmask_b32_e64 v86, 0, 1, s0
	s_mov_b32 s0, exec_lo
	v_cndmask_b32_e64 v87, v85, v86, s1
	s_waitcnt lgkmcnt(0)
	v_cmpx_eq_f64_e32 0, v[0:1]
	s_xor_b32 s0, exec_lo, s0
; %bb.33:
	v_cmp_ne_u32_e32 vcc_lo, 0, v87
	v_cndmask_b32_e32 v87, 3, v87, vcc_lo
; %bb.34:
	s_andn2_saveexec_b32 s0, s0
	s_cbranch_execz .LBB76_36
; %bb.35:
	v_div_scale_f64 v[85:86], null, v[0:1], v[0:1], 1.0
	v_rcp_f64_e32 v[94:95], v[85:86]
	v_fma_f64 v[96:97], -v[85:86], v[94:95], 1.0
	v_fma_f64 v[94:95], v[94:95], v[96:97], v[94:95]
	v_fma_f64 v[96:97], -v[85:86], v[94:95], 1.0
	v_fma_f64 v[94:95], v[94:95], v[96:97], v[94:95]
	v_div_scale_f64 v[96:97], vcc_lo, 1.0, v[0:1], 1.0
	v_mul_f64 v[98:99], v[96:97], v[94:95]
	v_fma_f64 v[85:86], -v[85:86], v[98:99], v[96:97]
	v_div_fmas_f64 v[85:86], v[85:86], v[94:95], v[98:99]
	v_div_fixup_f64 v[0:1], v[85:86], v[0:1], 1.0
.LBB76_36:
	s_or_b32 exec_lo, exec_lo, s0
	s_mov_b32 s0, exec_lo
	v_cmpx_ne_u32_e64 v93, v84
	s_xor_b32 s0, exec_lo, s0
	s_cbranch_execz .LBB76_42
; %bb.37:
	s_mov_b32 s1, exec_lo
	v_cmpx_eq_u32_e32 2, v93
	s_cbranch_execz .LBB76_41
; %bb.38:
	v_cmp_ne_u32_e32 vcc_lo, 2, v84
	s_xor_b32 s2, s6, -1
	s_and_b32 s3, s2, vcc_lo
	s_and_saveexec_b32 s2, s3
	s_cbranch_execz .LBB76_40
; %bb.39:
	v_ashrrev_i32_e32 v85, 31, v84
	v_lshlrev_b64 v[85:86], 2, v[84:85]
	v_add_co_u32 v85, vcc_lo, v4, v85
	v_add_co_ci_u32_e64 v86, null, v5, v86, vcc_lo
	s_clause 0x1
	global_load_dword v92, v[85:86], off
	global_load_dword v93, v[4:5], off offset:8
	s_waitcnt vmcnt(1)
	global_store_dword v[4:5], v92, off offset:8
	s_waitcnt vmcnt(0)
	global_store_dword v[85:86], v93, off
.LBB76_40:
	s_or_b32 exec_lo, exec_lo, s2
	v_mov_b32_e32 v92, v84
	v_mov_b32_e32 v93, v84
.LBB76_41:
	s_or_b32 exec_lo, exec_lo, s1
.LBB76_42:
	s_andn2_saveexec_b32 s0, s0
	s_cbranch_execz .LBB76_44
; %bb.43:
	v_mov_b32_e32 v93, 2
	ds_write2_b64 v90, v[74:75], v[72:73] offset0:3 offset1:4
	ds_write2_b64 v90, v[68:69], v[70:71] offset0:5 offset1:6
	;; [unrolled: 1-line block ×18, first 2 shown]
.LBB76_44:
	s_or_b32 exec_lo, exec_lo, s0
	s_mov_b32 s0, exec_lo
	s_waitcnt lgkmcnt(0)
	s_waitcnt_vscnt null, 0x0
	s_barrier
	buffer_gl0_inv
	v_cmpx_lt_i32_e32 2, v93
	s_cbranch_execz .LBB76_46
; %bb.45:
	v_mul_f64 v[76:77], v[0:1], v[76:77]
	ds_read2_b64 v[94:97], v90 offset0:3 offset1:4
	ds_read2_b64 v[98:101], v90 offset0:5 offset1:6
	;; [unrolled: 1-line block ×12, first 2 shown]
	s_waitcnt lgkmcnt(11)
	v_fma_f64 v[74:75], -v[76:77], v[94:95], v[74:75]
	v_fma_f64 v[72:73], -v[76:77], v[96:97], v[72:73]
	s_waitcnt lgkmcnt(10)
	v_fma_f64 v[68:69], -v[76:77], v[98:99], v[68:69]
	v_fma_f64 v[70:71], -v[76:77], v[100:101], v[70:71]
	;; [unrolled: 3-line block ×5, first 2 shown]
	ds_read2_b64 v[94:97], v90 offset0:27 offset1:28
	ds_read2_b64 v[98:101], v90 offset0:29 offset1:30
	s_waitcnt lgkmcnt(8)
	v_fma_f64 v[54:55], -v[76:77], v[114:115], v[54:55]
	v_fma_f64 v[52:53], -v[76:77], v[116:117], v[52:53]
	ds_read2_b64 v[102:105], v90 offset0:31 offset1:32
	ds_read2_b64 v[106:109], v90 offset0:33 offset1:34
	ds_read2_b64 v[110:113], v90 offset0:35 offset1:36
	ds_read2_b64 v[114:117], v90 offset0:37 offset1:38
	s_waitcnt lgkmcnt(11)
	v_fma_f64 v[48:49], -v[76:77], v[118:119], v[48:49]
	v_fma_f64 v[50:51], -v[76:77], v[120:121], v[50:51]
	s_waitcnt lgkmcnt(10)
	v_fma_f64 v[44:45], -v[76:77], v[122:123], v[44:45]
	v_fma_f64 v[46:47], -v[76:77], v[124:125], v[46:47]
	;; [unrolled: 3-line block ×12, first 2 shown]
.LBB76_46:
	s_or_b32 exec_lo, exec_lo, s0
	v_lshl_add_u32 v0, v93, 3, v90
	s_barrier
	buffer_gl0_inv
	v_mov_b32_e32 v84, 3
	ds_write_b64 v0, v[74:75]
	s_waitcnt lgkmcnt(0)
	s_barrier
	buffer_gl0_inv
	ds_read_b64 v[0:1], v90 offset:24
	s_cmp_lt_i32 s7, 5
	s_cbranch_scc1 .LBB76_49
; %bb.47:
	v_mov_b32_e32 v84, 3
	v_add3_u32 v85, v91, 0, 32
	s_mov_b32 s0, 4
.LBB76_48:                              ; =>This Inner Loop Header: Depth=1
	ds_read_b64 v[94:95], v85
	v_add_nc_u32_e32 v85, 8, v85
	s_waitcnt lgkmcnt(0)
	v_cmp_lt_f64_e64 vcc_lo, |v[0:1]|, |v[94:95]|
	v_cndmask_b32_e32 v1, v1, v95, vcc_lo
	v_cndmask_b32_e32 v0, v0, v94, vcc_lo
	v_cndmask_b32_e64 v84, v84, s0, vcc_lo
	s_add_i32 s0, s0, 1
	s_cmp_lg_u32 s7, s0
	s_cbranch_scc1 .LBB76_48
.LBB76_49:
	s_mov_b32 s0, exec_lo
	s_waitcnt lgkmcnt(0)
	v_cmpx_eq_f64_e32 0, v[0:1]
	s_xor_b32 s0, exec_lo, s0
; %bb.50:
	v_cmp_ne_u32_e32 vcc_lo, 0, v87
	v_cndmask_b32_e32 v87, 4, v87, vcc_lo
; %bb.51:
	s_andn2_saveexec_b32 s0, s0
	s_cbranch_execz .LBB76_53
; %bb.52:
	v_div_scale_f64 v[85:86], null, v[0:1], v[0:1], 1.0
	v_rcp_f64_e32 v[94:95], v[85:86]
	v_fma_f64 v[96:97], -v[85:86], v[94:95], 1.0
	v_fma_f64 v[94:95], v[94:95], v[96:97], v[94:95]
	v_fma_f64 v[96:97], -v[85:86], v[94:95], 1.0
	v_fma_f64 v[94:95], v[94:95], v[96:97], v[94:95]
	v_div_scale_f64 v[96:97], vcc_lo, 1.0, v[0:1], 1.0
	v_mul_f64 v[98:99], v[96:97], v[94:95]
	v_fma_f64 v[85:86], -v[85:86], v[98:99], v[96:97]
	v_div_fmas_f64 v[85:86], v[85:86], v[94:95], v[98:99]
	v_div_fixup_f64 v[0:1], v[85:86], v[0:1], 1.0
.LBB76_53:
	s_or_b32 exec_lo, exec_lo, s0
	s_mov_b32 s0, exec_lo
	v_cmpx_ne_u32_e64 v93, v84
	s_xor_b32 s0, exec_lo, s0
	s_cbranch_execz .LBB76_59
; %bb.54:
	s_mov_b32 s1, exec_lo
	v_cmpx_eq_u32_e32 3, v93
	s_cbranch_execz .LBB76_58
; %bb.55:
	v_cmp_ne_u32_e32 vcc_lo, 3, v84
	s_xor_b32 s2, s6, -1
	s_and_b32 s3, s2, vcc_lo
	s_and_saveexec_b32 s2, s3
	s_cbranch_execz .LBB76_57
; %bb.56:
	v_ashrrev_i32_e32 v85, 31, v84
	v_lshlrev_b64 v[85:86], 2, v[84:85]
	v_add_co_u32 v85, vcc_lo, v4, v85
	v_add_co_ci_u32_e64 v86, null, v5, v86, vcc_lo
	s_clause 0x1
	global_load_dword v92, v[85:86], off
	global_load_dword v93, v[4:5], off offset:12
	s_waitcnt vmcnt(1)
	global_store_dword v[4:5], v92, off offset:12
	s_waitcnt vmcnt(0)
	global_store_dword v[85:86], v93, off
.LBB76_57:
	s_or_b32 exec_lo, exec_lo, s2
	v_mov_b32_e32 v92, v84
	v_mov_b32_e32 v93, v84
.LBB76_58:
	s_or_b32 exec_lo, exec_lo, s1
.LBB76_59:
	s_andn2_saveexec_b32 s0, s0
	s_cbranch_execz .LBB76_61
; %bb.60:
	v_mov_b32_e32 v84, v72
	v_mov_b32_e32 v85, v73
	;; [unrolled: 1-line block ×12, first 2 shown]
	ds_write2_b64 v90, v[84:85], v[93:94] offset0:4 offset1:5
	ds_write2_b64 v90, v[95:96], v[97:98] offset0:6 offset1:7
	;; [unrolled: 1-line block ×3, first 2 shown]
	v_mov_b32_e32 v84, v60
	v_mov_b32_e32 v85, v61
	;; [unrolled: 1-line block ×20, first 2 shown]
	ds_write2_b64 v90, v[84:85], v[93:94] offset0:10 offset1:11
	ds_write2_b64 v90, v[95:96], v[97:98] offset0:12 offset1:13
	;; [unrolled: 1-line block ×5, first 2 shown]
	v_mov_b32_e32 v84, v40
	v_mov_b32_e32 v85, v41
	v_mov_b32_e32 v93, v38
	v_mov_b32_e32 v94, v39
	v_mov_b32_e32 v95, v36
	v_mov_b32_e32 v96, v37
	v_mov_b32_e32 v97, v34
	v_mov_b32_e32 v98, v35
	v_mov_b32_e32 v99, v32
	v_mov_b32_e32 v100, v33
	v_mov_b32_e32 v101, v28
	v_mov_b32_e32 v102, v29
	v_mov_b32_e32 v103, v30
	v_mov_b32_e32 v104, v31
	v_mov_b32_e32 v105, v24
	v_mov_b32_e32 v106, v25
	v_mov_b32_e32 v107, v26
	v_mov_b32_e32 v108, v27
	v_mov_b32_e32 v109, v22
	v_mov_b32_e32 v110, v23
	ds_write2_b64 v90, v[84:85], v[93:94] offset0:20 offset1:21
	ds_write2_b64 v90, v[95:96], v[97:98] offset0:22 offset1:23
	ds_write2_b64 v90, v[99:100], v[101:102] offset0:24 offset1:25
	ds_write2_b64 v90, v[103:104], v[105:106] offset0:26 offset1:27
	ds_write2_b64 v90, v[107:108], v[109:110] offset0:28 offset1:29
	v_mov_b32_e32 v84, v20
	v_mov_b32_e32 v85, v21
	;; [unrolled: 1-line block ×8, first 2 shown]
	ds_write2_b64 v90, v[84:85], v[93:94] offset0:30 offset1:31
	v_mov_b32_e32 v93, 3
	v_mov_b32_e32 v99, v12
	;; [unrolled: 1-line block ×9, first 2 shown]
	ds_write2_b64 v90, v[95:96], v[97:98] offset0:32 offset1:33
	ds_write2_b64 v90, v[99:100], v[101:102] offset0:34 offset1:35
	;; [unrolled: 1-line block ×3, first 2 shown]
	ds_write_b64 v90, v[82:83] offset:304
.LBB76_61:
	s_or_b32 exec_lo, exec_lo, s0
	s_mov_b32 s0, exec_lo
	s_waitcnt lgkmcnt(0)
	s_waitcnt_vscnt null, 0x0
	s_barrier
	buffer_gl0_inv
	v_cmpx_lt_i32_e32 3, v93
	s_cbranch_execz .LBB76_63
; %bb.62:
	v_mul_f64 v[74:75], v[0:1], v[74:75]
	ds_read2_b64 v[94:97], v90 offset0:4 offset1:5
	ds_read2_b64 v[98:101], v90 offset0:6 offset1:7
	;; [unrolled: 1-line block ×12, first 2 shown]
	ds_read_b64 v[0:1], v90 offset:304
	s_waitcnt lgkmcnt(12)
	v_fma_f64 v[72:73], -v[74:75], v[94:95], v[72:73]
	v_fma_f64 v[68:69], -v[74:75], v[96:97], v[68:69]
	s_waitcnt lgkmcnt(11)
	v_fma_f64 v[70:71], -v[74:75], v[98:99], v[70:71]
	v_fma_f64 v[64:65], -v[74:75], v[100:101], v[64:65]
	s_waitcnt lgkmcnt(10)
	v_fma_f64 v[66:67], -v[74:75], v[102:103], v[66:67]
	v_fma_f64 v[62:63], -v[74:75], v[104:105], v[62:63]
	s_waitcnt lgkmcnt(9)
	v_fma_f64 v[60:61], -v[74:75], v[106:107], v[60:61]
	v_fma_f64 v[58:59], -v[74:75], v[108:109], v[58:59]
	s_waitcnt lgkmcnt(8)
	v_fma_f64 v[56:57], -v[74:75], v[110:111], v[56:57]
	v_fma_f64 v[54:55], -v[74:75], v[112:113], v[54:55]
	ds_read2_b64 v[94:97], v90 offset0:28 offset1:29
	ds_read2_b64 v[98:101], v90 offset0:30 offset1:31
	;; [unrolled: 1-line block ×5, first 2 shown]
	s_waitcnt lgkmcnt(12)
	v_fma_f64 v[52:53], -v[74:75], v[114:115], v[52:53]
	v_fma_f64 v[48:49], -v[74:75], v[116:117], v[48:49]
	s_waitcnt lgkmcnt(11)
	v_fma_f64 v[50:51], -v[74:75], v[118:119], v[50:51]
	v_fma_f64 v[44:45], -v[74:75], v[120:121], v[44:45]
	;; [unrolled: 3-line block ×7, first 2 shown]
	s_waitcnt lgkmcnt(5)
	v_fma_f64 v[82:83], -v[74:75], v[0:1], v[82:83]
	s_waitcnt lgkmcnt(4)
	v_fma_f64 v[26:27], -v[74:75], v[94:95], v[26:27]
	v_fma_f64 v[22:23], -v[74:75], v[96:97], v[22:23]
	s_waitcnt lgkmcnt(3)
	v_fma_f64 v[20:21], -v[74:75], v[98:99], v[20:21]
	;; [unrolled: 3-line block ×5, first 2 shown]
	v_fma_f64 v[6:7], -v[74:75], v[112:113], v[6:7]
.LBB76_63:
	s_or_b32 exec_lo, exec_lo, s0
	v_lshl_add_u32 v0, v93, 3, v90
	s_barrier
	buffer_gl0_inv
	v_mov_b32_e32 v84, 4
	ds_write_b64 v0, v[72:73]
	s_waitcnt lgkmcnt(0)
	s_barrier
	buffer_gl0_inv
	ds_read_b64 v[0:1], v90 offset:32
	s_cmp_lt_i32 s7, 6
	s_cbranch_scc1 .LBB76_66
; %bb.64:
	v_add3_u32 v85, v91, 0, 40
	v_mov_b32_e32 v84, 4
	s_mov_b32 s0, 5
.LBB76_65:                              ; =>This Inner Loop Header: Depth=1
	ds_read_b64 v[94:95], v85
	v_add_nc_u32_e32 v85, 8, v85
	s_waitcnt lgkmcnt(0)
	v_cmp_lt_f64_e64 vcc_lo, |v[0:1]|, |v[94:95]|
	v_cndmask_b32_e32 v1, v1, v95, vcc_lo
	v_cndmask_b32_e32 v0, v0, v94, vcc_lo
	v_cndmask_b32_e64 v84, v84, s0, vcc_lo
	s_add_i32 s0, s0, 1
	s_cmp_lg_u32 s7, s0
	s_cbranch_scc1 .LBB76_65
.LBB76_66:
	s_mov_b32 s0, exec_lo
	s_waitcnt lgkmcnt(0)
	v_cmpx_eq_f64_e32 0, v[0:1]
	s_xor_b32 s0, exec_lo, s0
; %bb.67:
	v_cmp_ne_u32_e32 vcc_lo, 0, v87
	v_cndmask_b32_e32 v87, 5, v87, vcc_lo
; %bb.68:
	s_andn2_saveexec_b32 s0, s0
	s_cbranch_execz .LBB76_70
; %bb.69:
	v_div_scale_f64 v[85:86], null, v[0:1], v[0:1], 1.0
	v_rcp_f64_e32 v[94:95], v[85:86]
	v_fma_f64 v[96:97], -v[85:86], v[94:95], 1.0
	v_fma_f64 v[94:95], v[94:95], v[96:97], v[94:95]
	v_fma_f64 v[96:97], -v[85:86], v[94:95], 1.0
	v_fma_f64 v[94:95], v[94:95], v[96:97], v[94:95]
	v_div_scale_f64 v[96:97], vcc_lo, 1.0, v[0:1], 1.0
	v_mul_f64 v[98:99], v[96:97], v[94:95]
	v_fma_f64 v[85:86], -v[85:86], v[98:99], v[96:97]
	v_div_fmas_f64 v[85:86], v[85:86], v[94:95], v[98:99]
	v_div_fixup_f64 v[0:1], v[85:86], v[0:1], 1.0
.LBB76_70:
	s_or_b32 exec_lo, exec_lo, s0
	s_mov_b32 s0, exec_lo
	v_cmpx_ne_u32_e64 v93, v84
	s_xor_b32 s0, exec_lo, s0
	s_cbranch_execz .LBB76_76
; %bb.71:
	s_mov_b32 s1, exec_lo
	v_cmpx_eq_u32_e32 4, v93
	s_cbranch_execz .LBB76_75
; %bb.72:
	v_cmp_ne_u32_e32 vcc_lo, 4, v84
	s_xor_b32 s2, s6, -1
	s_and_b32 s3, s2, vcc_lo
	s_and_saveexec_b32 s2, s3
	s_cbranch_execz .LBB76_74
; %bb.73:
	v_ashrrev_i32_e32 v85, 31, v84
	v_lshlrev_b64 v[85:86], 2, v[84:85]
	v_add_co_u32 v85, vcc_lo, v4, v85
	v_add_co_ci_u32_e64 v86, null, v5, v86, vcc_lo
	s_clause 0x1
	global_load_dword v92, v[85:86], off
	global_load_dword v93, v[4:5], off offset:16
	s_waitcnt vmcnt(1)
	global_store_dword v[4:5], v92, off offset:16
	s_waitcnt vmcnt(0)
	global_store_dword v[85:86], v93, off
.LBB76_74:
	s_or_b32 exec_lo, exec_lo, s2
	v_mov_b32_e32 v92, v84
	v_mov_b32_e32 v93, v84
.LBB76_75:
	s_or_b32 exec_lo, exec_lo, s1
.LBB76_76:
	s_andn2_saveexec_b32 s0, s0
	s_cbranch_execz .LBB76_78
; %bb.77:
	v_mov_b32_e32 v93, 4
	ds_write2_b64 v90, v[68:69], v[70:71] offset0:5 offset1:6
	ds_write2_b64 v90, v[64:65], v[66:67] offset0:7 offset1:8
	;; [unrolled: 1-line block ×17, first 2 shown]
.LBB76_78:
	s_or_b32 exec_lo, exec_lo, s0
	s_mov_b32 s0, exec_lo
	s_waitcnt lgkmcnt(0)
	s_waitcnt_vscnt null, 0x0
	s_barrier
	buffer_gl0_inv
	v_cmpx_lt_i32_e32 4, v93
	s_cbranch_execz .LBB76_80
; %bb.79:
	v_mul_f64 v[72:73], v[0:1], v[72:73]
	ds_read2_b64 v[94:97], v90 offset0:5 offset1:6
	ds_read2_b64 v[98:101], v90 offset0:7 offset1:8
	;; [unrolled: 1-line block ×13, first 2 shown]
	s_waitcnt lgkmcnt(12)
	v_fma_f64 v[68:69], -v[72:73], v[94:95], v[68:69]
	v_fma_f64 v[70:71], -v[72:73], v[96:97], v[70:71]
	s_waitcnt lgkmcnt(11)
	v_fma_f64 v[64:65], -v[72:73], v[98:99], v[64:65]
	v_fma_f64 v[66:67], -v[72:73], v[100:101], v[66:67]
	s_waitcnt lgkmcnt(10)
	v_fma_f64 v[62:63], -v[72:73], v[102:103], v[62:63]
	v_fma_f64 v[60:61], -v[72:73], v[104:105], v[60:61]
	s_waitcnt lgkmcnt(9)
	v_fma_f64 v[58:59], -v[72:73], v[106:107], v[58:59]
	v_fma_f64 v[56:57], -v[72:73], v[108:109], v[56:57]
	ds_read2_b64 v[94:97], v90 offset0:31 offset1:32
	ds_read2_b64 v[98:101], v90 offset0:33 offset1:34
	;; [unrolled: 1-line block ×4, first 2 shown]
	s_waitcnt lgkmcnt(12)
	v_fma_f64 v[54:55], -v[72:73], v[110:111], v[54:55]
	v_fma_f64 v[52:53], -v[72:73], v[112:113], v[52:53]
	s_waitcnt lgkmcnt(11)
	v_fma_f64 v[48:49], -v[72:73], v[114:115], v[48:49]
	v_fma_f64 v[50:51], -v[72:73], v[116:117], v[50:51]
	;; [unrolled: 3-line block ×13, first 2 shown]
.LBB76_80:
	s_or_b32 exec_lo, exec_lo, s0
	v_lshl_add_u32 v0, v93, 3, v90
	s_barrier
	buffer_gl0_inv
	v_mov_b32_e32 v84, 5
	ds_write_b64 v0, v[68:69]
	s_waitcnt lgkmcnt(0)
	s_barrier
	buffer_gl0_inv
	ds_read_b64 v[0:1], v90 offset:40
	s_cmp_lt_i32 s7, 7
	s_cbranch_scc1 .LBB76_83
; %bb.81:
	v_add3_u32 v85, v91, 0, 48
	v_mov_b32_e32 v84, 5
	s_mov_b32 s0, 6
.LBB76_82:                              ; =>This Inner Loop Header: Depth=1
	ds_read_b64 v[94:95], v85
	v_add_nc_u32_e32 v85, 8, v85
	s_waitcnt lgkmcnt(0)
	v_cmp_lt_f64_e64 vcc_lo, |v[0:1]|, |v[94:95]|
	v_cndmask_b32_e32 v1, v1, v95, vcc_lo
	v_cndmask_b32_e32 v0, v0, v94, vcc_lo
	v_cndmask_b32_e64 v84, v84, s0, vcc_lo
	s_add_i32 s0, s0, 1
	s_cmp_lg_u32 s7, s0
	s_cbranch_scc1 .LBB76_82
.LBB76_83:
	s_mov_b32 s0, exec_lo
	s_waitcnt lgkmcnt(0)
	v_cmpx_eq_f64_e32 0, v[0:1]
	s_xor_b32 s0, exec_lo, s0
; %bb.84:
	v_cmp_ne_u32_e32 vcc_lo, 0, v87
	v_cndmask_b32_e32 v87, 6, v87, vcc_lo
; %bb.85:
	s_andn2_saveexec_b32 s0, s0
	s_cbranch_execz .LBB76_87
; %bb.86:
	v_div_scale_f64 v[85:86], null, v[0:1], v[0:1], 1.0
	v_rcp_f64_e32 v[94:95], v[85:86]
	v_fma_f64 v[96:97], -v[85:86], v[94:95], 1.0
	v_fma_f64 v[94:95], v[94:95], v[96:97], v[94:95]
	v_fma_f64 v[96:97], -v[85:86], v[94:95], 1.0
	v_fma_f64 v[94:95], v[94:95], v[96:97], v[94:95]
	v_div_scale_f64 v[96:97], vcc_lo, 1.0, v[0:1], 1.0
	v_mul_f64 v[98:99], v[96:97], v[94:95]
	v_fma_f64 v[85:86], -v[85:86], v[98:99], v[96:97]
	v_div_fmas_f64 v[85:86], v[85:86], v[94:95], v[98:99]
	v_div_fixup_f64 v[0:1], v[85:86], v[0:1], 1.0
.LBB76_87:
	s_or_b32 exec_lo, exec_lo, s0
	s_mov_b32 s0, exec_lo
	v_cmpx_ne_u32_e64 v93, v84
	s_xor_b32 s0, exec_lo, s0
	s_cbranch_execz .LBB76_93
; %bb.88:
	s_mov_b32 s1, exec_lo
	v_cmpx_eq_u32_e32 5, v93
	s_cbranch_execz .LBB76_92
; %bb.89:
	v_cmp_ne_u32_e32 vcc_lo, 5, v84
	s_xor_b32 s2, s6, -1
	s_and_b32 s3, s2, vcc_lo
	s_and_saveexec_b32 s2, s3
	s_cbranch_execz .LBB76_91
; %bb.90:
	v_ashrrev_i32_e32 v85, 31, v84
	v_lshlrev_b64 v[85:86], 2, v[84:85]
	v_add_co_u32 v85, vcc_lo, v4, v85
	v_add_co_ci_u32_e64 v86, null, v5, v86, vcc_lo
	s_clause 0x1
	global_load_dword v92, v[85:86], off
	global_load_dword v93, v[4:5], off offset:20
	s_waitcnt vmcnt(1)
	global_store_dword v[4:5], v92, off offset:20
	s_waitcnt vmcnt(0)
	global_store_dword v[85:86], v93, off
.LBB76_91:
	s_or_b32 exec_lo, exec_lo, s2
	v_mov_b32_e32 v92, v84
	v_mov_b32_e32 v93, v84
.LBB76_92:
	s_or_b32 exec_lo, exec_lo, s1
.LBB76_93:
	s_andn2_saveexec_b32 s0, s0
	s_cbranch_execz .LBB76_95
; %bb.94:
	v_mov_b32_e32 v84, v70
	v_mov_b32_e32 v85, v71
	;; [unrolled: 1-line block ×8, first 2 shown]
	ds_write2_b64 v90, v[84:85], v[93:94] offset0:6 offset1:7
	ds_write2_b64 v90, v[95:96], v[97:98] offset0:8 offset1:9
	v_mov_b32_e32 v84, v60
	v_mov_b32_e32 v85, v61
	;; [unrolled: 1-line block ×20, first 2 shown]
	ds_write2_b64 v90, v[84:85], v[93:94] offset0:10 offset1:11
	ds_write2_b64 v90, v[95:96], v[97:98] offset0:12 offset1:13
	;; [unrolled: 1-line block ×5, first 2 shown]
	v_mov_b32_e32 v84, v40
	v_mov_b32_e32 v85, v41
	;; [unrolled: 1-line block ×20, first 2 shown]
	ds_write2_b64 v90, v[84:85], v[93:94] offset0:20 offset1:21
	ds_write2_b64 v90, v[95:96], v[97:98] offset0:22 offset1:23
	;; [unrolled: 1-line block ×5, first 2 shown]
	v_mov_b32_e32 v84, v20
	v_mov_b32_e32 v85, v21
	;; [unrolled: 1-line block ×8, first 2 shown]
	ds_write2_b64 v90, v[84:85], v[93:94] offset0:30 offset1:31
	v_mov_b32_e32 v93, 5
	v_mov_b32_e32 v99, v12
	v_mov_b32_e32 v100, v13
	v_mov_b32_e32 v101, v8
	v_mov_b32_e32 v102, v9
	v_mov_b32_e32 v103, v10
	v_mov_b32_e32 v104, v11
	v_mov_b32_e32 v105, v6
	v_mov_b32_e32 v106, v7
	ds_write2_b64 v90, v[95:96], v[97:98] offset0:32 offset1:33
	ds_write2_b64 v90, v[99:100], v[101:102] offset0:34 offset1:35
	;; [unrolled: 1-line block ×3, first 2 shown]
	ds_write_b64 v90, v[82:83] offset:304
.LBB76_95:
	s_or_b32 exec_lo, exec_lo, s0
	s_mov_b32 s0, exec_lo
	s_waitcnt lgkmcnt(0)
	s_waitcnt_vscnt null, 0x0
	s_barrier
	buffer_gl0_inv
	v_cmpx_lt_i32_e32 5, v93
	s_cbranch_execz .LBB76_97
; %bb.96:
	v_mul_f64 v[68:69], v[0:1], v[68:69]
	ds_read2_b64 v[94:97], v90 offset0:6 offset1:7
	ds_read2_b64 v[98:101], v90 offset0:8 offset1:9
	;; [unrolled: 1-line block ×13, first 2 shown]
	ds_read_b64 v[0:1], v90 offset:304
	s_waitcnt lgkmcnt(13)
	v_fma_f64 v[70:71], -v[68:69], v[94:95], v[70:71]
	v_fma_f64 v[64:65], -v[68:69], v[96:97], v[64:65]
	s_waitcnt lgkmcnt(12)
	v_fma_f64 v[66:67], -v[68:69], v[98:99], v[66:67]
	v_fma_f64 v[62:63], -v[68:69], v[100:101], v[62:63]
	;; [unrolled: 3-line block ×3, first 2 shown]
	ds_read2_b64 v[94:97], v90 offset0:32 offset1:33
	ds_read2_b64 v[98:101], v90 offset0:34 offset1:35
	;; [unrolled: 1-line block ×3, first 2 shown]
	s_waitcnt lgkmcnt(13)
	v_fma_f64 v[56:57], -v[68:69], v[106:107], v[56:57]
	v_fma_f64 v[54:55], -v[68:69], v[108:109], v[54:55]
	s_waitcnt lgkmcnt(12)
	v_fma_f64 v[52:53], -v[68:69], v[110:111], v[52:53]
	v_fma_f64 v[48:49], -v[68:69], v[112:113], v[48:49]
	s_waitcnt lgkmcnt(11)
	v_fma_f64 v[50:51], -v[68:69], v[114:115], v[50:51]
	v_fma_f64 v[44:45], -v[68:69], v[116:117], v[44:45]
	s_waitcnt lgkmcnt(10)
	v_fma_f64 v[46:47], -v[68:69], v[118:119], v[46:47]
	v_fma_f64 v[42:43], -v[68:69], v[120:121], v[42:43]
	s_waitcnt lgkmcnt(9)
	v_fma_f64 v[40:41], -v[68:69], v[122:123], v[40:41]
	v_fma_f64 v[38:39], -v[68:69], v[124:125], v[38:39]
	s_waitcnt lgkmcnt(8)
	v_fma_f64 v[36:37], -v[68:69], v[126:127], v[36:37]
	v_fma_f64 v[34:35], -v[68:69], v[128:129], v[34:35]
	s_waitcnt lgkmcnt(7)
	v_fma_f64 v[32:33], -v[68:69], v[130:131], v[32:33]
	v_fma_f64 v[28:29], -v[68:69], v[132:133], v[28:29]
	s_waitcnt lgkmcnt(6)
	v_fma_f64 v[30:31], -v[68:69], v[134:135], v[30:31]
	v_fma_f64 v[24:25], -v[68:69], v[136:137], v[24:25]
	s_waitcnt lgkmcnt(5)
	v_fma_f64 v[26:27], -v[68:69], v[138:139], v[26:27]
	v_fma_f64 v[22:23], -v[68:69], v[140:141], v[22:23]
	s_waitcnt lgkmcnt(4)
	v_fma_f64 v[20:21], -v[68:69], v[142:143], v[20:21]
	v_fma_f64 v[18:19], -v[68:69], v[144:145], v[18:19]
	s_waitcnt lgkmcnt(2)
	v_fma_f64 v[16:17], -v[68:69], v[94:95], v[16:17]
	v_fma_f64 v[14:15], -v[68:69], v[96:97], v[14:15]
	s_waitcnt lgkmcnt(1)
	v_fma_f64 v[12:13], -v[68:69], v[98:99], v[12:13]
	v_fma_f64 v[8:9], -v[68:69], v[100:101], v[8:9]
	s_waitcnt lgkmcnt(0)
	v_fma_f64 v[10:11], -v[68:69], v[102:103], v[10:11]
	v_fma_f64 v[6:7], -v[68:69], v[104:105], v[6:7]
	v_fma_f64 v[82:83], -v[68:69], v[0:1], v[82:83]
.LBB76_97:
	s_or_b32 exec_lo, exec_lo, s0
	v_lshl_add_u32 v0, v93, 3, v90
	s_barrier
	buffer_gl0_inv
	v_mov_b32_e32 v84, 6
	ds_write_b64 v0, v[70:71]
	s_waitcnt lgkmcnt(0)
	s_barrier
	buffer_gl0_inv
	ds_read_b64 v[0:1], v90 offset:48
	s_cmp_lt_i32 s7, 8
	s_cbranch_scc1 .LBB76_100
; %bb.98:
	v_add3_u32 v85, v91, 0, 56
	v_mov_b32_e32 v84, 6
	s_mov_b32 s0, 7
.LBB76_99:                              ; =>This Inner Loop Header: Depth=1
	ds_read_b64 v[94:95], v85
	v_add_nc_u32_e32 v85, 8, v85
	s_waitcnt lgkmcnt(0)
	v_cmp_lt_f64_e64 vcc_lo, |v[0:1]|, |v[94:95]|
	v_cndmask_b32_e32 v1, v1, v95, vcc_lo
	v_cndmask_b32_e32 v0, v0, v94, vcc_lo
	v_cndmask_b32_e64 v84, v84, s0, vcc_lo
	s_add_i32 s0, s0, 1
	s_cmp_lg_u32 s7, s0
	s_cbranch_scc1 .LBB76_99
.LBB76_100:
	s_mov_b32 s0, exec_lo
	s_waitcnt lgkmcnt(0)
	v_cmpx_eq_f64_e32 0, v[0:1]
	s_xor_b32 s0, exec_lo, s0
; %bb.101:
	v_cmp_ne_u32_e32 vcc_lo, 0, v87
	v_cndmask_b32_e32 v87, 7, v87, vcc_lo
; %bb.102:
	s_andn2_saveexec_b32 s0, s0
	s_cbranch_execz .LBB76_104
; %bb.103:
	v_div_scale_f64 v[85:86], null, v[0:1], v[0:1], 1.0
	v_rcp_f64_e32 v[94:95], v[85:86]
	v_fma_f64 v[96:97], -v[85:86], v[94:95], 1.0
	v_fma_f64 v[94:95], v[94:95], v[96:97], v[94:95]
	v_fma_f64 v[96:97], -v[85:86], v[94:95], 1.0
	v_fma_f64 v[94:95], v[94:95], v[96:97], v[94:95]
	v_div_scale_f64 v[96:97], vcc_lo, 1.0, v[0:1], 1.0
	v_mul_f64 v[98:99], v[96:97], v[94:95]
	v_fma_f64 v[85:86], -v[85:86], v[98:99], v[96:97]
	v_div_fmas_f64 v[85:86], v[85:86], v[94:95], v[98:99]
	v_div_fixup_f64 v[0:1], v[85:86], v[0:1], 1.0
.LBB76_104:
	s_or_b32 exec_lo, exec_lo, s0
	s_mov_b32 s0, exec_lo
	v_cmpx_ne_u32_e64 v93, v84
	s_xor_b32 s0, exec_lo, s0
	s_cbranch_execz .LBB76_110
; %bb.105:
	s_mov_b32 s1, exec_lo
	v_cmpx_eq_u32_e32 6, v93
	s_cbranch_execz .LBB76_109
; %bb.106:
	v_cmp_ne_u32_e32 vcc_lo, 6, v84
	s_xor_b32 s2, s6, -1
	s_and_b32 s3, s2, vcc_lo
	s_and_saveexec_b32 s2, s3
	s_cbranch_execz .LBB76_108
; %bb.107:
	v_ashrrev_i32_e32 v85, 31, v84
	v_lshlrev_b64 v[85:86], 2, v[84:85]
	v_add_co_u32 v85, vcc_lo, v4, v85
	v_add_co_ci_u32_e64 v86, null, v5, v86, vcc_lo
	s_clause 0x1
	global_load_dword v92, v[85:86], off
	global_load_dword v93, v[4:5], off offset:24
	s_waitcnt vmcnt(1)
	global_store_dword v[4:5], v92, off offset:24
	s_waitcnt vmcnt(0)
	global_store_dword v[85:86], v93, off
.LBB76_108:
	s_or_b32 exec_lo, exec_lo, s2
	v_mov_b32_e32 v92, v84
	v_mov_b32_e32 v93, v84
.LBB76_109:
	s_or_b32 exec_lo, exec_lo, s1
.LBB76_110:
	s_andn2_saveexec_b32 s0, s0
	s_cbranch_execz .LBB76_112
; %bb.111:
	v_mov_b32_e32 v93, 6
	ds_write2_b64 v90, v[64:65], v[66:67] offset0:7 offset1:8
	ds_write2_b64 v90, v[62:63], v[60:61] offset0:9 offset1:10
	;; [unrolled: 1-line block ×16, first 2 shown]
.LBB76_112:
	s_or_b32 exec_lo, exec_lo, s0
	s_mov_b32 s0, exec_lo
	s_waitcnt lgkmcnt(0)
	s_waitcnt_vscnt null, 0x0
	s_barrier
	buffer_gl0_inv
	v_cmpx_lt_i32_e32 6, v93
	s_cbranch_execz .LBB76_114
; %bb.113:
	v_mul_f64 v[70:71], v[0:1], v[70:71]
	ds_read2_b64 v[94:97], v90 offset0:7 offset1:8
	ds_read2_b64 v[98:101], v90 offset0:9 offset1:10
	;; [unrolled: 1-line block ×13, first 2 shown]
	s_waitcnt lgkmcnt(12)
	v_fma_f64 v[64:65], -v[70:71], v[94:95], v[64:65]
	v_fma_f64 v[66:67], -v[70:71], v[96:97], v[66:67]
	s_waitcnt lgkmcnt(11)
	v_fma_f64 v[62:63], -v[70:71], v[98:99], v[62:63]
	v_fma_f64 v[60:61], -v[70:71], v[100:101], v[60:61]
	;; [unrolled: 3-line block ×3, first 2 shown]
	ds_read2_b64 v[94:97], v90 offset0:33 offset1:34
	ds_read2_b64 v[98:101], v90 offset0:35 offset1:36
	;; [unrolled: 1-line block ×3, first 2 shown]
	s_waitcnt lgkmcnt(12)
	v_fma_f64 v[54:55], -v[70:71], v[106:107], v[54:55]
	v_fma_f64 v[52:53], -v[70:71], v[108:109], v[52:53]
	s_waitcnt lgkmcnt(11)
	v_fma_f64 v[48:49], -v[70:71], v[110:111], v[48:49]
	v_fma_f64 v[50:51], -v[70:71], v[112:113], v[50:51]
	;; [unrolled: 3-line block ×13, first 2 shown]
.LBB76_114:
	s_or_b32 exec_lo, exec_lo, s0
	v_lshl_add_u32 v0, v93, 3, v90
	s_barrier
	buffer_gl0_inv
	v_mov_b32_e32 v84, 7
	ds_write_b64 v0, v[64:65]
	s_waitcnt lgkmcnt(0)
	s_barrier
	buffer_gl0_inv
	ds_read_b64 v[0:1], v90 offset:56
	s_cmp_lt_i32 s7, 9
	s_cbranch_scc1 .LBB76_117
; %bb.115:
	v_add3_u32 v85, v91, 0, 64
	v_mov_b32_e32 v84, 7
	s_mov_b32 s0, 8
.LBB76_116:                             ; =>This Inner Loop Header: Depth=1
	ds_read_b64 v[94:95], v85
	v_add_nc_u32_e32 v85, 8, v85
	s_waitcnt lgkmcnt(0)
	v_cmp_lt_f64_e64 vcc_lo, |v[0:1]|, |v[94:95]|
	v_cndmask_b32_e32 v1, v1, v95, vcc_lo
	v_cndmask_b32_e32 v0, v0, v94, vcc_lo
	v_cndmask_b32_e64 v84, v84, s0, vcc_lo
	s_add_i32 s0, s0, 1
	s_cmp_lg_u32 s7, s0
	s_cbranch_scc1 .LBB76_116
.LBB76_117:
	s_mov_b32 s0, exec_lo
	s_waitcnt lgkmcnt(0)
	v_cmpx_eq_f64_e32 0, v[0:1]
	s_xor_b32 s0, exec_lo, s0
; %bb.118:
	v_cmp_ne_u32_e32 vcc_lo, 0, v87
	v_cndmask_b32_e32 v87, 8, v87, vcc_lo
; %bb.119:
	s_andn2_saveexec_b32 s0, s0
	s_cbranch_execz .LBB76_121
; %bb.120:
	v_div_scale_f64 v[85:86], null, v[0:1], v[0:1], 1.0
	v_rcp_f64_e32 v[94:95], v[85:86]
	v_fma_f64 v[96:97], -v[85:86], v[94:95], 1.0
	v_fma_f64 v[94:95], v[94:95], v[96:97], v[94:95]
	v_fma_f64 v[96:97], -v[85:86], v[94:95], 1.0
	v_fma_f64 v[94:95], v[94:95], v[96:97], v[94:95]
	v_div_scale_f64 v[96:97], vcc_lo, 1.0, v[0:1], 1.0
	v_mul_f64 v[98:99], v[96:97], v[94:95]
	v_fma_f64 v[85:86], -v[85:86], v[98:99], v[96:97]
	v_div_fmas_f64 v[85:86], v[85:86], v[94:95], v[98:99]
	v_div_fixup_f64 v[0:1], v[85:86], v[0:1], 1.0
.LBB76_121:
	s_or_b32 exec_lo, exec_lo, s0
	s_mov_b32 s0, exec_lo
	v_cmpx_ne_u32_e64 v93, v84
	s_xor_b32 s0, exec_lo, s0
	s_cbranch_execz .LBB76_127
; %bb.122:
	s_mov_b32 s1, exec_lo
	v_cmpx_eq_u32_e32 7, v93
	s_cbranch_execz .LBB76_126
; %bb.123:
	v_cmp_ne_u32_e32 vcc_lo, 7, v84
	s_xor_b32 s2, s6, -1
	s_and_b32 s3, s2, vcc_lo
	s_and_saveexec_b32 s2, s3
	s_cbranch_execz .LBB76_125
; %bb.124:
	v_ashrrev_i32_e32 v85, 31, v84
	v_lshlrev_b64 v[85:86], 2, v[84:85]
	v_add_co_u32 v85, vcc_lo, v4, v85
	v_add_co_ci_u32_e64 v86, null, v5, v86, vcc_lo
	s_clause 0x1
	global_load_dword v92, v[85:86], off
	global_load_dword v93, v[4:5], off offset:28
	s_waitcnt vmcnt(1)
	global_store_dword v[4:5], v92, off offset:28
	s_waitcnt vmcnt(0)
	global_store_dword v[85:86], v93, off
.LBB76_125:
	s_or_b32 exec_lo, exec_lo, s2
	v_mov_b32_e32 v92, v84
	v_mov_b32_e32 v93, v84
.LBB76_126:
	s_or_b32 exec_lo, exec_lo, s1
.LBB76_127:
	s_andn2_saveexec_b32 s0, s0
	s_cbranch_execz .LBB76_129
; %bb.128:
	v_mov_b32_e32 v84, v66
	v_mov_b32_e32 v85, v67
	;; [unrolled: 1-line block ×8, first 2 shown]
	ds_write2_b64 v90, v[84:85], v[93:94] offset0:8 offset1:9
	v_mov_b32_e32 v84, v58
	v_mov_b32_e32 v85, v59
	;; [unrolled: 1-line block ×16, first 2 shown]
	ds_write2_b64 v90, v[95:96], v[84:85] offset0:10 offset1:11
	ds_write2_b64 v90, v[93:94], v[97:98] offset0:12 offset1:13
	;; [unrolled: 1-line block ×5, first 2 shown]
	v_mov_b32_e32 v84, v40
	v_mov_b32_e32 v85, v41
	;; [unrolled: 1-line block ×20, first 2 shown]
	ds_write2_b64 v90, v[84:85], v[93:94] offset0:20 offset1:21
	ds_write2_b64 v90, v[95:96], v[97:98] offset0:22 offset1:23
	;; [unrolled: 1-line block ×5, first 2 shown]
	v_mov_b32_e32 v84, v20
	v_mov_b32_e32 v85, v21
	;; [unrolled: 1-line block ×8, first 2 shown]
	ds_write2_b64 v90, v[84:85], v[93:94] offset0:30 offset1:31
	v_mov_b32_e32 v93, 7
	v_mov_b32_e32 v99, v12
	;; [unrolled: 1-line block ×9, first 2 shown]
	ds_write2_b64 v90, v[95:96], v[97:98] offset0:32 offset1:33
	ds_write2_b64 v90, v[99:100], v[101:102] offset0:34 offset1:35
	;; [unrolled: 1-line block ×3, first 2 shown]
	ds_write_b64 v90, v[82:83] offset:304
.LBB76_129:
	s_or_b32 exec_lo, exec_lo, s0
	s_mov_b32 s0, exec_lo
	s_waitcnt lgkmcnt(0)
	s_waitcnt_vscnt null, 0x0
	s_barrier
	buffer_gl0_inv
	v_cmpx_lt_i32_e32 7, v93
	s_cbranch_execz .LBB76_131
; %bb.130:
	v_mul_f64 v[64:65], v[0:1], v[64:65]
	ds_read2_b64 v[94:97], v90 offset0:8 offset1:9
	ds_read2_b64 v[98:101], v90 offset0:10 offset1:11
	;; [unrolled: 1-line block ×13, first 2 shown]
	ds_read_b64 v[0:1], v90 offset:304
	s_waitcnt lgkmcnt(13)
	v_fma_f64 v[66:67], -v[64:65], v[94:95], v[66:67]
	v_fma_f64 v[62:63], -v[64:65], v[96:97], v[62:63]
	s_waitcnt lgkmcnt(12)
	v_fma_f64 v[60:61], -v[64:65], v[98:99], v[60:61]
	v_fma_f64 v[58:59], -v[64:65], v[100:101], v[58:59]
	ds_read2_b64 v[94:97], v90 offset0:34 offset1:35
	ds_read2_b64 v[98:101], v90 offset0:36 offset1:37
	s_waitcnt lgkmcnt(13)
	v_fma_f64 v[56:57], -v[64:65], v[102:103], v[56:57]
	v_fma_f64 v[54:55], -v[64:65], v[104:105], v[54:55]
	s_waitcnt lgkmcnt(12)
	v_fma_f64 v[52:53], -v[64:65], v[106:107], v[52:53]
	v_fma_f64 v[48:49], -v[64:65], v[108:109], v[48:49]
	;; [unrolled: 3-line block ×13, first 2 shown]
	v_fma_f64 v[82:83], -v[64:65], v[0:1], v[82:83]
.LBB76_131:
	s_or_b32 exec_lo, exec_lo, s0
	v_lshl_add_u32 v0, v93, 3, v90
	s_barrier
	buffer_gl0_inv
	v_mov_b32_e32 v84, 8
	ds_write_b64 v0, v[66:67]
	s_waitcnt lgkmcnt(0)
	s_barrier
	buffer_gl0_inv
	ds_read_b64 v[0:1], v90 offset:64
	s_cmp_lt_i32 s7, 10
	s_cbranch_scc1 .LBB76_134
; %bb.132:
	v_add3_u32 v85, v91, 0, 0x48
	v_mov_b32_e32 v84, 8
	s_mov_b32 s0, 9
.LBB76_133:                             ; =>This Inner Loop Header: Depth=1
	ds_read_b64 v[94:95], v85
	v_add_nc_u32_e32 v85, 8, v85
	s_waitcnt lgkmcnt(0)
	v_cmp_lt_f64_e64 vcc_lo, |v[0:1]|, |v[94:95]|
	v_cndmask_b32_e32 v1, v1, v95, vcc_lo
	v_cndmask_b32_e32 v0, v0, v94, vcc_lo
	v_cndmask_b32_e64 v84, v84, s0, vcc_lo
	s_add_i32 s0, s0, 1
	s_cmp_lg_u32 s7, s0
	s_cbranch_scc1 .LBB76_133
.LBB76_134:
	s_mov_b32 s0, exec_lo
	s_waitcnt lgkmcnt(0)
	v_cmpx_eq_f64_e32 0, v[0:1]
	s_xor_b32 s0, exec_lo, s0
; %bb.135:
	v_cmp_ne_u32_e32 vcc_lo, 0, v87
	v_cndmask_b32_e32 v87, 9, v87, vcc_lo
; %bb.136:
	s_andn2_saveexec_b32 s0, s0
	s_cbranch_execz .LBB76_138
; %bb.137:
	v_div_scale_f64 v[85:86], null, v[0:1], v[0:1], 1.0
	v_rcp_f64_e32 v[94:95], v[85:86]
	v_fma_f64 v[96:97], -v[85:86], v[94:95], 1.0
	v_fma_f64 v[94:95], v[94:95], v[96:97], v[94:95]
	v_fma_f64 v[96:97], -v[85:86], v[94:95], 1.0
	v_fma_f64 v[94:95], v[94:95], v[96:97], v[94:95]
	v_div_scale_f64 v[96:97], vcc_lo, 1.0, v[0:1], 1.0
	v_mul_f64 v[98:99], v[96:97], v[94:95]
	v_fma_f64 v[85:86], -v[85:86], v[98:99], v[96:97]
	v_div_fmas_f64 v[85:86], v[85:86], v[94:95], v[98:99]
	v_div_fixup_f64 v[0:1], v[85:86], v[0:1], 1.0
.LBB76_138:
	s_or_b32 exec_lo, exec_lo, s0
	s_mov_b32 s0, exec_lo
	v_cmpx_ne_u32_e64 v93, v84
	s_xor_b32 s0, exec_lo, s0
	s_cbranch_execz .LBB76_144
; %bb.139:
	s_mov_b32 s1, exec_lo
	v_cmpx_eq_u32_e32 8, v93
	s_cbranch_execz .LBB76_143
; %bb.140:
	v_cmp_ne_u32_e32 vcc_lo, 8, v84
	s_xor_b32 s2, s6, -1
	s_and_b32 s3, s2, vcc_lo
	s_and_saveexec_b32 s2, s3
	s_cbranch_execz .LBB76_142
; %bb.141:
	v_ashrrev_i32_e32 v85, 31, v84
	v_lshlrev_b64 v[85:86], 2, v[84:85]
	v_add_co_u32 v85, vcc_lo, v4, v85
	v_add_co_ci_u32_e64 v86, null, v5, v86, vcc_lo
	s_clause 0x1
	global_load_dword v92, v[85:86], off
	global_load_dword v93, v[4:5], off offset:32
	s_waitcnt vmcnt(1)
	global_store_dword v[4:5], v92, off offset:32
	s_waitcnt vmcnt(0)
	global_store_dword v[85:86], v93, off
.LBB76_142:
	s_or_b32 exec_lo, exec_lo, s2
	v_mov_b32_e32 v92, v84
	v_mov_b32_e32 v93, v84
.LBB76_143:
	s_or_b32 exec_lo, exec_lo, s1
.LBB76_144:
	s_andn2_saveexec_b32 s0, s0
	s_cbranch_execz .LBB76_146
; %bb.145:
	v_mov_b32_e32 v93, 8
	ds_write2_b64 v90, v[62:63], v[60:61] offset0:9 offset1:10
	ds_write2_b64 v90, v[58:59], v[56:57] offset0:11 offset1:12
	;; [unrolled: 1-line block ×15, first 2 shown]
.LBB76_146:
	s_or_b32 exec_lo, exec_lo, s0
	s_mov_b32 s0, exec_lo
	s_waitcnt lgkmcnt(0)
	s_waitcnt_vscnt null, 0x0
	s_barrier
	buffer_gl0_inv
	v_cmpx_lt_i32_e32 8, v93
	s_cbranch_execz .LBB76_148
; %bb.147:
	v_mul_f64 v[66:67], v[0:1], v[66:67]
	ds_read2_b64 v[94:97], v90 offset0:9 offset1:10
	ds_read2_b64 v[98:101], v90 offset0:11 offset1:12
	ds_read2_b64 v[102:105], v90 offset0:13 offset1:14
	ds_read2_b64 v[106:109], v90 offset0:15 offset1:16
	ds_read2_b64 v[110:113], v90 offset0:17 offset1:18
	ds_read2_b64 v[114:117], v90 offset0:19 offset1:20
	ds_read2_b64 v[118:121], v90 offset0:21 offset1:22
	ds_read2_b64 v[122:125], v90 offset0:23 offset1:24
	ds_read2_b64 v[126:129], v90 offset0:25 offset1:26
	ds_read2_b64 v[130:133], v90 offset0:27 offset1:28
	ds_read2_b64 v[134:137], v90 offset0:29 offset1:30
	ds_read2_b64 v[138:141], v90 offset0:31 offset1:32
	ds_read2_b64 v[142:145], v90 offset0:33 offset1:34
	ds_read2_b64 v[146:149], v90 offset0:35 offset1:36
	s_waitcnt lgkmcnt(13)
	v_fma_f64 v[62:63], -v[66:67], v[94:95], v[62:63]
	v_fma_f64 v[60:61], -v[66:67], v[96:97], v[60:61]
	ds_read2_b64 v[94:97], v90 offset0:37 offset1:38
	s_waitcnt lgkmcnt(13)
	v_fma_f64 v[58:59], -v[66:67], v[98:99], v[58:59]
	v_fma_f64 v[56:57], -v[66:67], v[100:101], v[56:57]
	s_waitcnt lgkmcnt(12)
	v_fma_f64 v[54:55], -v[66:67], v[102:103], v[54:55]
	v_fma_f64 v[52:53], -v[66:67], v[104:105], v[52:53]
	;; [unrolled: 3-line block ×14, first 2 shown]
.LBB76_148:
	s_or_b32 exec_lo, exec_lo, s0
	v_lshl_add_u32 v0, v93, 3, v90
	s_barrier
	buffer_gl0_inv
	v_mov_b32_e32 v84, 9
	ds_write_b64 v0, v[62:63]
	s_waitcnt lgkmcnt(0)
	s_barrier
	buffer_gl0_inv
	ds_read_b64 v[0:1], v90 offset:72
	s_cmp_lt_i32 s7, 11
	s_cbranch_scc1 .LBB76_151
; %bb.149:
	v_add3_u32 v85, v91, 0, 0x50
	v_mov_b32_e32 v84, 9
	s_mov_b32 s0, 10
.LBB76_150:                             ; =>This Inner Loop Header: Depth=1
	ds_read_b64 v[94:95], v85
	v_add_nc_u32_e32 v85, 8, v85
	s_waitcnt lgkmcnt(0)
	v_cmp_lt_f64_e64 vcc_lo, |v[0:1]|, |v[94:95]|
	v_cndmask_b32_e32 v1, v1, v95, vcc_lo
	v_cndmask_b32_e32 v0, v0, v94, vcc_lo
	v_cndmask_b32_e64 v84, v84, s0, vcc_lo
	s_add_i32 s0, s0, 1
	s_cmp_lg_u32 s7, s0
	s_cbranch_scc1 .LBB76_150
.LBB76_151:
	s_mov_b32 s0, exec_lo
	s_waitcnt lgkmcnt(0)
	v_cmpx_eq_f64_e32 0, v[0:1]
	s_xor_b32 s0, exec_lo, s0
; %bb.152:
	v_cmp_ne_u32_e32 vcc_lo, 0, v87
	v_cndmask_b32_e32 v87, 10, v87, vcc_lo
; %bb.153:
	s_andn2_saveexec_b32 s0, s0
	s_cbranch_execz .LBB76_155
; %bb.154:
	v_div_scale_f64 v[85:86], null, v[0:1], v[0:1], 1.0
	v_rcp_f64_e32 v[94:95], v[85:86]
	v_fma_f64 v[96:97], -v[85:86], v[94:95], 1.0
	v_fma_f64 v[94:95], v[94:95], v[96:97], v[94:95]
	v_fma_f64 v[96:97], -v[85:86], v[94:95], 1.0
	v_fma_f64 v[94:95], v[94:95], v[96:97], v[94:95]
	v_div_scale_f64 v[96:97], vcc_lo, 1.0, v[0:1], 1.0
	v_mul_f64 v[98:99], v[96:97], v[94:95]
	v_fma_f64 v[85:86], -v[85:86], v[98:99], v[96:97]
	v_div_fmas_f64 v[85:86], v[85:86], v[94:95], v[98:99]
	v_div_fixup_f64 v[0:1], v[85:86], v[0:1], 1.0
.LBB76_155:
	s_or_b32 exec_lo, exec_lo, s0
	s_mov_b32 s0, exec_lo
	v_cmpx_ne_u32_e64 v93, v84
	s_xor_b32 s0, exec_lo, s0
	s_cbranch_execz .LBB76_161
; %bb.156:
	s_mov_b32 s1, exec_lo
	v_cmpx_eq_u32_e32 9, v93
	s_cbranch_execz .LBB76_160
; %bb.157:
	v_cmp_ne_u32_e32 vcc_lo, 9, v84
	s_xor_b32 s2, s6, -1
	s_and_b32 s3, s2, vcc_lo
	s_and_saveexec_b32 s2, s3
	s_cbranch_execz .LBB76_159
; %bb.158:
	v_ashrrev_i32_e32 v85, 31, v84
	v_lshlrev_b64 v[85:86], 2, v[84:85]
	v_add_co_u32 v85, vcc_lo, v4, v85
	v_add_co_ci_u32_e64 v86, null, v5, v86, vcc_lo
	s_clause 0x1
	global_load_dword v92, v[85:86], off
	global_load_dword v93, v[4:5], off offset:36
	s_waitcnt vmcnt(1)
	global_store_dword v[4:5], v92, off offset:36
	s_waitcnt vmcnt(0)
	global_store_dword v[85:86], v93, off
.LBB76_159:
	s_or_b32 exec_lo, exec_lo, s2
	v_mov_b32_e32 v92, v84
	v_mov_b32_e32 v93, v84
.LBB76_160:
	s_or_b32 exec_lo, exec_lo, s1
.LBB76_161:
	s_andn2_saveexec_b32 s0, s0
	s_cbranch_execz .LBB76_163
; %bb.162:
	v_mov_b32_e32 v84, v60
	v_mov_b32_e32 v85, v61
	;; [unrolled: 1-line block ×20, first 2 shown]
	ds_write2_b64 v90, v[84:85], v[93:94] offset0:10 offset1:11
	ds_write2_b64 v90, v[95:96], v[97:98] offset0:12 offset1:13
	;; [unrolled: 1-line block ×5, first 2 shown]
	v_mov_b32_e32 v84, v40
	v_mov_b32_e32 v85, v41
	;; [unrolled: 1-line block ×20, first 2 shown]
	ds_write2_b64 v90, v[84:85], v[93:94] offset0:20 offset1:21
	ds_write2_b64 v90, v[95:96], v[97:98] offset0:22 offset1:23
	;; [unrolled: 1-line block ×5, first 2 shown]
	v_mov_b32_e32 v84, v20
	v_mov_b32_e32 v85, v21
	;; [unrolled: 1-line block ×8, first 2 shown]
	ds_write2_b64 v90, v[84:85], v[93:94] offset0:30 offset1:31
	v_mov_b32_e32 v93, 9
	v_mov_b32_e32 v99, v12
	;; [unrolled: 1-line block ×9, first 2 shown]
	ds_write2_b64 v90, v[95:96], v[97:98] offset0:32 offset1:33
	ds_write2_b64 v90, v[99:100], v[101:102] offset0:34 offset1:35
	;; [unrolled: 1-line block ×3, first 2 shown]
	ds_write_b64 v90, v[82:83] offset:304
.LBB76_163:
	s_or_b32 exec_lo, exec_lo, s0
	s_mov_b32 s0, exec_lo
	s_waitcnt lgkmcnt(0)
	s_waitcnt_vscnt null, 0x0
	s_barrier
	buffer_gl0_inv
	v_cmpx_lt_i32_e32 9, v93
	s_cbranch_execz .LBB76_165
; %bb.164:
	v_mul_f64 v[62:63], v[0:1], v[62:63]
	ds_read2_b64 v[94:97], v90 offset0:10 offset1:11
	ds_read2_b64 v[98:101], v90 offset0:12 offset1:13
	;; [unrolled: 1-line block ×14, first 2 shown]
	ds_read_b64 v[0:1], v90 offset:304
	s_waitcnt lgkmcnt(14)
	v_fma_f64 v[60:61], -v[62:63], v[94:95], v[60:61]
	v_fma_f64 v[58:59], -v[62:63], v[96:97], v[58:59]
	s_waitcnt lgkmcnt(13)
	v_fma_f64 v[56:57], -v[62:63], v[98:99], v[56:57]
	v_fma_f64 v[54:55], -v[62:63], v[100:101], v[54:55]
	s_waitcnt lgkmcnt(12)
	v_fma_f64 v[52:53], -v[62:63], v[102:103], v[52:53]
	v_fma_f64 v[48:49], -v[62:63], v[104:105], v[48:49]
	s_waitcnt lgkmcnt(11)
	v_fma_f64 v[50:51], -v[62:63], v[106:107], v[50:51]
	v_fma_f64 v[44:45], -v[62:63], v[108:109], v[44:45]
	s_waitcnt lgkmcnt(10)
	v_fma_f64 v[46:47], -v[62:63], v[110:111], v[46:47]
	v_fma_f64 v[42:43], -v[62:63], v[112:113], v[42:43]
	s_waitcnt lgkmcnt(9)
	v_fma_f64 v[40:41], -v[62:63], v[114:115], v[40:41]
	v_fma_f64 v[38:39], -v[62:63], v[116:117], v[38:39]
	s_waitcnt lgkmcnt(8)
	v_fma_f64 v[36:37], -v[62:63], v[118:119], v[36:37]
	v_fma_f64 v[34:35], -v[62:63], v[120:121], v[34:35]
	s_waitcnt lgkmcnt(7)
	v_fma_f64 v[32:33], -v[62:63], v[122:123], v[32:33]
	v_fma_f64 v[28:29], -v[62:63], v[124:125], v[28:29]
	s_waitcnt lgkmcnt(6)
	v_fma_f64 v[30:31], -v[62:63], v[126:127], v[30:31]
	v_fma_f64 v[24:25], -v[62:63], v[128:129], v[24:25]
	s_waitcnt lgkmcnt(5)
	v_fma_f64 v[26:27], -v[62:63], v[130:131], v[26:27]
	v_fma_f64 v[22:23], -v[62:63], v[132:133], v[22:23]
	s_waitcnt lgkmcnt(4)
	v_fma_f64 v[20:21], -v[62:63], v[134:135], v[20:21]
	v_fma_f64 v[18:19], -v[62:63], v[136:137], v[18:19]
	s_waitcnt lgkmcnt(3)
	v_fma_f64 v[16:17], -v[62:63], v[138:139], v[16:17]
	v_fma_f64 v[14:15], -v[62:63], v[140:141], v[14:15]
	s_waitcnt lgkmcnt(2)
	v_fma_f64 v[12:13], -v[62:63], v[142:143], v[12:13]
	v_fma_f64 v[8:9], -v[62:63], v[144:145], v[8:9]
	s_waitcnt lgkmcnt(1)
	v_fma_f64 v[10:11], -v[62:63], v[146:147], v[10:11]
	v_fma_f64 v[6:7], -v[62:63], v[148:149], v[6:7]
	s_waitcnt lgkmcnt(0)
	v_fma_f64 v[82:83], -v[62:63], v[0:1], v[82:83]
.LBB76_165:
	s_or_b32 exec_lo, exec_lo, s0
	v_lshl_add_u32 v0, v93, 3, v90
	s_barrier
	buffer_gl0_inv
	v_mov_b32_e32 v84, 10
	ds_write_b64 v0, v[60:61]
	s_waitcnt lgkmcnt(0)
	s_barrier
	buffer_gl0_inv
	ds_read_b64 v[0:1], v90 offset:80
	s_cmp_lt_i32 s7, 12
	s_cbranch_scc1 .LBB76_168
; %bb.166:
	v_add3_u32 v85, v91, 0, 0x58
	v_mov_b32_e32 v84, 10
	s_mov_b32 s0, 11
.LBB76_167:                             ; =>This Inner Loop Header: Depth=1
	ds_read_b64 v[94:95], v85
	v_add_nc_u32_e32 v85, 8, v85
	s_waitcnt lgkmcnt(0)
	v_cmp_lt_f64_e64 vcc_lo, |v[0:1]|, |v[94:95]|
	v_cndmask_b32_e32 v1, v1, v95, vcc_lo
	v_cndmask_b32_e32 v0, v0, v94, vcc_lo
	v_cndmask_b32_e64 v84, v84, s0, vcc_lo
	s_add_i32 s0, s0, 1
	s_cmp_lg_u32 s7, s0
	s_cbranch_scc1 .LBB76_167
.LBB76_168:
	s_mov_b32 s0, exec_lo
	s_waitcnt lgkmcnt(0)
	v_cmpx_eq_f64_e32 0, v[0:1]
	s_xor_b32 s0, exec_lo, s0
; %bb.169:
	v_cmp_ne_u32_e32 vcc_lo, 0, v87
	v_cndmask_b32_e32 v87, 11, v87, vcc_lo
; %bb.170:
	s_andn2_saveexec_b32 s0, s0
	s_cbranch_execz .LBB76_172
; %bb.171:
	v_div_scale_f64 v[85:86], null, v[0:1], v[0:1], 1.0
	v_rcp_f64_e32 v[94:95], v[85:86]
	v_fma_f64 v[96:97], -v[85:86], v[94:95], 1.0
	v_fma_f64 v[94:95], v[94:95], v[96:97], v[94:95]
	v_fma_f64 v[96:97], -v[85:86], v[94:95], 1.0
	v_fma_f64 v[94:95], v[94:95], v[96:97], v[94:95]
	v_div_scale_f64 v[96:97], vcc_lo, 1.0, v[0:1], 1.0
	v_mul_f64 v[98:99], v[96:97], v[94:95]
	v_fma_f64 v[85:86], -v[85:86], v[98:99], v[96:97]
	v_div_fmas_f64 v[85:86], v[85:86], v[94:95], v[98:99]
	v_div_fixup_f64 v[0:1], v[85:86], v[0:1], 1.0
.LBB76_172:
	s_or_b32 exec_lo, exec_lo, s0
	s_mov_b32 s0, exec_lo
	v_cmpx_ne_u32_e64 v93, v84
	s_xor_b32 s0, exec_lo, s0
	s_cbranch_execz .LBB76_178
; %bb.173:
	s_mov_b32 s1, exec_lo
	v_cmpx_eq_u32_e32 10, v93
	s_cbranch_execz .LBB76_177
; %bb.174:
	v_cmp_ne_u32_e32 vcc_lo, 10, v84
	s_xor_b32 s2, s6, -1
	s_and_b32 s3, s2, vcc_lo
	s_and_saveexec_b32 s2, s3
	s_cbranch_execz .LBB76_176
; %bb.175:
	v_ashrrev_i32_e32 v85, 31, v84
	v_lshlrev_b64 v[85:86], 2, v[84:85]
	v_add_co_u32 v85, vcc_lo, v4, v85
	v_add_co_ci_u32_e64 v86, null, v5, v86, vcc_lo
	s_clause 0x1
	global_load_dword v92, v[85:86], off
	global_load_dword v93, v[4:5], off offset:40
	s_waitcnt vmcnt(1)
	global_store_dword v[4:5], v92, off offset:40
	s_waitcnt vmcnt(0)
	global_store_dword v[85:86], v93, off
.LBB76_176:
	s_or_b32 exec_lo, exec_lo, s2
	v_mov_b32_e32 v92, v84
	v_mov_b32_e32 v93, v84
.LBB76_177:
	s_or_b32 exec_lo, exec_lo, s1
.LBB76_178:
	s_andn2_saveexec_b32 s0, s0
	s_cbranch_execz .LBB76_180
; %bb.179:
	v_mov_b32_e32 v93, 10
	ds_write2_b64 v90, v[58:59], v[56:57] offset0:11 offset1:12
	ds_write2_b64 v90, v[54:55], v[52:53] offset0:13 offset1:14
	;; [unrolled: 1-line block ×14, first 2 shown]
.LBB76_180:
	s_or_b32 exec_lo, exec_lo, s0
	s_mov_b32 s0, exec_lo
	s_waitcnt lgkmcnt(0)
	s_waitcnt_vscnt null, 0x0
	s_barrier
	buffer_gl0_inv
	v_cmpx_lt_i32_e32 10, v93
	s_cbranch_execz .LBB76_182
; %bb.181:
	v_mul_f64 v[60:61], v[0:1], v[60:61]
	ds_read2_b64 v[94:97], v90 offset0:11 offset1:12
	ds_read2_b64 v[98:101], v90 offset0:13 offset1:14
	;; [unrolled: 1-line block ×14, first 2 shown]
	s_waitcnt lgkmcnt(13)
	v_fma_f64 v[58:59], -v[60:61], v[94:95], v[58:59]
	v_fma_f64 v[56:57], -v[60:61], v[96:97], v[56:57]
	s_waitcnt lgkmcnt(12)
	v_fma_f64 v[54:55], -v[60:61], v[98:99], v[54:55]
	v_fma_f64 v[52:53], -v[60:61], v[100:101], v[52:53]
	;; [unrolled: 3-line block ×14, first 2 shown]
.LBB76_182:
	s_or_b32 exec_lo, exec_lo, s0
	v_lshl_add_u32 v0, v93, 3, v90
	s_barrier
	buffer_gl0_inv
	v_mov_b32_e32 v84, 11
	ds_write_b64 v0, v[58:59]
	s_waitcnt lgkmcnt(0)
	s_barrier
	buffer_gl0_inv
	ds_read_b64 v[0:1], v90 offset:88
	s_cmp_lt_i32 s7, 13
	s_cbranch_scc1 .LBB76_185
; %bb.183:
	v_add3_u32 v85, v91, 0, 0x60
	v_mov_b32_e32 v84, 11
	s_mov_b32 s0, 12
.LBB76_184:                             ; =>This Inner Loop Header: Depth=1
	ds_read_b64 v[94:95], v85
	v_add_nc_u32_e32 v85, 8, v85
	s_waitcnt lgkmcnt(0)
	v_cmp_lt_f64_e64 vcc_lo, |v[0:1]|, |v[94:95]|
	v_cndmask_b32_e32 v1, v1, v95, vcc_lo
	v_cndmask_b32_e32 v0, v0, v94, vcc_lo
	v_cndmask_b32_e64 v84, v84, s0, vcc_lo
	s_add_i32 s0, s0, 1
	s_cmp_lg_u32 s7, s0
	s_cbranch_scc1 .LBB76_184
.LBB76_185:
	s_mov_b32 s0, exec_lo
	s_waitcnt lgkmcnt(0)
	v_cmpx_eq_f64_e32 0, v[0:1]
	s_xor_b32 s0, exec_lo, s0
; %bb.186:
	v_cmp_ne_u32_e32 vcc_lo, 0, v87
	v_cndmask_b32_e32 v87, 12, v87, vcc_lo
; %bb.187:
	s_andn2_saveexec_b32 s0, s0
	s_cbranch_execz .LBB76_189
; %bb.188:
	v_div_scale_f64 v[85:86], null, v[0:1], v[0:1], 1.0
	v_rcp_f64_e32 v[94:95], v[85:86]
	v_fma_f64 v[96:97], -v[85:86], v[94:95], 1.0
	v_fma_f64 v[94:95], v[94:95], v[96:97], v[94:95]
	v_fma_f64 v[96:97], -v[85:86], v[94:95], 1.0
	v_fma_f64 v[94:95], v[94:95], v[96:97], v[94:95]
	v_div_scale_f64 v[96:97], vcc_lo, 1.0, v[0:1], 1.0
	v_mul_f64 v[98:99], v[96:97], v[94:95]
	v_fma_f64 v[85:86], -v[85:86], v[98:99], v[96:97]
	v_div_fmas_f64 v[85:86], v[85:86], v[94:95], v[98:99]
	v_div_fixup_f64 v[0:1], v[85:86], v[0:1], 1.0
.LBB76_189:
	s_or_b32 exec_lo, exec_lo, s0
	s_mov_b32 s0, exec_lo
	v_cmpx_ne_u32_e64 v93, v84
	s_xor_b32 s0, exec_lo, s0
	s_cbranch_execz .LBB76_195
; %bb.190:
	s_mov_b32 s1, exec_lo
	v_cmpx_eq_u32_e32 11, v93
	s_cbranch_execz .LBB76_194
; %bb.191:
	v_cmp_ne_u32_e32 vcc_lo, 11, v84
	s_xor_b32 s2, s6, -1
	s_and_b32 s3, s2, vcc_lo
	s_and_saveexec_b32 s2, s3
	s_cbranch_execz .LBB76_193
; %bb.192:
	v_ashrrev_i32_e32 v85, 31, v84
	v_lshlrev_b64 v[85:86], 2, v[84:85]
	v_add_co_u32 v85, vcc_lo, v4, v85
	v_add_co_ci_u32_e64 v86, null, v5, v86, vcc_lo
	s_clause 0x1
	global_load_dword v92, v[85:86], off
	global_load_dword v93, v[4:5], off offset:44
	s_waitcnt vmcnt(1)
	global_store_dword v[4:5], v92, off offset:44
	s_waitcnt vmcnt(0)
	global_store_dword v[85:86], v93, off
.LBB76_193:
	s_or_b32 exec_lo, exec_lo, s2
	v_mov_b32_e32 v92, v84
	v_mov_b32_e32 v93, v84
.LBB76_194:
	s_or_b32 exec_lo, exec_lo, s1
.LBB76_195:
	s_andn2_saveexec_b32 s0, s0
	s_cbranch_execz .LBB76_197
; %bb.196:
	v_mov_b32_e32 v84, v56
	v_mov_b32_e32 v85, v57
	;; [unrolled: 1-line block ×16, first 2 shown]
	ds_write2_b64 v90, v[84:85], v[93:94] offset0:12 offset1:13
	ds_write2_b64 v90, v[95:96], v[97:98] offset0:14 offset1:15
	;; [unrolled: 1-line block ×4, first 2 shown]
	v_mov_b32_e32 v84, v40
	v_mov_b32_e32 v85, v41
	;; [unrolled: 1-line block ×20, first 2 shown]
	ds_write2_b64 v90, v[84:85], v[93:94] offset0:20 offset1:21
	ds_write2_b64 v90, v[95:96], v[97:98] offset0:22 offset1:23
	ds_write2_b64 v90, v[99:100], v[101:102] offset0:24 offset1:25
	ds_write2_b64 v90, v[103:104], v[105:106] offset0:26 offset1:27
	ds_write2_b64 v90, v[107:108], v[109:110] offset0:28 offset1:29
	v_mov_b32_e32 v84, v20
	v_mov_b32_e32 v85, v21
	;; [unrolled: 1-line block ×8, first 2 shown]
	ds_write2_b64 v90, v[84:85], v[93:94] offset0:30 offset1:31
	v_mov_b32_e32 v93, 11
	v_mov_b32_e32 v99, v12
	;; [unrolled: 1-line block ×9, first 2 shown]
	ds_write2_b64 v90, v[95:96], v[97:98] offset0:32 offset1:33
	ds_write2_b64 v90, v[99:100], v[101:102] offset0:34 offset1:35
	;; [unrolled: 1-line block ×3, first 2 shown]
	ds_write_b64 v90, v[82:83] offset:304
.LBB76_197:
	s_or_b32 exec_lo, exec_lo, s0
	s_mov_b32 s0, exec_lo
	s_waitcnt lgkmcnt(0)
	s_waitcnt_vscnt null, 0x0
	s_barrier
	buffer_gl0_inv
	v_cmpx_lt_i32_e32 11, v93
	s_cbranch_execz .LBB76_199
; %bb.198:
	v_mul_f64 v[58:59], v[0:1], v[58:59]
	ds_read2_b64 v[94:97], v90 offset0:12 offset1:13
	ds_read2_b64 v[98:101], v90 offset0:14 offset1:15
	;; [unrolled: 1-line block ×13, first 2 shown]
	ds_read_b64 v[0:1], v90 offset:304
	s_waitcnt lgkmcnt(13)
	v_fma_f64 v[56:57], -v[58:59], v[94:95], v[56:57]
	v_fma_f64 v[54:55], -v[58:59], v[96:97], v[54:55]
	s_waitcnt lgkmcnt(12)
	v_fma_f64 v[52:53], -v[58:59], v[98:99], v[52:53]
	v_fma_f64 v[48:49], -v[58:59], v[100:101], v[48:49]
	;; [unrolled: 3-line block ×13, first 2 shown]
	s_waitcnt lgkmcnt(0)
	v_fma_f64 v[82:83], -v[58:59], v[0:1], v[82:83]
.LBB76_199:
	s_or_b32 exec_lo, exec_lo, s0
	v_lshl_add_u32 v0, v93, 3, v90
	s_barrier
	buffer_gl0_inv
	v_mov_b32_e32 v84, 12
	ds_write_b64 v0, v[56:57]
	s_waitcnt lgkmcnt(0)
	s_barrier
	buffer_gl0_inv
	ds_read_b64 v[0:1], v90 offset:96
	s_cmp_lt_i32 s7, 14
	s_cbranch_scc1 .LBB76_202
; %bb.200:
	v_add3_u32 v85, v91, 0, 0x68
	v_mov_b32_e32 v84, 12
	s_mov_b32 s0, 13
.LBB76_201:                             ; =>This Inner Loop Header: Depth=1
	ds_read_b64 v[94:95], v85
	v_add_nc_u32_e32 v85, 8, v85
	s_waitcnt lgkmcnt(0)
	v_cmp_lt_f64_e64 vcc_lo, |v[0:1]|, |v[94:95]|
	v_cndmask_b32_e32 v1, v1, v95, vcc_lo
	v_cndmask_b32_e32 v0, v0, v94, vcc_lo
	v_cndmask_b32_e64 v84, v84, s0, vcc_lo
	s_add_i32 s0, s0, 1
	s_cmp_lg_u32 s7, s0
	s_cbranch_scc1 .LBB76_201
.LBB76_202:
	s_mov_b32 s0, exec_lo
	s_waitcnt lgkmcnt(0)
	v_cmpx_eq_f64_e32 0, v[0:1]
	s_xor_b32 s0, exec_lo, s0
; %bb.203:
	v_cmp_ne_u32_e32 vcc_lo, 0, v87
	v_cndmask_b32_e32 v87, 13, v87, vcc_lo
; %bb.204:
	s_andn2_saveexec_b32 s0, s0
	s_cbranch_execz .LBB76_206
; %bb.205:
	v_div_scale_f64 v[85:86], null, v[0:1], v[0:1], 1.0
	v_rcp_f64_e32 v[94:95], v[85:86]
	v_fma_f64 v[96:97], -v[85:86], v[94:95], 1.0
	v_fma_f64 v[94:95], v[94:95], v[96:97], v[94:95]
	v_fma_f64 v[96:97], -v[85:86], v[94:95], 1.0
	v_fma_f64 v[94:95], v[94:95], v[96:97], v[94:95]
	v_div_scale_f64 v[96:97], vcc_lo, 1.0, v[0:1], 1.0
	v_mul_f64 v[98:99], v[96:97], v[94:95]
	v_fma_f64 v[85:86], -v[85:86], v[98:99], v[96:97]
	v_div_fmas_f64 v[85:86], v[85:86], v[94:95], v[98:99]
	v_div_fixup_f64 v[0:1], v[85:86], v[0:1], 1.0
.LBB76_206:
	s_or_b32 exec_lo, exec_lo, s0
	s_mov_b32 s0, exec_lo
	v_cmpx_ne_u32_e64 v93, v84
	s_xor_b32 s0, exec_lo, s0
	s_cbranch_execz .LBB76_212
; %bb.207:
	s_mov_b32 s1, exec_lo
	v_cmpx_eq_u32_e32 12, v93
	s_cbranch_execz .LBB76_211
; %bb.208:
	v_cmp_ne_u32_e32 vcc_lo, 12, v84
	s_xor_b32 s2, s6, -1
	s_and_b32 s3, s2, vcc_lo
	s_and_saveexec_b32 s2, s3
	s_cbranch_execz .LBB76_210
; %bb.209:
	v_ashrrev_i32_e32 v85, 31, v84
	v_lshlrev_b64 v[85:86], 2, v[84:85]
	v_add_co_u32 v85, vcc_lo, v4, v85
	v_add_co_ci_u32_e64 v86, null, v5, v86, vcc_lo
	s_clause 0x1
	global_load_dword v92, v[85:86], off
	global_load_dword v93, v[4:5], off offset:48
	s_waitcnt vmcnt(1)
	global_store_dword v[4:5], v92, off offset:48
	s_waitcnt vmcnt(0)
	global_store_dword v[85:86], v93, off
.LBB76_210:
	s_or_b32 exec_lo, exec_lo, s2
	v_mov_b32_e32 v92, v84
	v_mov_b32_e32 v93, v84
.LBB76_211:
	s_or_b32 exec_lo, exec_lo, s1
.LBB76_212:
	s_andn2_saveexec_b32 s0, s0
	s_cbranch_execz .LBB76_214
; %bb.213:
	v_mov_b32_e32 v93, 12
	ds_write2_b64 v90, v[54:55], v[52:53] offset0:13 offset1:14
	ds_write2_b64 v90, v[48:49], v[50:51] offset0:15 offset1:16
	;; [unrolled: 1-line block ×13, first 2 shown]
.LBB76_214:
	s_or_b32 exec_lo, exec_lo, s0
	s_mov_b32 s0, exec_lo
	s_waitcnt lgkmcnt(0)
	s_waitcnt_vscnt null, 0x0
	s_barrier
	buffer_gl0_inv
	v_cmpx_lt_i32_e32 12, v93
	s_cbranch_execz .LBB76_216
; %bb.215:
	v_mul_f64 v[56:57], v[0:1], v[56:57]
	ds_read2_b64 v[94:97], v90 offset0:13 offset1:14
	ds_read2_b64 v[98:101], v90 offset0:15 offset1:16
	;; [unrolled: 1-line block ×13, first 2 shown]
	s_waitcnt lgkmcnt(12)
	v_fma_f64 v[54:55], -v[56:57], v[94:95], v[54:55]
	v_fma_f64 v[52:53], -v[56:57], v[96:97], v[52:53]
	s_waitcnt lgkmcnt(11)
	v_fma_f64 v[48:49], -v[56:57], v[98:99], v[48:49]
	v_fma_f64 v[50:51], -v[56:57], v[100:101], v[50:51]
	;; [unrolled: 3-line block ×13, first 2 shown]
.LBB76_216:
	s_or_b32 exec_lo, exec_lo, s0
	v_lshl_add_u32 v0, v93, 3, v90
	s_barrier
	buffer_gl0_inv
	v_mov_b32_e32 v84, 13
	ds_write_b64 v0, v[54:55]
	s_waitcnt lgkmcnt(0)
	s_barrier
	buffer_gl0_inv
	ds_read_b64 v[0:1], v90 offset:104
	s_cmp_lt_i32 s7, 15
	s_cbranch_scc1 .LBB76_219
; %bb.217:
	v_add3_u32 v85, v91, 0, 0x70
	v_mov_b32_e32 v84, 13
	s_mov_b32 s0, 14
.LBB76_218:                             ; =>This Inner Loop Header: Depth=1
	ds_read_b64 v[94:95], v85
	v_add_nc_u32_e32 v85, 8, v85
	s_waitcnt lgkmcnt(0)
	v_cmp_lt_f64_e64 vcc_lo, |v[0:1]|, |v[94:95]|
	v_cndmask_b32_e32 v1, v1, v95, vcc_lo
	v_cndmask_b32_e32 v0, v0, v94, vcc_lo
	v_cndmask_b32_e64 v84, v84, s0, vcc_lo
	s_add_i32 s0, s0, 1
	s_cmp_lg_u32 s7, s0
	s_cbranch_scc1 .LBB76_218
.LBB76_219:
	s_mov_b32 s0, exec_lo
	s_waitcnt lgkmcnt(0)
	v_cmpx_eq_f64_e32 0, v[0:1]
	s_xor_b32 s0, exec_lo, s0
; %bb.220:
	v_cmp_ne_u32_e32 vcc_lo, 0, v87
	v_cndmask_b32_e32 v87, 14, v87, vcc_lo
; %bb.221:
	s_andn2_saveexec_b32 s0, s0
	s_cbranch_execz .LBB76_223
; %bb.222:
	v_div_scale_f64 v[85:86], null, v[0:1], v[0:1], 1.0
	v_rcp_f64_e32 v[94:95], v[85:86]
	v_fma_f64 v[96:97], -v[85:86], v[94:95], 1.0
	v_fma_f64 v[94:95], v[94:95], v[96:97], v[94:95]
	v_fma_f64 v[96:97], -v[85:86], v[94:95], 1.0
	v_fma_f64 v[94:95], v[94:95], v[96:97], v[94:95]
	v_div_scale_f64 v[96:97], vcc_lo, 1.0, v[0:1], 1.0
	v_mul_f64 v[98:99], v[96:97], v[94:95]
	v_fma_f64 v[85:86], -v[85:86], v[98:99], v[96:97]
	v_div_fmas_f64 v[85:86], v[85:86], v[94:95], v[98:99]
	v_div_fixup_f64 v[0:1], v[85:86], v[0:1], 1.0
.LBB76_223:
	s_or_b32 exec_lo, exec_lo, s0
	s_mov_b32 s0, exec_lo
	v_cmpx_ne_u32_e64 v93, v84
	s_xor_b32 s0, exec_lo, s0
	s_cbranch_execz .LBB76_229
; %bb.224:
	s_mov_b32 s1, exec_lo
	v_cmpx_eq_u32_e32 13, v93
	s_cbranch_execz .LBB76_228
; %bb.225:
	v_cmp_ne_u32_e32 vcc_lo, 13, v84
	s_xor_b32 s2, s6, -1
	s_and_b32 s3, s2, vcc_lo
	s_and_saveexec_b32 s2, s3
	s_cbranch_execz .LBB76_227
; %bb.226:
	v_ashrrev_i32_e32 v85, 31, v84
	v_lshlrev_b64 v[85:86], 2, v[84:85]
	v_add_co_u32 v85, vcc_lo, v4, v85
	v_add_co_ci_u32_e64 v86, null, v5, v86, vcc_lo
	s_clause 0x1
	global_load_dword v92, v[85:86], off
	global_load_dword v93, v[4:5], off offset:52
	s_waitcnt vmcnt(1)
	global_store_dword v[4:5], v92, off offset:52
	s_waitcnt vmcnt(0)
	global_store_dword v[85:86], v93, off
.LBB76_227:
	s_or_b32 exec_lo, exec_lo, s2
	v_mov_b32_e32 v92, v84
	v_mov_b32_e32 v93, v84
.LBB76_228:
	s_or_b32 exec_lo, exec_lo, s1
.LBB76_229:
	s_andn2_saveexec_b32 s0, s0
	s_cbranch_execz .LBB76_231
; %bb.230:
	v_mov_b32_e32 v84, v52
	v_mov_b32_e32 v85, v53
	v_mov_b32_e32 v93, v48
	v_mov_b32_e32 v94, v49
	v_mov_b32_e32 v95, v50
	v_mov_b32_e32 v96, v51
	v_mov_b32_e32 v97, v44
	v_mov_b32_e32 v98, v45
	v_mov_b32_e32 v99, v46
	v_mov_b32_e32 v100, v47
	v_mov_b32_e32 v101, v42
	v_mov_b32_e32 v102, v43
	ds_write2_b64 v90, v[84:85], v[93:94] offset0:14 offset1:15
	ds_write2_b64 v90, v[95:96], v[97:98] offset0:16 offset1:17
	ds_write2_b64 v90, v[99:100], v[101:102] offset0:18 offset1:19
	v_mov_b32_e32 v84, v40
	v_mov_b32_e32 v85, v41
	;; [unrolled: 1-line block ×20, first 2 shown]
	ds_write2_b64 v90, v[84:85], v[93:94] offset0:20 offset1:21
	ds_write2_b64 v90, v[95:96], v[97:98] offset0:22 offset1:23
	;; [unrolled: 1-line block ×5, first 2 shown]
	v_mov_b32_e32 v84, v20
	v_mov_b32_e32 v85, v21
	;; [unrolled: 1-line block ×8, first 2 shown]
	ds_write2_b64 v90, v[84:85], v[93:94] offset0:30 offset1:31
	v_mov_b32_e32 v93, 13
	v_mov_b32_e32 v99, v12
	;; [unrolled: 1-line block ×9, first 2 shown]
	ds_write2_b64 v90, v[95:96], v[97:98] offset0:32 offset1:33
	ds_write2_b64 v90, v[99:100], v[101:102] offset0:34 offset1:35
	;; [unrolled: 1-line block ×3, first 2 shown]
	ds_write_b64 v90, v[82:83] offset:304
.LBB76_231:
	s_or_b32 exec_lo, exec_lo, s0
	s_mov_b32 s0, exec_lo
	s_waitcnt lgkmcnt(0)
	s_waitcnt_vscnt null, 0x0
	s_barrier
	buffer_gl0_inv
	v_cmpx_lt_i32_e32 13, v93
	s_cbranch_execz .LBB76_233
; %bb.232:
	v_mul_f64 v[54:55], v[0:1], v[54:55]
	ds_read2_b64 v[94:97], v90 offset0:14 offset1:15
	ds_read2_b64 v[98:101], v90 offset0:16 offset1:17
	;; [unrolled: 1-line block ×12, first 2 shown]
	ds_read_b64 v[0:1], v90 offset:304
	s_waitcnt lgkmcnt(12)
	v_fma_f64 v[52:53], -v[54:55], v[94:95], v[52:53]
	v_fma_f64 v[48:49], -v[54:55], v[96:97], v[48:49]
	s_waitcnt lgkmcnt(11)
	v_fma_f64 v[50:51], -v[54:55], v[98:99], v[50:51]
	v_fma_f64 v[44:45], -v[54:55], v[100:101], v[44:45]
	s_waitcnt lgkmcnt(10)
	v_fma_f64 v[46:47], -v[54:55], v[102:103], v[46:47]
	v_fma_f64 v[42:43], -v[54:55], v[104:105], v[42:43]
	s_waitcnt lgkmcnt(9)
	v_fma_f64 v[40:41], -v[54:55], v[106:107], v[40:41]
	v_fma_f64 v[38:39], -v[54:55], v[108:109], v[38:39]
	s_waitcnt lgkmcnt(8)
	v_fma_f64 v[36:37], -v[54:55], v[110:111], v[36:37]
	v_fma_f64 v[34:35], -v[54:55], v[112:113], v[34:35]
	s_waitcnt lgkmcnt(7)
	v_fma_f64 v[32:33], -v[54:55], v[114:115], v[32:33]
	v_fma_f64 v[28:29], -v[54:55], v[116:117], v[28:29]
	s_waitcnt lgkmcnt(6)
	v_fma_f64 v[30:31], -v[54:55], v[118:119], v[30:31]
	v_fma_f64 v[24:25], -v[54:55], v[120:121], v[24:25]
	s_waitcnt lgkmcnt(5)
	v_fma_f64 v[26:27], -v[54:55], v[122:123], v[26:27]
	v_fma_f64 v[22:23], -v[54:55], v[124:125], v[22:23]
	s_waitcnt lgkmcnt(4)
	v_fma_f64 v[20:21], -v[54:55], v[126:127], v[20:21]
	v_fma_f64 v[18:19], -v[54:55], v[128:129], v[18:19]
	s_waitcnt lgkmcnt(3)
	v_fma_f64 v[16:17], -v[54:55], v[130:131], v[16:17]
	v_fma_f64 v[14:15], -v[54:55], v[132:133], v[14:15]
	s_waitcnt lgkmcnt(2)
	v_fma_f64 v[12:13], -v[54:55], v[134:135], v[12:13]
	v_fma_f64 v[8:9], -v[54:55], v[136:137], v[8:9]
	s_waitcnt lgkmcnt(1)
	v_fma_f64 v[10:11], -v[54:55], v[138:139], v[10:11]
	v_fma_f64 v[6:7], -v[54:55], v[140:141], v[6:7]
	s_waitcnt lgkmcnt(0)
	v_fma_f64 v[82:83], -v[54:55], v[0:1], v[82:83]
.LBB76_233:
	s_or_b32 exec_lo, exec_lo, s0
	v_lshl_add_u32 v0, v93, 3, v90
	s_barrier
	buffer_gl0_inv
	v_mov_b32_e32 v84, 14
	ds_write_b64 v0, v[52:53]
	s_waitcnt lgkmcnt(0)
	s_barrier
	buffer_gl0_inv
	ds_read_b64 v[0:1], v90 offset:112
	s_cmp_lt_i32 s7, 16
	s_cbranch_scc1 .LBB76_236
; %bb.234:
	v_add3_u32 v85, v91, 0, 0x78
	v_mov_b32_e32 v84, 14
	s_mov_b32 s0, 15
.LBB76_235:                             ; =>This Inner Loop Header: Depth=1
	ds_read_b64 v[94:95], v85
	v_add_nc_u32_e32 v85, 8, v85
	s_waitcnt lgkmcnt(0)
	v_cmp_lt_f64_e64 vcc_lo, |v[0:1]|, |v[94:95]|
	v_cndmask_b32_e32 v1, v1, v95, vcc_lo
	v_cndmask_b32_e32 v0, v0, v94, vcc_lo
	v_cndmask_b32_e64 v84, v84, s0, vcc_lo
	s_add_i32 s0, s0, 1
	s_cmp_lg_u32 s7, s0
	s_cbranch_scc1 .LBB76_235
.LBB76_236:
	s_mov_b32 s0, exec_lo
	s_waitcnt lgkmcnt(0)
	v_cmpx_eq_f64_e32 0, v[0:1]
	s_xor_b32 s0, exec_lo, s0
; %bb.237:
	v_cmp_ne_u32_e32 vcc_lo, 0, v87
	v_cndmask_b32_e32 v87, 15, v87, vcc_lo
; %bb.238:
	s_andn2_saveexec_b32 s0, s0
	s_cbranch_execz .LBB76_240
; %bb.239:
	v_div_scale_f64 v[85:86], null, v[0:1], v[0:1], 1.0
	v_rcp_f64_e32 v[94:95], v[85:86]
	v_fma_f64 v[96:97], -v[85:86], v[94:95], 1.0
	v_fma_f64 v[94:95], v[94:95], v[96:97], v[94:95]
	v_fma_f64 v[96:97], -v[85:86], v[94:95], 1.0
	v_fma_f64 v[94:95], v[94:95], v[96:97], v[94:95]
	v_div_scale_f64 v[96:97], vcc_lo, 1.0, v[0:1], 1.0
	v_mul_f64 v[98:99], v[96:97], v[94:95]
	v_fma_f64 v[85:86], -v[85:86], v[98:99], v[96:97]
	v_div_fmas_f64 v[85:86], v[85:86], v[94:95], v[98:99]
	v_div_fixup_f64 v[0:1], v[85:86], v[0:1], 1.0
.LBB76_240:
	s_or_b32 exec_lo, exec_lo, s0
	s_mov_b32 s0, exec_lo
	v_cmpx_ne_u32_e64 v93, v84
	s_xor_b32 s0, exec_lo, s0
	s_cbranch_execz .LBB76_246
; %bb.241:
	s_mov_b32 s1, exec_lo
	v_cmpx_eq_u32_e32 14, v93
	s_cbranch_execz .LBB76_245
; %bb.242:
	v_cmp_ne_u32_e32 vcc_lo, 14, v84
	s_xor_b32 s2, s6, -1
	s_and_b32 s3, s2, vcc_lo
	s_and_saveexec_b32 s2, s3
	s_cbranch_execz .LBB76_244
; %bb.243:
	v_ashrrev_i32_e32 v85, 31, v84
	v_lshlrev_b64 v[85:86], 2, v[84:85]
	v_add_co_u32 v85, vcc_lo, v4, v85
	v_add_co_ci_u32_e64 v86, null, v5, v86, vcc_lo
	s_clause 0x1
	global_load_dword v92, v[85:86], off
	global_load_dword v93, v[4:5], off offset:56
	s_waitcnt vmcnt(1)
	global_store_dword v[4:5], v92, off offset:56
	s_waitcnt vmcnt(0)
	global_store_dword v[85:86], v93, off
.LBB76_244:
	s_or_b32 exec_lo, exec_lo, s2
	v_mov_b32_e32 v92, v84
	v_mov_b32_e32 v93, v84
.LBB76_245:
	s_or_b32 exec_lo, exec_lo, s1
.LBB76_246:
	s_andn2_saveexec_b32 s0, s0
	s_cbranch_execz .LBB76_248
; %bb.247:
	v_mov_b32_e32 v93, 14
	ds_write2_b64 v90, v[48:49], v[50:51] offset0:15 offset1:16
	ds_write2_b64 v90, v[44:45], v[46:47] offset0:17 offset1:18
	;; [unrolled: 1-line block ×12, first 2 shown]
.LBB76_248:
	s_or_b32 exec_lo, exec_lo, s0
	s_mov_b32 s0, exec_lo
	s_waitcnt lgkmcnt(0)
	s_waitcnt_vscnt null, 0x0
	s_barrier
	buffer_gl0_inv
	v_cmpx_lt_i32_e32 14, v93
	s_cbranch_execz .LBB76_250
; %bb.249:
	v_mul_f64 v[52:53], v[0:1], v[52:53]
	ds_read2_b64 v[94:97], v90 offset0:15 offset1:16
	ds_read2_b64 v[98:101], v90 offset0:17 offset1:18
	;; [unrolled: 1-line block ×12, first 2 shown]
	s_waitcnt lgkmcnt(11)
	v_fma_f64 v[48:49], -v[52:53], v[94:95], v[48:49]
	v_fma_f64 v[50:51], -v[52:53], v[96:97], v[50:51]
	s_waitcnt lgkmcnt(10)
	v_fma_f64 v[44:45], -v[52:53], v[98:99], v[44:45]
	v_fma_f64 v[46:47], -v[52:53], v[100:101], v[46:47]
	;; [unrolled: 3-line block ×12, first 2 shown]
.LBB76_250:
	s_or_b32 exec_lo, exec_lo, s0
	v_lshl_add_u32 v0, v93, 3, v90
	s_barrier
	buffer_gl0_inv
	v_mov_b32_e32 v84, 15
	ds_write_b64 v0, v[48:49]
	s_waitcnt lgkmcnt(0)
	s_barrier
	buffer_gl0_inv
	ds_read_b64 v[0:1], v90 offset:120
	s_cmp_lt_i32 s7, 17
	s_cbranch_scc1 .LBB76_253
; %bb.251:
	v_add3_u32 v85, v91, 0, 0x80
	v_mov_b32_e32 v84, 15
	s_mov_b32 s0, 16
.LBB76_252:                             ; =>This Inner Loop Header: Depth=1
	ds_read_b64 v[94:95], v85
	v_add_nc_u32_e32 v85, 8, v85
	s_waitcnt lgkmcnt(0)
	v_cmp_lt_f64_e64 vcc_lo, |v[0:1]|, |v[94:95]|
	v_cndmask_b32_e32 v1, v1, v95, vcc_lo
	v_cndmask_b32_e32 v0, v0, v94, vcc_lo
	v_cndmask_b32_e64 v84, v84, s0, vcc_lo
	s_add_i32 s0, s0, 1
	s_cmp_lg_u32 s7, s0
	s_cbranch_scc1 .LBB76_252
.LBB76_253:
	s_mov_b32 s0, exec_lo
	s_waitcnt lgkmcnt(0)
	v_cmpx_eq_f64_e32 0, v[0:1]
	s_xor_b32 s0, exec_lo, s0
; %bb.254:
	v_cmp_ne_u32_e32 vcc_lo, 0, v87
	v_cndmask_b32_e32 v87, 16, v87, vcc_lo
; %bb.255:
	s_andn2_saveexec_b32 s0, s0
	s_cbranch_execz .LBB76_257
; %bb.256:
	v_div_scale_f64 v[85:86], null, v[0:1], v[0:1], 1.0
	v_rcp_f64_e32 v[94:95], v[85:86]
	v_fma_f64 v[96:97], -v[85:86], v[94:95], 1.0
	v_fma_f64 v[94:95], v[94:95], v[96:97], v[94:95]
	v_fma_f64 v[96:97], -v[85:86], v[94:95], 1.0
	v_fma_f64 v[94:95], v[94:95], v[96:97], v[94:95]
	v_div_scale_f64 v[96:97], vcc_lo, 1.0, v[0:1], 1.0
	v_mul_f64 v[98:99], v[96:97], v[94:95]
	v_fma_f64 v[85:86], -v[85:86], v[98:99], v[96:97]
	v_div_fmas_f64 v[85:86], v[85:86], v[94:95], v[98:99]
	v_div_fixup_f64 v[0:1], v[85:86], v[0:1], 1.0
.LBB76_257:
	s_or_b32 exec_lo, exec_lo, s0
	s_mov_b32 s0, exec_lo
	v_cmpx_ne_u32_e64 v93, v84
	s_xor_b32 s0, exec_lo, s0
	s_cbranch_execz .LBB76_263
; %bb.258:
	s_mov_b32 s1, exec_lo
	v_cmpx_eq_u32_e32 15, v93
	s_cbranch_execz .LBB76_262
; %bb.259:
	v_cmp_ne_u32_e32 vcc_lo, 15, v84
	s_xor_b32 s2, s6, -1
	s_and_b32 s3, s2, vcc_lo
	s_and_saveexec_b32 s2, s3
	s_cbranch_execz .LBB76_261
; %bb.260:
	v_ashrrev_i32_e32 v85, 31, v84
	v_lshlrev_b64 v[85:86], 2, v[84:85]
	v_add_co_u32 v85, vcc_lo, v4, v85
	v_add_co_ci_u32_e64 v86, null, v5, v86, vcc_lo
	s_clause 0x1
	global_load_dword v92, v[85:86], off
	global_load_dword v93, v[4:5], off offset:60
	s_waitcnt vmcnt(1)
	global_store_dword v[4:5], v92, off offset:60
	s_waitcnt vmcnt(0)
	global_store_dword v[85:86], v93, off
.LBB76_261:
	s_or_b32 exec_lo, exec_lo, s2
	v_mov_b32_e32 v92, v84
	v_mov_b32_e32 v93, v84
.LBB76_262:
	s_or_b32 exec_lo, exec_lo, s1
.LBB76_263:
	s_andn2_saveexec_b32 s0, s0
	s_cbranch_execz .LBB76_265
; %bb.264:
	v_mov_b32_e32 v84, v50
	v_mov_b32_e32 v85, v51
	;; [unrolled: 1-line block ×8, first 2 shown]
	ds_write2_b64 v90, v[84:85], v[93:94] offset0:16 offset1:17
	ds_write2_b64 v90, v[95:96], v[97:98] offset0:18 offset1:19
	v_mov_b32_e32 v84, v40
	v_mov_b32_e32 v85, v41
	;; [unrolled: 1-line block ×20, first 2 shown]
	ds_write2_b64 v90, v[84:85], v[93:94] offset0:20 offset1:21
	ds_write2_b64 v90, v[95:96], v[97:98] offset0:22 offset1:23
	;; [unrolled: 1-line block ×5, first 2 shown]
	v_mov_b32_e32 v84, v20
	v_mov_b32_e32 v85, v21
	;; [unrolled: 1-line block ×8, first 2 shown]
	ds_write2_b64 v90, v[84:85], v[93:94] offset0:30 offset1:31
	v_mov_b32_e32 v93, 15
	v_mov_b32_e32 v99, v12
	;; [unrolled: 1-line block ×9, first 2 shown]
	ds_write2_b64 v90, v[95:96], v[97:98] offset0:32 offset1:33
	ds_write2_b64 v90, v[99:100], v[101:102] offset0:34 offset1:35
	;; [unrolled: 1-line block ×3, first 2 shown]
	ds_write_b64 v90, v[82:83] offset:304
.LBB76_265:
	s_or_b32 exec_lo, exec_lo, s0
	s_mov_b32 s0, exec_lo
	s_waitcnt lgkmcnt(0)
	s_waitcnt_vscnt null, 0x0
	s_barrier
	buffer_gl0_inv
	v_cmpx_lt_i32_e32 15, v93
	s_cbranch_execz .LBB76_267
; %bb.266:
	v_mul_f64 v[48:49], v[0:1], v[48:49]
	ds_read2_b64 v[94:97], v90 offset0:16 offset1:17
	ds_read2_b64 v[98:101], v90 offset0:18 offset1:19
	;; [unrolled: 1-line block ×11, first 2 shown]
	ds_read_b64 v[0:1], v90 offset:304
	s_waitcnt lgkmcnt(11)
	v_fma_f64 v[50:51], -v[48:49], v[94:95], v[50:51]
	v_fma_f64 v[44:45], -v[48:49], v[96:97], v[44:45]
	s_waitcnt lgkmcnt(10)
	v_fma_f64 v[46:47], -v[48:49], v[98:99], v[46:47]
	v_fma_f64 v[42:43], -v[48:49], v[100:101], v[42:43]
	s_waitcnt lgkmcnt(9)
	v_fma_f64 v[40:41], -v[48:49], v[102:103], v[40:41]
	v_fma_f64 v[38:39], -v[48:49], v[104:105], v[38:39]
	s_waitcnt lgkmcnt(8)
	v_fma_f64 v[36:37], -v[48:49], v[106:107], v[36:37]
	v_fma_f64 v[34:35], -v[48:49], v[108:109], v[34:35]
	s_waitcnt lgkmcnt(7)
	v_fma_f64 v[32:33], -v[48:49], v[110:111], v[32:33]
	v_fma_f64 v[28:29], -v[48:49], v[112:113], v[28:29]
	s_waitcnt lgkmcnt(6)
	v_fma_f64 v[30:31], -v[48:49], v[114:115], v[30:31]
	v_fma_f64 v[24:25], -v[48:49], v[116:117], v[24:25]
	s_waitcnt lgkmcnt(5)
	v_fma_f64 v[26:27], -v[48:49], v[118:119], v[26:27]
	v_fma_f64 v[22:23], -v[48:49], v[120:121], v[22:23]
	s_waitcnt lgkmcnt(4)
	v_fma_f64 v[20:21], -v[48:49], v[122:123], v[20:21]
	v_fma_f64 v[18:19], -v[48:49], v[124:125], v[18:19]
	s_waitcnt lgkmcnt(3)
	v_fma_f64 v[16:17], -v[48:49], v[126:127], v[16:17]
	v_fma_f64 v[14:15], -v[48:49], v[128:129], v[14:15]
	s_waitcnt lgkmcnt(2)
	v_fma_f64 v[12:13], -v[48:49], v[130:131], v[12:13]
	v_fma_f64 v[8:9], -v[48:49], v[132:133], v[8:9]
	s_waitcnt lgkmcnt(1)
	v_fma_f64 v[10:11], -v[48:49], v[134:135], v[10:11]
	v_fma_f64 v[6:7], -v[48:49], v[136:137], v[6:7]
	s_waitcnt lgkmcnt(0)
	v_fma_f64 v[82:83], -v[48:49], v[0:1], v[82:83]
.LBB76_267:
	s_or_b32 exec_lo, exec_lo, s0
	v_lshl_add_u32 v0, v93, 3, v90
	s_barrier
	buffer_gl0_inv
	v_mov_b32_e32 v84, 16
	ds_write_b64 v0, v[50:51]
	s_waitcnt lgkmcnt(0)
	s_barrier
	buffer_gl0_inv
	ds_read_b64 v[0:1], v90 offset:128
	s_cmp_lt_i32 s7, 18
	s_cbranch_scc1 .LBB76_270
; %bb.268:
	v_add3_u32 v85, v91, 0, 0x88
	v_mov_b32_e32 v84, 16
	s_mov_b32 s0, 17
.LBB76_269:                             ; =>This Inner Loop Header: Depth=1
	ds_read_b64 v[94:95], v85
	v_add_nc_u32_e32 v85, 8, v85
	s_waitcnt lgkmcnt(0)
	v_cmp_lt_f64_e64 vcc_lo, |v[0:1]|, |v[94:95]|
	v_cndmask_b32_e32 v1, v1, v95, vcc_lo
	v_cndmask_b32_e32 v0, v0, v94, vcc_lo
	v_cndmask_b32_e64 v84, v84, s0, vcc_lo
	s_add_i32 s0, s0, 1
	s_cmp_lg_u32 s7, s0
	s_cbranch_scc1 .LBB76_269
.LBB76_270:
	s_mov_b32 s0, exec_lo
	s_waitcnt lgkmcnt(0)
	v_cmpx_eq_f64_e32 0, v[0:1]
	s_xor_b32 s0, exec_lo, s0
; %bb.271:
	v_cmp_ne_u32_e32 vcc_lo, 0, v87
	v_cndmask_b32_e32 v87, 17, v87, vcc_lo
; %bb.272:
	s_andn2_saveexec_b32 s0, s0
	s_cbranch_execz .LBB76_274
; %bb.273:
	v_div_scale_f64 v[85:86], null, v[0:1], v[0:1], 1.0
	v_rcp_f64_e32 v[94:95], v[85:86]
	v_fma_f64 v[96:97], -v[85:86], v[94:95], 1.0
	v_fma_f64 v[94:95], v[94:95], v[96:97], v[94:95]
	v_fma_f64 v[96:97], -v[85:86], v[94:95], 1.0
	v_fma_f64 v[94:95], v[94:95], v[96:97], v[94:95]
	v_div_scale_f64 v[96:97], vcc_lo, 1.0, v[0:1], 1.0
	v_mul_f64 v[98:99], v[96:97], v[94:95]
	v_fma_f64 v[85:86], -v[85:86], v[98:99], v[96:97]
	v_div_fmas_f64 v[85:86], v[85:86], v[94:95], v[98:99]
	v_div_fixup_f64 v[0:1], v[85:86], v[0:1], 1.0
.LBB76_274:
	s_or_b32 exec_lo, exec_lo, s0
	s_mov_b32 s0, exec_lo
	v_cmpx_ne_u32_e64 v93, v84
	s_xor_b32 s0, exec_lo, s0
	s_cbranch_execz .LBB76_280
; %bb.275:
	s_mov_b32 s1, exec_lo
	v_cmpx_eq_u32_e32 16, v93
	s_cbranch_execz .LBB76_279
; %bb.276:
	v_cmp_ne_u32_e32 vcc_lo, 16, v84
	s_xor_b32 s2, s6, -1
	s_and_b32 s3, s2, vcc_lo
	s_and_saveexec_b32 s2, s3
	s_cbranch_execz .LBB76_278
; %bb.277:
	v_ashrrev_i32_e32 v85, 31, v84
	v_lshlrev_b64 v[85:86], 2, v[84:85]
	v_add_co_u32 v85, vcc_lo, v4, v85
	v_add_co_ci_u32_e64 v86, null, v5, v86, vcc_lo
	s_clause 0x1
	global_load_dword v92, v[85:86], off
	global_load_dword v93, v[4:5], off offset:64
	s_waitcnt vmcnt(1)
	global_store_dword v[4:5], v92, off offset:64
	s_waitcnt vmcnt(0)
	global_store_dword v[85:86], v93, off
.LBB76_278:
	s_or_b32 exec_lo, exec_lo, s2
	v_mov_b32_e32 v92, v84
	v_mov_b32_e32 v93, v84
.LBB76_279:
	s_or_b32 exec_lo, exec_lo, s1
.LBB76_280:
	s_andn2_saveexec_b32 s0, s0
	s_cbranch_execz .LBB76_282
; %bb.281:
	v_mov_b32_e32 v93, 16
	ds_write2_b64 v90, v[44:45], v[46:47] offset0:17 offset1:18
	ds_write2_b64 v90, v[42:43], v[40:41] offset0:19 offset1:20
	;; [unrolled: 1-line block ×11, first 2 shown]
.LBB76_282:
	s_or_b32 exec_lo, exec_lo, s0
	s_mov_b32 s0, exec_lo
	s_waitcnt lgkmcnt(0)
	s_waitcnt_vscnt null, 0x0
	s_barrier
	buffer_gl0_inv
	v_cmpx_lt_i32_e32 16, v93
	s_cbranch_execz .LBB76_284
; %bb.283:
	v_mul_f64 v[50:51], v[0:1], v[50:51]
	ds_read2_b64 v[94:97], v90 offset0:17 offset1:18
	ds_read2_b64 v[98:101], v90 offset0:19 offset1:20
	;; [unrolled: 1-line block ×11, first 2 shown]
	s_waitcnt lgkmcnt(10)
	v_fma_f64 v[44:45], -v[50:51], v[94:95], v[44:45]
	v_fma_f64 v[46:47], -v[50:51], v[96:97], v[46:47]
	s_waitcnt lgkmcnt(9)
	v_fma_f64 v[42:43], -v[50:51], v[98:99], v[42:43]
	v_fma_f64 v[40:41], -v[50:51], v[100:101], v[40:41]
	;; [unrolled: 3-line block ×11, first 2 shown]
.LBB76_284:
	s_or_b32 exec_lo, exec_lo, s0
	v_lshl_add_u32 v0, v93, 3, v90
	s_barrier
	buffer_gl0_inv
	v_mov_b32_e32 v84, 17
	ds_write_b64 v0, v[44:45]
	s_waitcnt lgkmcnt(0)
	s_barrier
	buffer_gl0_inv
	ds_read_b64 v[0:1], v90 offset:136
	s_cmp_lt_i32 s7, 19
	s_cbranch_scc1 .LBB76_287
; %bb.285:
	v_add3_u32 v85, v91, 0, 0x90
	v_mov_b32_e32 v84, 17
	s_mov_b32 s0, 18
.LBB76_286:                             ; =>This Inner Loop Header: Depth=1
	ds_read_b64 v[94:95], v85
	v_add_nc_u32_e32 v85, 8, v85
	s_waitcnt lgkmcnt(0)
	v_cmp_lt_f64_e64 vcc_lo, |v[0:1]|, |v[94:95]|
	v_cndmask_b32_e32 v1, v1, v95, vcc_lo
	v_cndmask_b32_e32 v0, v0, v94, vcc_lo
	v_cndmask_b32_e64 v84, v84, s0, vcc_lo
	s_add_i32 s0, s0, 1
	s_cmp_lg_u32 s7, s0
	s_cbranch_scc1 .LBB76_286
.LBB76_287:
	s_mov_b32 s0, exec_lo
	s_waitcnt lgkmcnt(0)
	v_cmpx_eq_f64_e32 0, v[0:1]
	s_xor_b32 s0, exec_lo, s0
; %bb.288:
	v_cmp_ne_u32_e32 vcc_lo, 0, v87
	v_cndmask_b32_e32 v87, 18, v87, vcc_lo
; %bb.289:
	s_andn2_saveexec_b32 s0, s0
	s_cbranch_execz .LBB76_291
; %bb.290:
	v_div_scale_f64 v[85:86], null, v[0:1], v[0:1], 1.0
	v_rcp_f64_e32 v[94:95], v[85:86]
	v_fma_f64 v[96:97], -v[85:86], v[94:95], 1.0
	v_fma_f64 v[94:95], v[94:95], v[96:97], v[94:95]
	v_fma_f64 v[96:97], -v[85:86], v[94:95], 1.0
	v_fma_f64 v[94:95], v[94:95], v[96:97], v[94:95]
	v_div_scale_f64 v[96:97], vcc_lo, 1.0, v[0:1], 1.0
	v_mul_f64 v[98:99], v[96:97], v[94:95]
	v_fma_f64 v[85:86], -v[85:86], v[98:99], v[96:97]
	v_div_fmas_f64 v[85:86], v[85:86], v[94:95], v[98:99]
	v_div_fixup_f64 v[0:1], v[85:86], v[0:1], 1.0
.LBB76_291:
	s_or_b32 exec_lo, exec_lo, s0
	s_mov_b32 s0, exec_lo
	v_cmpx_ne_u32_e64 v93, v84
	s_xor_b32 s0, exec_lo, s0
	s_cbranch_execz .LBB76_297
; %bb.292:
	s_mov_b32 s1, exec_lo
	v_cmpx_eq_u32_e32 17, v93
	s_cbranch_execz .LBB76_296
; %bb.293:
	v_cmp_ne_u32_e32 vcc_lo, 17, v84
	s_xor_b32 s2, s6, -1
	s_and_b32 s3, s2, vcc_lo
	s_and_saveexec_b32 s2, s3
	s_cbranch_execz .LBB76_295
; %bb.294:
	v_ashrrev_i32_e32 v85, 31, v84
	v_lshlrev_b64 v[85:86], 2, v[84:85]
	v_add_co_u32 v85, vcc_lo, v4, v85
	v_add_co_ci_u32_e64 v86, null, v5, v86, vcc_lo
	s_clause 0x1
	global_load_dword v92, v[85:86], off
	global_load_dword v93, v[4:5], off offset:68
	s_waitcnt vmcnt(1)
	global_store_dword v[4:5], v92, off offset:68
	s_waitcnt vmcnt(0)
	global_store_dword v[85:86], v93, off
.LBB76_295:
	s_or_b32 exec_lo, exec_lo, s2
	v_mov_b32_e32 v92, v84
	v_mov_b32_e32 v93, v84
.LBB76_296:
	s_or_b32 exec_lo, exec_lo, s1
.LBB76_297:
	s_andn2_saveexec_b32 s0, s0
	s_cbranch_execz .LBB76_299
; %bb.298:
	v_mov_b32_e32 v84, v46
	v_mov_b32_e32 v85, v47
	;; [unrolled: 1-line block ×8, first 2 shown]
	ds_write2_b64 v90, v[84:85], v[93:94] offset0:18 offset1:19
	v_mov_b32_e32 v84, v38
	v_mov_b32_e32 v85, v39
	;; [unrolled: 1-line block ×16, first 2 shown]
	ds_write2_b64 v90, v[95:96], v[84:85] offset0:20 offset1:21
	ds_write2_b64 v90, v[93:94], v[97:98] offset0:22 offset1:23
	;; [unrolled: 1-line block ×5, first 2 shown]
	v_mov_b32_e32 v84, v20
	v_mov_b32_e32 v85, v21
	;; [unrolled: 1-line block ×8, first 2 shown]
	ds_write2_b64 v90, v[84:85], v[93:94] offset0:30 offset1:31
	v_mov_b32_e32 v93, 17
	v_mov_b32_e32 v99, v12
	;; [unrolled: 1-line block ×9, first 2 shown]
	ds_write2_b64 v90, v[95:96], v[97:98] offset0:32 offset1:33
	ds_write2_b64 v90, v[99:100], v[101:102] offset0:34 offset1:35
	;; [unrolled: 1-line block ×3, first 2 shown]
	ds_write_b64 v90, v[82:83] offset:304
.LBB76_299:
	s_or_b32 exec_lo, exec_lo, s0
	s_mov_b32 s0, exec_lo
	s_waitcnt lgkmcnt(0)
	s_waitcnt_vscnt null, 0x0
	s_barrier
	buffer_gl0_inv
	v_cmpx_lt_i32_e32 17, v93
	s_cbranch_execz .LBB76_301
; %bb.300:
	v_mul_f64 v[44:45], v[0:1], v[44:45]
	ds_read2_b64 v[94:97], v90 offset0:18 offset1:19
	ds_read2_b64 v[98:101], v90 offset0:20 offset1:21
	;; [unrolled: 1-line block ×10, first 2 shown]
	ds_read_b64 v[0:1], v90 offset:304
	s_waitcnt lgkmcnt(10)
	v_fma_f64 v[46:47], -v[44:45], v[94:95], v[46:47]
	v_fma_f64 v[42:43], -v[44:45], v[96:97], v[42:43]
	s_waitcnt lgkmcnt(9)
	v_fma_f64 v[40:41], -v[44:45], v[98:99], v[40:41]
	v_fma_f64 v[38:39], -v[44:45], v[100:101], v[38:39]
	;; [unrolled: 3-line block ×10, first 2 shown]
	s_waitcnt lgkmcnt(0)
	v_fma_f64 v[82:83], -v[44:45], v[0:1], v[82:83]
.LBB76_301:
	s_or_b32 exec_lo, exec_lo, s0
	v_lshl_add_u32 v0, v93, 3, v90
	s_barrier
	buffer_gl0_inv
	v_mov_b32_e32 v84, 18
	ds_write_b64 v0, v[46:47]
	s_waitcnt lgkmcnt(0)
	s_barrier
	buffer_gl0_inv
	ds_read_b64 v[0:1], v90 offset:144
	s_cmp_lt_i32 s7, 20
	s_cbranch_scc1 .LBB76_304
; %bb.302:
	v_add3_u32 v85, v91, 0, 0x98
	v_mov_b32_e32 v84, 18
	s_mov_b32 s0, 19
.LBB76_303:                             ; =>This Inner Loop Header: Depth=1
	ds_read_b64 v[94:95], v85
	v_add_nc_u32_e32 v85, 8, v85
	s_waitcnt lgkmcnt(0)
	v_cmp_lt_f64_e64 vcc_lo, |v[0:1]|, |v[94:95]|
	v_cndmask_b32_e32 v1, v1, v95, vcc_lo
	v_cndmask_b32_e32 v0, v0, v94, vcc_lo
	v_cndmask_b32_e64 v84, v84, s0, vcc_lo
	s_add_i32 s0, s0, 1
	s_cmp_lg_u32 s7, s0
	s_cbranch_scc1 .LBB76_303
.LBB76_304:
	s_mov_b32 s0, exec_lo
	s_waitcnt lgkmcnt(0)
	v_cmpx_eq_f64_e32 0, v[0:1]
	s_xor_b32 s0, exec_lo, s0
; %bb.305:
	v_cmp_ne_u32_e32 vcc_lo, 0, v87
	v_cndmask_b32_e32 v87, 19, v87, vcc_lo
; %bb.306:
	s_andn2_saveexec_b32 s0, s0
	s_cbranch_execz .LBB76_308
; %bb.307:
	v_div_scale_f64 v[85:86], null, v[0:1], v[0:1], 1.0
	v_rcp_f64_e32 v[94:95], v[85:86]
	v_fma_f64 v[96:97], -v[85:86], v[94:95], 1.0
	v_fma_f64 v[94:95], v[94:95], v[96:97], v[94:95]
	v_fma_f64 v[96:97], -v[85:86], v[94:95], 1.0
	v_fma_f64 v[94:95], v[94:95], v[96:97], v[94:95]
	v_div_scale_f64 v[96:97], vcc_lo, 1.0, v[0:1], 1.0
	v_mul_f64 v[98:99], v[96:97], v[94:95]
	v_fma_f64 v[85:86], -v[85:86], v[98:99], v[96:97]
	v_div_fmas_f64 v[85:86], v[85:86], v[94:95], v[98:99]
	v_div_fixup_f64 v[0:1], v[85:86], v[0:1], 1.0
.LBB76_308:
	s_or_b32 exec_lo, exec_lo, s0
	s_mov_b32 s0, exec_lo
	v_cmpx_ne_u32_e64 v93, v84
	s_xor_b32 s0, exec_lo, s0
	s_cbranch_execz .LBB76_314
; %bb.309:
	s_mov_b32 s1, exec_lo
	v_cmpx_eq_u32_e32 18, v93
	s_cbranch_execz .LBB76_313
; %bb.310:
	v_cmp_ne_u32_e32 vcc_lo, 18, v84
	s_xor_b32 s2, s6, -1
	s_and_b32 s3, s2, vcc_lo
	s_and_saveexec_b32 s2, s3
	s_cbranch_execz .LBB76_312
; %bb.311:
	v_ashrrev_i32_e32 v85, 31, v84
	v_lshlrev_b64 v[85:86], 2, v[84:85]
	v_add_co_u32 v85, vcc_lo, v4, v85
	v_add_co_ci_u32_e64 v86, null, v5, v86, vcc_lo
	s_clause 0x1
	global_load_dword v92, v[85:86], off
	global_load_dword v93, v[4:5], off offset:72
	s_waitcnt vmcnt(1)
	global_store_dword v[4:5], v92, off offset:72
	s_waitcnt vmcnt(0)
	global_store_dword v[85:86], v93, off
.LBB76_312:
	s_or_b32 exec_lo, exec_lo, s2
	v_mov_b32_e32 v92, v84
	v_mov_b32_e32 v93, v84
.LBB76_313:
	s_or_b32 exec_lo, exec_lo, s1
.LBB76_314:
	s_andn2_saveexec_b32 s0, s0
	s_cbranch_execz .LBB76_316
; %bb.315:
	v_mov_b32_e32 v93, 18
	ds_write2_b64 v90, v[42:43], v[40:41] offset0:19 offset1:20
	ds_write2_b64 v90, v[38:39], v[36:37] offset0:21 offset1:22
	;; [unrolled: 1-line block ×10, first 2 shown]
.LBB76_316:
	s_or_b32 exec_lo, exec_lo, s0
	s_mov_b32 s0, exec_lo
	s_waitcnt lgkmcnt(0)
	s_waitcnt_vscnt null, 0x0
	s_barrier
	buffer_gl0_inv
	v_cmpx_lt_i32_e32 18, v93
	s_cbranch_execz .LBB76_318
; %bb.317:
	v_mul_f64 v[46:47], v[0:1], v[46:47]
	ds_read2_b64 v[94:97], v90 offset0:19 offset1:20
	ds_read2_b64 v[98:101], v90 offset0:21 offset1:22
	;; [unrolled: 1-line block ×10, first 2 shown]
	s_waitcnt lgkmcnt(9)
	v_fma_f64 v[42:43], -v[46:47], v[94:95], v[42:43]
	v_fma_f64 v[40:41], -v[46:47], v[96:97], v[40:41]
	s_waitcnt lgkmcnt(8)
	v_fma_f64 v[38:39], -v[46:47], v[98:99], v[38:39]
	v_fma_f64 v[36:37], -v[46:47], v[100:101], v[36:37]
	;; [unrolled: 3-line block ×10, first 2 shown]
.LBB76_318:
	s_or_b32 exec_lo, exec_lo, s0
	v_lshl_add_u32 v0, v93, 3, v90
	s_barrier
	buffer_gl0_inv
	v_mov_b32_e32 v84, 19
	ds_write_b64 v0, v[42:43]
	s_waitcnt lgkmcnt(0)
	s_barrier
	buffer_gl0_inv
	ds_read_b64 v[0:1], v90 offset:152
	s_cmp_lt_i32 s7, 21
	s_cbranch_scc1 .LBB76_321
; %bb.319:
	v_add3_u32 v85, v91, 0, 0xa0
	v_mov_b32_e32 v84, 19
	s_mov_b32 s0, 20
.LBB76_320:                             ; =>This Inner Loop Header: Depth=1
	ds_read_b64 v[94:95], v85
	v_add_nc_u32_e32 v85, 8, v85
	s_waitcnt lgkmcnt(0)
	v_cmp_lt_f64_e64 vcc_lo, |v[0:1]|, |v[94:95]|
	v_cndmask_b32_e32 v1, v1, v95, vcc_lo
	v_cndmask_b32_e32 v0, v0, v94, vcc_lo
	v_cndmask_b32_e64 v84, v84, s0, vcc_lo
	s_add_i32 s0, s0, 1
	s_cmp_lg_u32 s7, s0
	s_cbranch_scc1 .LBB76_320
.LBB76_321:
	s_mov_b32 s0, exec_lo
	s_waitcnt lgkmcnt(0)
	v_cmpx_eq_f64_e32 0, v[0:1]
	s_xor_b32 s0, exec_lo, s0
; %bb.322:
	v_cmp_ne_u32_e32 vcc_lo, 0, v87
	v_cndmask_b32_e32 v87, 20, v87, vcc_lo
; %bb.323:
	s_andn2_saveexec_b32 s0, s0
	s_cbranch_execz .LBB76_325
; %bb.324:
	v_div_scale_f64 v[85:86], null, v[0:1], v[0:1], 1.0
	v_rcp_f64_e32 v[94:95], v[85:86]
	v_fma_f64 v[96:97], -v[85:86], v[94:95], 1.0
	v_fma_f64 v[94:95], v[94:95], v[96:97], v[94:95]
	v_fma_f64 v[96:97], -v[85:86], v[94:95], 1.0
	v_fma_f64 v[94:95], v[94:95], v[96:97], v[94:95]
	v_div_scale_f64 v[96:97], vcc_lo, 1.0, v[0:1], 1.0
	v_mul_f64 v[98:99], v[96:97], v[94:95]
	v_fma_f64 v[85:86], -v[85:86], v[98:99], v[96:97]
	v_div_fmas_f64 v[85:86], v[85:86], v[94:95], v[98:99]
	v_div_fixup_f64 v[0:1], v[85:86], v[0:1], 1.0
.LBB76_325:
	s_or_b32 exec_lo, exec_lo, s0
	s_mov_b32 s0, exec_lo
	v_cmpx_ne_u32_e64 v93, v84
	s_xor_b32 s0, exec_lo, s0
	s_cbranch_execz .LBB76_331
; %bb.326:
	s_mov_b32 s1, exec_lo
	v_cmpx_eq_u32_e32 19, v93
	s_cbranch_execz .LBB76_330
; %bb.327:
	v_cmp_ne_u32_e32 vcc_lo, 19, v84
	s_xor_b32 s2, s6, -1
	s_and_b32 s3, s2, vcc_lo
	s_and_saveexec_b32 s2, s3
	s_cbranch_execz .LBB76_329
; %bb.328:
	v_ashrrev_i32_e32 v85, 31, v84
	v_lshlrev_b64 v[85:86], 2, v[84:85]
	v_add_co_u32 v85, vcc_lo, v4, v85
	v_add_co_ci_u32_e64 v86, null, v5, v86, vcc_lo
	s_clause 0x1
	global_load_dword v92, v[85:86], off
	global_load_dword v93, v[4:5], off offset:76
	s_waitcnt vmcnt(1)
	global_store_dword v[4:5], v92, off offset:76
	s_waitcnt vmcnt(0)
	global_store_dword v[85:86], v93, off
.LBB76_329:
	s_or_b32 exec_lo, exec_lo, s2
	v_mov_b32_e32 v92, v84
	v_mov_b32_e32 v93, v84
.LBB76_330:
	s_or_b32 exec_lo, exec_lo, s1
.LBB76_331:
	s_andn2_saveexec_b32 s0, s0
	s_cbranch_execz .LBB76_333
; %bb.332:
	v_mov_b32_e32 v84, v40
	v_mov_b32_e32 v85, v41
	;; [unrolled: 1-line block ×20, first 2 shown]
	ds_write2_b64 v90, v[84:85], v[93:94] offset0:20 offset1:21
	ds_write2_b64 v90, v[95:96], v[97:98] offset0:22 offset1:23
	;; [unrolled: 1-line block ×5, first 2 shown]
	v_mov_b32_e32 v84, v20
	v_mov_b32_e32 v85, v21
	;; [unrolled: 1-line block ×8, first 2 shown]
	ds_write2_b64 v90, v[84:85], v[93:94] offset0:30 offset1:31
	v_mov_b32_e32 v93, 19
	v_mov_b32_e32 v99, v12
	;; [unrolled: 1-line block ×9, first 2 shown]
	ds_write2_b64 v90, v[95:96], v[97:98] offset0:32 offset1:33
	ds_write2_b64 v90, v[99:100], v[101:102] offset0:34 offset1:35
	ds_write2_b64 v90, v[103:104], v[105:106] offset0:36 offset1:37
	ds_write_b64 v90, v[82:83] offset:304
.LBB76_333:
	s_or_b32 exec_lo, exec_lo, s0
	s_mov_b32 s0, exec_lo
	s_waitcnt lgkmcnt(0)
	s_waitcnt_vscnt null, 0x0
	s_barrier
	buffer_gl0_inv
	v_cmpx_lt_i32_e32 19, v93
	s_cbranch_execz .LBB76_335
; %bb.334:
	v_mul_f64 v[42:43], v[0:1], v[42:43]
	ds_read2_b64 v[94:97], v90 offset0:20 offset1:21
	ds_read2_b64 v[98:101], v90 offset0:22 offset1:23
	ds_read2_b64 v[102:105], v90 offset0:24 offset1:25
	ds_read2_b64 v[106:109], v90 offset0:26 offset1:27
	ds_read2_b64 v[110:113], v90 offset0:28 offset1:29
	ds_read2_b64 v[114:117], v90 offset0:30 offset1:31
	ds_read2_b64 v[118:121], v90 offset0:32 offset1:33
	ds_read2_b64 v[122:125], v90 offset0:34 offset1:35
	ds_read2_b64 v[126:129], v90 offset0:36 offset1:37
	ds_read_b64 v[0:1], v90 offset:304
	s_waitcnt lgkmcnt(9)
	v_fma_f64 v[40:41], -v[42:43], v[94:95], v[40:41]
	v_fma_f64 v[38:39], -v[42:43], v[96:97], v[38:39]
	s_waitcnt lgkmcnt(8)
	v_fma_f64 v[36:37], -v[42:43], v[98:99], v[36:37]
	v_fma_f64 v[34:35], -v[42:43], v[100:101], v[34:35]
	;; [unrolled: 3-line block ×9, first 2 shown]
	s_waitcnt lgkmcnt(0)
	v_fma_f64 v[82:83], -v[42:43], v[0:1], v[82:83]
.LBB76_335:
	s_or_b32 exec_lo, exec_lo, s0
	v_lshl_add_u32 v0, v93, 3, v90
	s_barrier
	buffer_gl0_inv
	v_mov_b32_e32 v84, 20
	ds_write_b64 v0, v[40:41]
	s_waitcnt lgkmcnt(0)
	s_barrier
	buffer_gl0_inv
	ds_read_b64 v[0:1], v90 offset:160
	s_cmp_lt_i32 s7, 22
	s_cbranch_scc1 .LBB76_338
; %bb.336:
	v_add3_u32 v85, v91, 0, 0xa8
	v_mov_b32_e32 v84, 20
	s_mov_b32 s0, 21
.LBB76_337:                             ; =>This Inner Loop Header: Depth=1
	ds_read_b64 v[94:95], v85
	v_add_nc_u32_e32 v85, 8, v85
	s_waitcnt lgkmcnt(0)
	v_cmp_lt_f64_e64 vcc_lo, |v[0:1]|, |v[94:95]|
	v_cndmask_b32_e32 v1, v1, v95, vcc_lo
	v_cndmask_b32_e32 v0, v0, v94, vcc_lo
	v_cndmask_b32_e64 v84, v84, s0, vcc_lo
	s_add_i32 s0, s0, 1
	s_cmp_lg_u32 s7, s0
	s_cbranch_scc1 .LBB76_337
.LBB76_338:
	s_mov_b32 s0, exec_lo
	s_waitcnt lgkmcnt(0)
	v_cmpx_eq_f64_e32 0, v[0:1]
	s_xor_b32 s0, exec_lo, s0
; %bb.339:
	v_cmp_ne_u32_e32 vcc_lo, 0, v87
	v_cndmask_b32_e32 v87, 21, v87, vcc_lo
; %bb.340:
	s_andn2_saveexec_b32 s0, s0
	s_cbranch_execz .LBB76_342
; %bb.341:
	v_div_scale_f64 v[85:86], null, v[0:1], v[0:1], 1.0
	v_rcp_f64_e32 v[94:95], v[85:86]
	v_fma_f64 v[96:97], -v[85:86], v[94:95], 1.0
	v_fma_f64 v[94:95], v[94:95], v[96:97], v[94:95]
	v_fma_f64 v[96:97], -v[85:86], v[94:95], 1.0
	v_fma_f64 v[94:95], v[94:95], v[96:97], v[94:95]
	v_div_scale_f64 v[96:97], vcc_lo, 1.0, v[0:1], 1.0
	v_mul_f64 v[98:99], v[96:97], v[94:95]
	v_fma_f64 v[85:86], -v[85:86], v[98:99], v[96:97]
	v_div_fmas_f64 v[85:86], v[85:86], v[94:95], v[98:99]
	v_div_fixup_f64 v[0:1], v[85:86], v[0:1], 1.0
.LBB76_342:
	s_or_b32 exec_lo, exec_lo, s0
	s_mov_b32 s0, exec_lo
	v_cmpx_ne_u32_e64 v93, v84
	s_xor_b32 s0, exec_lo, s0
	s_cbranch_execz .LBB76_348
; %bb.343:
	s_mov_b32 s1, exec_lo
	v_cmpx_eq_u32_e32 20, v93
	s_cbranch_execz .LBB76_347
; %bb.344:
	v_cmp_ne_u32_e32 vcc_lo, 20, v84
	s_xor_b32 s2, s6, -1
	s_and_b32 s3, s2, vcc_lo
	s_and_saveexec_b32 s2, s3
	s_cbranch_execz .LBB76_346
; %bb.345:
	v_ashrrev_i32_e32 v85, 31, v84
	v_lshlrev_b64 v[85:86], 2, v[84:85]
	v_add_co_u32 v85, vcc_lo, v4, v85
	v_add_co_ci_u32_e64 v86, null, v5, v86, vcc_lo
	s_clause 0x1
	global_load_dword v92, v[85:86], off
	global_load_dword v93, v[4:5], off offset:80
	s_waitcnt vmcnt(1)
	global_store_dword v[4:5], v92, off offset:80
	s_waitcnt vmcnt(0)
	global_store_dword v[85:86], v93, off
.LBB76_346:
	s_or_b32 exec_lo, exec_lo, s2
	v_mov_b32_e32 v92, v84
	v_mov_b32_e32 v93, v84
.LBB76_347:
	s_or_b32 exec_lo, exec_lo, s1
.LBB76_348:
	s_andn2_saveexec_b32 s0, s0
	s_cbranch_execz .LBB76_350
; %bb.349:
	v_mov_b32_e32 v93, 20
	ds_write2_b64 v90, v[38:39], v[36:37] offset0:21 offset1:22
	ds_write2_b64 v90, v[34:35], v[32:33] offset0:23 offset1:24
	;; [unrolled: 1-line block ×9, first 2 shown]
.LBB76_350:
	s_or_b32 exec_lo, exec_lo, s0
	s_mov_b32 s0, exec_lo
	s_waitcnt lgkmcnt(0)
	s_waitcnt_vscnt null, 0x0
	s_barrier
	buffer_gl0_inv
	v_cmpx_lt_i32_e32 20, v93
	s_cbranch_execz .LBB76_352
; %bb.351:
	v_mul_f64 v[40:41], v[0:1], v[40:41]
	ds_read2_b64 v[94:97], v90 offset0:21 offset1:22
	ds_read2_b64 v[98:101], v90 offset0:23 offset1:24
	;; [unrolled: 1-line block ×9, first 2 shown]
	s_waitcnt lgkmcnt(8)
	v_fma_f64 v[38:39], -v[40:41], v[94:95], v[38:39]
	v_fma_f64 v[36:37], -v[40:41], v[96:97], v[36:37]
	s_waitcnt lgkmcnt(7)
	v_fma_f64 v[34:35], -v[40:41], v[98:99], v[34:35]
	v_fma_f64 v[32:33], -v[40:41], v[100:101], v[32:33]
	;; [unrolled: 3-line block ×9, first 2 shown]
.LBB76_352:
	s_or_b32 exec_lo, exec_lo, s0
	v_lshl_add_u32 v0, v93, 3, v90
	s_barrier
	buffer_gl0_inv
	v_mov_b32_e32 v84, 21
	ds_write_b64 v0, v[38:39]
	s_waitcnt lgkmcnt(0)
	s_barrier
	buffer_gl0_inv
	ds_read_b64 v[0:1], v90 offset:168
	s_cmp_lt_i32 s7, 23
	s_cbranch_scc1 .LBB76_355
; %bb.353:
	v_add3_u32 v85, v91, 0, 0xb0
	v_mov_b32_e32 v84, 21
	s_mov_b32 s0, 22
.LBB76_354:                             ; =>This Inner Loop Header: Depth=1
	ds_read_b64 v[94:95], v85
	v_add_nc_u32_e32 v85, 8, v85
	s_waitcnt lgkmcnt(0)
	v_cmp_lt_f64_e64 vcc_lo, |v[0:1]|, |v[94:95]|
	v_cndmask_b32_e32 v1, v1, v95, vcc_lo
	v_cndmask_b32_e32 v0, v0, v94, vcc_lo
	v_cndmask_b32_e64 v84, v84, s0, vcc_lo
	s_add_i32 s0, s0, 1
	s_cmp_lg_u32 s7, s0
	s_cbranch_scc1 .LBB76_354
.LBB76_355:
	s_mov_b32 s0, exec_lo
	s_waitcnt lgkmcnt(0)
	v_cmpx_eq_f64_e32 0, v[0:1]
	s_xor_b32 s0, exec_lo, s0
; %bb.356:
	v_cmp_ne_u32_e32 vcc_lo, 0, v87
	v_cndmask_b32_e32 v87, 22, v87, vcc_lo
; %bb.357:
	s_andn2_saveexec_b32 s0, s0
	s_cbranch_execz .LBB76_359
; %bb.358:
	v_div_scale_f64 v[85:86], null, v[0:1], v[0:1], 1.0
	v_rcp_f64_e32 v[94:95], v[85:86]
	v_fma_f64 v[96:97], -v[85:86], v[94:95], 1.0
	v_fma_f64 v[94:95], v[94:95], v[96:97], v[94:95]
	v_fma_f64 v[96:97], -v[85:86], v[94:95], 1.0
	v_fma_f64 v[94:95], v[94:95], v[96:97], v[94:95]
	v_div_scale_f64 v[96:97], vcc_lo, 1.0, v[0:1], 1.0
	v_mul_f64 v[98:99], v[96:97], v[94:95]
	v_fma_f64 v[85:86], -v[85:86], v[98:99], v[96:97]
	v_div_fmas_f64 v[85:86], v[85:86], v[94:95], v[98:99]
	v_div_fixup_f64 v[0:1], v[85:86], v[0:1], 1.0
.LBB76_359:
	s_or_b32 exec_lo, exec_lo, s0
	s_mov_b32 s0, exec_lo
	v_cmpx_ne_u32_e64 v93, v84
	s_xor_b32 s0, exec_lo, s0
	s_cbranch_execz .LBB76_365
; %bb.360:
	s_mov_b32 s1, exec_lo
	v_cmpx_eq_u32_e32 21, v93
	s_cbranch_execz .LBB76_364
; %bb.361:
	v_cmp_ne_u32_e32 vcc_lo, 21, v84
	s_xor_b32 s2, s6, -1
	s_and_b32 s3, s2, vcc_lo
	s_and_saveexec_b32 s2, s3
	s_cbranch_execz .LBB76_363
; %bb.362:
	v_ashrrev_i32_e32 v85, 31, v84
	v_lshlrev_b64 v[85:86], 2, v[84:85]
	v_add_co_u32 v85, vcc_lo, v4, v85
	v_add_co_ci_u32_e64 v86, null, v5, v86, vcc_lo
	s_clause 0x1
	global_load_dword v92, v[85:86], off
	global_load_dword v93, v[4:5], off offset:84
	s_waitcnt vmcnt(1)
	global_store_dword v[4:5], v92, off offset:84
	s_waitcnt vmcnt(0)
	global_store_dword v[85:86], v93, off
.LBB76_363:
	s_or_b32 exec_lo, exec_lo, s2
	v_mov_b32_e32 v92, v84
	v_mov_b32_e32 v93, v84
.LBB76_364:
	s_or_b32 exec_lo, exec_lo, s1
.LBB76_365:
	s_andn2_saveexec_b32 s0, s0
	s_cbranch_execz .LBB76_367
; %bb.366:
	v_mov_b32_e32 v84, v36
	v_mov_b32_e32 v85, v37
	;; [unrolled: 1-line block ×16, first 2 shown]
	ds_write2_b64 v90, v[84:85], v[93:94] offset0:22 offset1:23
	ds_write2_b64 v90, v[95:96], v[97:98] offset0:24 offset1:25
	;; [unrolled: 1-line block ×4, first 2 shown]
	v_mov_b32_e32 v84, v20
	v_mov_b32_e32 v85, v21
	v_mov_b32_e32 v93, v18
	v_mov_b32_e32 v94, v19
	v_mov_b32_e32 v95, v16
	v_mov_b32_e32 v96, v17
	v_mov_b32_e32 v97, v14
	v_mov_b32_e32 v98, v15
	ds_write2_b64 v90, v[84:85], v[93:94] offset0:30 offset1:31
	v_mov_b32_e32 v93, 21
	v_mov_b32_e32 v99, v12
	;; [unrolled: 1-line block ×9, first 2 shown]
	ds_write2_b64 v90, v[95:96], v[97:98] offset0:32 offset1:33
	ds_write2_b64 v90, v[99:100], v[101:102] offset0:34 offset1:35
	;; [unrolled: 1-line block ×3, first 2 shown]
	ds_write_b64 v90, v[82:83] offset:304
.LBB76_367:
	s_or_b32 exec_lo, exec_lo, s0
	s_mov_b32 s0, exec_lo
	s_waitcnt lgkmcnt(0)
	s_waitcnt_vscnt null, 0x0
	s_barrier
	buffer_gl0_inv
	v_cmpx_lt_i32_e32 21, v93
	s_cbranch_execz .LBB76_369
; %bb.368:
	v_mul_f64 v[38:39], v[0:1], v[38:39]
	ds_read2_b64 v[94:97], v90 offset0:22 offset1:23
	ds_read2_b64 v[98:101], v90 offset0:24 offset1:25
	ds_read2_b64 v[102:105], v90 offset0:26 offset1:27
	ds_read2_b64 v[106:109], v90 offset0:28 offset1:29
	ds_read2_b64 v[110:113], v90 offset0:30 offset1:31
	ds_read2_b64 v[114:117], v90 offset0:32 offset1:33
	ds_read2_b64 v[118:121], v90 offset0:34 offset1:35
	ds_read2_b64 v[122:125], v90 offset0:36 offset1:37
	ds_read_b64 v[0:1], v90 offset:304
	s_waitcnt lgkmcnt(8)
	v_fma_f64 v[36:37], -v[38:39], v[94:95], v[36:37]
	v_fma_f64 v[34:35], -v[38:39], v[96:97], v[34:35]
	s_waitcnt lgkmcnt(7)
	v_fma_f64 v[32:33], -v[38:39], v[98:99], v[32:33]
	v_fma_f64 v[28:29], -v[38:39], v[100:101], v[28:29]
	;; [unrolled: 3-line block ×8, first 2 shown]
	s_waitcnt lgkmcnt(0)
	v_fma_f64 v[82:83], -v[38:39], v[0:1], v[82:83]
.LBB76_369:
	s_or_b32 exec_lo, exec_lo, s0
	v_lshl_add_u32 v0, v93, 3, v90
	s_barrier
	buffer_gl0_inv
	v_mov_b32_e32 v84, 22
	ds_write_b64 v0, v[36:37]
	s_waitcnt lgkmcnt(0)
	s_barrier
	buffer_gl0_inv
	ds_read_b64 v[0:1], v90 offset:176
	s_cmp_lt_i32 s7, 24
	s_cbranch_scc1 .LBB76_372
; %bb.370:
	v_add3_u32 v85, v91, 0, 0xb8
	v_mov_b32_e32 v84, 22
	s_mov_b32 s0, 23
.LBB76_371:                             ; =>This Inner Loop Header: Depth=1
	ds_read_b64 v[94:95], v85
	v_add_nc_u32_e32 v85, 8, v85
	s_waitcnt lgkmcnt(0)
	v_cmp_lt_f64_e64 vcc_lo, |v[0:1]|, |v[94:95]|
	v_cndmask_b32_e32 v1, v1, v95, vcc_lo
	v_cndmask_b32_e32 v0, v0, v94, vcc_lo
	v_cndmask_b32_e64 v84, v84, s0, vcc_lo
	s_add_i32 s0, s0, 1
	s_cmp_lg_u32 s7, s0
	s_cbranch_scc1 .LBB76_371
.LBB76_372:
	s_mov_b32 s0, exec_lo
	s_waitcnt lgkmcnt(0)
	v_cmpx_eq_f64_e32 0, v[0:1]
	s_xor_b32 s0, exec_lo, s0
; %bb.373:
	v_cmp_ne_u32_e32 vcc_lo, 0, v87
	v_cndmask_b32_e32 v87, 23, v87, vcc_lo
; %bb.374:
	s_andn2_saveexec_b32 s0, s0
	s_cbranch_execz .LBB76_376
; %bb.375:
	v_div_scale_f64 v[85:86], null, v[0:1], v[0:1], 1.0
	v_rcp_f64_e32 v[94:95], v[85:86]
	v_fma_f64 v[96:97], -v[85:86], v[94:95], 1.0
	v_fma_f64 v[94:95], v[94:95], v[96:97], v[94:95]
	v_fma_f64 v[96:97], -v[85:86], v[94:95], 1.0
	v_fma_f64 v[94:95], v[94:95], v[96:97], v[94:95]
	v_div_scale_f64 v[96:97], vcc_lo, 1.0, v[0:1], 1.0
	v_mul_f64 v[98:99], v[96:97], v[94:95]
	v_fma_f64 v[85:86], -v[85:86], v[98:99], v[96:97]
	v_div_fmas_f64 v[85:86], v[85:86], v[94:95], v[98:99]
	v_div_fixup_f64 v[0:1], v[85:86], v[0:1], 1.0
.LBB76_376:
	s_or_b32 exec_lo, exec_lo, s0
	s_mov_b32 s0, exec_lo
	v_cmpx_ne_u32_e64 v93, v84
	s_xor_b32 s0, exec_lo, s0
	s_cbranch_execz .LBB76_382
; %bb.377:
	s_mov_b32 s1, exec_lo
	v_cmpx_eq_u32_e32 22, v93
	s_cbranch_execz .LBB76_381
; %bb.378:
	v_cmp_ne_u32_e32 vcc_lo, 22, v84
	s_xor_b32 s2, s6, -1
	s_and_b32 s3, s2, vcc_lo
	s_and_saveexec_b32 s2, s3
	s_cbranch_execz .LBB76_380
; %bb.379:
	v_ashrrev_i32_e32 v85, 31, v84
	v_lshlrev_b64 v[85:86], 2, v[84:85]
	v_add_co_u32 v85, vcc_lo, v4, v85
	v_add_co_ci_u32_e64 v86, null, v5, v86, vcc_lo
	s_clause 0x1
	global_load_dword v92, v[85:86], off
	global_load_dword v93, v[4:5], off offset:88
	s_waitcnt vmcnt(1)
	global_store_dword v[4:5], v92, off offset:88
	s_waitcnt vmcnt(0)
	global_store_dword v[85:86], v93, off
.LBB76_380:
	s_or_b32 exec_lo, exec_lo, s2
	v_mov_b32_e32 v92, v84
	v_mov_b32_e32 v93, v84
.LBB76_381:
	s_or_b32 exec_lo, exec_lo, s1
.LBB76_382:
	s_andn2_saveexec_b32 s0, s0
	s_cbranch_execz .LBB76_384
; %bb.383:
	v_mov_b32_e32 v93, 22
	ds_write2_b64 v90, v[34:35], v[32:33] offset0:23 offset1:24
	ds_write2_b64 v90, v[28:29], v[30:31] offset0:25 offset1:26
	;; [unrolled: 1-line block ×8, first 2 shown]
.LBB76_384:
	s_or_b32 exec_lo, exec_lo, s0
	s_mov_b32 s0, exec_lo
	s_waitcnt lgkmcnt(0)
	s_waitcnt_vscnt null, 0x0
	s_barrier
	buffer_gl0_inv
	v_cmpx_lt_i32_e32 22, v93
	s_cbranch_execz .LBB76_386
; %bb.385:
	v_mul_f64 v[36:37], v[0:1], v[36:37]
	ds_read2_b64 v[94:97], v90 offset0:23 offset1:24
	ds_read2_b64 v[98:101], v90 offset0:25 offset1:26
	;; [unrolled: 1-line block ×8, first 2 shown]
	s_waitcnt lgkmcnt(7)
	v_fma_f64 v[34:35], -v[36:37], v[94:95], v[34:35]
	v_fma_f64 v[32:33], -v[36:37], v[96:97], v[32:33]
	s_waitcnt lgkmcnt(6)
	v_fma_f64 v[28:29], -v[36:37], v[98:99], v[28:29]
	v_fma_f64 v[30:31], -v[36:37], v[100:101], v[30:31]
	;; [unrolled: 3-line block ×8, first 2 shown]
.LBB76_386:
	s_or_b32 exec_lo, exec_lo, s0
	v_lshl_add_u32 v0, v93, 3, v90
	s_barrier
	buffer_gl0_inv
	v_mov_b32_e32 v84, 23
	ds_write_b64 v0, v[34:35]
	s_waitcnt lgkmcnt(0)
	s_barrier
	buffer_gl0_inv
	ds_read_b64 v[0:1], v90 offset:184
	s_cmp_lt_i32 s7, 25
	s_cbranch_scc1 .LBB76_389
; %bb.387:
	v_add3_u32 v85, v91, 0, 0xc0
	v_mov_b32_e32 v84, 23
	s_mov_b32 s0, 24
.LBB76_388:                             ; =>This Inner Loop Header: Depth=1
	ds_read_b64 v[94:95], v85
	v_add_nc_u32_e32 v85, 8, v85
	s_waitcnt lgkmcnt(0)
	v_cmp_lt_f64_e64 vcc_lo, |v[0:1]|, |v[94:95]|
	v_cndmask_b32_e32 v1, v1, v95, vcc_lo
	v_cndmask_b32_e32 v0, v0, v94, vcc_lo
	v_cndmask_b32_e64 v84, v84, s0, vcc_lo
	s_add_i32 s0, s0, 1
	s_cmp_lg_u32 s7, s0
	s_cbranch_scc1 .LBB76_388
.LBB76_389:
	s_mov_b32 s0, exec_lo
	s_waitcnt lgkmcnt(0)
	v_cmpx_eq_f64_e32 0, v[0:1]
	s_xor_b32 s0, exec_lo, s0
; %bb.390:
	v_cmp_ne_u32_e32 vcc_lo, 0, v87
	v_cndmask_b32_e32 v87, 24, v87, vcc_lo
; %bb.391:
	s_andn2_saveexec_b32 s0, s0
	s_cbranch_execz .LBB76_393
; %bb.392:
	v_div_scale_f64 v[85:86], null, v[0:1], v[0:1], 1.0
	v_rcp_f64_e32 v[94:95], v[85:86]
	v_fma_f64 v[96:97], -v[85:86], v[94:95], 1.0
	v_fma_f64 v[94:95], v[94:95], v[96:97], v[94:95]
	v_fma_f64 v[96:97], -v[85:86], v[94:95], 1.0
	v_fma_f64 v[94:95], v[94:95], v[96:97], v[94:95]
	v_div_scale_f64 v[96:97], vcc_lo, 1.0, v[0:1], 1.0
	v_mul_f64 v[98:99], v[96:97], v[94:95]
	v_fma_f64 v[85:86], -v[85:86], v[98:99], v[96:97]
	v_div_fmas_f64 v[85:86], v[85:86], v[94:95], v[98:99]
	v_div_fixup_f64 v[0:1], v[85:86], v[0:1], 1.0
.LBB76_393:
	s_or_b32 exec_lo, exec_lo, s0
	s_mov_b32 s0, exec_lo
	v_cmpx_ne_u32_e64 v93, v84
	s_xor_b32 s0, exec_lo, s0
	s_cbranch_execz .LBB76_399
; %bb.394:
	s_mov_b32 s1, exec_lo
	v_cmpx_eq_u32_e32 23, v93
	s_cbranch_execz .LBB76_398
; %bb.395:
	v_cmp_ne_u32_e32 vcc_lo, 23, v84
	s_xor_b32 s2, s6, -1
	s_and_b32 s3, s2, vcc_lo
	s_and_saveexec_b32 s2, s3
	s_cbranch_execz .LBB76_397
; %bb.396:
	v_ashrrev_i32_e32 v85, 31, v84
	v_lshlrev_b64 v[85:86], 2, v[84:85]
	v_add_co_u32 v85, vcc_lo, v4, v85
	v_add_co_ci_u32_e64 v86, null, v5, v86, vcc_lo
	s_clause 0x1
	global_load_dword v92, v[85:86], off
	global_load_dword v93, v[4:5], off offset:92
	s_waitcnt vmcnt(1)
	global_store_dword v[4:5], v92, off offset:92
	s_waitcnt vmcnt(0)
	global_store_dword v[85:86], v93, off
.LBB76_397:
	s_or_b32 exec_lo, exec_lo, s2
	v_mov_b32_e32 v92, v84
	v_mov_b32_e32 v93, v84
.LBB76_398:
	s_or_b32 exec_lo, exec_lo, s1
.LBB76_399:
	s_andn2_saveexec_b32 s0, s0
	s_cbranch_execz .LBB76_401
; %bb.400:
	v_mov_b32_e32 v84, v32
	v_mov_b32_e32 v85, v33
	;; [unrolled: 1-line block ×12, first 2 shown]
	ds_write2_b64 v90, v[84:85], v[93:94] offset0:24 offset1:25
	ds_write2_b64 v90, v[95:96], v[97:98] offset0:26 offset1:27
	ds_write2_b64 v90, v[99:100], v[101:102] offset0:28 offset1:29
	v_mov_b32_e32 v84, v20
	v_mov_b32_e32 v85, v21
	;; [unrolled: 1-line block ×8, first 2 shown]
	ds_write2_b64 v90, v[84:85], v[93:94] offset0:30 offset1:31
	v_mov_b32_e32 v93, 23
	v_mov_b32_e32 v99, v12
	v_mov_b32_e32 v100, v13
	v_mov_b32_e32 v101, v8
	v_mov_b32_e32 v102, v9
	v_mov_b32_e32 v103, v10
	v_mov_b32_e32 v104, v11
	v_mov_b32_e32 v105, v6
	v_mov_b32_e32 v106, v7
	ds_write2_b64 v90, v[95:96], v[97:98] offset0:32 offset1:33
	ds_write2_b64 v90, v[99:100], v[101:102] offset0:34 offset1:35
	;; [unrolled: 1-line block ×3, first 2 shown]
	ds_write_b64 v90, v[82:83] offset:304
.LBB76_401:
	s_or_b32 exec_lo, exec_lo, s0
	s_mov_b32 s0, exec_lo
	s_waitcnt lgkmcnt(0)
	s_waitcnt_vscnt null, 0x0
	s_barrier
	buffer_gl0_inv
	v_cmpx_lt_i32_e32 23, v93
	s_cbranch_execz .LBB76_403
; %bb.402:
	v_mul_f64 v[34:35], v[0:1], v[34:35]
	ds_read2_b64 v[94:97], v90 offset0:24 offset1:25
	ds_read2_b64 v[98:101], v90 offset0:26 offset1:27
	;; [unrolled: 1-line block ×7, first 2 shown]
	ds_read_b64 v[0:1], v90 offset:304
	s_waitcnt lgkmcnt(7)
	v_fma_f64 v[32:33], -v[34:35], v[94:95], v[32:33]
	v_fma_f64 v[28:29], -v[34:35], v[96:97], v[28:29]
	s_waitcnt lgkmcnt(6)
	v_fma_f64 v[30:31], -v[34:35], v[98:99], v[30:31]
	v_fma_f64 v[24:25], -v[34:35], v[100:101], v[24:25]
	;; [unrolled: 3-line block ×7, first 2 shown]
	s_waitcnt lgkmcnt(0)
	v_fma_f64 v[82:83], -v[34:35], v[0:1], v[82:83]
.LBB76_403:
	s_or_b32 exec_lo, exec_lo, s0
	v_lshl_add_u32 v0, v93, 3, v90
	s_barrier
	buffer_gl0_inv
	v_mov_b32_e32 v84, 24
	ds_write_b64 v0, v[32:33]
	s_waitcnt lgkmcnt(0)
	s_barrier
	buffer_gl0_inv
	ds_read_b64 v[0:1], v90 offset:192
	s_cmp_lt_i32 s7, 26
	s_cbranch_scc1 .LBB76_406
; %bb.404:
	v_add3_u32 v85, v91, 0, 0xc8
	v_mov_b32_e32 v84, 24
	s_mov_b32 s0, 25
.LBB76_405:                             ; =>This Inner Loop Header: Depth=1
	ds_read_b64 v[94:95], v85
	v_add_nc_u32_e32 v85, 8, v85
	s_waitcnt lgkmcnt(0)
	v_cmp_lt_f64_e64 vcc_lo, |v[0:1]|, |v[94:95]|
	v_cndmask_b32_e32 v1, v1, v95, vcc_lo
	v_cndmask_b32_e32 v0, v0, v94, vcc_lo
	v_cndmask_b32_e64 v84, v84, s0, vcc_lo
	s_add_i32 s0, s0, 1
	s_cmp_lg_u32 s7, s0
	s_cbranch_scc1 .LBB76_405
.LBB76_406:
	s_mov_b32 s0, exec_lo
	s_waitcnt lgkmcnt(0)
	v_cmpx_eq_f64_e32 0, v[0:1]
	s_xor_b32 s0, exec_lo, s0
; %bb.407:
	v_cmp_ne_u32_e32 vcc_lo, 0, v87
	v_cndmask_b32_e32 v87, 25, v87, vcc_lo
; %bb.408:
	s_andn2_saveexec_b32 s0, s0
	s_cbranch_execz .LBB76_410
; %bb.409:
	v_div_scale_f64 v[85:86], null, v[0:1], v[0:1], 1.0
	v_rcp_f64_e32 v[94:95], v[85:86]
	v_fma_f64 v[96:97], -v[85:86], v[94:95], 1.0
	v_fma_f64 v[94:95], v[94:95], v[96:97], v[94:95]
	v_fma_f64 v[96:97], -v[85:86], v[94:95], 1.0
	v_fma_f64 v[94:95], v[94:95], v[96:97], v[94:95]
	v_div_scale_f64 v[96:97], vcc_lo, 1.0, v[0:1], 1.0
	v_mul_f64 v[98:99], v[96:97], v[94:95]
	v_fma_f64 v[85:86], -v[85:86], v[98:99], v[96:97]
	v_div_fmas_f64 v[85:86], v[85:86], v[94:95], v[98:99]
	v_div_fixup_f64 v[0:1], v[85:86], v[0:1], 1.0
.LBB76_410:
	s_or_b32 exec_lo, exec_lo, s0
	s_mov_b32 s0, exec_lo
	v_cmpx_ne_u32_e64 v93, v84
	s_xor_b32 s0, exec_lo, s0
	s_cbranch_execz .LBB76_416
; %bb.411:
	s_mov_b32 s1, exec_lo
	v_cmpx_eq_u32_e32 24, v93
	s_cbranch_execz .LBB76_415
; %bb.412:
	v_cmp_ne_u32_e32 vcc_lo, 24, v84
	s_xor_b32 s2, s6, -1
	s_and_b32 s3, s2, vcc_lo
	s_and_saveexec_b32 s2, s3
	s_cbranch_execz .LBB76_414
; %bb.413:
	v_ashrrev_i32_e32 v85, 31, v84
	v_lshlrev_b64 v[85:86], 2, v[84:85]
	v_add_co_u32 v85, vcc_lo, v4, v85
	v_add_co_ci_u32_e64 v86, null, v5, v86, vcc_lo
	s_clause 0x1
	global_load_dword v92, v[85:86], off
	global_load_dword v93, v[4:5], off offset:96
	s_waitcnt vmcnt(1)
	global_store_dword v[4:5], v92, off offset:96
	s_waitcnt vmcnt(0)
	global_store_dword v[85:86], v93, off
.LBB76_414:
	s_or_b32 exec_lo, exec_lo, s2
	v_mov_b32_e32 v92, v84
	v_mov_b32_e32 v93, v84
.LBB76_415:
	s_or_b32 exec_lo, exec_lo, s1
.LBB76_416:
	s_andn2_saveexec_b32 s0, s0
	s_cbranch_execz .LBB76_418
; %bb.417:
	v_mov_b32_e32 v93, 24
	ds_write2_b64 v90, v[28:29], v[30:31] offset0:25 offset1:26
	ds_write2_b64 v90, v[24:25], v[26:27] offset0:27 offset1:28
	ds_write2_b64 v90, v[22:23], v[20:21] offset0:29 offset1:30
	ds_write2_b64 v90, v[18:19], v[16:17] offset0:31 offset1:32
	ds_write2_b64 v90, v[14:15], v[12:13] offset0:33 offset1:34
	ds_write2_b64 v90, v[8:9], v[10:11] offset0:35 offset1:36
	ds_write2_b64 v90, v[6:7], v[82:83] offset0:37 offset1:38
.LBB76_418:
	s_or_b32 exec_lo, exec_lo, s0
	s_mov_b32 s0, exec_lo
	s_waitcnt lgkmcnt(0)
	s_waitcnt_vscnt null, 0x0
	s_barrier
	buffer_gl0_inv
	v_cmpx_lt_i32_e32 24, v93
	s_cbranch_execz .LBB76_420
; %bb.419:
	v_mul_f64 v[32:33], v[0:1], v[32:33]
	ds_read2_b64 v[94:97], v90 offset0:25 offset1:26
	ds_read2_b64 v[98:101], v90 offset0:27 offset1:28
	;; [unrolled: 1-line block ×7, first 2 shown]
	s_waitcnt lgkmcnt(6)
	v_fma_f64 v[28:29], -v[32:33], v[94:95], v[28:29]
	v_fma_f64 v[30:31], -v[32:33], v[96:97], v[30:31]
	s_waitcnt lgkmcnt(5)
	v_fma_f64 v[24:25], -v[32:33], v[98:99], v[24:25]
	v_fma_f64 v[26:27], -v[32:33], v[100:101], v[26:27]
	;; [unrolled: 3-line block ×7, first 2 shown]
.LBB76_420:
	s_or_b32 exec_lo, exec_lo, s0
	v_lshl_add_u32 v0, v93, 3, v90
	s_barrier
	buffer_gl0_inv
	v_mov_b32_e32 v84, 25
	ds_write_b64 v0, v[28:29]
	s_waitcnt lgkmcnt(0)
	s_barrier
	buffer_gl0_inv
	ds_read_b64 v[0:1], v90 offset:200
	s_cmp_lt_i32 s7, 27
	s_cbranch_scc1 .LBB76_423
; %bb.421:
	v_add3_u32 v85, v91, 0, 0xd0
	v_mov_b32_e32 v84, 25
	s_mov_b32 s0, 26
.LBB76_422:                             ; =>This Inner Loop Header: Depth=1
	ds_read_b64 v[94:95], v85
	v_add_nc_u32_e32 v85, 8, v85
	s_waitcnt lgkmcnt(0)
	v_cmp_lt_f64_e64 vcc_lo, |v[0:1]|, |v[94:95]|
	v_cndmask_b32_e32 v1, v1, v95, vcc_lo
	v_cndmask_b32_e32 v0, v0, v94, vcc_lo
	v_cndmask_b32_e64 v84, v84, s0, vcc_lo
	s_add_i32 s0, s0, 1
	s_cmp_lg_u32 s7, s0
	s_cbranch_scc1 .LBB76_422
.LBB76_423:
	s_mov_b32 s0, exec_lo
	s_waitcnt lgkmcnt(0)
	v_cmpx_eq_f64_e32 0, v[0:1]
	s_xor_b32 s0, exec_lo, s0
; %bb.424:
	v_cmp_ne_u32_e32 vcc_lo, 0, v87
	v_cndmask_b32_e32 v87, 26, v87, vcc_lo
; %bb.425:
	s_andn2_saveexec_b32 s0, s0
	s_cbranch_execz .LBB76_427
; %bb.426:
	v_div_scale_f64 v[85:86], null, v[0:1], v[0:1], 1.0
	v_rcp_f64_e32 v[94:95], v[85:86]
	v_fma_f64 v[96:97], -v[85:86], v[94:95], 1.0
	v_fma_f64 v[94:95], v[94:95], v[96:97], v[94:95]
	v_fma_f64 v[96:97], -v[85:86], v[94:95], 1.0
	v_fma_f64 v[94:95], v[94:95], v[96:97], v[94:95]
	v_div_scale_f64 v[96:97], vcc_lo, 1.0, v[0:1], 1.0
	v_mul_f64 v[98:99], v[96:97], v[94:95]
	v_fma_f64 v[85:86], -v[85:86], v[98:99], v[96:97]
	v_div_fmas_f64 v[85:86], v[85:86], v[94:95], v[98:99]
	v_div_fixup_f64 v[0:1], v[85:86], v[0:1], 1.0
.LBB76_427:
	s_or_b32 exec_lo, exec_lo, s0
	s_mov_b32 s0, exec_lo
	v_cmpx_ne_u32_e64 v93, v84
	s_xor_b32 s0, exec_lo, s0
	s_cbranch_execz .LBB76_433
; %bb.428:
	s_mov_b32 s1, exec_lo
	v_cmpx_eq_u32_e32 25, v93
	s_cbranch_execz .LBB76_432
; %bb.429:
	v_cmp_ne_u32_e32 vcc_lo, 25, v84
	s_xor_b32 s2, s6, -1
	s_and_b32 s3, s2, vcc_lo
	s_and_saveexec_b32 s2, s3
	s_cbranch_execz .LBB76_431
; %bb.430:
	v_ashrrev_i32_e32 v85, 31, v84
	v_lshlrev_b64 v[85:86], 2, v[84:85]
	v_add_co_u32 v85, vcc_lo, v4, v85
	v_add_co_ci_u32_e64 v86, null, v5, v86, vcc_lo
	s_clause 0x1
	global_load_dword v92, v[85:86], off
	global_load_dword v93, v[4:5], off offset:100
	s_waitcnt vmcnt(1)
	global_store_dword v[4:5], v92, off offset:100
	s_waitcnt vmcnt(0)
	global_store_dword v[85:86], v93, off
.LBB76_431:
	s_or_b32 exec_lo, exec_lo, s2
	v_mov_b32_e32 v92, v84
	v_mov_b32_e32 v93, v84
.LBB76_432:
	s_or_b32 exec_lo, exec_lo, s1
.LBB76_433:
	s_andn2_saveexec_b32 s0, s0
	s_cbranch_execz .LBB76_435
; %bb.434:
	v_mov_b32_e32 v84, v30
	v_mov_b32_e32 v85, v31
	;; [unrolled: 1-line block ×8, first 2 shown]
	ds_write2_b64 v90, v[84:85], v[93:94] offset0:26 offset1:27
	ds_write2_b64 v90, v[95:96], v[97:98] offset0:28 offset1:29
	v_mov_b32_e32 v84, v20
	v_mov_b32_e32 v85, v21
	;; [unrolled: 1-line block ×8, first 2 shown]
	ds_write2_b64 v90, v[84:85], v[93:94] offset0:30 offset1:31
	v_mov_b32_e32 v93, 25
	v_mov_b32_e32 v99, v12
	;; [unrolled: 1-line block ×9, first 2 shown]
	ds_write2_b64 v90, v[95:96], v[97:98] offset0:32 offset1:33
	ds_write2_b64 v90, v[99:100], v[101:102] offset0:34 offset1:35
	;; [unrolled: 1-line block ×3, first 2 shown]
	ds_write_b64 v90, v[82:83] offset:304
.LBB76_435:
	s_or_b32 exec_lo, exec_lo, s0
	s_mov_b32 s0, exec_lo
	s_waitcnt lgkmcnt(0)
	s_waitcnt_vscnt null, 0x0
	s_barrier
	buffer_gl0_inv
	v_cmpx_lt_i32_e32 25, v93
	s_cbranch_execz .LBB76_437
; %bb.436:
	v_mul_f64 v[28:29], v[0:1], v[28:29]
	ds_read2_b64 v[94:97], v90 offset0:26 offset1:27
	ds_read2_b64 v[98:101], v90 offset0:28 offset1:29
	;; [unrolled: 1-line block ×6, first 2 shown]
	ds_read_b64 v[0:1], v90 offset:304
	s_waitcnt lgkmcnt(6)
	v_fma_f64 v[30:31], -v[28:29], v[94:95], v[30:31]
	v_fma_f64 v[24:25], -v[28:29], v[96:97], v[24:25]
	s_waitcnt lgkmcnt(5)
	v_fma_f64 v[26:27], -v[28:29], v[98:99], v[26:27]
	v_fma_f64 v[22:23], -v[28:29], v[100:101], v[22:23]
	s_waitcnt lgkmcnt(4)
	v_fma_f64 v[20:21], -v[28:29], v[102:103], v[20:21]
	v_fma_f64 v[18:19], -v[28:29], v[104:105], v[18:19]
	s_waitcnt lgkmcnt(3)
	v_fma_f64 v[16:17], -v[28:29], v[106:107], v[16:17]
	v_fma_f64 v[14:15], -v[28:29], v[108:109], v[14:15]
	s_waitcnt lgkmcnt(2)
	v_fma_f64 v[12:13], -v[28:29], v[110:111], v[12:13]
	v_fma_f64 v[8:9], -v[28:29], v[112:113], v[8:9]
	s_waitcnt lgkmcnt(1)
	v_fma_f64 v[10:11], -v[28:29], v[114:115], v[10:11]
	v_fma_f64 v[6:7], -v[28:29], v[116:117], v[6:7]
	s_waitcnt lgkmcnt(0)
	v_fma_f64 v[82:83], -v[28:29], v[0:1], v[82:83]
.LBB76_437:
	s_or_b32 exec_lo, exec_lo, s0
	v_lshl_add_u32 v0, v93, 3, v90
	s_barrier
	buffer_gl0_inv
	v_mov_b32_e32 v84, 26
	ds_write_b64 v0, v[30:31]
	s_waitcnt lgkmcnt(0)
	s_barrier
	buffer_gl0_inv
	ds_read_b64 v[0:1], v90 offset:208
	s_cmp_lt_i32 s7, 28
	s_cbranch_scc1 .LBB76_440
; %bb.438:
	v_add3_u32 v85, v91, 0, 0xd8
	v_mov_b32_e32 v84, 26
	s_mov_b32 s0, 27
.LBB76_439:                             ; =>This Inner Loop Header: Depth=1
	ds_read_b64 v[94:95], v85
	v_add_nc_u32_e32 v85, 8, v85
	s_waitcnt lgkmcnt(0)
	v_cmp_lt_f64_e64 vcc_lo, |v[0:1]|, |v[94:95]|
	v_cndmask_b32_e32 v1, v1, v95, vcc_lo
	v_cndmask_b32_e32 v0, v0, v94, vcc_lo
	v_cndmask_b32_e64 v84, v84, s0, vcc_lo
	s_add_i32 s0, s0, 1
	s_cmp_lg_u32 s7, s0
	s_cbranch_scc1 .LBB76_439
.LBB76_440:
	s_mov_b32 s0, exec_lo
	s_waitcnt lgkmcnt(0)
	v_cmpx_eq_f64_e32 0, v[0:1]
	s_xor_b32 s0, exec_lo, s0
; %bb.441:
	v_cmp_ne_u32_e32 vcc_lo, 0, v87
	v_cndmask_b32_e32 v87, 27, v87, vcc_lo
; %bb.442:
	s_andn2_saveexec_b32 s0, s0
	s_cbranch_execz .LBB76_444
; %bb.443:
	v_div_scale_f64 v[85:86], null, v[0:1], v[0:1], 1.0
	v_rcp_f64_e32 v[94:95], v[85:86]
	v_fma_f64 v[96:97], -v[85:86], v[94:95], 1.0
	v_fma_f64 v[94:95], v[94:95], v[96:97], v[94:95]
	v_fma_f64 v[96:97], -v[85:86], v[94:95], 1.0
	v_fma_f64 v[94:95], v[94:95], v[96:97], v[94:95]
	v_div_scale_f64 v[96:97], vcc_lo, 1.0, v[0:1], 1.0
	v_mul_f64 v[98:99], v[96:97], v[94:95]
	v_fma_f64 v[85:86], -v[85:86], v[98:99], v[96:97]
	v_div_fmas_f64 v[85:86], v[85:86], v[94:95], v[98:99]
	v_div_fixup_f64 v[0:1], v[85:86], v[0:1], 1.0
.LBB76_444:
	s_or_b32 exec_lo, exec_lo, s0
	s_mov_b32 s0, exec_lo
	v_cmpx_ne_u32_e64 v93, v84
	s_xor_b32 s0, exec_lo, s0
	s_cbranch_execz .LBB76_450
; %bb.445:
	s_mov_b32 s1, exec_lo
	v_cmpx_eq_u32_e32 26, v93
	s_cbranch_execz .LBB76_449
; %bb.446:
	v_cmp_ne_u32_e32 vcc_lo, 26, v84
	s_xor_b32 s2, s6, -1
	s_and_b32 s3, s2, vcc_lo
	s_and_saveexec_b32 s2, s3
	s_cbranch_execz .LBB76_448
; %bb.447:
	v_ashrrev_i32_e32 v85, 31, v84
	v_lshlrev_b64 v[85:86], 2, v[84:85]
	v_add_co_u32 v85, vcc_lo, v4, v85
	v_add_co_ci_u32_e64 v86, null, v5, v86, vcc_lo
	s_clause 0x1
	global_load_dword v92, v[85:86], off
	global_load_dword v93, v[4:5], off offset:104
	s_waitcnt vmcnt(1)
	global_store_dword v[4:5], v92, off offset:104
	s_waitcnt vmcnt(0)
	global_store_dword v[85:86], v93, off
.LBB76_448:
	s_or_b32 exec_lo, exec_lo, s2
	v_mov_b32_e32 v92, v84
	v_mov_b32_e32 v93, v84
.LBB76_449:
	s_or_b32 exec_lo, exec_lo, s1
.LBB76_450:
	s_andn2_saveexec_b32 s0, s0
	s_cbranch_execz .LBB76_452
; %bb.451:
	v_mov_b32_e32 v93, 26
	ds_write2_b64 v90, v[24:25], v[26:27] offset0:27 offset1:28
	ds_write2_b64 v90, v[22:23], v[20:21] offset0:29 offset1:30
	;; [unrolled: 1-line block ×6, first 2 shown]
.LBB76_452:
	s_or_b32 exec_lo, exec_lo, s0
	s_mov_b32 s0, exec_lo
	s_waitcnt lgkmcnt(0)
	s_waitcnt_vscnt null, 0x0
	s_barrier
	buffer_gl0_inv
	v_cmpx_lt_i32_e32 26, v93
	s_cbranch_execz .LBB76_454
; %bb.453:
	v_mul_f64 v[30:31], v[0:1], v[30:31]
	ds_read2_b64 v[94:97], v90 offset0:27 offset1:28
	ds_read2_b64 v[98:101], v90 offset0:29 offset1:30
	;; [unrolled: 1-line block ×6, first 2 shown]
	s_waitcnt lgkmcnt(5)
	v_fma_f64 v[24:25], -v[30:31], v[94:95], v[24:25]
	v_fma_f64 v[26:27], -v[30:31], v[96:97], v[26:27]
	s_waitcnt lgkmcnt(4)
	v_fma_f64 v[22:23], -v[30:31], v[98:99], v[22:23]
	v_fma_f64 v[20:21], -v[30:31], v[100:101], v[20:21]
	;; [unrolled: 3-line block ×6, first 2 shown]
.LBB76_454:
	s_or_b32 exec_lo, exec_lo, s0
	v_lshl_add_u32 v0, v93, 3, v90
	s_barrier
	buffer_gl0_inv
	v_mov_b32_e32 v84, 27
	ds_write_b64 v0, v[24:25]
	s_waitcnt lgkmcnt(0)
	s_barrier
	buffer_gl0_inv
	ds_read_b64 v[0:1], v90 offset:216
	s_cmp_lt_i32 s7, 29
	s_cbranch_scc1 .LBB76_457
; %bb.455:
	v_add3_u32 v85, v91, 0, 0xe0
	v_mov_b32_e32 v84, 27
	s_mov_b32 s0, 28
.LBB76_456:                             ; =>This Inner Loop Header: Depth=1
	ds_read_b64 v[94:95], v85
	v_add_nc_u32_e32 v85, 8, v85
	s_waitcnt lgkmcnt(0)
	v_cmp_lt_f64_e64 vcc_lo, |v[0:1]|, |v[94:95]|
	v_cndmask_b32_e32 v1, v1, v95, vcc_lo
	v_cndmask_b32_e32 v0, v0, v94, vcc_lo
	v_cndmask_b32_e64 v84, v84, s0, vcc_lo
	s_add_i32 s0, s0, 1
	s_cmp_lg_u32 s7, s0
	s_cbranch_scc1 .LBB76_456
.LBB76_457:
	s_mov_b32 s0, exec_lo
	s_waitcnt lgkmcnt(0)
	v_cmpx_eq_f64_e32 0, v[0:1]
	s_xor_b32 s0, exec_lo, s0
; %bb.458:
	v_cmp_ne_u32_e32 vcc_lo, 0, v87
	v_cndmask_b32_e32 v87, 28, v87, vcc_lo
; %bb.459:
	s_andn2_saveexec_b32 s0, s0
	s_cbranch_execz .LBB76_461
; %bb.460:
	v_div_scale_f64 v[85:86], null, v[0:1], v[0:1], 1.0
	v_rcp_f64_e32 v[94:95], v[85:86]
	v_fma_f64 v[96:97], -v[85:86], v[94:95], 1.0
	v_fma_f64 v[94:95], v[94:95], v[96:97], v[94:95]
	v_fma_f64 v[96:97], -v[85:86], v[94:95], 1.0
	v_fma_f64 v[94:95], v[94:95], v[96:97], v[94:95]
	v_div_scale_f64 v[96:97], vcc_lo, 1.0, v[0:1], 1.0
	v_mul_f64 v[98:99], v[96:97], v[94:95]
	v_fma_f64 v[85:86], -v[85:86], v[98:99], v[96:97]
	v_div_fmas_f64 v[85:86], v[85:86], v[94:95], v[98:99]
	v_div_fixup_f64 v[0:1], v[85:86], v[0:1], 1.0
.LBB76_461:
	s_or_b32 exec_lo, exec_lo, s0
	s_mov_b32 s0, exec_lo
	v_cmpx_ne_u32_e64 v93, v84
	s_xor_b32 s0, exec_lo, s0
	s_cbranch_execz .LBB76_467
; %bb.462:
	s_mov_b32 s1, exec_lo
	v_cmpx_eq_u32_e32 27, v93
	s_cbranch_execz .LBB76_466
; %bb.463:
	v_cmp_ne_u32_e32 vcc_lo, 27, v84
	s_xor_b32 s2, s6, -1
	s_and_b32 s3, s2, vcc_lo
	s_and_saveexec_b32 s2, s3
	s_cbranch_execz .LBB76_465
; %bb.464:
	v_ashrrev_i32_e32 v85, 31, v84
	v_lshlrev_b64 v[85:86], 2, v[84:85]
	v_add_co_u32 v85, vcc_lo, v4, v85
	v_add_co_ci_u32_e64 v86, null, v5, v86, vcc_lo
	s_clause 0x1
	global_load_dword v92, v[85:86], off
	global_load_dword v93, v[4:5], off offset:108
	s_waitcnt vmcnt(1)
	global_store_dword v[4:5], v92, off offset:108
	s_waitcnt vmcnt(0)
	global_store_dword v[85:86], v93, off
.LBB76_465:
	s_or_b32 exec_lo, exec_lo, s2
	v_mov_b32_e32 v92, v84
	v_mov_b32_e32 v93, v84
.LBB76_466:
	s_or_b32 exec_lo, exec_lo, s1
.LBB76_467:
	s_andn2_saveexec_b32 s0, s0
	s_cbranch_execz .LBB76_469
; %bb.468:
	v_mov_b32_e32 v84, v26
	v_mov_b32_e32 v85, v27
	;; [unrolled: 1-line block ×8, first 2 shown]
	ds_write2_b64 v90, v[84:85], v[93:94] offset0:28 offset1:29
	v_mov_b32_e32 v84, v18
	v_mov_b32_e32 v85, v19
	;; [unrolled: 1-line block ×13, first 2 shown]
	ds_write2_b64 v90, v[95:96], v[84:85] offset0:30 offset1:31
	ds_write2_b64 v90, v[97:98], v[99:100] offset0:32 offset1:33
	;; [unrolled: 1-line block ×4, first 2 shown]
	ds_write_b64 v90, v[82:83] offset:304
.LBB76_469:
	s_or_b32 exec_lo, exec_lo, s0
	s_mov_b32 s0, exec_lo
	s_waitcnt lgkmcnt(0)
	s_waitcnt_vscnt null, 0x0
	s_barrier
	buffer_gl0_inv
	v_cmpx_lt_i32_e32 27, v93
	s_cbranch_execz .LBB76_471
; %bb.470:
	v_mul_f64 v[24:25], v[0:1], v[24:25]
	ds_read2_b64 v[94:97], v90 offset0:28 offset1:29
	ds_read2_b64 v[98:101], v90 offset0:30 offset1:31
	;; [unrolled: 1-line block ×5, first 2 shown]
	ds_read_b64 v[0:1], v90 offset:304
	s_waitcnt lgkmcnt(5)
	v_fma_f64 v[26:27], -v[24:25], v[94:95], v[26:27]
	v_fma_f64 v[22:23], -v[24:25], v[96:97], v[22:23]
	s_waitcnt lgkmcnt(4)
	v_fma_f64 v[20:21], -v[24:25], v[98:99], v[20:21]
	v_fma_f64 v[18:19], -v[24:25], v[100:101], v[18:19]
	;; [unrolled: 3-line block ×5, first 2 shown]
	s_waitcnt lgkmcnt(0)
	v_fma_f64 v[82:83], -v[24:25], v[0:1], v[82:83]
.LBB76_471:
	s_or_b32 exec_lo, exec_lo, s0
	v_lshl_add_u32 v0, v93, 3, v90
	s_barrier
	buffer_gl0_inv
	v_mov_b32_e32 v84, 28
	ds_write_b64 v0, v[26:27]
	s_waitcnt lgkmcnt(0)
	s_barrier
	buffer_gl0_inv
	ds_read_b64 v[0:1], v90 offset:224
	s_cmp_lt_i32 s7, 30
	s_cbranch_scc1 .LBB76_474
; %bb.472:
	v_add3_u32 v85, v91, 0, 0xe8
	v_mov_b32_e32 v84, 28
	s_mov_b32 s0, 29
.LBB76_473:                             ; =>This Inner Loop Header: Depth=1
	ds_read_b64 v[94:95], v85
	v_add_nc_u32_e32 v85, 8, v85
	s_waitcnt lgkmcnt(0)
	v_cmp_lt_f64_e64 vcc_lo, |v[0:1]|, |v[94:95]|
	v_cndmask_b32_e32 v1, v1, v95, vcc_lo
	v_cndmask_b32_e32 v0, v0, v94, vcc_lo
	v_cndmask_b32_e64 v84, v84, s0, vcc_lo
	s_add_i32 s0, s0, 1
	s_cmp_lg_u32 s7, s0
	s_cbranch_scc1 .LBB76_473
.LBB76_474:
	s_mov_b32 s0, exec_lo
	s_waitcnt lgkmcnt(0)
	v_cmpx_eq_f64_e32 0, v[0:1]
	s_xor_b32 s0, exec_lo, s0
; %bb.475:
	v_cmp_ne_u32_e32 vcc_lo, 0, v87
	v_cndmask_b32_e32 v87, 29, v87, vcc_lo
; %bb.476:
	s_andn2_saveexec_b32 s0, s0
	s_cbranch_execz .LBB76_478
; %bb.477:
	v_div_scale_f64 v[85:86], null, v[0:1], v[0:1], 1.0
	v_rcp_f64_e32 v[94:95], v[85:86]
	v_fma_f64 v[96:97], -v[85:86], v[94:95], 1.0
	v_fma_f64 v[94:95], v[94:95], v[96:97], v[94:95]
	v_fma_f64 v[96:97], -v[85:86], v[94:95], 1.0
	v_fma_f64 v[94:95], v[94:95], v[96:97], v[94:95]
	v_div_scale_f64 v[96:97], vcc_lo, 1.0, v[0:1], 1.0
	v_mul_f64 v[98:99], v[96:97], v[94:95]
	v_fma_f64 v[85:86], -v[85:86], v[98:99], v[96:97]
	v_div_fmas_f64 v[85:86], v[85:86], v[94:95], v[98:99]
	v_div_fixup_f64 v[0:1], v[85:86], v[0:1], 1.0
.LBB76_478:
	s_or_b32 exec_lo, exec_lo, s0
	s_mov_b32 s0, exec_lo
	v_cmpx_ne_u32_e64 v93, v84
	s_xor_b32 s0, exec_lo, s0
	s_cbranch_execz .LBB76_484
; %bb.479:
	s_mov_b32 s1, exec_lo
	v_cmpx_eq_u32_e32 28, v93
	s_cbranch_execz .LBB76_483
; %bb.480:
	v_cmp_ne_u32_e32 vcc_lo, 28, v84
	s_xor_b32 s2, s6, -1
	s_and_b32 s3, s2, vcc_lo
	s_and_saveexec_b32 s2, s3
	s_cbranch_execz .LBB76_482
; %bb.481:
	v_ashrrev_i32_e32 v85, 31, v84
	v_lshlrev_b64 v[85:86], 2, v[84:85]
	v_add_co_u32 v85, vcc_lo, v4, v85
	v_add_co_ci_u32_e64 v86, null, v5, v86, vcc_lo
	s_clause 0x1
	global_load_dword v92, v[85:86], off
	global_load_dword v93, v[4:5], off offset:112
	s_waitcnt vmcnt(1)
	global_store_dword v[4:5], v92, off offset:112
	s_waitcnt vmcnt(0)
	global_store_dword v[85:86], v93, off
.LBB76_482:
	s_or_b32 exec_lo, exec_lo, s2
	v_mov_b32_e32 v92, v84
	v_mov_b32_e32 v93, v84
.LBB76_483:
	s_or_b32 exec_lo, exec_lo, s1
.LBB76_484:
	s_andn2_saveexec_b32 s0, s0
	s_cbranch_execz .LBB76_486
; %bb.485:
	v_mov_b32_e32 v93, 28
	ds_write2_b64 v90, v[22:23], v[20:21] offset0:29 offset1:30
	ds_write2_b64 v90, v[18:19], v[16:17] offset0:31 offset1:32
	;; [unrolled: 1-line block ×5, first 2 shown]
.LBB76_486:
	s_or_b32 exec_lo, exec_lo, s0
	s_mov_b32 s0, exec_lo
	s_waitcnt lgkmcnt(0)
	s_waitcnt_vscnt null, 0x0
	s_barrier
	buffer_gl0_inv
	v_cmpx_lt_i32_e32 28, v93
	s_cbranch_execz .LBB76_488
; %bb.487:
	v_mul_f64 v[26:27], v[0:1], v[26:27]
	ds_read2_b64 v[94:97], v90 offset0:29 offset1:30
	ds_read2_b64 v[98:101], v90 offset0:31 offset1:32
	;; [unrolled: 1-line block ×5, first 2 shown]
	s_waitcnt lgkmcnt(4)
	v_fma_f64 v[22:23], -v[26:27], v[94:95], v[22:23]
	v_fma_f64 v[20:21], -v[26:27], v[96:97], v[20:21]
	s_waitcnt lgkmcnt(3)
	v_fma_f64 v[18:19], -v[26:27], v[98:99], v[18:19]
	v_fma_f64 v[16:17], -v[26:27], v[100:101], v[16:17]
	;; [unrolled: 3-line block ×5, first 2 shown]
.LBB76_488:
	s_or_b32 exec_lo, exec_lo, s0
	v_lshl_add_u32 v0, v93, 3, v90
	s_barrier
	buffer_gl0_inv
	v_mov_b32_e32 v84, 29
	ds_write_b64 v0, v[22:23]
	s_waitcnt lgkmcnt(0)
	s_barrier
	buffer_gl0_inv
	ds_read_b64 v[0:1], v90 offset:232
	s_cmp_lt_i32 s7, 31
	s_cbranch_scc1 .LBB76_491
; %bb.489:
	v_add3_u32 v85, v91, 0, 0xf0
	v_mov_b32_e32 v84, 29
	s_mov_b32 s0, 30
.LBB76_490:                             ; =>This Inner Loop Header: Depth=1
	ds_read_b64 v[94:95], v85
	v_add_nc_u32_e32 v85, 8, v85
	s_waitcnt lgkmcnt(0)
	v_cmp_lt_f64_e64 vcc_lo, |v[0:1]|, |v[94:95]|
	v_cndmask_b32_e32 v1, v1, v95, vcc_lo
	v_cndmask_b32_e32 v0, v0, v94, vcc_lo
	v_cndmask_b32_e64 v84, v84, s0, vcc_lo
	s_add_i32 s0, s0, 1
	s_cmp_lg_u32 s7, s0
	s_cbranch_scc1 .LBB76_490
.LBB76_491:
	s_mov_b32 s0, exec_lo
	s_waitcnt lgkmcnt(0)
	v_cmpx_eq_f64_e32 0, v[0:1]
	s_xor_b32 s0, exec_lo, s0
; %bb.492:
	v_cmp_ne_u32_e32 vcc_lo, 0, v87
	v_cndmask_b32_e32 v87, 30, v87, vcc_lo
; %bb.493:
	s_andn2_saveexec_b32 s0, s0
	s_cbranch_execz .LBB76_495
; %bb.494:
	v_div_scale_f64 v[85:86], null, v[0:1], v[0:1], 1.0
	v_rcp_f64_e32 v[94:95], v[85:86]
	v_fma_f64 v[96:97], -v[85:86], v[94:95], 1.0
	v_fma_f64 v[94:95], v[94:95], v[96:97], v[94:95]
	v_fma_f64 v[96:97], -v[85:86], v[94:95], 1.0
	v_fma_f64 v[94:95], v[94:95], v[96:97], v[94:95]
	v_div_scale_f64 v[96:97], vcc_lo, 1.0, v[0:1], 1.0
	v_mul_f64 v[98:99], v[96:97], v[94:95]
	v_fma_f64 v[85:86], -v[85:86], v[98:99], v[96:97]
	v_div_fmas_f64 v[85:86], v[85:86], v[94:95], v[98:99]
	v_div_fixup_f64 v[0:1], v[85:86], v[0:1], 1.0
.LBB76_495:
	s_or_b32 exec_lo, exec_lo, s0
	s_mov_b32 s0, exec_lo
	v_cmpx_ne_u32_e64 v93, v84
	s_xor_b32 s0, exec_lo, s0
	s_cbranch_execz .LBB76_501
; %bb.496:
	s_mov_b32 s1, exec_lo
	v_cmpx_eq_u32_e32 29, v93
	s_cbranch_execz .LBB76_500
; %bb.497:
	v_cmp_ne_u32_e32 vcc_lo, 29, v84
	s_xor_b32 s2, s6, -1
	s_and_b32 s3, s2, vcc_lo
	s_and_saveexec_b32 s2, s3
	s_cbranch_execz .LBB76_499
; %bb.498:
	v_ashrrev_i32_e32 v85, 31, v84
	v_lshlrev_b64 v[85:86], 2, v[84:85]
	v_add_co_u32 v85, vcc_lo, v4, v85
	v_add_co_ci_u32_e64 v86, null, v5, v86, vcc_lo
	s_clause 0x1
	global_load_dword v92, v[85:86], off
	global_load_dword v93, v[4:5], off offset:116
	s_waitcnt vmcnt(1)
	global_store_dword v[4:5], v92, off offset:116
	s_waitcnt vmcnt(0)
	global_store_dword v[85:86], v93, off
.LBB76_499:
	s_or_b32 exec_lo, exec_lo, s2
	v_mov_b32_e32 v92, v84
	v_mov_b32_e32 v93, v84
.LBB76_500:
	s_or_b32 exec_lo, exec_lo, s1
.LBB76_501:
	s_andn2_saveexec_b32 s0, s0
	s_cbranch_execz .LBB76_503
; %bb.502:
	v_mov_b32_e32 v84, v20
	v_mov_b32_e32 v85, v21
	;; [unrolled: 1-line block ×8, first 2 shown]
	ds_write2_b64 v90, v[84:85], v[93:94] offset0:30 offset1:31
	v_mov_b32_e32 v93, 29
	v_mov_b32_e32 v99, v12
	;; [unrolled: 1-line block ×9, first 2 shown]
	ds_write2_b64 v90, v[95:96], v[97:98] offset0:32 offset1:33
	ds_write2_b64 v90, v[99:100], v[101:102] offset0:34 offset1:35
	;; [unrolled: 1-line block ×3, first 2 shown]
	ds_write_b64 v90, v[82:83] offset:304
.LBB76_503:
	s_or_b32 exec_lo, exec_lo, s0
	s_mov_b32 s0, exec_lo
	s_waitcnt lgkmcnt(0)
	s_waitcnt_vscnt null, 0x0
	s_barrier
	buffer_gl0_inv
	v_cmpx_lt_i32_e32 29, v93
	s_cbranch_execz .LBB76_505
; %bb.504:
	v_mul_f64 v[22:23], v[0:1], v[22:23]
	ds_read2_b64 v[94:97], v90 offset0:30 offset1:31
	ds_read2_b64 v[98:101], v90 offset0:32 offset1:33
	;; [unrolled: 1-line block ×4, first 2 shown]
	ds_read_b64 v[0:1], v90 offset:304
	s_waitcnt lgkmcnt(4)
	v_fma_f64 v[20:21], -v[22:23], v[94:95], v[20:21]
	v_fma_f64 v[18:19], -v[22:23], v[96:97], v[18:19]
	s_waitcnt lgkmcnt(3)
	v_fma_f64 v[16:17], -v[22:23], v[98:99], v[16:17]
	v_fma_f64 v[14:15], -v[22:23], v[100:101], v[14:15]
	;; [unrolled: 3-line block ×4, first 2 shown]
	s_waitcnt lgkmcnt(0)
	v_fma_f64 v[82:83], -v[22:23], v[0:1], v[82:83]
.LBB76_505:
	s_or_b32 exec_lo, exec_lo, s0
	v_lshl_add_u32 v0, v93, 3, v90
	s_barrier
	buffer_gl0_inv
	v_mov_b32_e32 v84, 30
	ds_write_b64 v0, v[20:21]
	s_waitcnt lgkmcnt(0)
	s_barrier
	buffer_gl0_inv
	ds_read_b64 v[0:1], v90 offset:240
	s_cmp_lt_i32 s7, 32
	s_cbranch_scc1 .LBB76_508
; %bb.506:
	v_add3_u32 v85, v91, 0, 0xf8
	v_mov_b32_e32 v84, 30
	s_mov_b32 s0, 31
.LBB76_507:                             ; =>This Inner Loop Header: Depth=1
	ds_read_b64 v[94:95], v85
	v_add_nc_u32_e32 v85, 8, v85
	s_waitcnt lgkmcnt(0)
	v_cmp_lt_f64_e64 vcc_lo, |v[0:1]|, |v[94:95]|
	v_cndmask_b32_e32 v1, v1, v95, vcc_lo
	v_cndmask_b32_e32 v0, v0, v94, vcc_lo
	v_cndmask_b32_e64 v84, v84, s0, vcc_lo
	s_add_i32 s0, s0, 1
	s_cmp_lg_u32 s7, s0
	s_cbranch_scc1 .LBB76_507
.LBB76_508:
	s_mov_b32 s0, exec_lo
	s_waitcnt lgkmcnt(0)
	v_cmpx_eq_f64_e32 0, v[0:1]
	s_xor_b32 s0, exec_lo, s0
; %bb.509:
	v_cmp_ne_u32_e32 vcc_lo, 0, v87
	v_cndmask_b32_e32 v87, 31, v87, vcc_lo
; %bb.510:
	s_andn2_saveexec_b32 s0, s0
	s_cbranch_execz .LBB76_512
; %bb.511:
	v_div_scale_f64 v[85:86], null, v[0:1], v[0:1], 1.0
	v_rcp_f64_e32 v[94:95], v[85:86]
	v_fma_f64 v[96:97], -v[85:86], v[94:95], 1.0
	v_fma_f64 v[94:95], v[94:95], v[96:97], v[94:95]
	v_fma_f64 v[96:97], -v[85:86], v[94:95], 1.0
	v_fma_f64 v[94:95], v[94:95], v[96:97], v[94:95]
	v_div_scale_f64 v[96:97], vcc_lo, 1.0, v[0:1], 1.0
	v_mul_f64 v[98:99], v[96:97], v[94:95]
	v_fma_f64 v[85:86], -v[85:86], v[98:99], v[96:97]
	v_div_fmas_f64 v[85:86], v[85:86], v[94:95], v[98:99]
	v_div_fixup_f64 v[0:1], v[85:86], v[0:1], 1.0
.LBB76_512:
	s_or_b32 exec_lo, exec_lo, s0
	s_mov_b32 s0, exec_lo
	v_cmpx_ne_u32_e64 v93, v84
	s_xor_b32 s0, exec_lo, s0
	s_cbranch_execz .LBB76_518
; %bb.513:
	s_mov_b32 s1, exec_lo
	v_cmpx_eq_u32_e32 30, v93
	s_cbranch_execz .LBB76_517
; %bb.514:
	v_cmp_ne_u32_e32 vcc_lo, 30, v84
	s_xor_b32 s2, s6, -1
	s_and_b32 s3, s2, vcc_lo
	s_and_saveexec_b32 s2, s3
	s_cbranch_execz .LBB76_516
; %bb.515:
	v_ashrrev_i32_e32 v85, 31, v84
	v_lshlrev_b64 v[85:86], 2, v[84:85]
	v_add_co_u32 v85, vcc_lo, v4, v85
	v_add_co_ci_u32_e64 v86, null, v5, v86, vcc_lo
	s_clause 0x1
	global_load_dword v92, v[85:86], off
	global_load_dword v93, v[4:5], off offset:120
	s_waitcnt vmcnt(1)
	global_store_dword v[4:5], v92, off offset:120
	s_waitcnt vmcnt(0)
	global_store_dword v[85:86], v93, off
.LBB76_516:
	s_or_b32 exec_lo, exec_lo, s2
	v_mov_b32_e32 v92, v84
	v_mov_b32_e32 v93, v84
.LBB76_517:
	s_or_b32 exec_lo, exec_lo, s1
.LBB76_518:
	s_andn2_saveexec_b32 s0, s0
	s_cbranch_execz .LBB76_520
; %bb.519:
	v_mov_b32_e32 v93, 30
	ds_write2_b64 v90, v[18:19], v[16:17] offset0:31 offset1:32
	ds_write2_b64 v90, v[14:15], v[12:13] offset0:33 offset1:34
	ds_write2_b64 v90, v[8:9], v[10:11] offset0:35 offset1:36
	ds_write2_b64 v90, v[6:7], v[82:83] offset0:37 offset1:38
.LBB76_520:
	s_or_b32 exec_lo, exec_lo, s0
	s_mov_b32 s0, exec_lo
	s_waitcnt lgkmcnt(0)
	s_waitcnt_vscnt null, 0x0
	s_barrier
	buffer_gl0_inv
	v_cmpx_lt_i32_e32 30, v93
	s_cbranch_execz .LBB76_522
; %bb.521:
	v_mul_f64 v[20:21], v[0:1], v[20:21]
	ds_read2_b64 v[94:97], v90 offset0:31 offset1:32
	ds_read2_b64 v[98:101], v90 offset0:33 offset1:34
	;; [unrolled: 1-line block ×4, first 2 shown]
	s_waitcnt lgkmcnt(3)
	v_fma_f64 v[18:19], -v[20:21], v[94:95], v[18:19]
	v_fma_f64 v[16:17], -v[20:21], v[96:97], v[16:17]
	s_waitcnt lgkmcnt(2)
	v_fma_f64 v[14:15], -v[20:21], v[98:99], v[14:15]
	v_fma_f64 v[12:13], -v[20:21], v[100:101], v[12:13]
	;; [unrolled: 3-line block ×4, first 2 shown]
.LBB76_522:
	s_or_b32 exec_lo, exec_lo, s0
	v_lshl_add_u32 v0, v93, 3, v90
	s_barrier
	buffer_gl0_inv
	v_mov_b32_e32 v84, 31
	ds_write_b64 v0, v[18:19]
	s_waitcnt lgkmcnt(0)
	s_barrier
	buffer_gl0_inv
	ds_read_b64 v[0:1], v90 offset:248
	s_cmp_lt_i32 s7, 33
	s_cbranch_scc1 .LBB76_525
; %bb.523:
	v_add3_u32 v85, v91, 0, 0x100
	v_mov_b32_e32 v84, 31
	s_mov_b32 s0, 32
.LBB76_524:                             ; =>This Inner Loop Header: Depth=1
	ds_read_b64 v[94:95], v85
	v_add_nc_u32_e32 v85, 8, v85
	s_waitcnt lgkmcnt(0)
	v_cmp_lt_f64_e64 vcc_lo, |v[0:1]|, |v[94:95]|
	v_cndmask_b32_e32 v1, v1, v95, vcc_lo
	v_cndmask_b32_e32 v0, v0, v94, vcc_lo
	v_cndmask_b32_e64 v84, v84, s0, vcc_lo
	s_add_i32 s0, s0, 1
	s_cmp_lg_u32 s7, s0
	s_cbranch_scc1 .LBB76_524
.LBB76_525:
	s_mov_b32 s0, exec_lo
	s_waitcnt lgkmcnt(0)
	v_cmpx_eq_f64_e32 0, v[0:1]
	s_xor_b32 s0, exec_lo, s0
; %bb.526:
	v_cmp_ne_u32_e32 vcc_lo, 0, v87
	v_cndmask_b32_e32 v87, 32, v87, vcc_lo
; %bb.527:
	s_andn2_saveexec_b32 s0, s0
	s_cbranch_execz .LBB76_529
; %bb.528:
	v_div_scale_f64 v[85:86], null, v[0:1], v[0:1], 1.0
	v_rcp_f64_e32 v[94:95], v[85:86]
	v_fma_f64 v[96:97], -v[85:86], v[94:95], 1.0
	v_fma_f64 v[94:95], v[94:95], v[96:97], v[94:95]
	v_fma_f64 v[96:97], -v[85:86], v[94:95], 1.0
	v_fma_f64 v[94:95], v[94:95], v[96:97], v[94:95]
	v_div_scale_f64 v[96:97], vcc_lo, 1.0, v[0:1], 1.0
	v_mul_f64 v[98:99], v[96:97], v[94:95]
	v_fma_f64 v[85:86], -v[85:86], v[98:99], v[96:97]
	v_div_fmas_f64 v[85:86], v[85:86], v[94:95], v[98:99]
	v_div_fixup_f64 v[0:1], v[85:86], v[0:1], 1.0
.LBB76_529:
	s_or_b32 exec_lo, exec_lo, s0
	s_mov_b32 s0, exec_lo
	v_cmpx_ne_u32_e64 v93, v84
	s_xor_b32 s0, exec_lo, s0
	s_cbranch_execz .LBB76_535
; %bb.530:
	s_mov_b32 s1, exec_lo
	v_cmpx_eq_u32_e32 31, v93
	s_cbranch_execz .LBB76_534
; %bb.531:
	v_cmp_ne_u32_e32 vcc_lo, 31, v84
	s_xor_b32 s2, s6, -1
	s_and_b32 s3, s2, vcc_lo
	s_and_saveexec_b32 s2, s3
	s_cbranch_execz .LBB76_533
; %bb.532:
	v_ashrrev_i32_e32 v85, 31, v84
	v_lshlrev_b64 v[85:86], 2, v[84:85]
	v_add_co_u32 v85, vcc_lo, v4, v85
	v_add_co_ci_u32_e64 v86, null, v5, v86, vcc_lo
	s_clause 0x1
	global_load_dword v92, v[85:86], off
	global_load_dword v93, v[4:5], off offset:124
	s_waitcnt vmcnt(1)
	global_store_dword v[4:5], v92, off offset:124
	s_waitcnt vmcnt(0)
	global_store_dword v[85:86], v93, off
.LBB76_533:
	s_or_b32 exec_lo, exec_lo, s2
	v_mov_b32_e32 v92, v84
	v_mov_b32_e32 v93, v84
.LBB76_534:
	s_or_b32 exec_lo, exec_lo, s1
.LBB76_535:
	s_andn2_saveexec_b32 s0, s0
	s_cbranch_execz .LBB76_537
; %bb.536:
	v_mov_b32_e32 v84, v16
	v_mov_b32_e32 v85, v17
	;; [unrolled: 1-line block ×13, first 2 shown]
	ds_write2_b64 v90, v[84:85], v[94:95] offset0:32 offset1:33
	ds_write2_b64 v90, v[96:97], v[98:99] offset0:34 offset1:35
	;; [unrolled: 1-line block ×3, first 2 shown]
	ds_write_b64 v90, v[82:83] offset:304
.LBB76_537:
	s_or_b32 exec_lo, exec_lo, s0
	s_mov_b32 s0, exec_lo
	s_waitcnt lgkmcnt(0)
	s_waitcnt_vscnt null, 0x0
	s_barrier
	buffer_gl0_inv
	v_cmpx_lt_i32_e32 31, v93
	s_cbranch_execz .LBB76_539
; %bb.538:
	v_mul_f64 v[18:19], v[0:1], v[18:19]
	ds_read2_b64 v[94:97], v90 offset0:32 offset1:33
	ds_read2_b64 v[98:101], v90 offset0:34 offset1:35
	;; [unrolled: 1-line block ×3, first 2 shown]
	ds_read_b64 v[0:1], v90 offset:304
	s_waitcnt lgkmcnt(3)
	v_fma_f64 v[16:17], -v[18:19], v[94:95], v[16:17]
	v_fma_f64 v[14:15], -v[18:19], v[96:97], v[14:15]
	s_waitcnt lgkmcnt(2)
	v_fma_f64 v[12:13], -v[18:19], v[98:99], v[12:13]
	v_fma_f64 v[8:9], -v[18:19], v[100:101], v[8:9]
	;; [unrolled: 3-line block ×3, first 2 shown]
	s_waitcnt lgkmcnt(0)
	v_fma_f64 v[82:83], -v[18:19], v[0:1], v[82:83]
.LBB76_539:
	s_or_b32 exec_lo, exec_lo, s0
	v_lshl_add_u32 v0, v93, 3, v90
	s_barrier
	buffer_gl0_inv
	v_mov_b32_e32 v84, 32
	ds_write_b64 v0, v[16:17]
	s_waitcnt lgkmcnt(0)
	s_barrier
	buffer_gl0_inv
	ds_read_b64 v[0:1], v90 offset:256
	s_cmp_lt_i32 s7, 34
	s_cbranch_scc1 .LBB76_542
; %bb.540:
	v_add3_u32 v85, v91, 0, 0x108
	v_mov_b32_e32 v84, 32
	s_mov_b32 s0, 33
.LBB76_541:                             ; =>This Inner Loop Header: Depth=1
	ds_read_b64 v[94:95], v85
	v_add_nc_u32_e32 v85, 8, v85
	s_waitcnt lgkmcnt(0)
	v_cmp_lt_f64_e64 vcc_lo, |v[0:1]|, |v[94:95]|
	v_cndmask_b32_e32 v1, v1, v95, vcc_lo
	v_cndmask_b32_e32 v0, v0, v94, vcc_lo
	v_cndmask_b32_e64 v84, v84, s0, vcc_lo
	s_add_i32 s0, s0, 1
	s_cmp_lg_u32 s7, s0
	s_cbranch_scc1 .LBB76_541
.LBB76_542:
	s_mov_b32 s0, exec_lo
	s_waitcnt lgkmcnt(0)
	v_cmpx_eq_f64_e32 0, v[0:1]
	s_xor_b32 s0, exec_lo, s0
; %bb.543:
	v_cmp_ne_u32_e32 vcc_lo, 0, v87
	v_cndmask_b32_e32 v87, 33, v87, vcc_lo
; %bb.544:
	s_andn2_saveexec_b32 s0, s0
	s_cbranch_execz .LBB76_546
; %bb.545:
	v_div_scale_f64 v[85:86], null, v[0:1], v[0:1], 1.0
	v_rcp_f64_e32 v[94:95], v[85:86]
	v_fma_f64 v[96:97], -v[85:86], v[94:95], 1.0
	v_fma_f64 v[94:95], v[94:95], v[96:97], v[94:95]
	v_fma_f64 v[96:97], -v[85:86], v[94:95], 1.0
	v_fma_f64 v[94:95], v[94:95], v[96:97], v[94:95]
	v_div_scale_f64 v[96:97], vcc_lo, 1.0, v[0:1], 1.0
	v_mul_f64 v[98:99], v[96:97], v[94:95]
	v_fma_f64 v[85:86], -v[85:86], v[98:99], v[96:97]
	v_div_fmas_f64 v[85:86], v[85:86], v[94:95], v[98:99]
	v_div_fixup_f64 v[0:1], v[85:86], v[0:1], 1.0
.LBB76_546:
	s_or_b32 exec_lo, exec_lo, s0
	s_mov_b32 s0, exec_lo
	v_cmpx_ne_u32_e64 v93, v84
	s_xor_b32 s0, exec_lo, s0
	s_cbranch_execz .LBB76_552
; %bb.547:
	s_mov_b32 s1, exec_lo
	v_cmpx_eq_u32_e32 32, v93
	s_cbranch_execz .LBB76_551
; %bb.548:
	v_cmp_ne_u32_e32 vcc_lo, 32, v84
	s_xor_b32 s2, s6, -1
	s_and_b32 s3, s2, vcc_lo
	s_and_saveexec_b32 s2, s3
	s_cbranch_execz .LBB76_550
; %bb.549:
	v_ashrrev_i32_e32 v85, 31, v84
	v_lshlrev_b64 v[85:86], 2, v[84:85]
	v_add_co_u32 v85, vcc_lo, v4, v85
	v_add_co_ci_u32_e64 v86, null, v5, v86, vcc_lo
	s_clause 0x1
	global_load_dword v92, v[85:86], off
	global_load_dword v93, v[4:5], off offset:128
	s_waitcnt vmcnt(1)
	global_store_dword v[4:5], v92, off offset:128
	s_waitcnt vmcnt(0)
	global_store_dword v[85:86], v93, off
.LBB76_550:
	s_or_b32 exec_lo, exec_lo, s2
	v_mov_b32_e32 v92, v84
	v_mov_b32_e32 v93, v84
.LBB76_551:
	s_or_b32 exec_lo, exec_lo, s1
.LBB76_552:
	s_andn2_saveexec_b32 s0, s0
	s_cbranch_execz .LBB76_554
; %bb.553:
	v_mov_b32_e32 v93, 32
	ds_write2_b64 v90, v[14:15], v[12:13] offset0:33 offset1:34
	ds_write2_b64 v90, v[8:9], v[10:11] offset0:35 offset1:36
	;; [unrolled: 1-line block ×3, first 2 shown]
.LBB76_554:
	s_or_b32 exec_lo, exec_lo, s0
	s_mov_b32 s0, exec_lo
	s_waitcnt lgkmcnt(0)
	s_waitcnt_vscnt null, 0x0
	s_barrier
	buffer_gl0_inv
	v_cmpx_lt_i32_e32 32, v93
	s_cbranch_execz .LBB76_556
; %bb.555:
	v_mul_f64 v[16:17], v[0:1], v[16:17]
	ds_read2_b64 v[94:97], v90 offset0:33 offset1:34
	ds_read2_b64 v[98:101], v90 offset0:35 offset1:36
	;; [unrolled: 1-line block ×3, first 2 shown]
	s_waitcnt lgkmcnt(2)
	v_fma_f64 v[14:15], -v[16:17], v[94:95], v[14:15]
	v_fma_f64 v[12:13], -v[16:17], v[96:97], v[12:13]
	s_waitcnt lgkmcnt(1)
	v_fma_f64 v[8:9], -v[16:17], v[98:99], v[8:9]
	v_fma_f64 v[10:11], -v[16:17], v[100:101], v[10:11]
	;; [unrolled: 3-line block ×3, first 2 shown]
.LBB76_556:
	s_or_b32 exec_lo, exec_lo, s0
	v_lshl_add_u32 v0, v93, 3, v90
	s_barrier
	buffer_gl0_inv
	v_mov_b32_e32 v84, 33
	ds_write_b64 v0, v[14:15]
	s_waitcnt lgkmcnt(0)
	s_barrier
	buffer_gl0_inv
	ds_read_b64 v[0:1], v90 offset:264
	s_cmp_lt_i32 s7, 35
	s_cbranch_scc1 .LBB76_559
; %bb.557:
	v_add3_u32 v85, v91, 0, 0x110
	v_mov_b32_e32 v84, 33
	s_mov_b32 s0, 34
.LBB76_558:                             ; =>This Inner Loop Header: Depth=1
	ds_read_b64 v[94:95], v85
	v_add_nc_u32_e32 v85, 8, v85
	s_waitcnt lgkmcnt(0)
	v_cmp_lt_f64_e64 vcc_lo, |v[0:1]|, |v[94:95]|
	v_cndmask_b32_e32 v1, v1, v95, vcc_lo
	v_cndmask_b32_e32 v0, v0, v94, vcc_lo
	v_cndmask_b32_e64 v84, v84, s0, vcc_lo
	s_add_i32 s0, s0, 1
	s_cmp_lg_u32 s7, s0
	s_cbranch_scc1 .LBB76_558
.LBB76_559:
	s_mov_b32 s0, exec_lo
	s_waitcnt lgkmcnt(0)
	v_cmpx_eq_f64_e32 0, v[0:1]
	s_xor_b32 s0, exec_lo, s0
; %bb.560:
	v_cmp_ne_u32_e32 vcc_lo, 0, v87
	v_cndmask_b32_e32 v87, 34, v87, vcc_lo
; %bb.561:
	s_andn2_saveexec_b32 s0, s0
	s_cbranch_execz .LBB76_563
; %bb.562:
	v_div_scale_f64 v[85:86], null, v[0:1], v[0:1], 1.0
	v_rcp_f64_e32 v[94:95], v[85:86]
	v_fma_f64 v[96:97], -v[85:86], v[94:95], 1.0
	v_fma_f64 v[94:95], v[94:95], v[96:97], v[94:95]
	v_fma_f64 v[96:97], -v[85:86], v[94:95], 1.0
	v_fma_f64 v[94:95], v[94:95], v[96:97], v[94:95]
	v_div_scale_f64 v[96:97], vcc_lo, 1.0, v[0:1], 1.0
	v_mul_f64 v[98:99], v[96:97], v[94:95]
	v_fma_f64 v[85:86], -v[85:86], v[98:99], v[96:97]
	v_div_fmas_f64 v[85:86], v[85:86], v[94:95], v[98:99]
	v_div_fixup_f64 v[0:1], v[85:86], v[0:1], 1.0
.LBB76_563:
	s_or_b32 exec_lo, exec_lo, s0
	s_mov_b32 s0, exec_lo
	v_cmpx_ne_u32_e64 v93, v84
	s_xor_b32 s0, exec_lo, s0
	s_cbranch_execz .LBB76_569
; %bb.564:
	s_mov_b32 s1, exec_lo
	v_cmpx_eq_u32_e32 33, v93
	s_cbranch_execz .LBB76_568
; %bb.565:
	v_cmp_ne_u32_e32 vcc_lo, 33, v84
	s_xor_b32 s2, s6, -1
	s_and_b32 s3, s2, vcc_lo
	s_and_saveexec_b32 s2, s3
	s_cbranch_execz .LBB76_567
; %bb.566:
	v_ashrrev_i32_e32 v85, 31, v84
	v_lshlrev_b64 v[85:86], 2, v[84:85]
	v_add_co_u32 v85, vcc_lo, v4, v85
	v_add_co_ci_u32_e64 v86, null, v5, v86, vcc_lo
	s_clause 0x1
	global_load_dword v92, v[85:86], off
	global_load_dword v93, v[4:5], off offset:132
	s_waitcnt vmcnt(1)
	global_store_dword v[4:5], v92, off offset:132
	s_waitcnt vmcnt(0)
	global_store_dword v[85:86], v93, off
.LBB76_567:
	s_or_b32 exec_lo, exec_lo, s2
	v_mov_b32_e32 v92, v84
	v_mov_b32_e32 v93, v84
.LBB76_568:
	s_or_b32 exec_lo, exec_lo, s1
.LBB76_569:
	s_andn2_saveexec_b32 s0, s0
	s_cbranch_execz .LBB76_571
; %bb.570:
	v_mov_b32_e32 v84, v12
	v_mov_b32_e32 v85, v13
	v_mov_b32_e32 v94, v8
	v_mov_b32_e32 v95, v9
	v_mov_b32_e32 v93, 33
	v_mov_b32_e32 v96, v10
	v_mov_b32_e32 v97, v11
	v_mov_b32_e32 v98, v6
	v_mov_b32_e32 v99, v7
	ds_write2_b64 v90, v[84:85], v[94:95] offset0:34 offset1:35
	ds_write2_b64 v90, v[96:97], v[98:99] offset0:36 offset1:37
	ds_write_b64 v90, v[82:83] offset:304
.LBB76_571:
	s_or_b32 exec_lo, exec_lo, s0
	s_mov_b32 s0, exec_lo
	s_waitcnt lgkmcnt(0)
	s_waitcnt_vscnt null, 0x0
	s_barrier
	buffer_gl0_inv
	v_cmpx_lt_i32_e32 33, v93
	s_cbranch_execz .LBB76_573
; %bb.572:
	v_mul_f64 v[14:15], v[0:1], v[14:15]
	ds_read2_b64 v[94:97], v90 offset0:34 offset1:35
	ds_read2_b64 v[98:101], v90 offset0:36 offset1:37
	ds_read_b64 v[0:1], v90 offset:304
	s_waitcnt lgkmcnt(2)
	v_fma_f64 v[12:13], -v[14:15], v[94:95], v[12:13]
	v_fma_f64 v[8:9], -v[14:15], v[96:97], v[8:9]
	s_waitcnt lgkmcnt(1)
	v_fma_f64 v[10:11], -v[14:15], v[98:99], v[10:11]
	v_fma_f64 v[6:7], -v[14:15], v[100:101], v[6:7]
	s_waitcnt lgkmcnt(0)
	v_fma_f64 v[82:83], -v[14:15], v[0:1], v[82:83]
.LBB76_573:
	s_or_b32 exec_lo, exec_lo, s0
	v_lshl_add_u32 v0, v93, 3, v90
	s_barrier
	buffer_gl0_inv
	v_mov_b32_e32 v84, 34
	ds_write_b64 v0, v[12:13]
	s_waitcnt lgkmcnt(0)
	s_barrier
	buffer_gl0_inv
	ds_read_b64 v[0:1], v90 offset:272
	s_cmp_lt_i32 s7, 36
	s_cbranch_scc1 .LBB76_576
; %bb.574:
	v_add3_u32 v85, v91, 0, 0x118
	v_mov_b32_e32 v84, 34
	s_mov_b32 s0, 35
.LBB76_575:                             ; =>This Inner Loop Header: Depth=1
	ds_read_b64 v[94:95], v85
	v_add_nc_u32_e32 v85, 8, v85
	s_waitcnt lgkmcnt(0)
	v_cmp_lt_f64_e64 vcc_lo, |v[0:1]|, |v[94:95]|
	v_cndmask_b32_e32 v1, v1, v95, vcc_lo
	v_cndmask_b32_e32 v0, v0, v94, vcc_lo
	v_cndmask_b32_e64 v84, v84, s0, vcc_lo
	s_add_i32 s0, s0, 1
	s_cmp_lg_u32 s7, s0
	s_cbranch_scc1 .LBB76_575
.LBB76_576:
	s_mov_b32 s0, exec_lo
	s_waitcnt lgkmcnt(0)
	v_cmpx_eq_f64_e32 0, v[0:1]
	s_xor_b32 s0, exec_lo, s0
; %bb.577:
	v_cmp_ne_u32_e32 vcc_lo, 0, v87
	v_cndmask_b32_e32 v87, 35, v87, vcc_lo
; %bb.578:
	s_andn2_saveexec_b32 s0, s0
	s_cbranch_execz .LBB76_580
; %bb.579:
	v_div_scale_f64 v[85:86], null, v[0:1], v[0:1], 1.0
	v_rcp_f64_e32 v[94:95], v[85:86]
	v_fma_f64 v[96:97], -v[85:86], v[94:95], 1.0
	v_fma_f64 v[94:95], v[94:95], v[96:97], v[94:95]
	v_fma_f64 v[96:97], -v[85:86], v[94:95], 1.0
	v_fma_f64 v[94:95], v[94:95], v[96:97], v[94:95]
	v_div_scale_f64 v[96:97], vcc_lo, 1.0, v[0:1], 1.0
	v_mul_f64 v[98:99], v[96:97], v[94:95]
	v_fma_f64 v[85:86], -v[85:86], v[98:99], v[96:97]
	v_div_fmas_f64 v[85:86], v[85:86], v[94:95], v[98:99]
	v_div_fixup_f64 v[0:1], v[85:86], v[0:1], 1.0
.LBB76_580:
	s_or_b32 exec_lo, exec_lo, s0
	s_mov_b32 s0, exec_lo
	v_cmpx_ne_u32_e64 v93, v84
	s_xor_b32 s0, exec_lo, s0
	s_cbranch_execz .LBB76_586
; %bb.581:
	s_mov_b32 s1, exec_lo
	v_cmpx_eq_u32_e32 34, v93
	s_cbranch_execz .LBB76_585
; %bb.582:
	v_cmp_ne_u32_e32 vcc_lo, 34, v84
	s_xor_b32 s2, s6, -1
	s_and_b32 s3, s2, vcc_lo
	s_and_saveexec_b32 s2, s3
	s_cbranch_execz .LBB76_584
; %bb.583:
	v_ashrrev_i32_e32 v85, 31, v84
	v_lshlrev_b64 v[85:86], 2, v[84:85]
	v_add_co_u32 v85, vcc_lo, v4, v85
	v_add_co_ci_u32_e64 v86, null, v5, v86, vcc_lo
	s_clause 0x1
	global_load_dword v92, v[85:86], off
	global_load_dword v93, v[4:5], off offset:136
	s_waitcnt vmcnt(1)
	global_store_dword v[4:5], v92, off offset:136
	s_waitcnt vmcnt(0)
	global_store_dword v[85:86], v93, off
.LBB76_584:
	s_or_b32 exec_lo, exec_lo, s2
	v_mov_b32_e32 v92, v84
	v_mov_b32_e32 v93, v84
.LBB76_585:
	s_or_b32 exec_lo, exec_lo, s1
.LBB76_586:
	s_andn2_saveexec_b32 s0, s0
	s_cbranch_execz .LBB76_588
; %bb.587:
	v_mov_b32_e32 v93, 34
	ds_write2_b64 v90, v[8:9], v[10:11] offset0:35 offset1:36
	ds_write2_b64 v90, v[6:7], v[82:83] offset0:37 offset1:38
.LBB76_588:
	s_or_b32 exec_lo, exec_lo, s0
	s_mov_b32 s0, exec_lo
	s_waitcnt lgkmcnt(0)
	s_waitcnt_vscnt null, 0x0
	s_barrier
	buffer_gl0_inv
	v_cmpx_lt_i32_e32 34, v93
	s_cbranch_execz .LBB76_590
; %bb.589:
	v_mul_f64 v[12:13], v[0:1], v[12:13]
	ds_read2_b64 v[94:97], v90 offset0:35 offset1:36
	ds_read2_b64 v[98:101], v90 offset0:37 offset1:38
	s_waitcnt lgkmcnt(1)
	v_fma_f64 v[8:9], -v[12:13], v[94:95], v[8:9]
	v_fma_f64 v[10:11], -v[12:13], v[96:97], v[10:11]
	s_waitcnt lgkmcnt(0)
	v_fma_f64 v[6:7], -v[12:13], v[98:99], v[6:7]
	v_fma_f64 v[82:83], -v[12:13], v[100:101], v[82:83]
.LBB76_590:
	s_or_b32 exec_lo, exec_lo, s0
	v_lshl_add_u32 v0, v93, 3, v90
	s_barrier
	buffer_gl0_inv
	v_mov_b32_e32 v84, 35
	ds_write_b64 v0, v[8:9]
	s_waitcnt lgkmcnt(0)
	s_barrier
	buffer_gl0_inv
	ds_read_b64 v[0:1], v90 offset:280
	s_cmp_lt_i32 s7, 37
	s_cbranch_scc1 .LBB76_593
; %bb.591:
	v_add3_u32 v85, v91, 0, 0x120
	v_mov_b32_e32 v84, 35
	s_mov_b32 s0, 36
.LBB76_592:                             ; =>This Inner Loop Header: Depth=1
	ds_read_b64 v[94:95], v85
	v_add_nc_u32_e32 v85, 8, v85
	s_waitcnt lgkmcnt(0)
	v_cmp_lt_f64_e64 vcc_lo, |v[0:1]|, |v[94:95]|
	v_cndmask_b32_e32 v1, v1, v95, vcc_lo
	v_cndmask_b32_e32 v0, v0, v94, vcc_lo
	v_cndmask_b32_e64 v84, v84, s0, vcc_lo
	s_add_i32 s0, s0, 1
	s_cmp_lg_u32 s7, s0
	s_cbranch_scc1 .LBB76_592
.LBB76_593:
	s_mov_b32 s0, exec_lo
	s_waitcnt lgkmcnt(0)
	v_cmpx_eq_f64_e32 0, v[0:1]
	s_xor_b32 s0, exec_lo, s0
; %bb.594:
	v_cmp_ne_u32_e32 vcc_lo, 0, v87
	v_cndmask_b32_e32 v87, 36, v87, vcc_lo
; %bb.595:
	s_andn2_saveexec_b32 s0, s0
	s_cbranch_execz .LBB76_597
; %bb.596:
	v_div_scale_f64 v[85:86], null, v[0:1], v[0:1], 1.0
	v_rcp_f64_e32 v[94:95], v[85:86]
	v_fma_f64 v[96:97], -v[85:86], v[94:95], 1.0
	v_fma_f64 v[94:95], v[94:95], v[96:97], v[94:95]
	v_fma_f64 v[96:97], -v[85:86], v[94:95], 1.0
	v_fma_f64 v[94:95], v[94:95], v[96:97], v[94:95]
	v_div_scale_f64 v[96:97], vcc_lo, 1.0, v[0:1], 1.0
	v_mul_f64 v[98:99], v[96:97], v[94:95]
	v_fma_f64 v[85:86], -v[85:86], v[98:99], v[96:97]
	v_div_fmas_f64 v[85:86], v[85:86], v[94:95], v[98:99]
	v_div_fixup_f64 v[0:1], v[85:86], v[0:1], 1.0
.LBB76_597:
	s_or_b32 exec_lo, exec_lo, s0
	s_mov_b32 s0, exec_lo
	v_cmpx_ne_u32_e64 v93, v84
	s_xor_b32 s0, exec_lo, s0
	s_cbranch_execz .LBB76_603
; %bb.598:
	s_mov_b32 s1, exec_lo
	v_cmpx_eq_u32_e32 35, v93
	s_cbranch_execz .LBB76_602
; %bb.599:
	v_cmp_ne_u32_e32 vcc_lo, 35, v84
	s_xor_b32 s2, s6, -1
	s_and_b32 s3, s2, vcc_lo
	s_and_saveexec_b32 s2, s3
	s_cbranch_execz .LBB76_601
; %bb.600:
	v_ashrrev_i32_e32 v85, 31, v84
	v_lshlrev_b64 v[85:86], 2, v[84:85]
	v_add_co_u32 v85, vcc_lo, v4, v85
	v_add_co_ci_u32_e64 v86, null, v5, v86, vcc_lo
	s_clause 0x1
	global_load_dword v92, v[85:86], off
	global_load_dword v93, v[4:5], off offset:140
	s_waitcnt vmcnt(1)
	global_store_dword v[4:5], v92, off offset:140
	s_waitcnt vmcnt(0)
	global_store_dword v[85:86], v93, off
.LBB76_601:
	s_or_b32 exec_lo, exec_lo, s2
	v_mov_b32_e32 v92, v84
	v_mov_b32_e32 v93, v84
.LBB76_602:
	s_or_b32 exec_lo, exec_lo, s1
.LBB76_603:
	s_andn2_saveexec_b32 s0, s0
	s_cbranch_execz .LBB76_605
; %bb.604:
	v_mov_b32_e32 v84, v10
	v_mov_b32_e32 v85, v11
	;; [unrolled: 1-line block ×5, first 2 shown]
	ds_write2_b64 v90, v[84:85], v[94:95] offset0:36 offset1:37
	ds_write_b64 v90, v[82:83] offset:304
.LBB76_605:
	s_or_b32 exec_lo, exec_lo, s0
	s_mov_b32 s0, exec_lo
	s_waitcnt lgkmcnt(0)
	s_waitcnt_vscnt null, 0x0
	s_barrier
	buffer_gl0_inv
	v_cmpx_lt_i32_e32 35, v93
	s_cbranch_execz .LBB76_607
; %bb.606:
	v_mul_f64 v[8:9], v[0:1], v[8:9]
	ds_read2_b64 v[94:97], v90 offset0:36 offset1:37
	ds_read_b64 v[0:1], v90 offset:304
	s_waitcnt lgkmcnt(1)
	v_fma_f64 v[10:11], -v[8:9], v[94:95], v[10:11]
	v_fma_f64 v[6:7], -v[8:9], v[96:97], v[6:7]
	s_waitcnt lgkmcnt(0)
	v_fma_f64 v[82:83], -v[8:9], v[0:1], v[82:83]
.LBB76_607:
	s_or_b32 exec_lo, exec_lo, s0
	v_lshl_add_u32 v0, v93, 3, v90
	s_barrier
	buffer_gl0_inv
	v_mov_b32_e32 v84, 36
	ds_write_b64 v0, v[10:11]
	s_waitcnt lgkmcnt(0)
	s_barrier
	buffer_gl0_inv
	ds_read_b64 v[0:1], v90 offset:288
	s_cmp_lt_i32 s7, 38
	s_cbranch_scc1 .LBB76_610
; %bb.608:
	v_add3_u32 v85, v91, 0, 0x128
	v_mov_b32_e32 v84, 36
	s_mov_b32 s0, 37
.LBB76_609:                             ; =>This Inner Loop Header: Depth=1
	ds_read_b64 v[94:95], v85
	v_add_nc_u32_e32 v85, 8, v85
	s_waitcnt lgkmcnt(0)
	v_cmp_lt_f64_e64 vcc_lo, |v[0:1]|, |v[94:95]|
	v_cndmask_b32_e32 v1, v1, v95, vcc_lo
	v_cndmask_b32_e32 v0, v0, v94, vcc_lo
	v_cndmask_b32_e64 v84, v84, s0, vcc_lo
	s_add_i32 s0, s0, 1
	s_cmp_lg_u32 s7, s0
	s_cbranch_scc1 .LBB76_609
.LBB76_610:
	s_mov_b32 s0, exec_lo
	s_waitcnt lgkmcnt(0)
	v_cmpx_eq_f64_e32 0, v[0:1]
	s_xor_b32 s0, exec_lo, s0
; %bb.611:
	v_cmp_ne_u32_e32 vcc_lo, 0, v87
	v_cndmask_b32_e32 v87, 37, v87, vcc_lo
; %bb.612:
	s_andn2_saveexec_b32 s0, s0
	s_cbranch_execz .LBB76_614
; %bb.613:
	v_div_scale_f64 v[85:86], null, v[0:1], v[0:1], 1.0
	v_rcp_f64_e32 v[94:95], v[85:86]
	v_fma_f64 v[96:97], -v[85:86], v[94:95], 1.0
	v_fma_f64 v[94:95], v[94:95], v[96:97], v[94:95]
	v_fma_f64 v[96:97], -v[85:86], v[94:95], 1.0
	v_fma_f64 v[94:95], v[94:95], v[96:97], v[94:95]
	v_div_scale_f64 v[96:97], vcc_lo, 1.0, v[0:1], 1.0
	v_mul_f64 v[98:99], v[96:97], v[94:95]
	v_fma_f64 v[85:86], -v[85:86], v[98:99], v[96:97]
	v_div_fmas_f64 v[85:86], v[85:86], v[94:95], v[98:99]
	v_div_fixup_f64 v[0:1], v[85:86], v[0:1], 1.0
.LBB76_614:
	s_or_b32 exec_lo, exec_lo, s0
	s_mov_b32 s0, exec_lo
	v_cmpx_ne_u32_e64 v93, v84
	s_xor_b32 s0, exec_lo, s0
	s_cbranch_execz .LBB76_620
; %bb.615:
	s_mov_b32 s1, exec_lo
	v_cmpx_eq_u32_e32 36, v93
	s_cbranch_execz .LBB76_619
; %bb.616:
	v_cmp_ne_u32_e32 vcc_lo, 36, v84
	s_xor_b32 s2, s6, -1
	s_and_b32 s3, s2, vcc_lo
	s_and_saveexec_b32 s2, s3
	s_cbranch_execz .LBB76_618
; %bb.617:
	v_ashrrev_i32_e32 v85, 31, v84
	v_lshlrev_b64 v[85:86], 2, v[84:85]
	v_add_co_u32 v85, vcc_lo, v4, v85
	v_add_co_ci_u32_e64 v86, null, v5, v86, vcc_lo
	s_clause 0x1
	global_load_dword v92, v[85:86], off
	global_load_dword v93, v[4:5], off offset:144
	s_waitcnt vmcnt(1)
	global_store_dword v[4:5], v92, off offset:144
	s_waitcnt vmcnt(0)
	global_store_dword v[85:86], v93, off
.LBB76_618:
	s_or_b32 exec_lo, exec_lo, s2
	v_mov_b32_e32 v92, v84
	v_mov_b32_e32 v93, v84
.LBB76_619:
	s_or_b32 exec_lo, exec_lo, s1
.LBB76_620:
	s_andn2_saveexec_b32 s0, s0
; %bb.621:
	v_mov_b32_e32 v93, 36
	ds_write2_b64 v90, v[6:7], v[82:83] offset0:37 offset1:38
; %bb.622:
	s_or_b32 exec_lo, exec_lo, s0
	s_mov_b32 s0, exec_lo
	s_waitcnt lgkmcnt(0)
	s_waitcnt_vscnt null, 0x0
	s_barrier
	buffer_gl0_inv
	v_cmpx_lt_i32_e32 36, v93
	s_cbranch_execz .LBB76_624
; %bb.623:
	v_mul_f64 v[10:11], v[0:1], v[10:11]
	ds_read2_b64 v[94:97], v90 offset0:37 offset1:38
	s_waitcnt lgkmcnt(0)
	v_fma_f64 v[6:7], -v[10:11], v[94:95], v[6:7]
	v_fma_f64 v[82:83], -v[10:11], v[96:97], v[82:83]
.LBB76_624:
	s_or_b32 exec_lo, exec_lo, s0
	v_lshl_add_u32 v0, v93, 3, v90
	s_barrier
	buffer_gl0_inv
	v_mov_b32_e32 v84, 37
	ds_write_b64 v0, v[6:7]
	s_waitcnt lgkmcnt(0)
	s_barrier
	buffer_gl0_inv
	ds_read_b64 v[0:1], v90 offset:296
	s_cmp_lt_i32 s7, 39
	s_cbranch_scc1 .LBB76_627
; %bb.625:
	v_add3_u32 v85, v91, 0, 0x130
	v_mov_b32_e32 v84, 37
	s_mov_b32 s0, 38
.LBB76_626:                             ; =>This Inner Loop Header: Depth=1
	ds_read_b64 v[94:95], v85
	v_add_nc_u32_e32 v85, 8, v85
	s_waitcnt lgkmcnt(0)
	v_cmp_lt_f64_e64 vcc_lo, |v[0:1]|, |v[94:95]|
	v_cndmask_b32_e32 v1, v1, v95, vcc_lo
	v_cndmask_b32_e32 v0, v0, v94, vcc_lo
	v_cndmask_b32_e64 v84, v84, s0, vcc_lo
	s_add_i32 s0, s0, 1
	s_cmp_lg_u32 s7, s0
	s_cbranch_scc1 .LBB76_626
.LBB76_627:
	s_mov_b32 s0, exec_lo
	s_waitcnt lgkmcnt(0)
	v_cmpx_eq_f64_e32 0, v[0:1]
	s_xor_b32 s0, exec_lo, s0
; %bb.628:
	v_cmp_ne_u32_e32 vcc_lo, 0, v87
	v_cndmask_b32_e32 v87, 38, v87, vcc_lo
; %bb.629:
	s_andn2_saveexec_b32 s0, s0
	s_cbranch_execz .LBB76_631
; %bb.630:
	v_div_scale_f64 v[85:86], null, v[0:1], v[0:1], 1.0
	v_rcp_f64_e32 v[94:95], v[85:86]
	v_fma_f64 v[96:97], -v[85:86], v[94:95], 1.0
	v_fma_f64 v[94:95], v[94:95], v[96:97], v[94:95]
	v_fma_f64 v[96:97], -v[85:86], v[94:95], 1.0
	v_fma_f64 v[94:95], v[94:95], v[96:97], v[94:95]
	v_div_scale_f64 v[96:97], vcc_lo, 1.0, v[0:1], 1.0
	v_mul_f64 v[98:99], v[96:97], v[94:95]
	v_fma_f64 v[85:86], -v[85:86], v[98:99], v[96:97]
	v_div_fmas_f64 v[85:86], v[85:86], v[94:95], v[98:99]
	v_div_fixup_f64 v[0:1], v[85:86], v[0:1], 1.0
.LBB76_631:
	s_or_b32 exec_lo, exec_lo, s0
	s_mov_b32 s0, exec_lo
	v_cmpx_ne_u32_e64 v93, v84
	s_xor_b32 s0, exec_lo, s0
	s_cbranch_execz .LBB76_637
; %bb.632:
	s_mov_b32 s1, exec_lo
	v_cmpx_eq_u32_e32 37, v93
	s_cbranch_execz .LBB76_636
; %bb.633:
	v_cmp_ne_u32_e32 vcc_lo, 37, v84
	s_xor_b32 s2, s6, -1
	s_and_b32 s3, s2, vcc_lo
	s_and_saveexec_b32 s2, s3
	s_cbranch_execz .LBB76_635
; %bb.634:
	v_ashrrev_i32_e32 v85, 31, v84
	v_lshlrev_b64 v[85:86], 2, v[84:85]
	v_add_co_u32 v85, vcc_lo, v4, v85
	v_add_co_ci_u32_e64 v86, null, v5, v86, vcc_lo
	s_clause 0x1
	global_load_dword v92, v[85:86], off
	global_load_dword v93, v[4:5], off offset:148
	s_waitcnt vmcnt(1)
	global_store_dword v[4:5], v92, off offset:148
	s_waitcnt vmcnt(0)
	global_store_dword v[85:86], v93, off
.LBB76_635:
	s_or_b32 exec_lo, exec_lo, s2
	v_mov_b32_e32 v92, v84
	v_mov_b32_e32 v93, v84
.LBB76_636:
	s_or_b32 exec_lo, exec_lo, s1
.LBB76_637:
	s_andn2_saveexec_b32 s0, s0
; %bb.638:
	v_mov_b32_e32 v93, 37
	ds_write_b64 v90, v[82:83] offset:304
; %bb.639:
	s_or_b32 exec_lo, exec_lo, s0
	s_mov_b32 s0, exec_lo
	s_waitcnt lgkmcnt(0)
	s_waitcnt_vscnt null, 0x0
	s_barrier
	buffer_gl0_inv
	v_cmpx_lt_i32_e32 37, v93
	s_cbranch_execz .LBB76_641
; %bb.640:
	v_mul_f64 v[6:7], v[0:1], v[6:7]
	ds_read_b64 v[0:1], v90 offset:304
	s_waitcnt lgkmcnt(0)
	v_fma_f64 v[82:83], -v[6:7], v[0:1], v[82:83]
.LBB76_641:
	s_or_b32 exec_lo, exec_lo, s0
	v_lshl_add_u32 v0, v93, 3, v90
	s_barrier
	buffer_gl0_inv
	v_mov_b32_e32 v84, 38
	ds_write_b64 v0, v[82:83]
	s_waitcnt lgkmcnt(0)
	s_barrier
	buffer_gl0_inv
	ds_read_b64 v[0:1], v90 offset:304
	s_cmp_lt_i32 s7, 40
	s_cbranch_scc1 .LBB76_644
; %bb.642:
	v_add3_u32 v85, v91, 0, 0x138
	v_mov_b32_e32 v84, 38
	s_mov_b32 s0, 39
.LBB76_643:                             ; =>This Inner Loop Header: Depth=1
	ds_read_b64 v[90:91], v85
	v_add_nc_u32_e32 v85, 8, v85
	s_waitcnt lgkmcnt(0)
	v_cmp_lt_f64_e64 vcc_lo, |v[0:1]|, |v[90:91]|
	v_cndmask_b32_e32 v1, v1, v91, vcc_lo
	v_cndmask_b32_e32 v0, v0, v90, vcc_lo
	v_cndmask_b32_e64 v84, v84, s0, vcc_lo
	s_add_i32 s0, s0, 1
	s_cmp_lg_u32 s7, s0
	s_cbranch_scc1 .LBB76_643
.LBB76_644:
	s_mov_b32 s0, exec_lo
	s_waitcnt lgkmcnt(0)
	v_cmpx_eq_f64_e32 0, v[0:1]
	s_xor_b32 s0, exec_lo, s0
; %bb.645:
	v_cmp_ne_u32_e32 vcc_lo, 0, v87
	v_cndmask_b32_e32 v87, 39, v87, vcc_lo
; %bb.646:
	s_andn2_saveexec_b32 s0, s0
	s_cbranch_execz .LBB76_648
; %bb.647:
	v_div_scale_f64 v[85:86], null, v[0:1], v[0:1], 1.0
	v_rcp_f64_e32 v[90:91], v[85:86]
	v_fma_f64 v[94:95], -v[85:86], v[90:91], 1.0
	v_fma_f64 v[90:91], v[90:91], v[94:95], v[90:91]
	v_fma_f64 v[94:95], -v[85:86], v[90:91], 1.0
	v_fma_f64 v[90:91], v[90:91], v[94:95], v[90:91]
	v_div_scale_f64 v[94:95], vcc_lo, 1.0, v[0:1], 1.0
	v_mul_f64 v[96:97], v[94:95], v[90:91]
	v_fma_f64 v[85:86], -v[85:86], v[96:97], v[94:95]
	v_div_fmas_f64 v[85:86], v[85:86], v[90:91], v[96:97]
	v_div_fixup_f64 v[0:1], v[85:86], v[0:1], 1.0
.LBB76_648:
	s_or_b32 exec_lo, exec_lo, s0
	v_mov_b32_e32 v85, 38
	s_mov_b32 s0, exec_lo
	v_cmpx_ne_u32_e64 v93, v84
	s_cbranch_execz .LBB76_654
; %bb.649:
	s_mov_b32 s1, exec_lo
	v_cmpx_eq_u32_e32 38, v93
	s_cbranch_execz .LBB76_653
; %bb.650:
	v_cmp_ne_u32_e32 vcc_lo, 38, v84
	s_xor_b32 s2, s6, -1
	s_and_b32 s3, s2, vcc_lo
	s_and_saveexec_b32 s2, s3
	s_cbranch_execz .LBB76_652
; %bb.651:
	v_ashrrev_i32_e32 v85, 31, v84
	v_lshlrev_b64 v[85:86], 2, v[84:85]
	v_add_co_u32 v85, vcc_lo, v4, v85
	v_add_co_ci_u32_e64 v86, null, v5, v86, vcc_lo
	s_clause 0x1
	global_load_dword v90, v[85:86], off
	global_load_dword v91, v[4:5], off offset:152
	s_waitcnt vmcnt(1)
	global_store_dword v[4:5], v90, off offset:152
	s_waitcnt vmcnt(0)
	global_store_dword v[85:86], v91, off
.LBB76_652:
	s_or_b32 exec_lo, exec_lo, s2
	v_mov_b32_e32 v92, v84
	v_mov_b32_e32 v93, v84
.LBB76_653:
	s_or_b32 exec_lo, exec_lo, s1
	v_mov_b32_e32 v85, v93
.LBB76_654:
	s_or_b32 exec_lo, exec_lo, s0
	s_load_dwordx8 s[0:7], s[4:5], 0x28
	v_ashrrev_i32_e32 v86, 31, v85
	s_mov_b32 s9, exec_lo
	s_waitcnt lgkmcnt(0)
	s_waitcnt_vscnt null, 0x0
	s_barrier
	buffer_gl0_inv
	s_barrier
	buffer_gl0_inv
	v_cmpx_gt_i32_e32 39, v85
	s_cbranch_execz .LBB76_656
; %bb.655:
	v_mul_lo_u32 v84, s5, v2
	v_mul_lo_u32 v90, s4, v3
	v_mad_u64_u32 v[4:5], null, s4, v2, 0
	s_lshl_b64 s[2:3], s[2:3], 2
	v_add3_u32 v5, v5, v90, v84
	v_lshlrev_b64 v[4:5], 2, v[4:5]
	v_add_co_u32 v84, vcc_lo, s0, v4
	v_add_co_ci_u32_e64 v90, null, s1, v5, vcc_lo
	v_lshlrev_b64 v[4:5], 2, v[85:86]
	v_add_co_u32 v84, vcc_lo, v84, s2
	v_add_co_ci_u32_e64 v90, null, s3, v90, vcc_lo
	v_add_co_u32 v4, vcc_lo, v84, v4
	v_add_co_ci_u32_e64 v5, null, v90, v5, vcc_lo
	v_add3_u32 v84, v92, s13, 1
	global_store_dword v[4:5], v84, off
.LBB76_656:
	s_or_b32 exec_lo, exec_lo, s9
	s_mov_b32 s1, exec_lo
	v_cmpx_eq_u32_e32 0, v85
	s_cbranch_execz .LBB76_659
; %bb.657:
	v_lshlrev_b64 v[2:3], 2, v[2:3]
	v_cmp_ne_u32_e64 s0, 0, v87
	v_add_co_u32 v2, vcc_lo, s6, v2
	v_add_co_ci_u32_e64 v3, null, s7, v3, vcc_lo
	global_load_dword v4, v[2:3], off
	s_waitcnt vmcnt(0)
	v_cmp_eq_u32_e32 vcc_lo, 0, v4
	s_and_b32 s0, vcc_lo, s0
	s_and_b32 exec_lo, exec_lo, s0
	s_cbranch_execz .LBB76_659
; %bb.658:
	v_add_nc_u32_e32 v4, s13, v87
	global_store_dword v[2:3], v4, off
.LBB76_659:
	s_or_b32 exec_lo, exec_lo, s1
	v_lshlrev_b64 v[4:5], 3, v[85:86]
	v_mul_f64 v[0:1], v[0:1], v[82:83]
	v_add3_u32 v2, s8, s8, v85
	v_cmp_lt_i32_e32 vcc_lo, 38, v85
	v_add_co_u32 v4, s0, v88, v4
	v_add_nc_u32_e32 v84, s8, v2
	v_add_co_ci_u32_e64 v5, null, v89, v5, s0
	v_add_co_u32 v86, s0, v4, s10
	v_ashrrev_i32_e32 v3, 31, v2
	v_add_co_ci_u32_e64 v87, null, s11, v5, s0
	v_add_nc_u32_e32 v90, s8, v84
	v_ashrrev_i32_e32 v85, 31, v84
	v_lshlrev_b64 v[2:3], 3, v[2:3]
	flat_store_dwordx2 v[4:5], v[80:81]
	flat_store_dwordx2 v[86:87], v[78:79]
	v_add_nc_u32_e32 v78, s8, v90
	v_lshlrev_b64 v[4:5], 3, v[84:85]
	v_cndmask_b32_e32 v1, v83, v1, vcc_lo
	v_cndmask_b32_e32 v0, v82, v0, vcc_lo
	v_add_co_u32 v2, vcc_lo, v88, v2
	v_add_nc_u32_e32 v80, s8, v78
	v_ashrrev_i32_e32 v91, 31, v90
	v_add_co_ci_u32_e64 v3, null, v89, v3, vcc_lo
	v_add_co_u32 v4, vcc_lo, v88, v4
	v_ashrrev_i32_e32 v79, 31, v78
	v_add_co_ci_u32_e64 v5, null, v89, v5, vcc_lo
	v_ashrrev_i32_e32 v81, 31, v80
	v_lshlrev_b64 v[82:83], 3, v[90:91]
	flat_store_dwordx2 v[2:3], v[76:77]
	flat_store_dwordx2 v[4:5], v[74:75]
	v_lshlrev_b64 v[2:3], 3, v[78:79]
	v_add_nc_u32_e32 v76, s8, v80
	v_lshlrev_b64 v[74:75], 3, v[80:81]
	v_add_co_u32 v4, vcc_lo, v88, v82
	v_add_co_ci_u32_e64 v5, null, v89, v83, vcc_lo
	v_add_co_u32 v2, vcc_lo, v88, v2
	v_add_co_ci_u32_e64 v3, null, v89, v3, vcc_lo
	v_add_co_u32 v74, vcc_lo, v88, v74
	v_add_nc_u32_e32 v78, s8, v76
	v_add_co_ci_u32_e64 v75, null, v89, v75, vcc_lo
	v_ashrrev_i32_e32 v77, 31, v76
	flat_store_dwordx2 v[4:5], v[72:73]
	flat_store_dwordx2 v[2:3], v[68:69]
	flat_store_dwordx2 v[74:75], v[70:71]
	v_add_nc_u32_e32 v68, s8, v78
	v_ashrrev_i32_e32 v79, 31, v78
	v_lshlrev_b64 v[4:5], 3, v[76:77]
	v_add_nc_u32_e32 v70, s8, v68
	v_lshlrev_b64 v[2:3], 3, v[78:79]
	v_ashrrev_i32_e32 v69, 31, v68
	v_add_co_u32 v4, vcc_lo, v88, v4
	v_add_nc_u32_e32 v72, s8, v70
	v_add_co_ci_u32_e64 v5, null, v89, v5, vcc_lo
	v_add_co_u32 v2, vcc_lo, v88, v2
	v_ashrrev_i32_e32 v71, 31, v70
	v_add_co_ci_u32_e64 v3, null, v89, v3, vcc_lo
	v_ashrrev_i32_e32 v73, 31, v72
	v_lshlrev_b64 v[68:69], 3, v[68:69]
	flat_store_dwordx2 v[4:5], v[64:65]
	flat_store_dwordx2 v[2:3], v[66:67]
	v_lshlrev_b64 v[2:3], 3, v[70:71]
	v_add_nc_u32_e32 v66, s8, v72
	v_lshlrev_b64 v[64:65], 3, v[72:73]
	v_add_co_u32 v4, vcc_lo, v88, v68
	v_add_co_ci_u32_e64 v5, null, v89, v69, vcc_lo
	v_add_co_u32 v2, vcc_lo, v88, v2
	v_add_co_ci_u32_e64 v3, null, v89, v3, vcc_lo
	v_add_co_u32 v64, vcc_lo, v88, v64
	v_add_nc_u32_e32 v68, s8, v66
	v_add_co_ci_u32_e64 v65, null, v89, v65, vcc_lo
	v_ashrrev_i32_e32 v67, 31, v66
	flat_store_dwordx2 v[4:5], v[62:63]
	flat_store_dwordx2 v[2:3], v[60:61]
	flat_store_dwordx2 v[64:65], v[58:59]
	v_add_nc_u32_e32 v58, s8, v68
	v_ashrrev_i32_e32 v69, 31, v68
	v_lshlrev_b64 v[4:5], 3, v[66:67]
	v_add_nc_u32_e32 v60, s8, v58
	v_lshlrev_b64 v[2:3], 3, v[68:69]
	v_ashrrev_i32_e32 v59, 31, v58
	v_add_co_u32 v4, vcc_lo, v88, v4
	v_add_nc_u32_e32 v62, s8, v60
	;; [unrolled: 30-line block ×5, first 2 shown]
	v_add_co_ci_u32_e64 v5, null, v89, v5, vcc_lo
	v_add_co_u32 v2, vcc_lo, v88, v2
	v_ashrrev_i32_e32 v31, 31, v30
	v_add_co_ci_u32_e64 v3, null, v89, v3, vcc_lo
	v_ashrrev_i32_e32 v33, 31, v32
	v_lshlrev_b64 v[28:29], 3, v[28:29]
	flat_store_dwordx2 v[4:5], v[24:25]
	flat_store_dwordx2 v[2:3], v[26:27]
	v_lshlrev_b64 v[2:3], 3, v[30:31]
	v_add_nc_u32_e32 v26, s8, v32
	v_lshlrev_b64 v[24:25], 3, v[32:33]
	v_add_co_u32 v4, vcc_lo, v88, v28
	v_add_co_ci_u32_e64 v5, null, v89, v29, vcc_lo
	v_add_co_u32 v2, vcc_lo, v88, v2
	v_add_nc_u32_e32 v28, s8, v26
	v_add_co_ci_u32_e64 v3, null, v89, v3, vcc_lo
	v_add_co_u32 v24, vcc_lo, v88, v24
	v_ashrrev_i32_e32 v27, 31, v26
	v_add_co_ci_u32_e64 v25, null, v89, v25, vcc_lo
	v_ashrrev_i32_e32 v29, 31, v28
	flat_store_dwordx2 v[4:5], v[22:23]
	v_lshlrev_b64 v[4:5], 3, v[26:27]
	flat_store_dwordx2 v[2:3], v[20:21]
	flat_store_dwordx2 v[24:25], v[18:19]
	v_add_nc_u32_e32 v18, s8, v28
	v_lshlrev_b64 v[2:3], 3, v[28:29]
	v_add_co_u32 v4, vcc_lo, v88, v4
	v_add_nc_u32_e32 v20, s8, v18
	v_add_co_ci_u32_e64 v5, null, v89, v5, vcc_lo
	v_add_co_u32 v2, vcc_lo, v88, v2
	v_add_co_ci_u32_e64 v3, null, v89, v3, vcc_lo
	v_add_nc_u32_e32 v22, s8, v20
	v_ashrrev_i32_e32 v19, 31, v18
	flat_store_dwordx2 v[4:5], v[16:17]
	flat_store_dwordx2 v[2:3], v[14:15]
	v_ashrrev_i32_e32 v21, 31, v20
	v_add_nc_u32_e32 v14, s8, v22
	v_lshlrev_b64 v[4:5], 3, v[18:19]
	v_ashrrev_i32_e32 v23, 31, v22
	v_lshlrev_b64 v[2:3], 3, v[20:21]
	v_add_nc_u32_e32 v18, s8, v14
	v_ashrrev_i32_e32 v15, 31, v14
	v_lshlrev_b64 v[16:17], 3, v[22:23]
	v_add_co_u32 v4, vcc_lo, v88, v4
	v_ashrrev_i32_e32 v19, 31, v18
	v_lshlrev_b64 v[14:15], 3, v[14:15]
	v_add_co_ci_u32_e64 v5, null, v89, v5, vcc_lo
	v_add_co_u32 v2, vcc_lo, v88, v2
	v_lshlrev_b64 v[18:19], 3, v[18:19]
	v_add_co_ci_u32_e64 v3, null, v89, v3, vcc_lo
	v_add_co_u32 v16, vcc_lo, v88, v16
	v_add_co_ci_u32_e64 v17, null, v89, v17, vcc_lo
	v_add_co_u32 v14, vcc_lo, v88, v14
	;; [unrolled: 2-line block ×3, first 2 shown]
	v_add_co_ci_u32_e64 v19, null, v89, v19, vcc_lo
	flat_store_dwordx2 v[4:5], v[12:13]
	flat_store_dwordx2 v[2:3], v[8:9]
	flat_store_dwordx2 v[16:17], v[10:11]
	flat_store_dwordx2 v[14:15], v[6:7]
	flat_store_dwordx2 v[18:19], v[0:1]
.LBB76_660:
	s_endpgm
	.section	.rodata,"a",@progbits
	.p2align	6, 0x0
	.amdhsa_kernel _ZN9rocsolver6v33100L18getf2_small_kernelILi39EdiiPKPdEEvT1_T3_lS5_lPS5_llPT2_S5_S5_S7_l
		.amdhsa_group_segment_fixed_size 0
		.amdhsa_private_segment_fixed_size 0
		.amdhsa_kernarg_size 352
		.amdhsa_user_sgpr_count 6
		.amdhsa_user_sgpr_private_segment_buffer 1
		.amdhsa_user_sgpr_dispatch_ptr 0
		.amdhsa_user_sgpr_queue_ptr 0
		.amdhsa_user_sgpr_kernarg_segment_ptr 1
		.amdhsa_user_sgpr_dispatch_id 0
		.amdhsa_user_sgpr_flat_scratch_init 0
		.amdhsa_user_sgpr_private_segment_size 0
		.amdhsa_wavefront_size32 1
		.amdhsa_uses_dynamic_stack 0
		.amdhsa_system_sgpr_private_segment_wavefront_offset 0
		.amdhsa_system_sgpr_workgroup_id_x 1
		.amdhsa_system_sgpr_workgroup_id_y 1
		.amdhsa_system_sgpr_workgroup_id_z 0
		.amdhsa_system_sgpr_workgroup_info 0
		.amdhsa_system_vgpr_workitem_id 1
		.amdhsa_next_free_vgpr 166
		.amdhsa_next_free_sgpr 14
		.amdhsa_reserve_vcc 1
		.amdhsa_reserve_flat_scratch 1
		.amdhsa_float_round_mode_32 0
		.amdhsa_float_round_mode_16_64 0
		.amdhsa_float_denorm_mode_32 3
		.amdhsa_float_denorm_mode_16_64 3
		.amdhsa_dx10_clamp 1
		.amdhsa_ieee_mode 1
		.amdhsa_fp16_overflow 0
		.amdhsa_workgroup_processor_mode 1
		.amdhsa_memory_ordered 1
		.amdhsa_forward_progress 1
		.amdhsa_shared_vgpr_count 0
		.amdhsa_exception_fp_ieee_invalid_op 0
		.amdhsa_exception_fp_denorm_src 0
		.amdhsa_exception_fp_ieee_div_zero 0
		.amdhsa_exception_fp_ieee_overflow 0
		.amdhsa_exception_fp_ieee_underflow 0
		.amdhsa_exception_fp_ieee_inexact 0
		.amdhsa_exception_int_div_zero 0
	.end_amdhsa_kernel
	.section	.text._ZN9rocsolver6v33100L18getf2_small_kernelILi39EdiiPKPdEEvT1_T3_lS5_lPS5_llPT2_S5_S5_S7_l,"axG",@progbits,_ZN9rocsolver6v33100L18getf2_small_kernelILi39EdiiPKPdEEvT1_T3_lS5_lPS5_llPT2_S5_S5_S7_l,comdat
.Lfunc_end76:
	.size	_ZN9rocsolver6v33100L18getf2_small_kernelILi39EdiiPKPdEEvT1_T3_lS5_lPS5_llPT2_S5_S5_S7_l, .Lfunc_end76-_ZN9rocsolver6v33100L18getf2_small_kernelILi39EdiiPKPdEEvT1_T3_lS5_lPS5_llPT2_S5_S5_S7_l
                                        ; -- End function
	.set _ZN9rocsolver6v33100L18getf2_small_kernelILi39EdiiPKPdEEvT1_T3_lS5_lPS5_llPT2_S5_S5_S7_l.num_vgpr, 166
	.set _ZN9rocsolver6v33100L18getf2_small_kernelILi39EdiiPKPdEEvT1_T3_lS5_lPS5_llPT2_S5_S5_S7_l.num_agpr, 0
	.set _ZN9rocsolver6v33100L18getf2_small_kernelILi39EdiiPKPdEEvT1_T3_lS5_lPS5_llPT2_S5_S5_S7_l.numbered_sgpr, 14
	.set _ZN9rocsolver6v33100L18getf2_small_kernelILi39EdiiPKPdEEvT1_T3_lS5_lPS5_llPT2_S5_S5_S7_l.num_named_barrier, 0
	.set _ZN9rocsolver6v33100L18getf2_small_kernelILi39EdiiPKPdEEvT1_T3_lS5_lPS5_llPT2_S5_S5_S7_l.private_seg_size, 0
	.set _ZN9rocsolver6v33100L18getf2_small_kernelILi39EdiiPKPdEEvT1_T3_lS5_lPS5_llPT2_S5_S5_S7_l.uses_vcc, 1
	.set _ZN9rocsolver6v33100L18getf2_small_kernelILi39EdiiPKPdEEvT1_T3_lS5_lPS5_llPT2_S5_S5_S7_l.uses_flat_scratch, 1
	.set _ZN9rocsolver6v33100L18getf2_small_kernelILi39EdiiPKPdEEvT1_T3_lS5_lPS5_llPT2_S5_S5_S7_l.has_dyn_sized_stack, 0
	.set _ZN9rocsolver6v33100L18getf2_small_kernelILi39EdiiPKPdEEvT1_T3_lS5_lPS5_llPT2_S5_S5_S7_l.has_recursion, 0
	.set _ZN9rocsolver6v33100L18getf2_small_kernelILi39EdiiPKPdEEvT1_T3_lS5_lPS5_llPT2_S5_S5_S7_l.has_indirect_call, 0
	.section	.AMDGPU.csdata,"",@progbits
; Kernel info:
; codeLenInByte = 37588
; TotalNumSgprs: 16
; NumVgprs: 166
; ScratchSize: 0
; MemoryBound: 0
; FloatMode: 240
; IeeeMode: 1
; LDSByteSize: 0 bytes/workgroup (compile time only)
; SGPRBlocks: 0
; VGPRBlocks: 20
; NumSGPRsForWavesPerEU: 16
; NumVGPRsForWavesPerEU: 166
; Occupancy: 5
; WaveLimiterHint : 1
; COMPUTE_PGM_RSRC2:SCRATCH_EN: 0
; COMPUTE_PGM_RSRC2:USER_SGPR: 6
; COMPUTE_PGM_RSRC2:TRAP_HANDLER: 0
; COMPUTE_PGM_RSRC2:TGID_X_EN: 1
; COMPUTE_PGM_RSRC2:TGID_Y_EN: 1
; COMPUTE_PGM_RSRC2:TGID_Z_EN: 0
; COMPUTE_PGM_RSRC2:TIDIG_COMP_CNT: 1
	.section	.text._ZN9rocsolver6v33100L23getf2_npvt_small_kernelILi39EdiiPKPdEEvT1_T3_lS5_lPT2_S5_S5_,"axG",@progbits,_ZN9rocsolver6v33100L23getf2_npvt_small_kernelILi39EdiiPKPdEEvT1_T3_lS5_lPT2_S5_S5_,comdat
	.globl	_ZN9rocsolver6v33100L23getf2_npvt_small_kernelILi39EdiiPKPdEEvT1_T3_lS5_lPT2_S5_S5_ ; -- Begin function _ZN9rocsolver6v33100L23getf2_npvt_small_kernelILi39EdiiPKPdEEvT1_T3_lS5_lPT2_S5_S5_
	.p2align	8
	.type	_ZN9rocsolver6v33100L23getf2_npvt_small_kernelILi39EdiiPKPdEEvT1_T3_lS5_lPT2_S5_S5_,@function
_ZN9rocsolver6v33100L23getf2_npvt_small_kernelILi39EdiiPKPdEEvT1_T3_lS5_lPT2_S5_S5_: ; @_ZN9rocsolver6v33100L23getf2_npvt_small_kernelILi39EdiiPKPdEEvT1_T3_lS5_lPT2_S5_S5_
; %bb.0:
	s_clause 0x1
	s_load_dword s0, s[4:5], 0x44
	s_load_dwordx2 s[8:9], s[4:5], 0x30
	s_waitcnt lgkmcnt(0)
	s_lshr_b32 s10, s0, 16
	s_mov_b32 s0, exec_lo
	v_mad_u64_u32 v[2:3], null, s7, s10, v[1:2]
	v_cmpx_gt_i32_e64 s8, v2
	s_cbranch_execz .LBB77_198
; %bb.1:
	s_clause 0x1
	s_load_dwordx4 s[0:3], s[4:5], 0x8
	s_load_dword s6, s[4:5], 0x18
	v_ashrrev_i32_e32 v3, 31, v2
	v_lshlrev_b32_e32 v82, 3, v0
	v_lshlrev_b32_e32 v160, 3, v1
	s_mulk_i32 s10, 0x138
	v_mad_u32_u24 v236, 0x138, v1, 0
	v_lshlrev_b64 v[4:5], 3, v[2:3]
	v_add3_u32 v1, 0, s10, v160
	s_waitcnt lgkmcnt(0)
	v_add_co_u32 v4, vcc_lo, s0, v4
	v_add_co_ci_u32_e64 v5, null, s1, v5, vcc_lo
	v_add3_u32 v6, s6, s6, v0
	s_lshl_b64 s[2:3], s[2:3], 3
	s_ashr_i32 s7, s6, 31
	global_load_dwordx2 v[4:5], v[4:5], off
	s_lshl_b64 s[0:1], s[6:7], 3
	v_add_nc_u32_e32 v8, s6, v6
	v_ashrrev_i32_e32 v7, 31, v6
	v_add_nc_u32_e32 v10, s6, v8
	v_ashrrev_i32_e32 v9, 31, v8
	v_lshlrev_b64 v[6:7], 3, v[6:7]
	v_add_nc_u32_e32 v12, s6, v10
	v_ashrrev_i32_e32 v11, 31, v10
	v_lshlrev_b64 v[8:9], 3, v[8:9]
	;; [unrolled: 3-line block ×34, first 2 shown]
	v_ashrrev_i32_e32 v77, 31, v76
	v_add_nc_u32_e32 v78, s6, v76
	v_lshlrev_b64 v[74:75], 3, v[74:75]
	v_lshlrev_b64 v[76:77], 3, v[76:77]
	v_ashrrev_i32_e32 v79, 31, v78
	v_lshlrev_b64 v[80:81], 3, v[78:79]
	s_waitcnt vmcnt(0)
	v_add_co_u32 v83, vcc_lo, v4, s2
	v_add_co_ci_u32_e64 v84, null, s3, v5, vcc_lo
	v_add_co_u32 v4, vcc_lo, v83, v6
	v_add_co_ci_u32_e64 v5, null, v84, v7, vcc_lo
	;; [unrolled: 2-line block ×40, first 2 shown]
	s_clause 0x26
	flat_load_dwordx2 v[142:143], v[8:9]
	flat_load_dwordx2 v[126:127], v[10:11]
	;; [unrolled: 1-line block ×39, first 2 shown]
	v_cmp_ne_u32_e64 s1, 0, v0
	v_cmp_eq_u32_e64 s0, 0, v0
	s_and_saveexec_b32 s2, s0
	s_cbranch_execz .LBB77_4
; %bb.2:
	s_waitcnt vmcnt(6) lgkmcnt(6)
	ds_write_b64 v1, v[152:153]
	s_waitcnt vmcnt(4) lgkmcnt(5)
	ds_write2_b64 v236, v[156:157], v[158:159] offset0:1 offset1:2
	s_waitcnt vmcnt(3) lgkmcnt(5)
	ds_write2_b64 v236, v[154:155], v[142:143] offset0:3 offset1:4
	ds_write2_b64 v236, v[126:127], v[140:141] offset0:5 offset1:6
	ds_write2_b64 v236, v[124:125], v[138:139] offset0:7 offset1:8
	ds_write2_b64 v236, v[122:123], v[136:137] offset0:9 offset1:10
	ds_write2_b64 v236, v[120:121], v[134:135] offset0:11 offset1:12
	ds_write2_b64 v236, v[118:119], v[132:133] offset0:13 offset1:14
	ds_write2_b64 v236, v[116:117], v[130:131] offset0:15 offset1:16
	ds_write2_b64 v236, v[114:115], v[128:129] offset0:17 offset1:18
	ds_write2_b64 v236, v[96:97], v[112:113] offset0:19 offset1:20
	ds_write2_b64 v236, v[94:95], v[110:111] offset0:21 offset1:22
	ds_write2_b64 v236, v[92:93], v[108:109] offset0:23 offset1:24
	ds_write2_b64 v236, v[90:91], v[106:107] offset0:25 offset1:26
	ds_write2_b64 v236, v[88:89], v[104:105] offset0:27 offset1:28
	ds_write2_b64 v236, v[86:87], v[102:103] offset0:29 offset1:30
	ds_write2_b64 v236, v[84:85], v[100:101] offset0:31 offset1:32
	ds_write2_b64 v236, v[82:83], v[98:99] offset0:33 offset1:34
	s_waitcnt vmcnt(2) lgkmcnt(20)
	ds_write2_b64 v236, v[80:81], v[148:149] offset0:35 offset1:36
	s_waitcnt vmcnt(0) lgkmcnt(19)
	ds_write2_b64 v236, v[146:147], v[150:151] offset0:37 offset1:38
	ds_read_b64 v[160:161], v1
	s_waitcnt lgkmcnt(0)
	v_cmp_neq_f64_e32 vcc_lo, 0, v[160:161]
	s_and_b32 exec_lo, exec_lo, vcc_lo
	s_cbranch_execz .LBB77_4
; %bb.3:
	v_div_scale_f64 v[162:163], null, v[160:161], v[160:161], 1.0
	v_rcp_f64_e32 v[164:165], v[162:163]
	v_fma_f64 v[166:167], -v[162:163], v[164:165], 1.0
	v_fma_f64 v[164:165], v[164:165], v[166:167], v[164:165]
	v_fma_f64 v[166:167], -v[162:163], v[164:165], 1.0
	v_fma_f64 v[164:165], v[164:165], v[166:167], v[164:165]
	v_div_scale_f64 v[166:167], vcc_lo, 1.0, v[160:161], 1.0
	v_mul_f64 v[168:169], v[166:167], v[164:165]
	v_fma_f64 v[162:163], -v[162:163], v[168:169], v[166:167]
	v_div_fmas_f64 v[162:163], v[162:163], v[164:165], v[168:169]
	v_div_fixup_f64 v[160:161], v[162:163], v[160:161], 1.0
	ds_write_b64 v1, v[160:161]
.LBB77_4:
	s_or_b32 exec_lo, exec_lo, s2
	s_waitcnt vmcnt(0) lgkmcnt(0)
	s_barrier
	buffer_gl0_inv
	ds_read_b64 v[160:161], v1
	s_and_saveexec_b32 s2, s1
	s_cbranch_execz .LBB77_6
; %bb.5:
	s_waitcnt lgkmcnt(0)
	v_mul_f64 v[152:153], v[160:161], v[152:153]
	ds_read2_b64 v[162:165], v236 offset0:1 offset1:2
	ds_read2_b64 v[166:169], v236 offset0:3 offset1:4
	;; [unrolled: 1-line block ×12, first 2 shown]
	s_waitcnt lgkmcnt(11)
	v_fma_f64 v[156:157], -v[152:153], v[162:163], v[156:157]
	v_fma_f64 v[158:159], -v[152:153], v[164:165], v[158:159]
	s_waitcnt lgkmcnt(10)
	v_fma_f64 v[154:155], -v[152:153], v[166:167], v[154:155]
	v_fma_f64 v[142:143], -v[152:153], v[168:169], v[142:143]
	;; [unrolled: 3-line block ×5, first 2 shown]
	s_waitcnt lgkmcnt(6)
	v_fma_f64 v[120:121], -v[152:153], v[182:183], v[120:121]
	ds_read2_b64 v[162:165], v236 offset0:25 offset1:26
	ds_read2_b64 v[166:169], v236 offset0:27 offset1:28
	v_fma_f64 v[134:135], -v[152:153], v[184:185], v[134:135]
	s_waitcnt lgkmcnt(7)
	v_fma_f64 v[118:119], -v[152:153], v[186:187], v[118:119]
	ds_read2_b64 v[170:173], v236 offset0:29 offset1:30
	ds_read2_b64 v[174:177], v236 offset0:31 offset1:32
	v_fma_f64 v[132:133], -v[152:153], v[188:189], v[132:133]
	ds_read2_b64 v[178:181], v236 offset0:33 offset1:34
	ds_read2_b64 v[182:185], v236 offset0:35 offset1:36
	;; [unrolled: 1-line block ×3, first 2 shown]
	s_waitcnt lgkmcnt(11)
	v_fma_f64 v[116:117], -v[152:153], v[190:191], v[116:117]
	v_fma_f64 v[130:131], -v[152:153], v[192:193], v[130:131]
	s_waitcnt lgkmcnt(10)
	v_fma_f64 v[114:115], -v[152:153], v[194:195], v[114:115]
	v_fma_f64 v[128:129], -v[152:153], v[196:197], v[128:129]
	;; [unrolled: 3-line block ×12, first 2 shown]
.LBB77_6:
	s_or_b32 exec_lo, exec_lo, s2
	s_mov_b32 s1, exec_lo
	s_waitcnt lgkmcnt(0)
	s_barrier
	buffer_gl0_inv
	v_cmpx_eq_u32_e32 1, v0
	s_cbranch_execz .LBB77_9
; %bb.7:
	v_mov_b32_e32 v162, v158
	v_mov_b32_e32 v163, v159
	;; [unrolled: 1-line block ×12, first 2 shown]
	ds_write_b64 v1, v[156:157]
	ds_write2_b64 v236, v[162:163], v[164:165] offset0:2 offset1:3
	ds_write2_b64 v236, v[166:167], v[168:169] offset0:4 offset1:5
	ds_write2_b64 v236, v[170:171], v[172:173] offset0:6 offset1:7
	v_mov_b32_e32 v162, v138
	v_mov_b32_e32 v163, v139
	v_mov_b32_e32 v164, v122
	v_mov_b32_e32 v165, v123
	v_mov_b32_e32 v166, v136
	v_mov_b32_e32 v167, v137
	v_mov_b32_e32 v168, v120
	v_mov_b32_e32 v169, v121
	v_mov_b32_e32 v170, v134
	v_mov_b32_e32 v171, v135
	v_mov_b32_e32 v172, v118
	v_mov_b32_e32 v173, v119
	v_mov_b32_e32 v174, v132
	v_mov_b32_e32 v175, v133
	v_mov_b32_e32 v176, v116
	v_mov_b32_e32 v177, v117
	v_mov_b32_e32 v178, v130
	v_mov_b32_e32 v179, v131
	v_mov_b32_e32 v180, v114
	v_mov_b32_e32 v181, v115
	ds_write2_b64 v236, v[162:163], v[164:165] offset0:8 offset1:9
	ds_write2_b64 v236, v[166:167], v[168:169] offset0:10 offset1:11
	ds_write2_b64 v236, v[170:171], v[172:173] offset0:12 offset1:13
	ds_write2_b64 v236, v[174:175], v[176:177] offset0:14 offset1:15
	ds_write2_b64 v236, v[178:179], v[180:181] offset0:16 offset1:17
	v_mov_b32_e32 v162, v128
	v_mov_b32_e32 v163, v129
	v_mov_b32_e32 v164, v96
	v_mov_b32_e32 v165, v97
	v_mov_b32_e32 v166, v112
	v_mov_b32_e32 v167, v113
	v_mov_b32_e32 v168, v94
	v_mov_b32_e32 v169, v95
	v_mov_b32_e32 v170, v110
	v_mov_b32_e32 v171, v111
	v_mov_b32_e32 v172, v92
	v_mov_b32_e32 v173, v93
	v_mov_b32_e32 v174, v108
	v_mov_b32_e32 v175, v109
	v_mov_b32_e32 v176, v90
	v_mov_b32_e32 v177, v91
	v_mov_b32_e32 v178, v106
	v_mov_b32_e32 v179, v107
	v_mov_b32_e32 v180, v88
	v_mov_b32_e32 v181, v89
	ds_write2_b64 v236, v[162:163], v[164:165] offset0:18 offset1:19
	ds_write2_b64 v236, v[166:167], v[168:169] offset0:20 offset1:21
	;; [unrolled: 25-line block ×3, first 2 shown]
	ds_write2_b64 v236, v[170:171], v[172:173] offset0:32 offset1:33
	ds_write2_b64 v236, v[174:175], v[176:177] offset0:34 offset1:35
	;; [unrolled: 1-line block ×3, first 2 shown]
	ds_write_b64 v236, v[150:151] offset:304
	ds_read_b64 v[162:163], v1
	s_waitcnt lgkmcnt(0)
	v_cmp_neq_f64_e32 vcc_lo, 0, v[162:163]
	s_and_b32 exec_lo, exec_lo, vcc_lo
	s_cbranch_execz .LBB77_9
; %bb.8:
	v_div_scale_f64 v[164:165], null, v[162:163], v[162:163], 1.0
	v_rcp_f64_e32 v[166:167], v[164:165]
	v_fma_f64 v[168:169], -v[164:165], v[166:167], 1.0
	v_fma_f64 v[166:167], v[166:167], v[168:169], v[166:167]
	v_fma_f64 v[168:169], -v[164:165], v[166:167], 1.0
	v_fma_f64 v[166:167], v[166:167], v[168:169], v[166:167]
	v_div_scale_f64 v[168:169], vcc_lo, 1.0, v[162:163], 1.0
	v_mul_f64 v[170:171], v[168:169], v[166:167]
	v_fma_f64 v[164:165], -v[164:165], v[170:171], v[168:169]
	v_div_fmas_f64 v[164:165], v[164:165], v[166:167], v[170:171]
	v_div_fixup_f64 v[162:163], v[164:165], v[162:163], 1.0
	ds_write_b64 v1, v[162:163]
.LBB77_9:
	s_or_b32 exec_lo, exec_lo, s1
	s_waitcnt lgkmcnt(0)
	s_barrier
	buffer_gl0_inv
	ds_read_b64 v[162:163], v1
	s_mov_b32 s1, exec_lo
	v_cmpx_lt_u32_e32 1, v0
	s_cbranch_execz .LBB77_11
; %bb.10:
	s_waitcnt lgkmcnt(0)
	v_mul_f64 v[156:157], v[162:163], v[156:157]
	ds_read2_b64 v[164:167], v236 offset0:2 offset1:3
	ds_read2_b64 v[168:171], v236 offset0:4 offset1:5
	;; [unrolled: 1-line block ×12, first 2 shown]
	s_waitcnt lgkmcnt(11)
	v_fma_f64 v[158:159], -v[156:157], v[164:165], v[158:159]
	v_fma_f64 v[154:155], -v[156:157], v[166:167], v[154:155]
	s_waitcnt lgkmcnt(10)
	v_fma_f64 v[142:143], -v[156:157], v[168:169], v[142:143]
	v_fma_f64 v[126:127], -v[156:157], v[170:171], v[126:127]
	;; [unrolled: 3-line block ×5, first 2 shown]
	s_waitcnt lgkmcnt(6)
	v_fma_f64 v[134:135], -v[156:157], v[184:185], v[134:135]
	ds_read2_b64 v[164:167], v236 offset0:26 offset1:27
	ds_read2_b64 v[168:171], v236 offset0:28 offset1:29
	v_fma_f64 v[118:119], -v[156:157], v[186:187], v[118:119]
	s_waitcnt lgkmcnt(7)
	v_fma_f64 v[132:133], -v[156:157], v[188:189], v[132:133]
	ds_read2_b64 v[172:175], v236 offset0:30 offset1:31
	ds_read2_b64 v[176:179], v236 offset0:32 offset1:33
	;; [unrolled: 1-line block ×4, first 2 shown]
	ds_read_b64 v[188:189], v236 offset:304
	v_fma_f64 v[116:117], -v[156:157], v[190:191], v[116:117]
	s_waitcnt lgkmcnt(11)
	v_fma_f64 v[130:131], -v[156:157], v[192:193], v[130:131]
	v_fma_f64 v[114:115], -v[156:157], v[194:195], v[114:115]
	s_waitcnt lgkmcnt(10)
	v_fma_f64 v[128:129], -v[156:157], v[196:197], v[128:129]
	;; [unrolled: 3-line block ×12, first 2 shown]
.LBB77_11:
	s_or_b32 exec_lo, exec_lo, s1
	s_mov_b32 s1, exec_lo
	s_waitcnt lgkmcnt(0)
	s_barrier
	buffer_gl0_inv
	v_cmpx_eq_u32_e32 2, v0
	s_cbranch_execz .LBB77_14
; %bb.12:
	ds_write_b64 v1, v[158:159]
	ds_write2_b64 v236, v[154:155], v[142:143] offset0:3 offset1:4
	ds_write2_b64 v236, v[126:127], v[140:141] offset0:5 offset1:6
	;; [unrolled: 1-line block ×18, first 2 shown]
	ds_read_b64 v[164:165], v1
	s_waitcnt lgkmcnt(0)
	v_cmp_neq_f64_e32 vcc_lo, 0, v[164:165]
	s_and_b32 exec_lo, exec_lo, vcc_lo
	s_cbranch_execz .LBB77_14
; %bb.13:
	v_div_scale_f64 v[166:167], null, v[164:165], v[164:165], 1.0
	v_rcp_f64_e32 v[168:169], v[166:167]
	v_fma_f64 v[170:171], -v[166:167], v[168:169], 1.0
	v_fma_f64 v[168:169], v[168:169], v[170:171], v[168:169]
	v_fma_f64 v[170:171], -v[166:167], v[168:169], 1.0
	v_fma_f64 v[168:169], v[168:169], v[170:171], v[168:169]
	v_div_scale_f64 v[170:171], vcc_lo, 1.0, v[164:165], 1.0
	v_mul_f64 v[172:173], v[170:171], v[168:169]
	v_fma_f64 v[166:167], -v[166:167], v[172:173], v[170:171]
	v_div_fmas_f64 v[166:167], v[166:167], v[168:169], v[172:173]
	v_div_fixup_f64 v[164:165], v[166:167], v[164:165], 1.0
	ds_write_b64 v1, v[164:165]
.LBB77_14:
	s_or_b32 exec_lo, exec_lo, s1
	s_waitcnt lgkmcnt(0)
	s_barrier
	buffer_gl0_inv
	ds_read_b64 v[164:165], v1
	s_mov_b32 s1, exec_lo
	v_cmpx_lt_u32_e32 2, v0
	s_cbranch_execz .LBB77_16
; %bb.15:
	s_waitcnt lgkmcnt(0)
	v_mul_f64 v[158:159], v[164:165], v[158:159]
	ds_read2_b64 v[166:169], v236 offset0:3 offset1:4
	ds_read2_b64 v[170:173], v236 offset0:5 offset1:6
	;; [unrolled: 1-line block ×12, first 2 shown]
	s_waitcnt lgkmcnt(11)
	v_fma_f64 v[154:155], -v[158:159], v[166:167], v[154:155]
	v_fma_f64 v[142:143], -v[158:159], v[168:169], v[142:143]
	s_waitcnt lgkmcnt(10)
	v_fma_f64 v[126:127], -v[158:159], v[170:171], v[126:127]
	v_fma_f64 v[140:141], -v[158:159], v[172:173], v[140:141]
	;; [unrolled: 3-line block ×5, first 2 shown]
	ds_read2_b64 v[166:169], v236 offset0:27 offset1:28
	ds_read2_b64 v[170:173], v236 offset0:29 offset1:30
	s_waitcnt lgkmcnt(8)
	v_fma_f64 v[118:119], -v[158:159], v[186:187], v[118:119]
	v_fma_f64 v[132:133], -v[158:159], v[188:189], v[132:133]
	ds_read2_b64 v[174:177], v236 offset0:31 offset1:32
	ds_read2_b64 v[178:181], v236 offset0:33 offset1:34
	;; [unrolled: 1-line block ×4, first 2 shown]
	s_waitcnt lgkmcnt(11)
	v_fma_f64 v[116:117], -v[158:159], v[190:191], v[116:117]
	v_fma_f64 v[130:131], -v[158:159], v[192:193], v[130:131]
	s_waitcnt lgkmcnt(10)
	v_fma_f64 v[114:115], -v[158:159], v[194:195], v[114:115]
	v_fma_f64 v[128:129], -v[158:159], v[196:197], v[128:129]
	;; [unrolled: 3-line block ×12, first 2 shown]
.LBB77_16:
	s_or_b32 exec_lo, exec_lo, s1
	s_mov_b32 s1, exec_lo
	s_waitcnt lgkmcnt(0)
	s_barrier
	buffer_gl0_inv
	v_cmpx_eq_u32_e32 3, v0
	s_cbranch_execz .LBB77_19
; %bb.17:
	v_mov_b32_e32 v166, v142
	v_mov_b32_e32 v167, v143
	;; [unrolled: 1-line block ×8, first 2 shown]
	ds_write_b64 v1, v[154:155]
	ds_write2_b64 v236, v[166:167], v[168:169] offset0:4 offset1:5
	ds_write2_b64 v236, v[170:171], v[172:173] offset0:6 offset1:7
	v_mov_b32_e32 v166, v138
	v_mov_b32_e32 v167, v139
	v_mov_b32_e32 v168, v122
	v_mov_b32_e32 v169, v123
	v_mov_b32_e32 v170, v136
	v_mov_b32_e32 v171, v137
	v_mov_b32_e32 v172, v120
	v_mov_b32_e32 v173, v121
	v_mov_b32_e32 v174, v134
	v_mov_b32_e32 v175, v135
	v_mov_b32_e32 v176, v118
	v_mov_b32_e32 v177, v119
	v_mov_b32_e32 v178, v132
	v_mov_b32_e32 v179, v133
	v_mov_b32_e32 v180, v116
	v_mov_b32_e32 v181, v117
	v_mov_b32_e32 v182, v130
	v_mov_b32_e32 v183, v131
	v_mov_b32_e32 v184, v114
	v_mov_b32_e32 v185, v115
	ds_write2_b64 v236, v[166:167], v[168:169] offset0:8 offset1:9
	ds_write2_b64 v236, v[170:171], v[172:173] offset0:10 offset1:11
	ds_write2_b64 v236, v[174:175], v[176:177] offset0:12 offset1:13
	ds_write2_b64 v236, v[178:179], v[180:181] offset0:14 offset1:15
	ds_write2_b64 v236, v[182:183], v[184:185] offset0:16 offset1:17
	v_mov_b32_e32 v166, v128
	v_mov_b32_e32 v167, v129
	v_mov_b32_e32 v168, v96
	v_mov_b32_e32 v169, v97
	v_mov_b32_e32 v170, v112
	v_mov_b32_e32 v171, v113
	v_mov_b32_e32 v172, v94
	v_mov_b32_e32 v173, v95
	v_mov_b32_e32 v174, v110
	v_mov_b32_e32 v175, v111
	v_mov_b32_e32 v176, v92
	v_mov_b32_e32 v177, v93
	v_mov_b32_e32 v178, v108
	v_mov_b32_e32 v179, v109
	v_mov_b32_e32 v180, v90
	v_mov_b32_e32 v181, v91
	v_mov_b32_e32 v182, v106
	v_mov_b32_e32 v183, v107
	v_mov_b32_e32 v184, v88
	v_mov_b32_e32 v185, v89
	ds_write2_b64 v236, v[166:167], v[168:169] offset0:18 offset1:19
	ds_write2_b64 v236, v[170:171], v[172:173] offset0:20 offset1:21
	ds_write2_b64 v236, v[174:175], v[176:177] offset0:22 offset1:23
	ds_write2_b64 v236, v[178:179], v[180:181] offset0:24 offset1:25
	ds_write2_b64 v236, v[182:183], v[184:185] offset0:26 offset1:27
	v_mov_b32_e32 v166, v104
	v_mov_b32_e32 v167, v105
	v_mov_b32_e32 v168, v86
	v_mov_b32_e32 v169, v87
	v_mov_b32_e32 v170, v102
	v_mov_b32_e32 v171, v103
	v_mov_b32_e32 v172, v84
	v_mov_b32_e32 v173, v85
	v_mov_b32_e32 v174, v100
	v_mov_b32_e32 v175, v101
	v_mov_b32_e32 v176, v82
	v_mov_b32_e32 v177, v83
	v_mov_b32_e32 v178, v98
	v_mov_b32_e32 v179, v99
	v_mov_b32_e32 v180, v80
	v_mov_b32_e32 v181, v81
	v_mov_b32_e32 v182, v148
	v_mov_b32_e32 v183, v149
	v_mov_b32_e32 v184, v146
	v_mov_b32_e32 v185, v147
	ds_write2_b64 v236, v[166:167], v[168:169] offset0:28 offset1:29
	ds_write2_b64 v236, v[170:171], v[172:173] offset0:30 offset1:31
	ds_write2_b64 v236, v[174:175], v[176:177] offset0:32 offset1:33
	ds_write2_b64 v236, v[178:179], v[180:181] offset0:34 offset1:35
	ds_write2_b64 v236, v[182:183], v[184:185] offset0:36 offset1:37
	ds_write_b64 v236, v[150:151] offset:304
	ds_read_b64 v[166:167], v1
	s_waitcnt lgkmcnt(0)
	v_cmp_neq_f64_e32 vcc_lo, 0, v[166:167]
	s_and_b32 exec_lo, exec_lo, vcc_lo
	s_cbranch_execz .LBB77_19
; %bb.18:
	v_div_scale_f64 v[168:169], null, v[166:167], v[166:167], 1.0
	v_rcp_f64_e32 v[170:171], v[168:169]
	v_fma_f64 v[172:173], -v[168:169], v[170:171], 1.0
	v_fma_f64 v[170:171], v[170:171], v[172:173], v[170:171]
	v_fma_f64 v[172:173], -v[168:169], v[170:171], 1.0
	v_fma_f64 v[170:171], v[170:171], v[172:173], v[170:171]
	v_div_scale_f64 v[172:173], vcc_lo, 1.0, v[166:167], 1.0
	v_mul_f64 v[174:175], v[172:173], v[170:171]
	v_fma_f64 v[168:169], -v[168:169], v[174:175], v[172:173]
	v_div_fmas_f64 v[168:169], v[168:169], v[170:171], v[174:175]
	v_div_fixup_f64 v[166:167], v[168:169], v[166:167], 1.0
	ds_write_b64 v1, v[166:167]
.LBB77_19:
	s_or_b32 exec_lo, exec_lo, s1
	s_waitcnt lgkmcnt(0)
	s_barrier
	buffer_gl0_inv
	ds_read_b64 v[166:167], v1
	s_mov_b32 s1, exec_lo
	v_cmpx_lt_u32_e32 3, v0
	s_cbranch_execz .LBB77_21
; %bb.20:
	s_waitcnt lgkmcnt(0)
	v_mul_f64 v[154:155], v[166:167], v[154:155]
	ds_read2_b64 v[168:171], v236 offset0:4 offset1:5
	ds_read2_b64 v[172:175], v236 offset0:6 offset1:7
	;; [unrolled: 1-line block ×12, first 2 shown]
	s_waitcnt lgkmcnt(11)
	v_fma_f64 v[142:143], -v[154:155], v[168:169], v[142:143]
	v_fma_f64 v[126:127], -v[154:155], v[170:171], v[126:127]
	s_waitcnt lgkmcnt(10)
	v_fma_f64 v[140:141], -v[154:155], v[172:173], v[140:141]
	v_fma_f64 v[124:125], -v[154:155], v[174:175], v[124:125]
	;; [unrolled: 3-line block ×5, first 2 shown]
	ds_read2_b64 v[168:171], v236 offset0:28 offset1:29
	ds_read2_b64 v[172:175], v236 offset0:30 offset1:31
	s_waitcnt lgkmcnt(8)
	v_fma_f64 v[132:133], -v[154:155], v[188:189], v[132:133]
	ds_read2_b64 v[176:179], v236 offset0:32 offset1:33
	ds_read2_b64 v[180:183], v236 offset0:34 offset1:35
	;; [unrolled: 1-line block ×3, first 2 shown]
	ds_read_b64 v[188:189], v236 offset:304
	v_fma_f64 v[116:117], -v[154:155], v[190:191], v[116:117]
	s_waitcnt lgkmcnt(11)
	v_fma_f64 v[130:131], -v[154:155], v[192:193], v[130:131]
	v_fma_f64 v[114:115], -v[154:155], v[194:195], v[114:115]
	s_waitcnt lgkmcnt(10)
	v_fma_f64 v[128:129], -v[154:155], v[196:197], v[128:129]
	;; [unrolled: 3-line block ×12, first 2 shown]
.LBB77_21:
	s_or_b32 exec_lo, exec_lo, s1
	s_mov_b32 s1, exec_lo
	s_waitcnt lgkmcnt(0)
	s_barrier
	buffer_gl0_inv
	v_cmpx_eq_u32_e32 4, v0
	s_cbranch_execz .LBB77_24
; %bb.22:
	ds_write_b64 v1, v[142:143]
	ds_write2_b64 v236, v[126:127], v[140:141] offset0:5 offset1:6
	ds_write2_b64 v236, v[124:125], v[138:139] offset0:7 offset1:8
	;; [unrolled: 1-line block ×17, first 2 shown]
	ds_read_b64 v[168:169], v1
	s_waitcnt lgkmcnt(0)
	v_cmp_neq_f64_e32 vcc_lo, 0, v[168:169]
	s_and_b32 exec_lo, exec_lo, vcc_lo
	s_cbranch_execz .LBB77_24
; %bb.23:
	v_div_scale_f64 v[170:171], null, v[168:169], v[168:169], 1.0
	v_rcp_f64_e32 v[172:173], v[170:171]
	v_fma_f64 v[174:175], -v[170:171], v[172:173], 1.0
	v_fma_f64 v[172:173], v[172:173], v[174:175], v[172:173]
	v_fma_f64 v[174:175], -v[170:171], v[172:173], 1.0
	v_fma_f64 v[172:173], v[172:173], v[174:175], v[172:173]
	v_div_scale_f64 v[174:175], vcc_lo, 1.0, v[168:169], 1.0
	v_mul_f64 v[176:177], v[174:175], v[172:173]
	v_fma_f64 v[170:171], -v[170:171], v[176:177], v[174:175]
	v_div_fmas_f64 v[170:171], v[170:171], v[172:173], v[176:177]
	v_div_fixup_f64 v[168:169], v[170:171], v[168:169], 1.0
	ds_write_b64 v1, v[168:169]
.LBB77_24:
	s_or_b32 exec_lo, exec_lo, s1
	s_waitcnt lgkmcnt(0)
	s_barrier
	buffer_gl0_inv
	ds_read_b64 v[168:169], v1
	s_mov_b32 s1, exec_lo
	v_cmpx_lt_u32_e32 4, v0
	s_cbranch_execz .LBB77_26
; %bb.25:
	s_waitcnt lgkmcnt(0)
	v_mul_f64 v[142:143], v[168:169], v[142:143]
	ds_read2_b64 v[170:173], v236 offset0:5 offset1:6
	ds_read2_b64 v[174:177], v236 offset0:7 offset1:8
	;; [unrolled: 1-line block ×13, first 2 shown]
	s_waitcnt lgkmcnt(12)
	v_fma_f64 v[126:127], -v[142:143], v[170:171], v[126:127]
	v_fma_f64 v[140:141], -v[142:143], v[172:173], v[140:141]
	s_waitcnt lgkmcnt(11)
	v_fma_f64 v[124:125], -v[142:143], v[174:175], v[124:125]
	v_fma_f64 v[138:139], -v[142:143], v[176:177], v[138:139]
	;; [unrolled: 3-line block ×4, first 2 shown]
	ds_read2_b64 v[170:173], v236 offset0:31 offset1:32
	ds_read2_b64 v[174:177], v236 offset0:33 offset1:34
	;; [unrolled: 1-line block ×4, first 2 shown]
	s_waitcnt lgkmcnt(12)
	v_fma_f64 v[118:119], -v[142:143], v[186:187], v[118:119]
	v_fma_f64 v[132:133], -v[142:143], v[188:189], v[132:133]
	s_waitcnt lgkmcnt(11)
	v_fma_f64 v[116:117], -v[142:143], v[190:191], v[116:117]
	v_fma_f64 v[130:131], -v[142:143], v[192:193], v[130:131]
	;; [unrolled: 3-line block ×13, first 2 shown]
.LBB77_26:
	s_or_b32 exec_lo, exec_lo, s1
	s_mov_b32 s1, exec_lo
	s_waitcnt lgkmcnt(0)
	s_barrier
	buffer_gl0_inv
	v_cmpx_eq_u32_e32 5, v0
	s_cbranch_execz .LBB77_29
; %bb.27:
	v_mov_b32_e32 v170, v140
	v_mov_b32_e32 v171, v141
	;; [unrolled: 1-line block ×4, first 2 shown]
	ds_write_b64 v1, v[126:127]
	ds_write2_b64 v236, v[170:171], v[172:173] offset0:6 offset1:7
	v_mov_b32_e32 v170, v138
	v_mov_b32_e32 v171, v139
	v_mov_b32_e32 v172, v122
	v_mov_b32_e32 v173, v123
	v_mov_b32_e32 v174, v136
	v_mov_b32_e32 v175, v137
	v_mov_b32_e32 v176, v120
	v_mov_b32_e32 v177, v121
	v_mov_b32_e32 v178, v134
	v_mov_b32_e32 v179, v135
	v_mov_b32_e32 v180, v118
	v_mov_b32_e32 v181, v119
	v_mov_b32_e32 v182, v132
	v_mov_b32_e32 v183, v133
	v_mov_b32_e32 v184, v116
	v_mov_b32_e32 v185, v117
	v_mov_b32_e32 v186, v130
	v_mov_b32_e32 v187, v131
	v_mov_b32_e32 v188, v114
	v_mov_b32_e32 v189, v115
	ds_write2_b64 v236, v[170:171], v[172:173] offset0:8 offset1:9
	ds_write2_b64 v236, v[174:175], v[176:177] offset0:10 offset1:11
	ds_write2_b64 v236, v[178:179], v[180:181] offset0:12 offset1:13
	ds_write2_b64 v236, v[182:183], v[184:185] offset0:14 offset1:15
	ds_write2_b64 v236, v[186:187], v[188:189] offset0:16 offset1:17
	v_mov_b32_e32 v170, v128
	v_mov_b32_e32 v171, v129
	v_mov_b32_e32 v172, v96
	v_mov_b32_e32 v173, v97
	v_mov_b32_e32 v174, v112
	v_mov_b32_e32 v175, v113
	v_mov_b32_e32 v176, v94
	v_mov_b32_e32 v177, v95
	v_mov_b32_e32 v178, v110
	v_mov_b32_e32 v179, v111
	v_mov_b32_e32 v180, v92
	v_mov_b32_e32 v181, v93
	v_mov_b32_e32 v182, v108
	v_mov_b32_e32 v183, v109
	v_mov_b32_e32 v184, v90
	v_mov_b32_e32 v185, v91
	v_mov_b32_e32 v186, v106
	v_mov_b32_e32 v187, v107
	v_mov_b32_e32 v188, v88
	v_mov_b32_e32 v189, v89
	ds_write2_b64 v236, v[170:171], v[172:173] offset0:18 offset1:19
	ds_write2_b64 v236, v[174:175], v[176:177] offset0:20 offset1:21
	ds_write2_b64 v236, v[178:179], v[180:181] offset0:22 offset1:23
	ds_write2_b64 v236, v[182:183], v[184:185] offset0:24 offset1:25
	;; [unrolled: 25-line block ×3, first 2 shown]
	ds_write2_b64 v236, v[186:187], v[188:189] offset0:36 offset1:37
	ds_write_b64 v236, v[150:151] offset:304
	ds_read_b64 v[170:171], v1
	s_waitcnt lgkmcnt(0)
	v_cmp_neq_f64_e32 vcc_lo, 0, v[170:171]
	s_and_b32 exec_lo, exec_lo, vcc_lo
	s_cbranch_execz .LBB77_29
; %bb.28:
	v_div_scale_f64 v[172:173], null, v[170:171], v[170:171], 1.0
	v_rcp_f64_e32 v[174:175], v[172:173]
	v_fma_f64 v[176:177], -v[172:173], v[174:175], 1.0
	v_fma_f64 v[174:175], v[174:175], v[176:177], v[174:175]
	v_fma_f64 v[176:177], -v[172:173], v[174:175], 1.0
	v_fma_f64 v[174:175], v[174:175], v[176:177], v[174:175]
	v_div_scale_f64 v[176:177], vcc_lo, 1.0, v[170:171], 1.0
	v_mul_f64 v[178:179], v[176:177], v[174:175]
	v_fma_f64 v[172:173], -v[172:173], v[178:179], v[176:177]
	v_div_fmas_f64 v[172:173], v[172:173], v[174:175], v[178:179]
	v_div_fixup_f64 v[170:171], v[172:173], v[170:171], 1.0
	ds_write_b64 v1, v[170:171]
.LBB77_29:
	s_or_b32 exec_lo, exec_lo, s1
	s_waitcnt lgkmcnt(0)
	s_barrier
	buffer_gl0_inv
	ds_read_b64 v[170:171], v1
	s_mov_b32 s1, exec_lo
	v_cmpx_lt_u32_e32 5, v0
	s_cbranch_execz .LBB77_31
; %bb.30:
	s_waitcnt lgkmcnt(0)
	v_mul_f64 v[126:127], v[170:171], v[126:127]
	ds_read2_b64 v[172:175], v236 offset0:6 offset1:7
	ds_read2_b64 v[176:179], v236 offset0:8 offset1:9
	;; [unrolled: 1-line block ×13, first 2 shown]
	s_waitcnt lgkmcnt(12)
	v_fma_f64 v[140:141], -v[126:127], v[172:173], v[140:141]
	v_fma_f64 v[124:125], -v[126:127], v[174:175], v[124:125]
	s_waitcnt lgkmcnt(11)
	v_fma_f64 v[138:139], -v[126:127], v[176:177], v[138:139]
	v_fma_f64 v[122:123], -v[126:127], v[178:179], v[122:123]
	;; [unrolled: 3-line block ×3, first 2 shown]
	s_waitcnt lgkmcnt(9)
	v_fma_f64 v[134:135], -v[126:127], v[184:185], v[134:135]
	ds_read2_b64 v[172:175], v236 offset0:32 offset1:33
	ds_read2_b64 v[176:179], v236 offset0:34 offset1:35
	;; [unrolled: 1-line block ×3, first 2 shown]
	ds_read_b64 v[184:185], v236 offset:304
	v_fma_f64 v[118:119], -v[126:127], v[186:187], v[118:119]
	s_waitcnt lgkmcnt(12)
	v_fma_f64 v[132:133], -v[126:127], v[188:189], v[132:133]
	v_fma_f64 v[116:117], -v[126:127], v[190:191], v[116:117]
	s_waitcnt lgkmcnt(11)
	v_fma_f64 v[130:131], -v[126:127], v[192:193], v[130:131]
	;; [unrolled: 3-line block ×13, first 2 shown]
.LBB77_31:
	s_or_b32 exec_lo, exec_lo, s1
	s_mov_b32 s1, exec_lo
	s_waitcnt lgkmcnt(0)
	s_barrier
	buffer_gl0_inv
	v_cmpx_eq_u32_e32 6, v0
	s_cbranch_execz .LBB77_34
; %bb.32:
	ds_write_b64 v1, v[140:141]
	ds_write2_b64 v236, v[124:125], v[138:139] offset0:7 offset1:8
	ds_write2_b64 v236, v[122:123], v[136:137] offset0:9 offset1:10
	;; [unrolled: 1-line block ×16, first 2 shown]
	ds_read_b64 v[172:173], v1
	s_waitcnt lgkmcnt(0)
	v_cmp_neq_f64_e32 vcc_lo, 0, v[172:173]
	s_and_b32 exec_lo, exec_lo, vcc_lo
	s_cbranch_execz .LBB77_34
; %bb.33:
	v_div_scale_f64 v[174:175], null, v[172:173], v[172:173], 1.0
	v_rcp_f64_e32 v[176:177], v[174:175]
	v_fma_f64 v[178:179], -v[174:175], v[176:177], 1.0
	v_fma_f64 v[176:177], v[176:177], v[178:179], v[176:177]
	v_fma_f64 v[178:179], -v[174:175], v[176:177], 1.0
	v_fma_f64 v[176:177], v[176:177], v[178:179], v[176:177]
	v_div_scale_f64 v[178:179], vcc_lo, 1.0, v[172:173], 1.0
	v_mul_f64 v[180:181], v[178:179], v[176:177]
	v_fma_f64 v[174:175], -v[174:175], v[180:181], v[178:179]
	v_div_fmas_f64 v[174:175], v[174:175], v[176:177], v[180:181]
	v_div_fixup_f64 v[172:173], v[174:175], v[172:173], 1.0
	ds_write_b64 v1, v[172:173]
.LBB77_34:
	s_or_b32 exec_lo, exec_lo, s1
	s_waitcnt lgkmcnt(0)
	s_barrier
	buffer_gl0_inv
	ds_read_b64 v[172:173], v1
	s_mov_b32 s1, exec_lo
	v_cmpx_lt_u32_e32 6, v0
	s_cbranch_execz .LBB77_36
; %bb.35:
	s_waitcnt lgkmcnt(0)
	v_mul_f64 v[140:141], v[172:173], v[140:141]
	ds_read2_b64 v[174:177], v236 offset0:7 offset1:8
	ds_read2_b64 v[178:181], v236 offset0:9 offset1:10
	;; [unrolled: 1-line block ×13, first 2 shown]
	s_waitcnt lgkmcnt(12)
	v_fma_f64 v[124:125], -v[140:141], v[174:175], v[124:125]
	v_fma_f64 v[138:139], -v[140:141], v[176:177], v[138:139]
	s_waitcnt lgkmcnt(11)
	v_fma_f64 v[122:123], -v[140:141], v[178:179], v[122:123]
	v_fma_f64 v[136:137], -v[140:141], v[180:181], v[136:137]
	;; [unrolled: 3-line block ×3, first 2 shown]
	ds_read2_b64 v[174:177], v236 offset0:33 offset1:34
	ds_read2_b64 v[178:181], v236 offset0:35 offset1:36
	;; [unrolled: 1-line block ×3, first 2 shown]
	s_waitcnt lgkmcnt(12)
	v_fma_f64 v[118:119], -v[140:141], v[186:187], v[118:119]
	v_fma_f64 v[132:133], -v[140:141], v[188:189], v[132:133]
	s_waitcnt lgkmcnt(11)
	v_fma_f64 v[116:117], -v[140:141], v[190:191], v[116:117]
	v_fma_f64 v[130:131], -v[140:141], v[192:193], v[130:131]
	;; [unrolled: 3-line block ×13, first 2 shown]
.LBB77_36:
	s_or_b32 exec_lo, exec_lo, s1
	s_mov_b32 s1, exec_lo
	s_waitcnt lgkmcnt(0)
	s_barrier
	buffer_gl0_inv
	v_cmpx_eq_u32_e32 7, v0
	s_cbranch_execz .LBB77_39
; %bb.37:
	v_mov_b32_e32 v174, v138
	v_mov_b32_e32 v175, v139
	;; [unrolled: 1-line block ×20, first 2 shown]
	ds_write_b64 v1, v[124:125]
	ds_write2_b64 v236, v[174:175], v[176:177] offset0:8 offset1:9
	ds_write2_b64 v236, v[178:179], v[180:181] offset0:10 offset1:11
	;; [unrolled: 1-line block ×5, first 2 shown]
	v_mov_b32_e32 v174, v128
	v_mov_b32_e32 v175, v129
	v_mov_b32_e32 v176, v96
	v_mov_b32_e32 v177, v97
	v_mov_b32_e32 v178, v112
	v_mov_b32_e32 v179, v113
	v_mov_b32_e32 v180, v94
	v_mov_b32_e32 v181, v95
	v_mov_b32_e32 v182, v110
	v_mov_b32_e32 v183, v111
	v_mov_b32_e32 v184, v92
	v_mov_b32_e32 v185, v93
	v_mov_b32_e32 v186, v108
	v_mov_b32_e32 v187, v109
	v_mov_b32_e32 v188, v90
	v_mov_b32_e32 v189, v91
	v_mov_b32_e32 v190, v106
	v_mov_b32_e32 v191, v107
	v_mov_b32_e32 v192, v88
	v_mov_b32_e32 v193, v89
	ds_write2_b64 v236, v[174:175], v[176:177] offset0:18 offset1:19
	ds_write2_b64 v236, v[178:179], v[180:181] offset0:20 offset1:21
	;; [unrolled: 1-line block ×5, first 2 shown]
	v_mov_b32_e32 v174, v104
	v_mov_b32_e32 v175, v105
	v_mov_b32_e32 v176, v86
	v_mov_b32_e32 v177, v87
	v_mov_b32_e32 v178, v102
	v_mov_b32_e32 v179, v103
	v_mov_b32_e32 v180, v84
	v_mov_b32_e32 v181, v85
	v_mov_b32_e32 v182, v100
	v_mov_b32_e32 v183, v101
	v_mov_b32_e32 v184, v82
	v_mov_b32_e32 v185, v83
	v_mov_b32_e32 v186, v98
	v_mov_b32_e32 v187, v99
	v_mov_b32_e32 v188, v80
	v_mov_b32_e32 v189, v81
	v_mov_b32_e32 v190, v148
	v_mov_b32_e32 v191, v149
	v_mov_b32_e32 v192, v146
	v_mov_b32_e32 v193, v147
	ds_write2_b64 v236, v[174:175], v[176:177] offset0:28 offset1:29
	ds_write2_b64 v236, v[178:179], v[180:181] offset0:30 offset1:31
	;; [unrolled: 1-line block ×5, first 2 shown]
	ds_write_b64 v236, v[150:151] offset:304
	ds_read_b64 v[174:175], v1
	s_waitcnt lgkmcnt(0)
	v_cmp_neq_f64_e32 vcc_lo, 0, v[174:175]
	s_and_b32 exec_lo, exec_lo, vcc_lo
	s_cbranch_execz .LBB77_39
; %bb.38:
	v_div_scale_f64 v[176:177], null, v[174:175], v[174:175], 1.0
	v_rcp_f64_e32 v[178:179], v[176:177]
	v_fma_f64 v[180:181], -v[176:177], v[178:179], 1.0
	v_fma_f64 v[178:179], v[178:179], v[180:181], v[178:179]
	v_fma_f64 v[180:181], -v[176:177], v[178:179], 1.0
	v_fma_f64 v[178:179], v[178:179], v[180:181], v[178:179]
	v_div_scale_f64 v[180:181], vcc_lo, 1.0, v[174:175], 1.0
	v_mul_f64 v[182:183], v[180:181], v[178:179]
	v_fma_f64 v[176:177], -v[176:177], v[182:183], v[180:181]
	v_div_fmas_f64 v[176:177], v[176:177], v[178:179], v[182:183]
	v_div_fixup_f64 v[174:175], v[176:177], v[174:175], 1.0
	ds_write_b64 v1, v[174:175]
.LBB77_39:
	s_or_b32 exec_lo, exec_lo, s1
	s_waitcnt lgkmcnt(0)
	s_barrier
	buffer_gl0_inv
	ds_read_b64 v[174:175], v1
	s_mov_b32 s1, exec_lo
	v_cmpx_lt_u32_e32 7, v0
	s_cbranch_execz .LBB77_41
; %bb.40:
	s_waitcnt lgkmcnt(0)
	v_mul_f64 v[124:125], v[174:175], v[124:125]
	ds_read2_b64 v[176:179], v236 offset0:8 offset1:9
	ds_read2_b64 v[180:183], v236 offset0:10 offset1:11
	;; [unrolled: 1-line block ×13, first 2 shown]
	s_waitcnt lgkmcnt(12)
	v_fma_f64 v[138:139], -v[124:125], v[176:177], v[138:139]
	v_fma_f64 v[122:123], -v[124:125], v[178:179], v[122:123]
	s_waitcnt lgkmcnt(11)
	v_fma_f64 v[136:137], -v[124:125], v[180:181], v[136:137]
	v_fma_f64 v[120:121], -v[124:125], v[182:183], v[120:121]
	s_waitcnt lgkmcnt(10)
	v_fma_f64 v[134:135], -v[124:125], v[184:185], v[134:135]
	ds_read2_b64 v[176:179], v236 offset0:34 offset1:35
	ds_read2_b64 v[180:183], v236 offset0:36 offset1:37
	ds_read_b64 v[184:185], v236 offset:304
	v_fma_f64 v[118:119], -v[124:125], v[186:187], v[118:119]
	s_waitcnt lgkmcnt(12)
	v_fma_f64 v[132:133], -v[124:125], v[188:189], v[132:133]
	v_fma_f64 v[116:117], -v[124:125], v[190:191], v[116:117]
	s_waitcnt lgkmcnt(11)
	v_fma_f64 v[130:131], -v[124:125], v[192:193], v[130:131]
	;; [unrolled: 3-line block ×13, first 2 shown]
.LBB77_41:
	s_or_b32 exec_lo, exec_lo, s1
	s_mov_b32 s1, exec_lo
	s_waitcnt lgkmcnt(0)
	s_barrier
	buffer_gl0_inv
	v_cmpx_eq_u32_e32 8, v0
	s_cbranch_execz .LBB77_44
; %bb.42:
	ds_write_b64 v1, v[138:139]
	ds_write2_b64 v236, v[122:123], v[136:137] offset0:9 offset1:10
	ds_write2_b64 v236, v[120:121], v[134:135] offset0:11 offset1:12
	;; [unrolled: 1-line block ×15, first 2 shown]
	ds_read_b64 v[176:177], v1
	s_waitcnt lgkmcnt(0)
	v_cmp_neq_f64_e32 vcc_lo, 0, v[176:177]
	s_and_b32 exec_lo, exec_lo, vcc_lo
	s_cbranch_execz .LBB77_44
; %bb.43:
	v_div_scale_f64 v[178:179], null, v[176:177], v[176:177], 1.0
	v_rcp_f64_e32 v[180:181], v[178:179]
	v_fma_f64 v[182:183], -v[178:179], v[180:181], 1.0
	v_fma_f64 v[180:181], v[180:181], v[182:183], v[180:181]
	v_fma_f64 v[182:183], -v[178:179], v[180:181], 1.0
	v_fma_f64 v[180:181], v[180:181], v[182:183], v[180:181]
	v_div_scale_f64 v[182:183], vcc_lo, 1.0, v[176:177], 1.0
	v_mul_f64 v[184:185], v[182:183], v[180:181]
	v_fma_f64 v[178:179], -v[178:179], v[184:185], v[182:183]
	v_div_fmas_f64 v[178:179], v[178:179], v[180:181], v[184:185]
	v_div_fixup_f64 v[176:177], v[178:179], v[176:177], 1.0
	ds_write_b64 v1, v[176:177]
.LBB77_44:
	s_or_b32 exec_lo, exec_lo, s1
	s_waitcnt lgkmcnt(0)
	s_barrier
	buffer_gl0_inv
	ds_read_b64 v[176:177], v1
	s_mov_b32 s1, exec_lo
	v_cmpx_lt_u32_e32 8, v0
	s_cbranch_execz .LBB77_46
; %bb.45:
	s_waitcnt lgkmcnt(0)
	v_mul_f64 v[138:139], v[176:177], v[138:139]
	ds_read2_b64 v[178:181], v236 offset0:9 offset1:10
	ds_read2_b64 v[182:185], v236 offset0:11 offset1:12
	;; [unrolled: 1-line block ×14, first 2 shown]
	s_waitcnt lgkmcnt(13)
	v_fma_f64 v[122:123], -v[138:139], v[178:179], v[122:123]
	v_fma_f64 v[136:137], -v[138:139], v[180:181], v[136:137]
	ds_read2_b64 v[178:181], v236 offset0:37 offset1:38
	s_waitcnt lgkmcnt(13)
	v_fma_f64 v[120:121], -v[138:139], v[182:183], v[120:121]
	v_fma_f64 v[134:135], -v[138:139], v[184:185], v[134:135]
	s_waitcnt lgkmcnt(12)
	v_fma_f64 v[118:119], -v[138:139], v[186:187], v[118:119]
	v_fma_f64 v[132:133], -v[138:139], v[188:189], v[132:133]
	s_waitcnt lgkmcnt(11)
	v_fma_f64 v[116:117], -v[138:139], v[190:191], v[116:117]
	v_fma_f64 v[130:131], -v[138:139], v[192:193], v[130:131]
	s_waitcnt lgkmcnt(10)
	v_fma_f64 v[114:115], -v[138:139], v[194:195], v[114:115]
	v_fma_f64 v[128:129], -v[138:139], v[196:197], v[128:129]
	s_waitcnt lgkmcnt(9)
	v_fma_f64 v[96:97], -v[138:139], v[198:199], v[96:97]
	v_fma_f64 v[112:113], -v[138:139], v[200:201], v[112:113]
	s_waitcnt lgkmcnt(8)
	v_fma_f64 v[94:95], -v[138:139], v[202:203], v[94:95]
	v_fma_f64 v[110:111], -v[138:139], v[204:205], v[110:111]
	s_waitcnt lgkmcnt(7)
	v_fma_f64 v[92:93], -v[138:139], v[206:207], v[92:93]
	v_fma_f64 v[108:109], -v[138:139], v[208:209], v[108:109]
	s_waitcnt lgkmcnt(6)
	v_fma_f64 v[90:91], -v[138:139], v[210:211], v[90:91]
	v_fma_f64 v[106:107], -v[138:139], v[212:213], v[106:107]
	s_waitcnt lgkmcnt(5)
	v_fma_f64 v[88:89], -v[138:139], v[214:215], v[88:89]
	v_fma_f64 v[104:105], -v[138:139], v[216:217], v[104:105]
	s_waitcnt lgkmcnt(4)
	v_fma_f64 v[86:87], -v[138:139], v[218:219], v[86:87]
	v_fma_f64 v[102:103], -v[138:139], v[220:221], v[102:103]
	s_waitcnt lgkmcnt(3)
	v_fma_f64 v[84:85], -v[138:139], v[222:223], v[84:85]
	v_fma_f64 v[100:101], -v[138:139], v[224:225], v[100:101]
	s_waitcnt lgkmcnt(2)
	v_fma_f64 v[82:83], -v[138:139], v[226:227], v[82:83]
	v_fma_f64 v[98:99], -v[138:139], v[228:229], v[98:99]
	s_waitcnt lgkmcnt(1)
	v_fma_f64 v[80:81], -v[138:139], v[230:231], v[80:81]
	v_fma_f64 v[148:149], -v[138:139], v[232:233], v[148:149]
	s_waitcnt lgkmcnt(0)
	v_fma_f64 v[146:147], -v[138:139], v[178:179], v[146:147]
	v_fma_f64 v[150:151], -v[138:139], v[180:181], v[150:151]
.LBB77_46:
	s_or_b32 exec_lo, exec_lo, s1
	s_mov_b32 s1, exec_lo
	s_waitcnt lgkmcnt(0)
	s_barrier
	buffer_gl0_inv
	v_cmpx_eq_u32_e32 9, v0
	s_cbranch_execz .LBB77_49
; %bb.47:
	v_mov_b32_e32 v178, v136
	v_mov_b32_e32 v179, v137
	;; [unrolled: 1-line block ×16, first 2 shown]
	ds_write_b64 v1, v[122:123]
	ds_write2_b64 v236, v[178:179], v[180:181] offset0:10 offset1:11
	ds_write2_b64 v236, v[182:183], v[184:185] offset0:12 offset1:13
	;; [unrolled: 1-line block ×4, first 2 shown]
	v_mov_b32_e32 v178, v128
	v_mov_b32_e32 v179, v129
	;; [unrolled: 1-line block ×20, first 2 shown]
	ds_write2_b64 v236, v[178:179], v[180:181] offset0:18 offset1:19
	ds_write2_b64 v236, v[182:183], v[184:185] offset0:20 offset1:21
	;; [unrolled: 1-line block ×5, first 2 shown]
	v_mov_b32_e32 v178, v104
	v_mov_b32_e32 v179, v105
	;; [unrolled: 1-line block ×20, first 2 shown]
	ds_write2_b64 v236, v[178:179], v[180:181] offset0:28 offset1:29
	ds_write2_b64 v236, v[182:183], v[184:185] offset0:30 offset1:31
	;; [unrolled: 1-line block ×5, first 2 shown]
	ds_write_b64 v236, v[150:151] offset:304
	ds_read_b64 v[178:179], v1
	s_waitcnt lgkmcnt(0)
	v_cmp_neq_f64_e32 vcc_lo, 0, v[178:179]
	s_and_b32 exec_lo, exec_lo, vcc_lo
	s_cbranch_execz .LBB77_49
; %bb.48:
	v_div_scale_f64 v[180:181], null, v[178:179], v[178:179], 1.0
	v_rcp_f64_e32 v[182:183], v[180:181]
	v_fma_f64 v[184:185], -v[180:181], v[182:183], 1.0
	v_fma_f64 v[182:183], v[182:183], v[184:185], v[182:183]
	v_fma_f64 v[184:185], -v[180:181], v[182:183], 1.0
	v_fma_f64 v[182:183], v[182:183], v[184:185], v[182:183]
	v_div_scale_f64 v[184:185], vcc_lo, 1.0, v[178:179], 1.0
	v_mul_f64 v[186:187], v[184:185], v[182:183]
	v_fma_f64 v[180:181], -v[180:181], v[186:187], v[184:185]
	v_div_fmas_f64 v[180:181], v[180:181], v[182:183], v[186:187]
	v_div_fixup_f64 v[178:179], v[180:181], v[178:179], 1.0
	ds_write_b64 v1, v[178:179]
.LBB77_49:
	s_or_b32 exec_lo, exec_lo, s1
	s_waitcnt lgkmcnt(0)
	s_barrier
	buffer_gl0_inv
	ds_read_b64 v[178:179], v1
	s_mov_b32 s1, exec_lo
	v_cmpx_lt_u32_e32 9, v0
	s_cbranch_execz .LBB77_51
; %bb.50:
	s_waitcnt lgkmcnt(0)
	v_mul_f64 v[122:123], v[178:179], v[122:123]
	ds_read2_b64 v[180:183], v236 offset0:10 offset1:11
	ds_read2_b64 v[184:187], v236 offset0:12 offset1:13
	;; [unrolled: 1-line block ×14, first 2 shown]
	s_waitcnt lgkmcnt(13)
	v_fma_f64 v[136:137], -v[122:123], v[180:181], v[136:137]
	ds_read_b64 v[180:181], v236 offset:304
	v_fma_f64 v[120:121], -v[122:123], v[182:183], v[120:121]
	s_waitcnt lgkmcnt(13)
	v_fma_f64 v[134:135], -v[122:123], v[184:185], v[134:135]
	v_fma_f64 v[118:119], -v[122:123], v[186:187], v[118:119]
	s_waitcnt lgkmcnt(12)
	v_fma_f64 v[132:133], -v[122:123], v[188:189], v[132:133]
	;; [unrolled: 3-line block ×14, first 2 shown]
.LBB77_51:
	s_or_b32 exec_lo, exec_lo, s1
	s_mov_b32 s1, exec_lo
	s_waitcnt lgkmcnt(0)
	s_barrier
	buffer_gl0_inv
	v_cmpx_eq_u32_e32 10, v0
	s_cbranch_execz .LBB77_54
; %bb.52:
	ds_write_b64 v1, v[136:137]
	ds_write2_b64 v236, v[120:121], v[134:135] offset0:11 offset1:12
	ds_write2_b64 v236, v[118:119], v[132:133] offset0:13 offset1:14
	;; [unrolled: 1-line block ×14, first 2 shown]
	ds_read_b64 v[180:181], v1
	s_waitcnt lgkmcnt(0)
	v_cmp_neq_f64_e32 vcc_lo, 0, v[180:181]
	s_and_b32 exec_lo, exec_lo, vcc_lo
	s_cbranch_execz .LBB77_54
; %bb.53:
	v_div_scale_f64 v[182:183], null, v[180:181], v[180:181], 1.0
	v_rcp_f64_e32 v[184:185], v[182:183]
	v_fma_f64 v[186:187], -v[182:183], v[184:185], 1.0
	v_fma_f64 v[184:185], v[184:185], v[186:187], v[184:185]
	v_fma_f64 v[186:187], -v[182:183], v[184:185], 1.0
	v_fma_f64 v[184:185], v[184:185], v[186:187], v[184:185]
	v_div_scale_f64 v[186:187], vcc_lo, 1.0, v[180:181], 1.0
	v_mul_f64 v[188:189], v[186:187], v[184:185]
	v_fma_f64 v[182:183], -v[182:183], v[188:189], v[186:187]
	v_div_fmas_f64 v[182:183], v[182:183], v[184:185], v[188:189]
	v_div_fixup_f64 v[180:181], v[182:183], v[180:181], 1.0
	ds_write_b64 v1, v[180:181]
.LBB77_54:
	s_or_b32 exec_lo, exec_lo, s1
	s_waitcnt lgkmcnt(0)
	s_barrier
	buffer_gl0_inv
	ds_read_b64 v[180:181], v1
	s_mov_b32 s1, exec_lo
	v_cmpx_lt_u32_e32 10, v0
	s_cbranch_execz .LBB77_56
; %bb.55:
	s_waitcnt lgkmcnt(0)
	v_mul_f64 v[136:137], v[180:181], v[136:137]
	ds_read2_b64 v[182:185], v236 offset0:11 offset1:12
	ds_read2_b64 v[186:189], v236 offset0:13 offset1:14
	;; [unrolled: 1-line block ×14, first 2 shown]
	s_waitcnt lgkmcnt(13)
	v_fma_f64 v[120:121], -v[136:137], v[182:183], v[120:121]
	v_fma_f64 v[134:135], -v[136:137], v[184:185], v[134:135]
	s_waitcnt lgkmcnt(12)
	v_fma_f64 v[118:119], -v[136:137], v[186:187], v[118:119]
	v_fma_f64 v[132:133], -v[136:137], v[188:189], v[132:133]
	;; [unrolled: 3-line block ×14, first 2 shown]
.LBB77_56:
	s_or_b32 exec_lo, exec_lo, s1
	s_mov_b32 s1, exec_lo
	s_waitcnt lgkmcnt(0)
	s_barrier
	buffer_gl0_inv
	v_cmpx_eq_u32_e32 11, v0
	s_cbranch_execz .LBB77_59
; %bb.57:
	v_mov_b32_e32 v182, v134
	v_mov_b32_e32 v183, v135
	;; [unrolled: 1-line block ×12, first 2 shown]
	ds_write_b64 v1, v[120:121]
	ds_write2_b64 v236, v[182:183], v[184:185] offset0:12 offset1:13
	ds_write2_b64 v236, v[186:187], v[188:189] offset0:14 offset1:15
	;; [unrolled: 1-line block ×3, first 2 shown]
	v_mov_b32_e32 v182, v128
	v_mov_b32_e32 v183, v129
	;; [unrolled: 1-line block ×20, first 2 shown]
	ds_write2_b64 v236, v[182:183], v[184:185] offset0:18 offset1:19
	ds_write2_b64 v236, v[186:187], v[188:189] offset0:20 offset1:21
	;; [unrolled: 1-line block ×5, first 2 shown]
	v_mov_b32_e32 v182, v104
	v_mov_b32_e32 v183, v105
	;; [unrolled: 1-line block ×20, first 2 shown]
	ds_write2_b64 v236, v[182:183], v[184:185] offset0:28 offset1:29
	ds_write2_b64 v236, v[186:187], v[188:189] offset0:30 offset1:31
	;; [unrolled: 1-line block ×5, first 2 shown]
	ds_write_b64 v236, v[150:151] offset:304
	ds_read_b64 v[182:183], v1
	s_waitcnt lgkmcnt(0)
	v_cmp_neq_f64_e32 vcc_lo, 0, v[182:183]
	s_and_b32 exec_lo, exec_lo, vcc_lo
	s_cbranch_execz .LBB77_59
; %bb.58:
	v_div_scale_f64 v[184:185], null, v[182:183], v[182:183], 1.0
	v_rcp_f64_e32 v[186:187], v[184:185]
	v_fma_f64 v[188:189], -v[184:185], v[186:187], 1.0
	v_fma_f64 v[186:187], v[186:187], v[188:189], v[186:187]
	v_fma_f64 v[188:189], -v[184:185], v[186:187], 1.0
	v_fma_f64 v[186:187], v[186:187], v[188:189], v[186:187]
	v_div_scale_f64 v[188:189], vcc_lo, 1.0, v[182:183], 1.0
	v_mul_f64 v[190:191], v[188:189], v[186:187]
	v_fma_f64 v[184:185], -v[184:185], v[190:191], v[188:189]
	v_div_fmas_f64 v[184:185], v[184:185], v[186:187], v[190:191]
	v_div_fixup_f64 v[182:183], v[184:185], v[182:183], 1.0
	ds_write_b64 v1, v[182:183]
.LBB77_59:
	s_or_b32 exec_lo, exec_lo, s1
	s_waitcnt lgkmcnt(0)
	s_barrier
	buffer_gl0_inv
	ds_read_b64 v[182:183], v1
	s_mov_b32 s1, exec_lo
	v_cmpx_lt_u32_e32 11, v0
	s_cbranch_execz .LBB77_61
; %bb.60:
	s_waitcnt lgkmcnt(0)
	v_mul_f64 v[120:121], v[182:183], v[120:121]
	ds_read2_b64 v[184:187], v236 offset0:12 offset1:13
	ds_read2_b64 v[188:191], v236 offset0:14 offset1:15
	;; [unrolled: 1-line block ×13, first 2 shown]
	ds_read_b64 v[237:238], v236 offset:304
	s_waitcnt lgkmcnt(13)
	v_fma_f64 v[134:135], -v[120:121], v[184:185], v[134:135]
	v_fma_f64 v[118:119], -v[120:121], v[186:187], v[118:119]
	s_waitcnt lgkmcnt(12)
	v_fma_f64 v[132:133], -v[120:121], v[188:189], v[132:133]
	v_fma_f64 v[116:117], -v[120:121], v[190:191], v[116:117]
	;; [unrolled: 3-line block ×13, first 2 shown]
	s_waitcnt lgkmcnt(0)
	v_fma_f64 v[150:151], -v[120:121], v[237:238], v[150:151]
.LBB77_61:
	s_or_b32 exec_lo, exec_lo, s1
	s_mov_b32 s1, exec_lo
	s_waitcnt lgkmcnt(0)
	s_barrier
	buffer_gl0_inv
	v_cmpx_eq_u32_e32 12, v0
	s_cbranch_execz .LBB77_64
; %bb.62:
	ds_write_b64 v1, v[134:135]
	ds_write2_b64 v236, v[118:119], v[132:133] offset0:13 offset1:14
	ds_write2_b64 v236, v[116:117], v[130:131] offset0:15 offset1:16
	;; [unrolled: 1-line block ×13, first 2 shown]
	ds_read_b64 v[184:185], v1
	s_waitcnt lgkmcnt(0)
	v_cmp_neq_f64_e32 vcc_lo, 0, v[184:185]
	s_and_b32 exec_lo, exec_lo, vcc_lo
	s_cbranch_execz .LBB77_64
; %bb.63:
	v_div_scale_f64 v[186:187], null, v[184:185], v[184:185], 1.0
	v_rcp_f64_e32 v[188:189], v[186:187]
	v_fma_f64 v[190:191], -v[186:187], v[188:189], 1.0
	v_fma_f64 v[188:189], v[188:189], v[190:191], v[188:189]
	v_fma_f64 v[190:191], -v[186:187], v[188:189], 1.0
	v_fma_f64 v[188:189], v[188:189], v[190:191], v[188:189]
	v_div_scale_f64 v[190:191], vcc_lo, 1.0, v[184:185], 1.0
	v_mul_f64 v[192:193], v[190:191], v[188:189]
	v_fma_f64 v[186:187], -v[186:187], v[192:193], v[190:191]
	v_div_fmas_f64 v[186:187], v[186:187], v[188:189], v[192:193]
	v_div_fixup_f64 v[184:185], v[186:187], v[184:185], 1.0
	ds_write_b64 v1, v[184:185]
.LBB77_64:
	s_or_b32 exec_lo, exec_lo, s1
	s_waitcnt lgkmcnt(0)
	s_barrier
	buffer_gl0_inv
	ds_read_b64 v[184:185], v1
	s_mov_b32 s1, exec_lo
	v_cmpx_lt_u32_e32 12, v0
	s_cbranch_execz .LBB77_66
; %bb.65:
	s_waitcnt lgkmcnt(0)
	v_mul_f64 v[134:135], v[184:185], v[134:135]
	ds_read2_b64 v[186:189], v236 offset0:13 offset1:14
	ds_read2_b64 v[190:193], v236 offset0:15 offset1:16
	;; [unrolled: 1-line block ×13, first 2 shown]
	s_waitcnt lgkmcnt(12)
	v_fma_f64 v[118:119], -v[134:135], v[186:187], v[118:119]
	v_fma_f64 v[132:133], -v[134:135], v[188:189], v[132:133]
	s_waitcnt lgkmcnt(11)
	v_fma_f64 v[116:117], -v[134:135], v[190:191], v[116:117]
	v_fma_f64 v[130:131], -v[134:135], v[192:193], v[130:131]
	;; [unrolled: 3-line block ×13, first 2 shown]
.LBB77_66:
	s_or_b32 exec_lo, exec_lo, s1
	s_mov_b32 s1, exec_lo
	s_waitcnt lgkmcnt(0)
	s_barrier
	buffer_gl0_inv
	v_cmpx_eq_u32_e32 13, v0
	s_cbranch_execz .LBB77_69
; %bb.67:
	v_mov_b32_e32 v186, v132
	v_mov_b32_e32 v187, v133
	;; [unrolled: 1-line block ×8, first 2 shown]
	ds_write_b64 v1, v[118:119]
	ds_write2_b64 v236, v[186:187], v[188:189] offset0:14 offset1:15
	ds_write2_b64 v236, v[190:191], v[192:193] offset0:16 offset1:17
	v_mov_b32_e32 v186, v128
	v_mov_b32_e32 v187, v129
	;; [unrolled: 1-line block ×20, first 2 shown]
	ds_write2_b64 v236, v[186:187], v[188:189] offset0:18 offset1:19
	ds_write2_b64 v236, v[190:191], v[192:193] offset0:20 offset1:21
	;; [unrolled: 1-line block ×5, first 2 shown]
	v_mov_b32_e32 v186, v104
	v_mov_b32_e32 v187, v105
	;; [unrolled: 1-line block ×20, first 2 shown]
	ds_write2_b64 v236, v[186:187], v[188:189] offset0:28 offset1:29
	ds_write2_b64 v236, v[190:191], v[192:193] offset0:30 offset1:31
	;; [unrolled: 1-line block ×5, first 2 shown]
	ds_write_b64 v236, v[150:151] offset:304
	ds_read_b64 v[186:187], v1
	s_waitcnt lgkmcnt(0)
	v_cmp_neq_f64_e32 vcc_lo, 0, v[186:187]
	s_and_b32 exec_lo, exec_lo, vcc_lo
	s_cbranch_execz .LBB77_69
; %bb.68:
	v_div_scale_f64 v[188:189], null, v[186:187], v[186:187], 1.0
	v_rcp_f64_e32 v[190:191], v[188:189]
	v_fma_f64 v[192:193], -v[188:189], v[190:191], 1.0
	v_fma_f64 v[190:191], v[190:191], v[192:193], v[190:191]
	v_fma_f64 v[192:193], -v[188:189], v[190:191], 1.0
	v_fma_f64 v[190:191], v[190:191], v[192:193], v[190:191]
	v_div_scale_f64 v[192:193], vcc_lo, 1.0, v[186:187], 1.0
	v_mul_f64 v[194:195], v[192:193], v[190:191]
	v_fma_f64 v[188:189], -v[188:189], v[194:195], v[192:193]
	v_div_fmas_f64 v[188:189], v[188:189], v[190:191], v[194:195]
	v_div_fixup_f64 v[186:187], v[188:189], v[186:187], 1.0
	ds_write_b64 v1, v[186:187]
.LBB77_69:
	s_or_b32 exec_lo, exec_lo, s1
	s_waitcnt lgkmcnt(0)
	s_barrier
	buffer_gl0_inv
	ds_read_b64 v[186:187], v1
	s_mov_b32 s1, exec_lo
	v_cmpx_lt_u32_e32 13, v0
	s_cbranch_execz .LBB77_71
; %bb.70:
	s_waitcnt lgkmcnt(0)
	v_mul_f64 v[118:119], v[186:187], v[118:119]
	ds_read2_b64 v[188:191], v236 offset0:14 offset1:15
	ds_read2_b64 v[192:195], v236 offset0:16 offset1:17
	;; [unrolled: 1-line block ×12, first 2 shown]
	ds_read_b64 v[237:238], v236 offset:304
	s_waitcnt lgkmcnt(12)
	v_fma_f64 v[132:133], -v[118:119], v[188:189], v[132:133]
	v_fma_f64 v[116:117], -v[118:119], v[190:191], v[116:117]
	s_waitcnt lgkmcnt(11)
	v_fma_f64 v[130:131], -v[118:119], v[192:193], v[130:131]
	v_fma_f64 v[114:115], -v[118:119], v[194:195], v[114:115]
	;; [unrolled: 3-line block ×12, first 2 shown]
	s_waitcnt lgkmcnt(0)
	v_fma_f64 v[150:151], -v[118:119], v[237:238], v[150:151]
.LBB77_71:
	s_or_b32 exec_lo, exec_lo, s1
	s_mov_b32 s1, exec_lo
	s_waitcnt lgkmcnt(0)
	s_barrier
	buffer_gl0_inv
	v_cmpx_eq_u32_e32 14, v0
	s_cbranch_execz .LBB77_74
; %bb.72:
	ds_write_b64 v1, v[132:133]
	ds_write2_b64 v236, v[116:117], v[130:131] offset0:15 offset1:16
	ds_write2_b64 v236, v[114:115], v[128:129] offset0:17 offset1:18
	;; [unrolled: 1-line block ×12, first 2 shown]
	ds_read_b64 v[188:189], v1
	s_waitcnt lgkmcnt(0)
	v_cmp_neq_f64_e32 vcc_lo, 0, v[188:189]
	s_and_b32 exec_lo, exec_lo, vcc_lo
	s_cbranch_execz .LBB77_74
; %bb.73:
	v_div_scale_f64 v[190:191], null, v[188:189], v[188:189], 1.0
	v_rcp_f64_e32 v[192:193], v[190:191]
	v_fma_f64 v[194:195], -v[190:191], v[192:193], 1.0
	v_fma_f64 v[192:193], v[192:193], v[194:195], v[192:193]
	v_fma_f64 v[194:195], -v[190:191], v[192:193], 1.0
	v_fma_f64 v[192:193], v[192:193], v[194:195], v[192:193]
	v_div_scale_f64 v[194:195], vcc_lo, 1.0, v[188:189], 1.0
	v_mul_f64 v[196:197], v[194:195], v[192:193]
	v_fma_f64 v[190:191], -v[190:191], v[196:197], v[194:195]
	v_div_fmas_f64 v[190:191], v[190:191], v[192:193], v[196:197]
	v_div_fixup_f64 v[188:189], v[190:191], v[188:189], 1.0
	ds_write_b64 v1, v[188:189]
.LBB77_74:
	s_or_b32 exec_lo, exec_lo, s1
	s_waitcnt lgkmcnt(0)
	s_barrier
	buffer_gl0_inv
	ds_read_b64 v[188:189], v1
	s_mov_b32 s1, exec_lo
	v_cmpx_lt_u32_e32 14, v0
	s_cbranch_execz .LBB77_76
; %bb.75:
	s_waitcnt lgkmcnt(0)
	v_mul_f64 v[132:133], v[188:189], v[132:133]
	ds_read2_b64 v[190:193], v236 offset0:15 offset1:16
	ds_read2_b64 v[194:197], v236 offset0:17 offset1:18
	ds_read2_b64 v[198:201], v236 offset0:19 offset1:20
	ds_read2_b64 v[202:205], v236 offset0:21 offset1:22
	ds_read2_b64 v[206:209], v236 offset0:23 offset1:24
	ds_read2_b64 v[210:213], v236 offset0:25 offset1:26
	ds_read2_b64 v[214:217], v236 offset0:27 offset1:28
	ds_read2_b64 v[218:221], v236 offset0:29 offset1:30
	ds_read2_b64 v[222:225], v236 offset0:31 offset1:32
	ds_read2_b64 v[226:229], v236 offset0:33 offset1:34
	ds_read2_b64 v[230:233], v236 offset0:35 offset1:36
	ds_read2_b64 v[237:240], v236 offset0:37 offset1:38
	s_waitcnt lgkmcnt(11)
	v_fma_f64 v[116:117], -v[132:133], v[190:191], v[116:117]
	v_fma_f64 v[130:131], -v[132:133], v[192:193], v[130:131]
	s_waitcnt lgkmcnt(10)
	v_fma_f64 v[114:115], -v[132:133], v[194:195], v[114:115]
	v_fma_f64 v[128:129], -v[132:133], v[196:197], v[128:129]
	;; [unrolled: 3-line block ×12, first 2 shown]
.LBB77_76:
	s_or_b32 exec_lo, exec_lo, s1
	s_mov_b32 s1, exec_lo
	s_waitcnt lgkmcnt(0)
	s_barrier
	buffer_gl0_inv
	v_cmpx_eq_u32_e32 15, v0
	s_cbranch_execz .LBB77_79
; %bb.77:
	v_mov_b32_e32 v190, v130
	v_mov_b32_e32 v191, v131
	;; [unrolled: 1-line block ×4, first 2 shown]
	ds_write_b64 v1, v[116:117]
	ds_write2_b64 v236, v[190:191], v[192:193] offset0:16 offset1:17
	v_mov_b32_e32 v190, v128
	v_mov_b32_e32 v191, v129
	;; [unrolled: 1-line block ×20, first 2 shown]
	ds_write2_b64 v236, v[190:191], v[192:193] offset0:18 offset1:19
	ds_write2_b64 v236, v[194:195], v[196:197] offset0:20 offset1:21
	;; [unrolled: 1-line block ×5, first 2 shown]
	v_mov_b32_e32 v190, v104
	v_mov_b32_e32 v191, v105
	;; [unrolled: 1-line block ×20, first 2 shown]
	ds_write2_b64 v236, v[190:191], v[192:193] offset0:28 offset1:29
	ds_write2_b64 v236, v[194:195], v[196:197] offset0:30 offset1:31
	;; [unrolled: 1-line block ×5, first 2 shown]
	ds_write_b64 v236, v[150:151] offset:304
	ds_read_b64 v[190:191], v1
	s_waitcnt lgkmcnt(0)
	v_cmp_neq_f64_e32 vcc_lo, 0, v[190:191]
	s_and_b32 exec_lo, exec_lo, vcc_lo
	s_cbranch_execz .LBB77_79
; %bb.78:
	v_div_scale_f64 v[192:193], null, v[190:191], v[190:191], 1.0
	v_rcp_f64_e32 v[194:195], v[192:193]
	v_fma_f64 v[196:197], -v[192:193], v[194:195], 1.0
	v_fma_f64 v[194:195], v[194:195], v[196:197], v[194:195]
	v_fma_f64 v[196:197], -v[192:193], v[194:195], 1.0
	v_fma_f64 v[194:195], v[194:195], v[196:197], v[194:195]
	v_div_scale_f64 v[196:197], vcc_lo, 1.0, v[190:191], 1.0
	v_mul_f64 v[198:199], v[196:197], v[194:195]
	v_fma_f64 v[192:193], -v[192:193], v[198:199], v[196:197]
	v_div_fmas_f64 v[192:193], v[192:193], v[194:195], v[198:199]
	v_div_fixup_f64 v[190:191], v[192:193], v[190:191], 1.0
	ds_write_b64 v1, v[190:191]
.LBB77_79:
	s_or_b32 exec_lo, exec_lo, s1
	s_waitcnt lgkmcnt(0)
	s_barrier
	buffer_gl0_inv
	ds_read_b64 v[190:191], v1
	s_mov_b32 s1, exec_lo
	v_cmpx_lt_u32_e32 15, v0
	s_cbranch_execz .LBB77_81
; %bb.80:
	s_waitcnt lgkmcnt(0)
	v_mul_f64 v[116:117], v[190:191], v[116:117]
	ds_read2_b64 v[192:195], v236 offset0:16 offset1:17
	ds_read2_b64 v[196:199], v236 offset0:18 offset1:19
	;; [unrolled: 1-line block ×11, first 2 shown]
	ds_read_b64 v[237:238], v236 offset:304
	s_waitcnt lgkmcnt(11)
	v_fma_f64 v[130:131], -v[116:117], v[192:193], v[130:131]
	v_fma_f64 v[114:115], -v[116:117], v[194:195], v[114:115]
	s_waitcnt lgkmcnt(10)
	v_fma_f64 v[128:129], -v[116:117], v[196:197], v[128:129]
	v_fma_f64 v[96:97], -v[116:117], v[198:199], v[96:97]
	;; [unrolled: 3-line block ×11, first 2 shown]
	s_waitcnt lgkmcnt(0)
	v_fma_f64 v[150:151], -v[116:117], v[237:238], v[150:151]
.LBB77_81:
	s_or_b32 exec_lo, exec_lo, s1
	s_mov_b32 s1, exec_lo
	s_waitcnt lgkmcnt(0)
	s_barrier
	buffer_gl0_inv
	v_cmpx_eq_u32_e32 16, v0
	s_cbranch_execz .LBB77_84
; %bb.82:
	ds_write_b64 v1, v[130:131]
	ds_write2_b64 v236, v[114:115], v[128:129] offset0:17 offset1:18
	ds_write2_b64 v236, v[96:97], v[112:113] offset0:19 offset1:20
	;; [unrolled: 1-line block ×11, first 2 shown]
	ds_read_b64 v[192:193], v1
	s_waitcnt lgkmcnt(0)
	v_cmp_neq_f64_e32 vcc_lo, 0, v[192:193]
	s_and_b32 exec_lo, exec_lo, vcc_lo
	s_cbranch_execz .LBB77_84
; %bb.83:
	v_div_scale_f64 v[194:195], null, v[192:193], v[192:193], 1.0
	v_rcp_f64_e32 v[196:197], v[194:195]
	v_fma_f64 v[198:199], -v[194:195], v[196:197], 1.0
	v_fma_f64 v[196:197], v[196:197], v[198:199], v[196:197]
	v_fma_f64 v[198:199], -v[194:195], v[196:197], 1.0
	v_fma_f64 v[196:197], v[196:197], v[198:199], v[196:197]
	v_div_scale_f64 v[198:199], vcc_lo, 1.0, v[192:193], 1.0
	v_mul_f64 v[200:201], v[198:199], v[196:197]
	v_fma_f64 v[194:195], -v[194:195], v[200:201], v[198:199]
	v_div_fmas_f64 v[194:195], v[194:195], v[196:197], v[200:201]
	v_div_fixup_f64 v[192:193], v[194:195], v[192:193], 1.0
	ds_write_b64 v1, v[192:193]
.LBB77_84:
	s_or_b32 exec_lo, exec_lo, s1
	s_waitcnt lgkmcnt(0)
	s_barrier
	buffer_gl0_inv
	ds_read_b64 v[192:193], v1
	s_mov_b32 s1, exec_lo
	v_cmpx_lt_u32_e32 16, v0
	s_cbranch_execz .LBB77_86
; %bb.85:
	s_waitcnt lgkmcnt(0)
	v_mul_f64 v[130:131], v[192:193], v[130:131]
	ds_read2_b64 v[194:197], v236 offset0:17 offset1:18
	ds_read2_b64 v[198:201], v236 offset0:19 offset1:20
	;; [unrolled: 1-line block ×11, first 2 shown]
	s_waitcnt lgkmcnt(10)
	v_fma_f64 v[114:115], -v[130:131], v[194:195], v[114:115]
	v_fma_f64 v[128:129], -v[130:131], v[196:197], v[128:129]
	s_waitcnt lgkmcnt(9)
	v_fma_f64 v[96:97], -v[130:131], v[198:199], v[96:97]
	v_fma_f64 v[112:113], -v[130:131], v[200:201], v[112:113]
	s_waitcnt lgkmcnt(8)
	v_fma_f64 v[94:95], -v[130:131], v[202:203], v[94:95]
	v_fma_f64 v[110:111], -v[130:131], v[204:205], v[110:111]
	s_waitcnt lgkmcnt(7)
	v_fma_f64 v[92:93], -v[130:131], v[206:207], v[92:93]
	v_fma_f64 v[108:109], -v[130:131], v[208:209], v[108:109]
	s_waitcnt lgkmcnt(6)
	v_fma_f64 v[90:91], -v[130:131], v[210:211], v[90:91]
	v_fma_f64 v[106:107], -v[130:131], v[212:213], v[106:107]
	s_waitcnt lgkmcnt(5)
	v_fma_f64 v[88:89], -v[130:131], v[214:215], v[88:89]
	v_fma_f64 v[104:105], -v[130:131], v[216:217], v[104:105]
	s_waitcnt lgkmcnt(4)
	v_fma_f64 v[86:87], -v[130:131], v[218:219], v[86:87]
	v_fma_f64 v[102:103], -v[130:131], v[220:221], v[102:103]
	s_waitcnt lgkmcnt(3)
	v_fma_f64 v[84:85], -v[130:131], v[222:223], v[84:85]
	v_fma_f64 v[100:101], -v[130:131], v[224:225], v[100:101]
	s_waitcnt lgkmcnt(2)
	v_fma_f64 v[82:83], -v[130:131], v[226:227], v[82:83]
	v_fma_f64 v[98:99], -v[130:131], v[228:229], v[98:99]
	s_waitcnt lgkmcnt(1)
	v_fma_f64 v[80:81], -v[130:131], v[230:231], v[80:81]
	v_fma_f64 v[148:149], -v[130:131], v[232:233], v[148:149]
	s_waitcnt lgkmcnt(0)
	v_fma_f64 v[146:147], -v[130:131], v[237:238], v[146:147]
	v_fma_f64 v[150:151], -v[130:131], v[239:240], v[150:151]
.LBB77_86:
	s_or_b32 exec_lo, exec_lo, s1
	s_mov_b32 s1, exec_lo
	s_waitcnt lgkmcnt(0)
	s_barrier
	buffer_gl0_inv
	v_cmpx_eq_u32_e32 17, v0
	s_cbranch_execz .LBB77_89
; %bb.87:
	v_mov_b32_e32 v194, v128
	v_mov_b32_e32 v195, v129
	;; [unrolled: 1-line block ×20, first 2 shown]
	ds_write_b64 v1, v[114:115]
	ds_write2_b64 v236, v[194:195], v[196:197] offset0:18 offset1:19
	ds_write2_b64 v236, v[198:199], v[200:201] offset0:20 offset1:21
	;; [unrolled: 1-line block ×5, first 2 shown]
	v_mov_b32_e32 v194, v104
	v_mov_b32_e32 v195, v105
	;; [unrolled: 1-line block ×20, first 2 shown]
	ds_write2_b64 v236, v[194:195], v[196:197] offset0:28 offset1:29
	ds_write2_b64 v236, v[198:199], v[200:201] offset0:30 offset1:31
	;; [unrolled: 1-line block ×5, first 2 shown]
	ds_write_b64 v236, v[150:151] offset:304
	ds_read_b64 v[194:195], v1
	s_waitcnt lgkmcnt(0)
	v_cmp_neq_f64_e32 vcc_lo, 0, v[194:195]
	s_and_b32 exec_lo, exec_lo, vcc_lo
	s_cbranch_execz .LBB77_89
; %bb.88:
	v_div_scale_f64 v[196:197], null, v[194:195], v[194:195], 1.0
	v_rcp_f64_e32 v[198:199], v[196:197]
	v_fma_f64 v[200:201], -v[196:197], v[198:199], 1.0
	v_fma_f64 v[198:199], v[198:199], v[200:201], v[198:199]
	v_fma_f64 v[200:201], -v[196:197], v[198:199], 1.0
	v_fma_f64 v[198:199], v[198:199], v[200:201], v[198:199]
	v_div_scale_f64 v[200:201], vcc_lo, 1.0, v[194:195], 1.0
	v_mul_f64 v[202:203], v[200:201], v[198:199]
	v_fma_f64 v[196:197], -v[196:197], v[202:203], v[200:201]
	v_div_fmas_f64 v[196:197], v[196:197], v[198:199], v[202:203]
	v_div_fixup_f64 v[194:195], v[196:197], v[194:195], 1.0
	ds_write_b64 v1, v[194:195]
.LBB77_89:
	s_or_b32 exec_lo, exec_lo, s1
	s_waitcnt lgkmcnt(0)
	s_barrier
	buffer_gl0_inv
	ds_read_b64 v[194:195], v1
	s_mov_b32 s1, exec_lo
	v_cmpx_lt_u32_e32 17, v0
	s_cbranch_execz .LBB77_91
; %bb.90:
	s_waitcnt lgkmcnt(0)
	v_mul_f64 v[114:115], v[194:195], v[114:115]
	ds_read2_b64 v[196:199], v236 offset0:18 offset1:19
	ds_read2_b64 v[200:203], v236 offset0:20 offset1:21
	;; [unrolled: 1-line block ×10, first 2 shown]
	ds_read_b64 v[237:238], v236 offset:304
	s_waitcnt lgkmcnt(10)
	v_fma_f64 v[128:129], -v[114:115], v[196:197], v[128:129]
	v_fma_f64 v[96:97], -v[114:115], v[198:199], v[96:97]
	s_waitcnt lgkmcnt(9)
	v_fma_f64 v[112:113], -v[114:115], v[200:201], v[112:113]
	v_fma_f64 v[94:95], -v[114:115], v[202:203], v[94:95]
	;; [unrolled: 3-line block ×10, first 2 shown]
	s_waitcnt lgkmcnt(0)
	v_fma_f64 v[150:151], -v[114:115], v[237:238], v[150:151]
.LBB77_91:
	s_or_b32 exec_lo, exec_lo, s1
	s_mov_b32 s1, exec_lo
	s_waitcnt lgkmcnt(0)
	s_barrier
	buffer_gl0_inv
	v_cmpx_eq_u32_e32 18, v0
	s_cbranch_execz .LBB77_94
; %bb.92:
	ds_write_b64 v1, v[128:129]
	ds_write2_b64 v236, v[96:97], v[112:113] offset0:19 offset1:20
	ds_write2_b64 v236, v[94:95], v[110:111] offset0:21 offset1:22
	;; [unrolled: 1-line block ×10, first 2 shown]
	ds_read_b64 v[196:197], v1
	s_waitcnt lgkmcnt(0)
	v_cmp_neq_f64_e32 vcc_lo, 0, v[196:197]
	s_and_b32 exec_lo, exec_lo, vcc_lo
	s_cbranch_execz .LBB77_94
; %bb.93:
	v_div_scale_f64 v[198:199], null, v[196:197], v[196:197], 1.0
	v_rcp_f64_e32 v[200:201], v[198:199]
	v_fma_f64 v[202:203], -v[198:199], v[200:201], 1.0
	v_fma_f64 v[200:201], v[200:201], v[202:203], v[200:201]
	v_fma_f64 v[202:203], -v[198:199], v[200:201], 1.0
	v_fma_f64 v[200:201], v[200:201], v[202:203], v[200:201]
	v_div_scale_f64 v[202:203], vcc_lo, 1.0, v[196:197], 1.0
	v_mul_f64 v[204:205], v[202:203], v[200:201]
	v_fma_f64 v[198:199], -v[198:199], v[204:205], v[202:203]
	v_div_fmas_f64 v[198:199], v[198:199], v[200:201], v[204:205]
	v_div_fixup_f64 v[196:197], v[198:199], v[196:197], 1.0
	ds_write_b64 v1, v[196:197]
.LBB77_94:
	s_or_b32 exec_lo, exec_lo, s1
	s_waitcnt lgkmcnt(0)
	s_barrier
	buffer_gl0_inv
	ds_read_b64 v[196:197], v1
	s_mov_b32 s1, exec_lo
	v_cmpx_lt_u32_e32 18, v0
	s_cbranch_execz .LBB77_96
; %bb.95:
	s_waitcnt lgkmcnt(0)
	v_mul_f64 v[128:129], v[196:197], v[128:129]
	ds_read2_b64 v[198:201], v236 offset0:19 offset1:20
	ds_read2_b64 v[202:205], v236 offset0:21 offset1:22
	;; [unrolled: 1-line block ×10, first 2 shown]
	s_waitcnt lgkmcnt(9)
	v_fma_f64 v[96:97], -v[128:129], v[198:199], v[96:97]
	v_fma_f64 v[112:113], -v[128:129], v[200:201], v[112:113]
	s_waitcnt lgkmcnt(8)
	v_fma_f64 v[94:95], -v[128:129], v[202:203], v[94:95]
	v_fma_f64 v[110:111], -v[128:129], v[204:205], v[110:111]
	;; [unrolled: 3-line block ×10, first 2 shown]
.LBB77_96:
	s_or_b32 exec_lo, exec_lo, s1
	s_mov_b32 s1, exec_lo
	s_waitcnt lgkmcnt(0)
	s_barrier
	buffer_gl0_inv
	v_cmpx_eq_u32_e32 19, v0
	s_cbranch_execz .LBB77_99
; %bb.97:
	v_mov_b32_e32 v198, v112
	v_mov_b32_e32 v199, v113
	;; [unrolled: 1-line block ×16, first 2 shown]
	ds_write_b64 v1, v[96:97]
	ds_write2_b64 v236, v[198:199], v[200:201] offset0:20 offset1:21
	ds_write2_b64 v236, v[202:203], v[204:205] offset0:22 offset1:23
	;; [unrolled: 1-line block ×4, first 2 shown]
	v_mov_b32_e32 v198, v104
	v_mov_b32_e32 v199, v105
	;; [unrolled: 1-line block ×20, first 2 shown]
	ds_write2_b64 v236, v[198:199], v[200:201] offset0:28 offset1:29
	ds_write2_b64 v236, v[202:203], v[204:205] offset0:30 offset1:31
	;; [unrolled: 1-line block ×5, first 2 shown]
	ds_write_b64 v236, v[150:151] offset:304
	ds_read_b64 v[198:199], v1
	s_waitcnt lgkmcnt(0)
	v_cmp_neq_f64_e32 vcc_lo, 0, v[198:199]
	s_and_b32 exec_lo, exec_lo, vcc_lo
	s_cbranch_execz .LBB77_99
; %bb.98:
	v_div_scale_f64 v[200:201], null, v[198:199], v[198:199], 1.0
	v_rcp_f64_e32 v[202:203], v[200:201]
	v_fma_f64 v[204:205], -v[200:201], v[202:203], 1.0
	v_fma_f64 v[202:203], v[202:203], v[204:205], v[202:203]
	v_fma_f64 v[204:205], -v[200:201], v[202:203], 1.0
	v_fma_f64 v[202:203], v[202:203], v[204:205], v[202:203]
	v_div_scale_f64 v[204:205], vcc_lo, 1.0, v[198:199], 1.0
	v_mul_f64 v[206:207], v[204:205], v[202:203]
	v_fma_f64 v[200:201], -v[200:201], v[206:207], v[204:205]
	v_div_fmas_f64 v[200:201], v[200:201], v[202:203], v[206:207]
	v_div_fixup_f64 v[198:199], v[200:201], v[198:199], 1.0
	ds_write_b64 v1, v[198:199]
.LBB77_99:
	s_or_b32 exec_lo, exec_lo, s1
	s_waitcnt lgkmcnt(0)
	s_barrier
	buffer_gl0_inv
	ds_read_b64 v[198:199], v1
	s_mov_b32 s1, exec_lo
	v_cmpx_lt_u32_e32 19, v0
	s_cbranch_execz .LBB77_101
; %bb.100:
	s_waitcnt lgkmcnt(0)
	v_mul_f64 v[96:97], v[198:199], v[96:97]
	ds_read2_b64 v[200:203], v236 offset0:20 offset1:21
	ds_read2_b64 v[204:207], v236 offset0:22 offset1:23
	;; [unrolled: 1-line block ×9, first 2 shown]
	ds_read_b64 v[237:238], v236 offset:304
	s_waitcnt lgkmcnt(9)
	v_fma_f64 v[112:113], -v[96:97], v[200:201], v[112:113]
	v_fma_f64 v[94:95], -v[96:97], v[202:203], v[94:95]
	s_waitcnt lgkmcnt(8)
	v_fma_f64 v[110:111], -v[96:97], v[204:205], v[110:111]
	v_fma_f64 v[92:93], -v[96:97], v[206:207], v[92:93]
	;; [unrolled: 3-line block ×9, first 2 shown]
	s_waitcnt lgkmcnt(0)
	v_fma_f64 v[150:151], -v[96:97], v[237:238], v[150:151]
.LBB77_101:
	s_or_b32 exec_lo, exec_lo, s1
	s_mov_b32 s1, exec_lo
	s_waitcnt lgkmcnt(0)
	s_barrier
	buffer_gl0_inv
	v_cmpx_eq_u32_e32 20, v0
	s_cbranch_execz .LBB77_104
; %bb.102:
	ds_write_b64 v1, v[112:113]
	ds_write2_b64 v236, v[94:95], v[110:111] offset0:21 offset1:22
	ds_write2_b64 v236, v[92:93], v[108:109] offset0:23 offset1:24
	;; [unrolled: 1-line block ×9, first 2 shown]
	ds_read_b64 v[200:201], v1
	s_waitcnt lgkmcnt(0)
	v_cmp_neq_f64_e32 vcc_lo, 0, v[200:201]
	s_and_b32 exec_lo, exec_lo, vcc_lo
	s_cbranch_execz .LBB77_104
; %bb.103:
	v_div_scale_f64 v[202:203], null, v[200:201], v[200:201], 1.0
	v_rcp_f64_e32 v[204:205], v[202:203]
	v_fma_f64 v[206:207], -v[202:203], v[204:205], 1.0
	v_fma_f64 v[204:205], v[204:205], v[206:207], v[204:205]
	v_fma_f64 v[206:207], -v[202:203], v[204:205], 1.0
	v_fma_f64 v[204:205], v[204:205], v[206:207], v[204:205]
	v_div_scale_f64 v[206:207], vcc_lo, 1.0, v[200:201], 1.0
	v_mul_f64 v[208:209], v[206:207], v[204:205]
	v_fma_f64 v[202:203], -v[202:203], v[208:209], v[206:207]
	v_div_fmas_f64 v[202:203], v[202:203], v[204:205], v[208:209]
	v_div_fixup_f64 v[200:201], v[202:203], v[200:201], 1.0
	ds_write_b64 v1, v[200:201]
.LBB77_104:
	s_or_b32 exec_lo, exec_lo, s1
	s_waitcnt lgkmcnt(0)
	s_barrier
	buffer_gl0_inv
	ds_read_b64 v[200:201], v1
	s_mov_b32 s1, exec_lo
	v_cmpx_lt_u32_e32 20, v0
	s_cbranch_execz .LBB77_106
; %bb.105:
	s_waitcnt lgkmcnt(0)
	v_mul_f64 v[112:113], v[200:201], v[112:113]
	ds_read2_b64 v[202:205], v236 offset0:21 offset1:22
	ds_read2_b64 v[206:209], v236 offset0:23 offset1:24
	;; [unrolled: 1-line block ×9, first 2 shown]
	s_waitcnt lgkmcnt(8)
	v_fma_f64 v[94:95], -v[112:113], v[202:203], v[94:95]
	v_fma_f64 v[110:111], -v[112:113], v[204:205], v[110:111]
	s_waitcnt lgkmcnt(7)
	v_fma_f64 v[92:93], -v[112:113], v[206:207], v[92:93]
	v_fma_f64 v[108:109], -v[112:113], v[208:209], v[108:109]
	;; [unrolled: 3-line block ×9, first 2 shown]
.LBB77_106:
	s_or_b32 exec_lo, exec_lo, s1
	s_mov_b32 s1, exec_lo
	s_waitcnt lgkmcnt(0)
	s_barrier
	buffer_gl0_inv
	v_cmpx_eq_u32_e32 21, v0
	s_cbranch_execz .LBB77_109
; %bb.107:
	v_mov_b32_e32 v202, v110
	v_mov_b32_e32 v203, v111
	;; [unrolled: 1-line block ×12, first 2 shown]
	ds_write_b64 v1, v[94:95]
	ds_write2_b64 v236, v[202:203], v[204:205] offset0:22 offset1:23
	ds_write2_b64 v236, v[206:207], v[208:209] offset0:24 offset1:25
	;; [unrolled: 1-line block ×3, first 2 shown]
	v_mov_b32_e32 v202, v104
	v_mov_b32_e32 v203, v105
	;; [unrolled: 1-line block ×20, first 2 shown]
	ds_write2_b64 v236, v[202:203], v[204:205] offset0:28 offset1:29
	ds_write2_b64 v236, v[206:207], v[208:209] offset0:30 offset1:31
	;; [unrolled: 1-line block ×5, first 2 shown]
	ds_write_b64 v236, v[150:151] offset:304
	ds_read_b64 v[202:203], v1
	s_waitcnt lgkmcnt(0)
	v_cmp_neq_f64_e32 vcc_lo, 0, v[202:203]
	s_and_b32 exec_lo, exec_lo, vcc_lo
	s_cbranch_execz .LBB77_109
; %bb.108:
	v_div_scale_f64 v[204:205], null, v[202:203], v[202:203], 1.0
	v_rcp_f64_e32 v[206:207], v[204:205]
	v_fma_f64 v[208:209], -v[204:205], v[206:207], 1.0
	v_fma_f64 v[206:207], v[206:207], v[208:209], v[206:207]
	v_fma_f64 v[208:209], -v[204:205], v[206:207], 1.0
	v_fma_f64 v[206:207], v[206:207], v[208:209], v[206:207]
	v_div_scale_f64 v[208:209], vcc_lo, 1.0, v[202:203], 1.0
	v_mul_f64 v[210:211], v[208:209], v[206:207]
	v_fma_f64 v[204:205], -v[204:205], v[210:211], v[208:209]
	v_div_fmas_f64 v[204:205], v[204:205], v[206:207], v[210:211]
	v_div_fixup_f64 v[202:203], v[204:205], v[202:203], 1.0
	ds_write_b64 v1, v[202:203]
.LBB77_109:
	s_or_b32 exec_lo, exec_lo, s1
	s_waitcnt lgkmcnt(0)
	s_barrier
	buffer_gl0_inv
	ds_read_b64 v[202:203], v1
	s_mov_b32 s1, exec_lo
	v_cmpx_lt_u32_e32 21, v0
	s_cbranch_execz .LBB77_111
; %bb.110:
	s_waitcnt lgkmcnt(0)
	v_mul_f64 v[94:95], v[202:203], v[94:95]
	ds_read2_b64 v[204:207], v236 offset0:22 offset1:23
	ds_read2_b64 v[208:211], v236 offset0:24 offset1:25
	;; [unrolled: 1-line block ×8, first 2 shown]
	ds_read_b64 v[237:238], v236 offset:304
	s_waitcnt lgkmcnt(8)
	v_fma_f64 v[110:111], -v[94:95], v[204:205], v[110:111]
	v_fma_f64 v[92:93], -v[94:95], v[206:207], v[92:93]
	s_waitcnt lgkmcnt(7)
	v_fma_f64 v[108:109], -v[94:95], v[208:209], v[108:109]
	v_fma_f64 v[90:91], -v[94:95], v[210:211], v[90:91]
	s_waitcnt lgkmcnt(6)
	v_fma_f64 v[106:107], -v[94:95], v[212:213], v[106:107]
	v_fma_f64 v[88:89], -v[94:95], v[214:215], v[88:89]
	s_waitcnt lgkmcnt(5)
	v_fma_f64 v[104:105], -v[94:95], v[216:217], v[104:105]
	v_fma_f64 v[86:87], -v[94:95], v[218:219], v[86:87]
	s_waitcnt lgkmcnt(4)
	v_fma_f64 v[102:103], -v[94:95], v[220:221], v[102:103]
	v_fma_f64 v[84:85], -v[94:95], v[222:223], v[84:85]
	s_waitcnt lgkmcnt(3)
	v_fma_f64 v[100:101], -v[94:95], v[224:225], v[100:101]
	v_fma_f64 v[82:83], -v[94:95], v[226:227], v[82:83]
	s_waitcnt lgkmcnt(2)
	v_fma_f64 v[98:99], -v[94:95], v[228:229], v[98:99]
	v_fma_f64 v[80:81], -v[94:95], v[230:231], v[80:81]
	s_waitcnt lgkmcnt(1)
	v_fma_f64 v[148:149], -v[94:95], v[232:233], v[148:149]
	v_fma_f64 v[146:147], -v[94:95], v[234:235], v[146:147]
	s_waitcnt lgkmcnt(0)
	v_fma_f64 v[150:151], -v[94:95], v[237:238], v[150:151]
.LBB77_111:
	s_or_b32 exec_lo, exec_lo, s1
	s_mov_b32 s1, exec_lo
	s_waitcnt lgkmcnt(0)
	s_barrier
	buffer_gl0_inv
	v_cmpx_eq_u32_e32 22, v0
	s_cbranch_execz .LBB77_114
; %bb.112:
	ds_write_b64 v1, v[110:111]
	ds_write2_b64 v236, v[92:93], v[108:109] offset0:23 offset1:24
	ds_write2_b64 v236, v[90:91], v[106:107] offset0:25 offset1:26
	;; [unrolled: 1-line block ×8, first 2 shown]
	ds_read_b64 v[204:205], v1
	s_waitcnt lgkmcnt(0)
	v_cmp_neq_f64_e32 vcc_lo, 0, v[204:205]
	s_and_b32 exec_lo, exec_lo, vcc_lo
	s_cbranch_execz .LBB77_114
; %bb.113:
	v_div_scale_f64 v[206:207], null, v[204:205], v[204:205], 1.0
	v_rcp_f64_e32 v[208:209], v[206:207]
	v_fma_f64 v[210:211], -v[206:207], v[208:209], 1.0
	v_fma_f64 v[208:209], v[208:209], v[210:211], v[208:209]
	v_fma_f64 v[210:211], -v[206:207], v[208:209], 1.0
	v_fma_f64 v[208:209], v[208:209], v[210:211], v[208:209]
	v_div_scale_f64 v[210:211], vcc_lo, 1.0, v[204:205], 1.0
	v_mul_f64 v[212:213], v[210:211], v[208:209]
	v_fma_f64 v[206:207], -v[206:207], v[212:213], v[210:211]
	v_div_fmas_f64 v[206:207], v[206:207], v[208:209], v[212:213]
	v_div_fixup_f64 v[204:205], v[206:207], v[204:205], 1.0
	ds_write_b64 v1, v[204:205]
.LBB77_114:
	s_or_b32 exec_lo, exec_lo, s1
	s_waitcnt lgkmcnt(0)
	s_barrier
	buffer_gl0_inv
	ds_read_b64 v[204:205], v1
	s_mov_b32 s1, exec_lo
	v_cmpx_lt_u32_e32 22, v0
	s_cbranch_execz .LBB77_116
; %bb.115:
	s_waitcnt lgkmcnt(0)
	v_mul_f64 v[110:111], v[204:205], v[110:111]
	ds_read2_b64 v[206:209], v236 offset0:23 offset1:24
	ds_read2_b64 v[210:213], v236 offset0:25 offset1:26
	;; [unrolled: 1-line block ×8, first 2 shown]
	s_waitcnt lgkmcnt(7)
	v_fma_f64 v[92:93], -v[110:111], v[206:207], v[92:93]
	v_fma_f64 v[108:109], -v[110:111], v[208:209], v[108:109]
	s_waitcnt lgkmcnt(6)
	v_fma_f64 v[90:91], -v[110:111], v[210:211], v[90:91]
	v_fma_f64 v[106:107], -v[110:111], v[212:213], v[106:107]
	;; [unrolled: 3-line block ×8, first 2 shown]
.LBB77_116:
	s_or_b32 exec_lo, exec_lo, s1
	s_mov_b32 s1, exec_lo
	s_waitcnt lgkmcnt(0)
	s_barrier
	buffer_gl0_inv
	v_cmpx_eq_u32_e32 23, v0
	s_cbranch_execz .LBB77_119
; %bb.117:
	v_mov_b32_e32 v206, v108
	v_mov_b32_e32 v207, v109
	;; [unrolled: 1-line block ×8, first 2 shown]
	ds_write_b64 v1, v[92:93]
	ds_write2_b64 v236, v[206:207], v[208:209] offset0:24 offset1:25
	ds_write2_b64 v236, v[210:211], v[212:213] offset0:26 offset1:27
	v_mov_b32_e32 v206, v104
	v_mov_b32_e32 v207, v105
	;; [unrolled: 1-line block ×20, first 2 shown]
	ds_write2_b64 v236, v[206:207], v[208:209] offset0:28 offset1:29
	ds_write2_b64 v236, v[210:211], v[212:213] offset0:30 offset1:31
	;; [unrolled: 1-line block ×5, first 2 shown]
	ds_write_b64 v236, v[150:151] offset:304
	ds_read_b64 v[206:207], v1
	s_waitcnt lgkmcnt(0)
	v_cmp_neq_f64_e32 vcc_lo, 0, v[206:207]
	s_and_b32 exec_lo, exec_lo, vcc_lo
	s_cbranch_execz .LBB77_119
; %bb.118:
	v_div_scale_f64 v[208:209], null, v[206:207], v[206:207], 1.0
	v_rcp_f64_e32 v[210:211], v[208:209]
	v_fma_f64 v[212:213], -v[208:209], v[210:211], 1.0
	v_fma_f64 v[210:211], v[210:211], v[212:213], v[210:211]
	v_fma_f64 v[212:213], -v[208:209], v[210:211], 1.0
	v_fma_f64 v[210:211], v[210:211], v[212:213], v[210:211]
	v_div_scale_f64 v[212:213], vcc_lo, 1.0, v[206:207], 1.0
	v_mul_f64 v[214:215], v[212:213], v[210:211]
	v_fma_f64 v[208:209], -v[208:209], v[214:215], v[212:213]
	v_div_fmas_f64 v[208:209], v[208:209], v[210:211], v[214:215]
	v_div_fixup_f64 v[206:207], v[208:209], v[206:207], 1.0
	ds_write_b64 v1, v[206:207]
.LBB77_119:
	s_or_b32 exec_lo, exec_lo, s1
	s_waitcnt lgkmcnt(0)
	s_barrier
	buffer_gl0_inv
	ds_read_b64 v[206:207], v1
	s_mov_b32 s1, exec_lo
	v_cmpx_lt_u32_e32 23, v0
	s_cbranch_execz .LBB77_121
; %bb.120:
	s_waitcnt lgkmcnt(0)
	v_mul_f64 v[92:93], v[206:207], v[92:93]
	ds_read2_b64 v[208:211], v236 offset0:24 offset1:25
	ds_read2_b64 v[212:215], v236 offset0:26 offset1:27
	;; [unrolled: 1-line block ×7, first 2 shown]
	ds_read_b64 v[237:238], v236 offset:304
	s_waitcnt lgkmcnt(7)
	v_fma_f64 v[108:109], -v[92:93], v[208:209], v[108:109]
	v_fma_f64 v[90:91], -v[92:93], v[210:211], v[90:91]
	s_waitcnt lgkmcnt(6)
	v_fma_f64 v[106:107], -v[92:93], v[212:213], v[106:107]
	v_fma_f64 v[88:89], -v[92:93], v[214:215], v[88:89]
	;; [unrolled: 3-line block ×7, first 2 shown]
	s_waitcnt lgkmcnt(0)
	v_fma_f64 v[150:151], -v[92:93], v[237:238], v[150:151]
.LBB77_121:
	s_or_b32 exec_lo, exec_lo, s1
	s_mov_b32 s1, exec_lo
	s_waitcnt lgkmcnt(0)
	s_barrier
	buffer_gl0_inv
	v_cmpx_eq_u32_e32 24, v0
	s_cbranch_execz .LBB77_124
; %bb.122:
	ds_write_b64 v1, v[108:109]
	ds_write2_b64 v236, v[90:91], v[106:107] offset0:25 offset1:26
	ds_write2_b64 v236, v[88:89], v[104:105] offset0:27 offset1:28
	;; [unrolled: 1-line block ×7, first 2 shown]
	ds_read_b64 v[208:209], v1
	s_waitcnt lgkmcnt(0)
	v_cmp_neq_f64_e32 vcc_lo, 0, v[208:209]
	s_and_b32 exec_lo, exec_lo, vcc_lo
	s_cbranch_execz .LBB77_124
; %bb.123:
	v_div_scale_f64 v[210:211], null, v[208:209], v[208:209], 1.0
	v_rcp_f64_e32 v[212:213], v[210:211]
	v_fma_f64 v[214:215], -v[210:211], v[212:213], 1.0
	v_fma_f64 v[212:213], v[212:213], v[214:215], v[212:213]
	v_fma_f64 v[214:215], -v[210:211], v[212:213], 1.0
	v_fma_f64 v[212:213], v[212:213], v[214:215], v[212:213]
	v_div_scale_f64 v[214:215], vcc_lo, 1.0, v[208:209], 1.0
	v_mul_f64 v[216:217], v[214:215], v[212:213]
	v_fma_f64 v[210:211], -v[210:211], v[216:217], v[214:215]
	v_div_fmas_f64 v[210:211], v[210:211], v[212:213], v[216:217]
	v_div_fixup_f64 v[208:209], v[210:211], v[208:209], 1.0
	ds_write_b64 v1, v[208:209]
.LBB77_124:
	s_or_b32 exec_lo, exec_lo, s1
	s_waitcnt lgkmcnt(0)
	s_barrier
	buffer_gl0_inv
	ds_read_b64 v[208:209], v1
	s_mov_b32 s1, exec_lo
	v_cmpx_lt_u32_e32 24, v0
	s_cbranch_execz .LBB77_126
; %bb.125:
	s_waitcnt lgkmcnt(0)
	v_mul_f64 v[108:109], v[208:209], v[108:109]
	ds_read2_b64 v[210:213], v236 offset0:25 offset1:26
	ds_read2_b64 v[214:217], v236 offset0:27 offset1:28
	;; [unrolled: 1-line block ×7, first 2 shown]
	s_waitcnt lgkmcnt(6)
	v_fma_f64 v[90:91], -v[108:109], v[210:211], v[90:91]
	v_fma_f64 v[106:107], -v[108:109], v[212:213], v[106:107]
	s_waitcnt lgkmcnt(5)
	v_fma_f64 v[88:89], -v[108:109], v[214:215], v[88:89]
	v_fma_f64 v[104:105], -v[108:109], v[216:217], v[104:105]
	s_waitcnt lgkmcnt(4)
	v_fma_f64 v[86:87], -v[108:109], v[218:219], v[86:87]
	v_fma_f64 v[102:103], -v[108:109], v[220:221], v[102:103]
	s_waitcnt lgkmcnt(3)
	v_fma_f64 v[84:85], -v[108:109], v[222:223], v[84:85]
	v_fma_f64 v[100:101], -v[108:109], v[224:225], v[100:101]
	s_waitcnt lgkmcnt(2)
	v_fma_f64 v[82:83], -v[108:109], v[226:227], v[82:83]
	v_fma_f64 v[98:99], -v[108:109], v[228:229], v[98:99]
	s_waitcnt lgkmcnt(1)
	v_fma_f64 v[80:81], -v[108:109], v[230:231], v[80:81]
	v_fma_f64 v[148:149], -v[108:109], v[232:233], v[148:149]
	s_waitcnt lgkmcnt(0)
	v_fma_f64 v[146:147], -v[108:109], v[237:238], v[146:147]
	v_fma_f64 v[150:151], -v[108:109], v[239:240], v[150:151]
.LBB77_126:
	s_or_b32 exec_lo, exec_lo, s1
	s_mov_b32 s1, exec_lo
	s_waitcnt lgkmcnt(0)
	s_barrier
	buffer_gl0_inv
	v_cmpx_eq_u32_e32 25, v0
	s_cbranch_execz .LBB77_129
; %bb.127:
	v_mov_b32_e32 v210, v106
	v_mov_b32_e32 v211, v107
	;; [unrolled: 1-line block ×4, first 2 shown]
	ds_write_b64 v1, v[90:91]
	ds_write2_b64 v236, v[210:211], v[212:213] offset0:26 offset1:27
	v_mov_b32_e32 v210, v104
	v_mov_b32_e32 v211, v105
	v_mov_b32_e32 v212, v86
	v_mov_b32_e32 v213, v87
	v_mov_b32_e32 v214, v102
	v_mov_b32_e32 v215, v103
	v_mov_b32_e32 v216, v84
	v_mov_b32_e32 v217, v85
	v_mov_b32_e32 v218, v100
	v_mov_b32_e32 v219, v101
	v_mov_b32_e32 v220, v82
	v_mov_b32_e32 v221, v83
	v_mov_b32_e32 v222, v98
	v_mov_b32_e32 v223, v99
	v_mov_b32_e32 v224, v80
	v_mov_b32_e32 v225, v81
	v_mov_b32_e32 v226, v148
	v_mov_b32_e32 v227, v149
	v_mov_b32_e32 v228, v146
	v_mov_b32_e32 v229, v147
	ds_write2_b64 v236, v[210:211], v[212:213] offset0:28 offset1:29
	ds_write2_b64 v236, v[214:215], v[216:217] offset0:30 offset1:31
	;; [unrolled: 1-line block ×5, first 2 shown]
	ds_write_b64 v236, v[150:151] offset:304
	ds_read_b64 v[210:211], v1
	s_waitcnt lgkmcnt(0)
	v_cmp_neq_f64_e32 vcc_lo, 0, v[210:211]
	s_and_b32 exec_lo, exec_lo, vcc_lo
	s_cbranch_execz .LBB77_129
; %bb.128:
	v_div_scale_f64 v[212:213], null, v[210:211], v[210:211], 1.0
	v_rcp_f64_e32 v[214:215], v[212:213]
	v_fma_f64 v[216:217], -v[212:213], v[214:215], 1.0
	v_fma_f64 v[214:215], v[214:215], v[216:217], v[214:215]
	v_fma_f64 v[216:217], -v[212:213], v[214:215], 1.0
	v_fma_f64 v[214:215], v[214:215], v[216:217], v[214:215]
	v_div_scale_f64 v[216:217], vcc_lo, 1.0, v[210:211], 1.0
	v_mul_f64 v[218:219], v[216:217], v[214:215]
	v_fma_f64 v[212:213], -v[212:213], v[218:219], v[216:217]
	v_div_fmas_f64 v[212:213], v[212:213], v[214:215], v[218:219]
	v_div_fixup_f64 v[210:211], v[212:213], v[210:211], 1.0
	ds_write_b64 v1, v[210:211]
.LBB77_129:
	s_or_b32 exec_lo, exec_lo, s1
	s_waitcnt lgkmcnt(0)
	s_barrier
	buffer_gl0_inv
	ds_read_b64 v[210:211], v1
	s_mov_b32 s1, exec_lo
	v_cmpx_lt_u32_e32 25, v0
	s_cbranch_execz .LBB77_131
; %bb.130:
	s_waitcnt lgkmcnt(0)
	v_mul_f64 v[90:91], v[210:211], v[90:91]
	ds_read2_b64 v[212:215], v236 offset0:26 offset1:27
	ds_read2_b64 v[216:219], v236 offset0:28 offset1:29
	;; [unrolled: 1-line block ×6, first 2 shown]
	ds_read_b64 v[237:238], v236 offset:304
	s_waitcnt lgkmcnt(6)
	v_fma_f64 v[106:107], -v[90:91], v[212:213], v[106:107]
	v_fma_f64 v[88:89], -v[90:91], v[214:215], v[88:89]
	s_waitcnt lgkmcnt(5)
	v_fma_f64 v[104:105], -v[90:91], v[216:217], v[104:105]
	v_fma_f64 v[86:87], -v[90:91], v[218:219], v[86:87]
	;; [unrolled: 3-line block ×6, first 2 shown]
	s_waitcnt lgkmcnt(0)
	v_fma_f64 v[150:151], -v[90:91], v[237:238], v[150:151]
.LBB77_131:
	s_or_b32 exec_lo, exec_lo, s1
	s_mov_b32 s1, exec_lo
	s_waitcnt lgkmcnt(0)
	s_barrier
	buffer_gl0_inv
	v_cmpx_eq_u32_e32 26, v0
	s_cbranch_execz .LBB77_134
; %bb.132:
	ds_write_b64 v1, v[106:107]
	ds_write2_b64 v236, v[88:89], v[104:105] offset0:27 offset1:28
	ds_write2_b64 v236, v[86:87], v[102:103] offset0:29 offset1:30
	ds_write2_b64 v236, v[84:85], v[100:101] offset0:31 offset1:32
	ds_write2_b64 v236, v[82:83], v[98:99] offset0:33 offset1:34
	ds_write2_b64 v236, v[80:81], v[148:149] offset0:35 offset1:36
	ds_write2_b64 v236, v[146:147], v[150:151] offset0:37 offset1:38
	ds_read_b64 v[212:213], v1
	s_waitcnt lgkmcnt(0)
	v_cmp_neq_f64_e32 vcc_lo, 0, v[212:213]
	s_and_b32 exec_lo, exec_lo, vcc_lo
	s_cbranch_execz .LBB77_134
; %bb.133:
	v_div_scale_f64 v[214:215], null, v[212:213], v[212:213], 1.0
	v_rcp_f64_e32 v[216:217], v[214:215]
	v_fma_f64 v[218:219], -v[214:215], v[216:217], 1.0
	v_fma_f64 v[216:217], v[216:217], v[218:219], v[216:217]
	v_fma_f64 v[218:219], -v[214:215], v[216:217], 1.0
	v_fma_f64 v[216:217], v[216:217], v[218:219], v[216:217]
	v_div_scale_f64 v[218:219], vcc_lo, 1.0, v[212:213], 1.0
	v_mul_f64 v[220:221], v[218:219], v[216:217]
	v_fma_f64 v[214:215], -v[214:215], v[220:221], v[218:219]
	v_div_fmas_f64 v[214:215], v[214:215], v[216:217], v[220:221]
	v_div_fixup_f64 v[212:213], v[214:215], v[212:213], 1.0
	ds_write_b64 v1, v[212:213]
.LBB77_134:
	s_or_b32 exec_lo, exec_lo, s1
	s_waitcnt lgkmcnt(0)
	s_barrier
	buffer_gl0_inv
	ds_read_b64 v[212:213], v1
	s_mov_b32 s1, exec_lo
	v_cmpx_lt_u32_e32 26, v0
	s_cbranch_execz .LBB77_136
; %bb.135:
	s_waitcnt lgkmcnt(0)
	v_mul_f64 v[106:107], v[212:213], v[106:107]
	ds_read2_b64 v[214:217], v236 offset0:27 offset1:28
	ds_read2_b64 v[218:221], v236 offset0:29 offset1:30
	;; [unrolled: 1-line block ×6, first 2 shown]
	s_waitcnt lgkmcnt(5)
	v_fma_f64 v[88:89], -v[106:107], v[214:215], v[88:89]
	v_fma_f64 v[104:105], -v[106:107], v[216:217], v[104:105]
	s_waitcnt lgkmcnt(4)
	v_fma_f64 v[86:87], -v[106:107], v[218:219], v[86:87]
	v_fma_f64 v[102:103], -v[106:107], v[220:221], v[102:103]
	;; [unrolled: 3-line block ×6, first 2 shown]
.LBB77_136:
	s_or_b32 exec_lo, exec_lo, s1
	s_mov_b32 s1, exec_lo
	s_waitcnt lgkmcnt(0)
	s_barrier
	buffer_gl0_inv
	v_cmpx_eq_u32_e32 27, v0
	s_cbranch_execz .LBB77_139
; %bb.137:
	v_mov_b32_e32 v214, v104
	v_mov_b32_e32 v215, v105
	;; [unrolled: 1-line block ×20, first 2 shown]
	ds_write_b64 v1, v[88:89]
	ds_write2_b64 v236, v[214:215], v[216:217] offset0:28 offset1:29
	ds_write2_b64 v236, v[218:219], v[220:221] offset0:30 offset1:31
	;; [unrolled: 1-line block ×5, first 2 shown]
	ds_write_b64 v236, v[150:151] offset:304
	ds_read_b64 v[214:215], v1
	s_waitcnt lgkmcnt(0)
	v_cmp_neq_f64_e32 vcc_lo, 0, v[214:215]
	s_and_b32 exec_lo, exec_lo, vcc_lo
	s_cbranch_execz .LBB77_139
; %bb.138:
	v_div_scale_f64 v[216:217], null, v[214:215], v[214:215], 1.0
	v_rcp_f64_e32 v[218:219], v[216:217]
	v_fma_f64 v[220:221], -v[216:217], v[218:219], 1.0
	v_fma_f64 v[218:219], v[218:219], v[220:221], v[218:219]
	v_fma_f64 v[220:221], -v[216:217], v[218:219], 1.0
	v_fma_f64 v[218:219], v[218:219], v[220:221], v[218:219]
	v_div_scale_f64 v[220:221], vcc_lo, 1.0, v[214:215], 1.0
	v_mul_f64 v[222:223], v[220:221], v[218:219]
	v_fma_f64 v[216:217], -v[216:217], v[222:223], v[220:221]
	v_div_fmas_f64 v[216:217], v[216:217], v[218:219], v[222:223]
	v_div_fixup_f64 v[214:215], v[216:217], v[214:215], 1.0
	ds_write_b64 v1, v[214:215]
.LBB77_139:
	s_or_b32 exec_lo, exec_lo, s1
	s_waitcnt lgkmcnt(0)
	s_barrier
	buffer_gl0_inv
	ds_read_b64 v[214:215], v1
	s_mov_b32 s1, exec_lo
	v_cmpx_lt_u32_e32 27, v0
	s_cbranch_execz .LBB77_141
; %bb.140:
	s_waitcnt lgkmcnt(0)
	v_mul_f64 v[88:89], v[214:215], v[88:89]
	ds_read2_b64 v[216:219], v236 offset0:28 offset1:29
	ds_read2_b64 v[220:223], v236 offset0:30 offset1:31
	ds_read2_b64 v[224:227], v236 offset0:32 offset1:33
	ds_read2_b64 v[228:231], v236 offset0:34 offset1:35
	ds_read2_b64 v[232:235], v236 offset0:36 offset1:37
	ds_read_b64 v[237:238], v236 offset:304
	s_waitcnt lgkmcnt(5)
	v_fma_f64 v[104:105], -v[88:89], v[216:217], v[104:105]
	v_fma_f64 v[86:87], -v[88:89], v[218:219], v[86:87]
	s_waitcnt lgkmcnt(4)
	v_fma_f64 v[102:103], -v[88:89], v[220:221], v[102:103]
	v_fma_f64 v[84:85], -v[88:89], v[222:223], v[84:85]
	;; [unrolled: 3-line block ×5, first 2 shown]
	s_waitcnt lgkmcnt(0)
	v_fma_f64 v[150:151], -v[88:89], v[237:238], v[150:151]
.LBB77_141:
	s_or_b32 exec_lo, exec_lo, s1
	s_mov_b32 s1, exec_lo
	s_waitcnt lgkmcnt(0)
	s_barrier
	buffer_gl0_inv
	v_cmpx_eq_u32_e32 28, v0
	s_cbranch_execz .LBB77_144
; %bb.142:
	ds_write_b64 v1, v[104:105]
	ds_write2_b64 v236, v[86:87], v[102:103] offset0:29 offset1:30
	ds_write2_b64 v236, v[84:85], v[100:101] offset0:31 offset1:32
	;; [unrolled: 1-line block ×5, first 2 shown]
	ds_read_b64 v[216:217], v1
	s_waitcnt lgkmcnt(0)
	v_cmp_neq_f64_e32 vcc_lo, 0, v[216:217]
	s_and_b32 exec_lo, exec_lo, vcc_lo
	s_cbranch_execz .LBB77_144
; %bb.143:
	v_div_scale_f64 v[218:219], null, v[216:217], v[216:217], 1.0
	v_rcp_f64_e32 v[220:221], v[218:219]
	v_fma_f64 v[222:223], -v[218:219], v[220:221], 1.0
	v_fma_f64 v[220:221], v[220:221], v[222:223], v[220:221]
	v_fma_f64 v[222:223], -v[218:219], v[220:221], 1.0
	v_fma_f64 v[220:221], v[220:221], v[222:223], v[220:221]
	v_div_scale_f64 v[222:223], vcc_lo, 1.0, v[216:217], 1.0
	v_mul_f64 v[224:225], v[222:223], v[220:221]
	v_fma_f64 v[218:219], -v[218:219], v[224:225], v[222:223]
	v_div_fmas_f64 v[218:219], v[218:219], v[220:221], v[224:225]
	v_div_fixup_f64 v[216:217], v[218:219], v[216:217], 1.0
	ds_write_b64 v1, v[216:217]
.LBB77_144:
	s_or_b32 exec_lo, exec_lo, s1
	s_waitcnt lgkmcnt(0)
	s_barrier
	buffer_gl0_inv
	ds_read_b64 v[216:217], v1
	s_mov_b32 s1, exec_lo
	v_cmpx_lt_u32_e32 28, v0
	s_cbranch_execz .LBB77_146
; %bb.145:
	s_waitcnt lgkmcnt(0)
	v_mul_f64 v[104:105], v[216:217], v[104:105]
	ds_read2_b64 v[218:221], v236 offset0:29 offset1:30
	ds_read2_b64 v[222:225], v236 offset0:31 offset1:32
	;; [unrolled: 1-line block ×5, first 2 shown]
	s_waitcnt lgkmcnt(4)
	v_fma_f64 v[86:87], -v[104:105], v[218:219], v[86:87]
	v_fma_f64 v[102:103], -v[104:105], v[220:221], v[102:103]
	s_waitcnt lgkmcnt(3)
	v_fma_f64 v[84:85], -v[104:105], v[222:223], v[84:85]
	v_fma_f64 v[100:101], -v[104:105], v[224:225], v[100:101]
	;; [unrolled: 3-line block ×5, first 2 shown]
.LBB77_146:
	s_or_b32 exec_lo, exec_lo, s1
	s_mov_b32 s1, exec_lo
	s_waitcnt lgkmcnt(0)
	s_barrier
	buffer_gl0_inv
	v_cmpx_eq_u32_e32 29, v0
	s_cbranch_execz .LBB77_149
; %bb.147:
	v_mov_b32_e32 v218, v102
	v_mov_b32_e32 v219, v103
	;; [unrolled: 1-line block ×16, first 2 shown]
	ds_write_b64 v1, v[86:87]
	ds_write2_b64 v236, v[218:219], v[220:221] offset0:30 offset1:31
	ds_write2_b64 v236, v[222:223], v[224:225] offset0:32 offset1:33
	;; [unrolled: 1-line block ×4, first 2 shown]
	ds_write_b64 v236, v[150:151] offset:304
	ds_read_b64 v[218:219], v1
	s_waitcnt lgkmcnt(0)
	v_cmp_neq_f64_e32 vcc_lo, 0, v[218:219]
	s_and_b32 exec_lo, exec_lo, vcc_lo
	s_cbranch_execz .LBB77_149
; %bb.148:
	v_div_scale_f64 v[220:221], null, v[218:219], v[218:219], 1.0
	v_rcp_f64_e32 v[222:223], v[220:221]
	v_fma_f64 v[224:225], -v[220:221], v[222:223], 1.0
	v_fma_f64 v[222:223], v[222:223], v[224:225], v[222:223]
	v_fma_f64 v[224:225], -v[220:221], v[222:223], 1.0
	v_fma_f64 v[222:223], v[222:223], v[224:225], v[222:223]
	v_div_scale_f64 v[224:225], vcc_lo, 1.0, v[218:219], 1.0
	v_mul_f64 v[226:227], v[224:225], v[222:223]
	v_fma_f64 v[220:221], -v[220:221], v[226:227], v[224:225]
	v_div_fmas_f64 v[220:221], v[220:221], v[222:223], v[226:227]
	v_div_fixup_f64 v[218:219], v[220:221], v[218:219], 1.0
	ds_write_b64 v1, v[218:219]
.LBB77_149:
	s_or_b32 exec_lo, exec_lo, s1
	s_waitcnt lgkmcnt(0)
	s_barrier
	buffer_gl0_inv
	ds_read_b64 v[218:219], v1
	s_mov_b32 s1, exec_lo
	v_cmpx_lt_u32_e32 29, v0
	s_cbranch_execz .LBB77_151
; %bb.150:
	s_waitcnt lgkmcnt(0)
	v_mul_f64 v[86:87], v[218:219], v[86:87]
	ds_read2_b64 v[220:223], v236 offset0:30 offset1:31
	ds_read2_b64 v[224:227], v236 offset0:32 offset1:33
	;; [unrolled: 1-line block ×4, first 2 shown]
	ds_read_b64 v[237:238], v236 offset:304
	s_waitcnt lgkmcnt(4)
	v_fma_f64 v[102:103], -v[86:87], v[220:221], v[102:103]
	v_fma_f64 v[84:85], -v[86:87], v[222:223], v[84:85]
	s_waitcnt lgkmcnt(3)
	v_fma_f64 v[100:101], -v[86:87], v[224:225], v[100:101]
	v_fma_f64 v[82:83], -v[86:87], v[226:227], v[82:83]
	;; [unrolled: 3-line block ×4, first 2 shown]
	s_waitcnt lgkmcnt(0)
	v_fma_f64 v[150:151], -v[86:87], v[237:238], v[150:151]
.LBB77_151:
	s_or_b32 exec_lo, exec_lo, s1
	s_mov_b32 s1, exec_lo
	s_waitcnt lgkmcnt(0)
	s_barrier
	buffer_gl0_inv
	v_cmpx_eq_u32_e32 30, v0
	s_cbranch_execz .LBB77_154
; %bb.152:
	ds_write_b64 v1, v[102:103]
	ds_write2_b64 v236, v[84:85], v[100:101] offset0:31 offset1:32
	ds_write2_b64 v236, v[82:83], v[98:99] offset0:33 offset1:34
	;; [unrolled: 1-line block ×4, first 2 shown]
	ds_read_b64 v[220:221], v1
	s_waitcnt lgkmcnt(0)
	v_cmp_neq_f64_e32 vcc_lo, 0, v[220:221]
	s_and_b32 exec_lo, exec_lo, vcc_lo
	s_cbranch_execz .LBB77_154
; %bb.153:
	v_div_scale_f64 v[222:223], null, v[220:221], v[220:221], 1.0
	v_rcp_f64_e32 v[224:225], v[222:223]
	v_fma_f64 v[226:227], -v[222:223], v[224:225], 1.0
	v_fma_f64 v[224:225], v[224:225], v[226:227], v[224:225]
	v_fma_f64 v[226:227], -v[222:223], v[224:225], 1.0
	v_fma_f64 v[224:225], v[224:225], v[226:227], v[224:225]
	v_div_scale_f64 v[226:227], vcc_lo, 1.0, v[220:221], 1.0
	v_mul_f64 v[228:229], v[226:227], v[224:225]
	v_fma_f64 v[222:223], -v[222:223], v[228:229], v[226:227]
	v_div_fmas_f64 v[222:223], v[222:223], v[224:225], v[228:229]
	v_div_fixup_f64 v[220:221], v[222:223], v[220:221], 1.0
	ds_write_b64 v1, v[220:221]
.LBB77_154:
	s_or_b32 exec_lo, exec_lo, s1
	s_waitcnt lgkmcnt(0)
	s_barrier
	buffer_gl0_inv
	ds_read_b64 v[220:221], v1
	s_mov_b32 s1, exec_lo
	v_cmpx_lt_u32_e32 30, v0
	s_cbranch_execz .LBB77_156
; %bb.155:
	s_waitcnt lgkmcnt(0)
	v_mul_f64 v[102:103], v[220:221], v[102:103]
	ds_read2_b64 v[222:225], v236 offset0:31 offset1:32
	ds_read2_b64 v[226:229], v236 offset0:33 offset1:34
	;; [unrolled: 1-line block ×4, first 2 shown]
	s_waitcnt lgkmcnt(3)
	v_fma_f64 v[84:85], -v[102:103], v[222:223], v[84:85]
	v_fma_f64 v[100:101], -v[102:103], v[224:225], v[100:101]
	s_waitcnt lgkmcnt(2)
	v_fma_f64 v[82:83], -v[102:103], v[226:227], v[82:83]
	v_fma_f64 v[98:99], -v[102:103], v[228:229], v[98:99]
	;; [unrolled: 3-line block ×4, first 2 shown]
.LBB77_156:
	s_or_b32 exec_lo, exec_lo, s1
	s_mov_b32 s1, exec_lo
	s_waitcnt lgkmcnt(0)
	s_barrier
	buffer_gl0_inv
	v_cmpx_eq_u32_e32 31, v0
	s_cbranch_execz .LBB77_159
; %bb.157:
	v_mov_b32_e32 v222, v100
	v_mov_b32_e32 v223, v101
	;; [unrolled: 1-line block ×12, first 2 shown]
	ds_write_b64 v1, v[84:85]
	ds_write2_b64 v236, v[222:223], v[224:225] offset0:32 offset1:33
	ds_write2_b64 v236, v[226:227], v[228:229] offset0:34 offset1:35
	;; [unrolled: 1-line block ×3, first 2 shown]
	ds_write_b64 v236, v[150:151] offset:304
	ds_read_b64 v[222:223], v1
	s_waitcnt lgkmcnt(0)
	v_cmp_neq_f64_e32 vcc_lo, 0, v[222:223]
	s_and_b32 exec_lo, exec_lo, vcc_lo
	s_cbranch_execz .LBB77_159
; %bb.158:
	v_div_scale_f64 v[224:225], null, v[222:223], v[222:223], 1.0
	v_rcp_f64_e32 v[226:227], v[224:225]
	v_fma_f64 v[228:229], -v[224:225], v[226:227], 1.0
	v_fma_f64 v[226:227], v[226:227], v[228:229], v[226:227]
	v_fma_f64 v[228:229], -v[224:225], v[226:227], 1.0
	v_fma_f64 v[226:227], v[226:227], v[228:229], v[226:227]
	v_div_scale_f64 v[228:229], vcc_lo, 1.0, v[222:223], 1.0
	v_mul_f64 v[230:231], v[228:229], v[226:227]
	v_fma_f64 v[224:225], -v[224:225], v[230:231], v[228:229]
	v_div_fmas_f64 v[224:225], v[224:225], v[226:227], v[230:231]
	v_div_fixup_f64 v[222:223], v[224:225], v[222:223], 1.0
	ds_write_b64 v1, v[222:223]
.LBB77_159:
	s_or_b32 exec_lo, exec_lo, s1
	s_waitcnt lgkmcnt(0)
	s_barrier
	buffer_gl0_inv
	ds_read_b64 v[222:223], v1
	s_mov_b32 s1, exec_lo
	v_cmpx_lt_u32_e32 31, v0
	s_cbranch_execz .LBB77_161
; %bb.160:
	s_waitcnt lgkmcnt(0)
	v_mul_f64 v[84:85], v[222:223], v[84:85]
	ds_read2_b64 v[224:227], v236 offset0:32 offset1:33
	ds_read2_b64 v[228:231], v236 offset0:34 offset1:35
	ds_read2_b64 v[232:235], v236 offset0:36 offset1:37
	ds_read_b64 v[237:238], v236 offset:304
	s_waitcnt lgkmcnt(3)
	v_fma_f64 v[100:101], -v[84:85], v[224:225], v[100:101]
	v_fma_f64 v[82:83], -v[84:85], v[226:227], v[82:83]
	s_waitcnt lgkmcnt(2)
	v_fma_f64 v[98:99], -v[84:85], v[228:229], v[98:99]
	v_fma_f64 v[80:81], -v[84:85], v[230:231], v[80:81]
	;; [unrolled: 3-line block ×3, first 2 shown]
	s_waitcnt lgkmcnt(0)
	v_fma_f64 v[150:151], -v[84:85], v[237:238], v[150:151]
.LBB77_161:
	s_or_b32 exec_lo, exec_lo, s1
	s_mov_b32 s1, exec_lo
	s_waitcnt lgkmcnt(0)
	s_barrier
	buffer_gl0_inv
	v_cmpx_eq_u32_e32 32, v0
	s_cbranch_execz .LBB77_164
; %bb.162:
	ds_write_b64 v1, v[100:101]
	ds_write2_b64 v236, v[82:83], v[98:99] offset0:33 offset1:34
	ds_write2_b64 v236, v[80:81], v[148:149] offset0:35 offset1:36
	;; [unrolled: 1-line block ×3, first 2 shown]
	ds_read_b64 v[224:225], v1
	s_waitcnt lgkmcnt(0)
	v_cmp_neq_f64_e32 vcc_lo, 0, v[224:225]
	s_and_b32 exec_lo, exec_lo, vcc_lo
	s_cbranch_execz .LBB77_164
; %bb.163:
	v_div_scale_f64 v[226:227], null, v[224:225], v[224:225], 1.0
	v_rcp_f64_e32 v[228:229], v[226:227]
	v_fma_f64 v[230:231], -v[226:227], v[228:229], 1.0
	v_fma_f64 v[228:229], v[228:229], v[230:231], v[228:229]
	v_fma_f64 v[230:231], -v[226:227], v[228:229], 1.0
	v_fma_f64 v[228:229], v[228:229], v[230:231], v[228:229]
	v_div_scale_f64 v[230:231], vcc_lo, 1.0, v[224:225], 1.0
	v_mul_f64 v[232:233], v[230:231], v[228:229]
	v_fma_f64 v[226:227], -v[226:227], v[232:233], v[230:231]
	v_div_fmas_f64 v[226:227], v[226:227], v[228:229], v[232:233]
	v_div_fixup_f64 v[224:225], v[226:227], v[224:225], 1.0
	ds_write_b64 v1, v[224:225]
.LBB77_164:
	s_or_b32 exec_lo, exec_lo, s1
	s_waitcnt lgkmcnt(0)
	s_barrier
	buffer_gl0_inv
	ds_read_b64 v[224:225], v1
	s_mov_b32 s1, exec_lo
	v_cmpx_lt_u32_e32 32, v0
	s_cbranch_execz .LBB77_166
; %bb.165:
	s_waitcnt lgkmcnt(0)
	v_mul_f64 v[100:101], v[224:225], v[100:101]
	ds_read2_b64 v[226:229], v236 offset0:33 offset1:34
	ds_read2_b64 v[230:233], v236 offset0:35 offset1:36
	;; [unrolled: 1-line block ×3, first 2 shown]
	s_waitcnt lgkmcnt(2)
	v_fma_f64 v[82:83], -v[100:101], v[226:227], v[82:83]
	v_fma_f64 v[98:99], -v[100:101], v[228:229], v[98:99]
	s_waitcnt lgkmcnt(1)
	v_fma_f64 v[80:81], -v[100:101], v[230:231], v[80:81]
	v_fma_f64 v[148:149], -v[100:101], v[232:233], v[148:149]
	;; [unrolled: 3-line block ×3, first 2 shown]
.LBB77_166:
	s_or_b32 exec_lo, exec_lo, s1
	s_mov_b32 s1, exec_lo
	s_waitcnt lgkmcnt(0)
	s_barrier
	buffer_gl0_inv
	v_cmpx_eq_u32_e32 33, v0
	s_cbranch_execz .LBB77_169
; %bb.167:
	v_mov_b32_e32 v226, v98
	v_mov_b32_e32 v227, v99
	v_mov_b32_e32 v228, v80
	v_mov_b32_e32 v229, v81
	v_mov_b32_e32 v230, v148
	v_mov_b32_e32 v231, v149
	v_mov_b32_e32 v232, v146
	v_mov_b32_e32 v233, v147
	ds_write_b64 v1, v[82:83]
	ds_write2_b64 v236, v[226:227], v[228:229] offset0:34 offset1:35
	ds_write2_b64 v236, v[230:231], v[232:233] offset0:36 offset1:37
	ds_write_b64 v236, v[150:151] offset:304
	ds_read_b64 v[226:227], v1
	s_waitcnt lgkmcnt(0)
	v_cmp_neq_f64_e32 vcc_lo, 0, v[226:227]
	s_and_b32 exec_lo, exec_lo, vcc_lo
	s_cbranch_execz .LBB77_169
; %bb.168:
	v_div_scale_f64 v[228:229], null, v[226:227], v[226:227], 1.0
	v_rcp_f64_e32 v[230:231], v[228:229]
	v_fma_f64 v[232:233], -v[228:229], v[230:231], 1.0
	v_fma_f64 v[230:231], v[230:231], v[232:233], v[230:231]
	v_fma_f64 v[232:233], -v[228:229], v[230:231], 1.0
	v_fma_f64 v[230:231], v[230:231], v[232:233], v[230:231]
	v_div_scale_f64 v[232:233], vcc_lo, 1.0, v[226:227], 1.0
	v_mul_f64 v[234:235], v[232:233], v[230:231]
	v_fma_f64 v[228:229], -v[228:229], v[234:235], v[232:233]
	v_div_fmas_f64 v[228:229], v[228:229], v[230:231], v[234:235]
	v_div_fixup_f64 v[226:227], v[228:229], v[226:227], 1.0
	ds_write_b64 v1, v[226:227]
.LBB77_169:
	s_or_b32 exec_lo, exec_lo, s1
	s_waitcnt lgkmcnt(0)
	s_barrier
	buffer_gl0_inv
	ds_read_b64 v[226:227], v1
	s_mov_b32 s1, exec_lo
	v_cmpx_lt_u32_e32 33, v0
	s_cbranch_execz .LBB77_171
; %bb.170:
	s_waitcnt lgkmcnt(0)
	v_mul_f64 v[82:83], v[226:227], v[82:83]
	ds_read2_b64 v[228:231], v236 offset0:34 offset1:35
	ds_read2_b64 v[232:235], v236 offset0:36 offset1:37
	ds_read_b64 v[237:238], v236 offset:304
	s_waitcnt lgkmcnt(2)
	v_fma_f64 v[98:99], -v[82:83], v[228:229], v[98:99]
	v_fma_f64 v[80:81], -v[82:83], v[230:231], v[80:81]
	s_waitcnt lgkmcnt(1)
	v_fma_f64 v[148:149], -v[82:83], v[232:233], v[148:149]
	v_fma_f64 v[146:147], -v[82:83], v[234:235], v[146:147]
	s_waitcnt lgkmcnt(0)
	v_fma_f64 v[150:151], -v[82:83], v[237:238], v[150:151]
.LBB77_171:
	s_or_b32 exec_lo, exec_lo, s1
	s_mov_b32 s1, exec_lo
	s_waitcnt lgkmcnt(0)
	s_barrier
	buffer_gl0_inv
	v_cmpx_eq_u32_e32 34, v0
	s_cbranch_execz .LBB77_174
; %bb.172:
	ds_write_b64 v1, v[98:99]
	ds_write2_b64 v236, v[80:81], v[148:149] offset0:35 offset1:36
	ds_write2_b64 v236, v[146:147], v[150:151] offset0:37 offset1:38
	ds_read_b64 v[228:229], v1
	s_waitcnt lgkmcnt(0)
	v_cmp_neq_f64_e32 vcc_lo, 0, v[228:229]
	s_and_b32 exec_lo, exec_lo, vcc_lo
	s_cbranch_execz .LBB77_174
; %bb.173:
	v_div_scale_f64 v[230:231], null, v[228:229], v[228:229], 1.0
	v_rcp_f64_e32 v[232:233], v[230:231]
	v_fma_f64 v[234:235], -v[230:231], v[232:233], 1.0
	v_fma_f64 v[232:233], v[232:233], v[234:235], v[232:233]
	v_fma_f64 v[234:235], -v[230:231], v[232:233], 1.0
	v_fma_f64 v[232:233], v[232:233], v[234:235], v[232:233]
	v_div_scale_f64 v[234:235], vcc_lo, 1.0, v[228:229], 1.0
	v_mul_f64 v[237:238], v[234:235], v[232:233]
	v_fma_f64 v[230:231], -v[230:231], v[237:238], v[234:235]
	v_div_fmas_f64 v[230:231], v[230:231], v[232:233], v[237:238]
	v_div_fixup_f64 v[228:229], v[230:231], v[228:229], 1.0
	ds_write_b64 v1, v[228:229]
.LBB77_174:
	s_or_b32 exec_lo, exec_lo, s1
	s_waitcnt lgkmcnt(0)
	s_barrier
	buffer_gl0_inv
	ds_read_b64 v[228:229], v1
	s_mov_b32 s1, exec_lo
	v_cmpx_lt_u32_e32 34, v0
	s_cbranch_execz .LBB77_176
; %bb.175:
	s_waitcnt lgkmcnt(0)
	v_mul_f64 v[98:99], v[228:229], v[98:99]
	ds_read2_b64 v[230:233], v236 offset0:35 offset1:36
	ds_read2_b64 v[237:240], v236 offset0:37 offset1:38
	s_waitcnt lgkmcnt(1)
	v_fma_f64 v[80:81], -v[98:99], v[230:231], v[80:81]
	v_fma_f64 v[148:149], -v[98:99], v[232:233], v[148:149]
	s_waitcnt lgkmcnt(0)
	v_fma_f64 v[146:147], -v[98:99], v[237:238], v[146:147]
	v_fma_f64 v[150:151], -v[98:99], v[239:240], v[150:151]
.LBB77_176:
	s_or_b32 exec_lo, exec_lo, s1
	s_mov_b32 s1, exec_lo
	s_waitcnt lgkmcnt(0)
	s_barrier
	buffer_gl0_inv
	v_cmpx_eq_u32_e32 35, v0
	s_cbranch_execz .LBB77_179
; %bb.177:
	v_mov_b32_e32 v230, v148
	v_mov_b32_e32 v231, v149
	;; [unrolled: 1-line block ×4, first 2 shown]
	ds_write_b64 v1, v[80:81]
	ds_write2_b64 v236, v[230:231], v[232:233] offset0:36 offset1:37
	ds_write_b64 v236, v[150:151] offset:304
	ds_read_b64 v[230:231], v1
	s_waitcnt lgkmcnt(0)
	v_cmp_neq_f64_e32 vcc_lo, 0, v[230:231]
	s_and_b32 exec_lo, exec_lo, vcc_lo
	s_cbranch_execz .LBB77_179
; %bb.178:
	v_div_scale_f64 v[232:233], null, v[230:231], v[230:231], 1.0
	v_rcp_f64_e32 v[234:235], v[232:233]
	v_fma_f64 v[237:238], -v[232:233], v[234:235], 1.0
	v_fma_f64 v[234:235], v[234:235], v[237:238], v[234:235]
	v_fma_f64 v[237:238], -v[232:233], v[234:235], 1.0
	v_fma_f64 v[234:235], v[234:235], v[237:238], v[234:235]
	v_div_scale_f64 v[237:238], vcc_lo, 1.0, v[230:231], 1.0
	v_mul_f64 v[239:240], v[237:238], v[234:235]
	v_fma_f64 v[232:233], -v[232:233], v[239:240], v[237:238]
	v_div_fmas_f64 v[232:233], v[232:233], v[234:235], v[239:240]
	v_div_fixup_f64 v[230:231], v[232:233], v[230:231], 1.0
	ds_write_b64 v1, v[230:231]
.LBB77_179:
	s_or_b32 exec_lo, exec_lo, s1
	s_waitcnt lgkmcnt(0)
	s_barrier
	buffer_gl0_inv
	ds_read_b64 v[230:231], v1
	s_mov_b32 s1, exec_lo
	v_cmpx_lt_u32_e32 35, v0
	s_cbranch_execz .LBB77_181
; %bb.180:
	s_waitcnt lgkmcnt(0)
	v_mul_f64 v[80:81], v[230:231], v[80:81]
	ds_read2_b64 v[232:235], v236 offset0:36 offset1:37
	ds_read_b64 v[237:238], v236 offset:304
	s_waitcnt lgkmcnt(1)
	v_fma_f64 v[148:149], -v[80:81], v[232:233], v[148:149]
	v_fma_f64 v[146:147], -v[80:81], v[234:235], v[146:147]
	s_waitcnt lgkmcnt(0)
	v_fma_f64 v[150:151], -v[80:81], v[237:238], v[150:151]
.LBB77_181:
	s_or_b32 exec_lo, exec_lo, s1
	s_mov_b32 s1, exec_lo
	s_waitcnt lgkmcnt(0)
	s_barrier
	buffer_gl0_inv
	v_cmpx_eq_u32_e32 36, v0
	s_cbranch_execz .LBB77_184
; %bb.182:
	ds_write_b64 v1, v[148:149]
	ds_write2_b64 v236, v[146:147], v[150:151] offset0:37 offset1:38
	ds_read_b64 v[232:233], v1
	s_waitcnt lgkmcnt(0)
	v_cmp_neq_f64_e32 vcc_lo, 0, v[232:233]
	s_and_b32 exec_lo, exec_lo, vcc_lo
	s_cbranch_execz .LBB77_184
; %bb.183:
	v_div_scale_f64 v[234:235], null, v[232:233], v[232:233], 1.0
	v_rcp_f64_e32 v[237:238], v[234:235]
	v_fma_f64 v[239:240], -v[234:235], v[237:238], 1.0
	v_fma_f64 v[237:238], v[237:238], v[239:240], v[237:238]
	v_fma_f64 v[239:240], -v[234:235], v[237:238], 1.0
	v_fma_f64 v[237:238], v[237:238], v[239:240], v[237:238]
	v_div_scale_f64 v[239:240], vcc_lo, 1.0, v[232:233], 1.0
	v_mul_f64 v[241:242], v[239:240], v[237:238]
	v_fma_f64 v[234:235], -v[234:235], v[241:242], v[239:240]
	v_div_fmas_f64 v[234:235], v[234:235], v[237:238], v[241:242]
	v_div_fixup_f64 v[232:233], v[234:235], v[232:233], 1.0
	ds_write_b64 v1, v[232:233]
.LBB77_184:
	s_or_b32 exec_lo, exec_lo, s1
	s_waitcnt lgkmcnt(0)
	s_barrier
	buffer_gl0_inv
	ds_read_b64 v[232:233], v1
	s_mov_b32 s1, exec_lo
	v_cmpx_lt_u32_e32 36, v0
	s_cbranch_execz .LBB77_186
; %bb.185:
	s_waitcnt lgkmcnt(0)
	v_mul_f64 v[148:149], v[232:233], v[148:149]
	ds_read2_b64 v[237:240], v236 offset0:37 offset1:38
	s_waitcnt lgkmcnt(0)
	v_fma_f64 v[146:147], -v[148:149], v[237:238], v[146:147]
	v_fma_f64 v[150:151], -v[148:149], v[239:240], v[150:151]
.LBB77_186:
	s_or_b32 exec_lo, exec_lo, s1
	s_mov_b32 s1, exec_lo
	s_waitcnt lgkmcnt(0)
	s_barrier
	buffer_gl0_inv
	v_cmpx_eq_u32_e32 37, v0
	s_cbranch_execz .LBB77_189
; %bb.187:
	ds_write_b64 v1, v[146:147]
	ds_write_b64 v236, v[150:151] offset:304
	ds_read_b64 v[234:235], v1
	s_waitcnt lgkmcnt(0)
	v_cmp_neq_f64_e32 vcc_lo, 0, v[234:235]
	s_and_b32 exec_lo, exec_lo, vcc_lo
	s_cbranch_execz .LBB77_189
; %bb.188:
	v_div_scale_f64 v[237:238], null, v[234:235], v[234:235], 1.0
	v_rcp_f64_e32 v[239:240], v[237:238]
	v_fma_f64 v[241:242], -v[237:238], v[239:240], 1.0
	v_fma_f64 v[239:240], v[239:240], v[241:242], v[239:240]
	v_fma_f64 v[241:242], -v[237:238], v[239:240], 1.0
	v_fma_f64 v[239:240], v[239:240], v[241:242], v[239:240]
	v_div_scale_f64 v[241:242], vcc_lo, 1.0, v[234:235], 1.0
	v_mul_f64 v[243:244], v[241:242], v[239:240]
	v_fma_f64 v[237:238], -v[237:238], v[243:244], v[241:242]
	v_div_fmas_f64 v[237:238], v[237:238], v[239:240], v[243:244]
	v_div_fixup_f64 v[234:235], v[237:238], v[234:235], 1.0
	ds_write_b64 v1, v[234:235]
.LBB77_189:
	s_or_b32 exec_lo, exec_lo, s1
	s_waitcnt lgkmcnt(0)
	s_barrier
	buffer_gl0_inv
	ds_read_b64 v[234:235], v1
	s_mov_b32 s1, exec_lo
	v_cmpx_lt_u32_e32 37, v0
	s_cbranch_execz .LBB77_191
; %bb.190:
	s_waitcnt lgkmcnt(0)
	v_mul_f64 v[146:147], v[234:235], v[146:147]
	ds_read_b64 v[236:237], v236 offset:304
	s_waitcnt lgkmcnt(0)
	v_fma_f64 v[150:151], -v[146:147], v[236:237], v[150:151]
.LBB77_191:
	s_or_b32 exec_lo, exec_lo, s1
	s_mov_b32 s1, exec_lo
	s_waitcnt lgkmcnt(0)
	s_barrier
	buffer_gl0_inv
	v_cmpx_eq_u32_e32 38, v0
	s_cbranch_execz .LBB77_194
; %bb.192:
	v_cmp_neq_f64_e32 vcc_lo, 0, v[150:151]
	ds_write_b64 v1, v[150:151]
	s_and_b32 exec_lo, exec_lo, vcc_lo
	s_cbranch_execz .LBB77_194
; %bb.193:
	v_div_scale_f64 v[236:237], null, v[150:151], v[150:151], 1.0
	v_rcp_f64_e32 v[238:239], v[236:237]
	v_fma_f64 v[240:241], -v[236:237], v[238:239], 1.0
	v_fma_f64 v[238:239], v[238:239], v[240:241], v[238:239]
	v_fma_f64 v[240:241], -v[236:237], v[238:239], 1.0
	v_fma_f64 v[238:239], v[238:239], v[240:241], v[238:239]
	v_div_scale_f64 v[240:241], vcc_lo, 1.0, v[150:151], 1.0
	v_mul_f64 v[242:243], v[240:241], v[238:239]
	v_fma_f64 v[236:237], -v[236:237], v[242:243], v[240:241]
	v_div_fmas_f64 v[236:237], v[236:237], v[238:239], v[242:243]
	v_div_fixup_f64 v[236:237], v[236:237], v[150:151], 1.0
	ds_write_b64 v1, v[236:237]
.LBB77_194:
	s_or_b32 exec_lo, exec_lo, s1
	s_waitcnt lgkmcnt(0)
	s_barrier
	buffer_gl0_inv
	ds_read_b64 v[236:237], v1
	s_waitcnt lgkmcnt(0)
	s_barrier
	buffer_gl0_inv
	s_and_saveexec_b32 s6, s0
	s_cbranch_execz .LBB77_197
; %bb.195:
	v_cmp_eq_f64_e32 vcc_lo, 0, v[160:161]
	v_cmp_neq_f64_e64 s0, 0, v[162:163]
	v_cmp_eq_f64_e64 s1, 0, v[164:165]
	v_cmp_eq_f64_e64 s2, 0, v[166:167]
	s_load_dwordx2 s[4:5], s[4:5], 0x28
	v_cndmask_b32_e64 v1, 0, 1, vcc_lo
	s_or_b32 vcc_lo, s0, vcc_lo
	v_cmp_eq_f64_e64 s0, 0, v[168:169]
	v_cndmask_b32_e32 v1, 2, v1, vcc_lo
	v_cmp_eq_u32_e32 vcc_lo, 0, v1
	s_and_b32 s1, s1, vcc_lo
	v_cndmask_b32_e64 v1, v1, 3, s1
	v_cmp_eq_f64_e64 s1, 0, v[170:171]
	v_cmp_eq_u32_e32 vcc_lo, 0, v1
	s_and_b32 s2, s2, vcc_lo
	v_cndmask_b32_e64 v1, v1, 4, s2
	v_cmp_eq_f64_e64 s2, 0, v[172:173]
	;; [unrolled: 4-line block ×6, first 2 shown]
	v_cmp_eq_u32_e32 vcc_lo, 0, v1
	s_and_b32 s1, s1, vcc_lo
	v_cmp_eq_f64_e32 vcc_lo, 0, v[182:183]
	v_cndmask_b32_e64 v160, v1, 9, s1
	v_lshlrev_b64 v[1:2], 2, v[2:3]
	v_cmp_eq_u32_e64 s1, 0, v160
	s_waitcnt lgkmcnt(0)
	v_add_co_u32 v1, s3, s4, v1
	v_add_co_ci_u32_e64 v2, null, s5, v2, s3
	s_and_b32 s1, s2, s1
	v_cmp_eq_f64_e64 s2, 0, v[184:185]
	v_cndmask_b32_e64 v3, v160, 10, s1
	global_load_dword v160, v[1:2], off
	v_cmp_eq_u32_e64 s1, 0, v3
	s_and_b32 s0, s0, s1
	v_cmp_eq_f64_e64 s1, 0, v[186:187]
	v_cndmask_b32_e64 v3, v3, 11, s0
	v_cmp_eq_u32_e64 s0, 0, v3
	s_and_b32 s0, vcc_lo, s0
	v_cndmask_b32_e64 v3, v3, 12, s0
	v_cmp_eq_f64_e64 s0, 0, v[188:189]
	v_cmp_eq_u32_e32 vcc_lo, 0, v3
	s_and_b32 s2, s2, vcc_lo
	v_cndmask_b32_e64 v3, v3, 13, s2
	v_cmp_eq_f64_e64 s2, 0, v[190:191]
	v_cmp_eq_u32_e32 vcc_lo, 0, v3
	s_and_b32 s1, s1, vcc_lo
	;; [unrolled: 4-line block ×25, first 2 shown]
	v_cndmask_b32_e64 v3, v3, 37, s2
	v_cmp_eq_u32_e32 vcc_lo, 0, v3
	s_and_b32 s1, s1, vcc_lo
	v_cndmask_b32_e64 v3, v3, 38, s1
	v_cmp_eq_u32_e32 vcc_lo, 0, v3
	s_and_b32 s0, s0, vcc_lo
	s_waitcnt vmcnt(0)
	v_cmp_eq_u32_e32 vcc_lo, 0, v160
	v_cndmask_b32_e64 v3, v3, 39, s0
	v_cmp_ne_u32_e64 s0, 0, v3
	s_and_b32 s0, vcc_lo, s0
	s_and_b32 exec_lo, exec_lo, s0
	s_cbranch_execz .LBB77_197
; %bb.196:
	v_add_nc_u32_e32 v3, s9, v3
	global_store_dword v[1:2], v3, off
.LBB77_197:
	s_or_b32 exec_lo, exec_lo, s6
	v_mul_f64 v[1:2], v[236:237], v[150:151]
	v_cmp_lt_u32_e32 vcc_lo, 38, v0
	flat_store_dwordx2 v[78:79], v[152:153]
	flat_store_dwordx2 v[144:145], v[156:157]
	;; [unrolled: 1-line block ×19, first 2 shown]
	v_cndmask_b32_e32 v2, v151, v2, vcc_lo
	v_cndmask_b32_e32 v1, v150, v1, vcc_lo
	flat_store_dwordx2 v[36:37], v[96:97]
	flat_store_dwordx2 v[40:41], v[112:113]
	flat_store_dwordx2 v[42:43], v[94:95]
	flat_store_dwordx2 v[44:45], v[110:111]
	flat_store_dwordx2 v[46:47], v[92:93]
	flat_store_dwordx2 v[48:49], v[108:109]
	flat_store_dwordx2 v[50:51], v[90:91]
	flat_store_dwordx2 v[52:53], v[106:107]
	flat_store_dwordx2 v[54:55], v[88:89]
	flat_store_dwordx2 v[56:57], v[104:105]
	flat_store_dwordx2 v[58:59], v[86:87]
	flat_store_dwordx2 v[60:61], v[102:103]
	flat_store_dwordx2 v[62:63], v[84:85]
	flat_store_dwordx2 v[64:65], v[100:101]
	flat_store_dwordx2 v[66:67], v[82:83]
	flat_store_dwordx2 v[68:69], v[98:99]
	flat_store_dwordx2 v[70:71], v[80:81]
	flat_store_dwordx2 v[72:73], v[148:149]
	flat_store_dwordx2 v[74:75], v[146:147]
	flat_store_dwordx2 v[76:77], v[1:2]
.LBB77_198:
	s_endpgm
	.section	.rodata,"a",@progbits
	.p2align	6, 0x0
	.amdhsa_kernel _ZN9rocsolver6v33100L23getf2_npvt_small_kernelILi39EdiiPKPdEEvT1_T3_lS5_lPT2_S5_S5_
		.amdhsa_group_segment_fixed_size 0
		.amdhsa_private_segment_fixed_size 0
		.amdhsa_kernarg_size 312
		.amdhsa_user_sgpr_count 6
		.amdhsa_user_sgpr_private_segment_buffer 1
		.amdhsa_user_sgpr_dispatch_ptr 0
		.amdhsa_user_sgpr_queue_ptr 0
		.amdhsa_user_sgpr_kernarg_segment_ptr 1
		.amdhsa_user_sgpr_dispatch_id 0
		.amdhsa_user_sgpr_flat_scratch_init 0
		.amdhsa_user_sgpr_private_segment_size 0
		.amdhsa_wavefront_size32 1
		.amdhsa_uses_dynamic_stack 0
		.amdhsa_system_sgpr_private_segment_wavefront_offset 0
		.amdhsa_system_sgpr_workgroup_id_x 1
		.amdhsa_system_sgpr_workgroup_id_y 1
		.amdhsa_system_sgpr_workgroup_id_z 0
		.amdhsa_system_sgpr_workgroup_info 0
		.amdhsa_system_vgpr_workitem_id 1
		.amdhsa_next_free_vgpr 245
		.amdhsa_next_free_sgpr 11
		.amdhsa_reserve_vcc 1
		.amdhsa_reserve_flat_scratch 1
		.amdhsa_float_round_mode_32 0
		.amdhsa_float_round_mode_16_64 0
		.amdhsa_float_denorm_mode_32 3
		.amdhsa_float_denorm_mode_16_64 3
		.amdhsa_dx10_clamp 1
		.amdhsa_ieee_mode 1
		.amdhsa_fp16_overflow 0
		.amdhsa_workgroup_processor_mode 1
		.amdhsa_memory_ordered 1
		.amdhsa_forward_progress 1
		.amdhsa_shared_vgpr_count 0
		.amdhsa_exception_fp_ieee_invalid_op 0
		.amdhsa_exception_fp_denorm_src 0
		.amdhsa_exception_fp_ieee_div_zero 0
		.amdhsa_exception_fp_ieee_overflow 0
		.amdhsa_exception_fp_ieee_underflow 0
		.amdhsa_exception_fp_ieee_inexact 0
		.amdhsa_exception_int_div_zero 0
	.end_amdhsa_kernel
	.section	.text._ZN9rocsolver6v33100L23getf2_npvt_small_kernelILi39EdiiPKPdEEvT1_T3_lS5_lPT2_S5_S5_,"axG",@progbits,_ZN9rocsolver6v33100L23getf2_npvt_small_kernelILi39EdiiPKPdEEvT1_T3_lS5_lPT2_S5_S5_,comdat
.Lfunc_end77:
	.size	_ZN9rocsolver6v33100L23getf2_npvt_small_kernelILi39EdiiPKPdEEvT1_T3_lS5_lPT2_S5_S5_, .Lfunc_end77-_ZN9rocsolver6v33100L23getf2_npvt_small_kernelILi39EdiiPKPdEEvT1_T3_lS5_lPT2_S5_S5_
                                        ; -- End function
	.set _ZN9rocsolver6v33100L23getf2_npvt_small_kernelILi39EdiiPKPdEEvT1_T3_lS5_lPT2_S5_S5_.num_vgpr, 245
	.set _ZN9rocsolver6v33100L23getf2_npvt_small_kernelILi39EdiiPKPdEEvT1_T3_lS5_lPT2_S5_S5_.num_agpr, 0
	.set _ZN9rocsolver6v33100L23getf2_npvt_small_kernelILi39EdiiPKPdEEvT1_T3_lS5_lPT2_S5_S5_.numbered_sgpr, 11
	.set _ZN9rocsolver6v33100L23getf2_npvt_small_kernelILi39EdiiPKPdEEvT1_T3_lS5_lPT2_S5_S5_.num_named_barrier, 0
	.set _ZN9rocsolver6v33100L23getf2_npvt_small_kernelILi39EdiiPKPdEEvT1_T3_lS5_lPT2_S5_S5_.private_seg_size, 0
	.set _ZN9rocsolver6v33100L23getf2_npvt_small_kernelILi39EdiiPKPdEEvT1_T3_lS5_lPT2_S5_S5_.uses_vcc, 1
	.set _ZN9rocsolver6v33100L23getf2_npvt_small_kernelILi39EdiiPKPdEEvT1_T3_lS5_lPT2_S5_S5_.uses_flat_scratch, 1
	.set _ZN9rocsolver6v33100L23getf2_npvt_small_kernelILi39EdiiPKPdEEvT1_T3_lS5_lPT2_S5_S5_.has_dyn_sized_stack, 0
	.set _ZN9rocsolver6v33100L23getf2_npvt_small_kernelILi39EdiiPKPdEEvT1_T3_lS5_lPT2_S5_S5_.has_recursion, 0
	.set _ZN9rocsolver6v33100L23getf2_npvt_small_kernelILi39EdiiPKPdEEvT1_T3_lS5_lPT2_S5_S5_.has_indirect_call, 0
	.section	.AMDGPU.csdata,"",@progbits
; Kernel info:
; codeLenInByte = 27432
; TotalNumSgprs: 13
; NumVgprs: 245
; ScratchSize: 0
; MemoryBound: 0
; FloatMode: 240
; IeeeMode: 1
; LDSByteSize: 0 bytes/workgroup (compile time only)
; SGPRBlocks: 0
; VGPRBlocks: 30
; NumSGPRsForWavesPerEU: 13
; NumVGPRsForWavesPerEU: 245
; Occupancy: 4
; WaveLimiterHint : 1
; COMPUTE_PGM_RSRC2:SCRATCH_EN: 0
; COMPUTE_PGM_RSRC2:USER_SGPR: 6
; COMPUTE_PGM_RSRC2:TRAP_HANDLER: 0
; COMPUTE_PGM_RSRC2:TGID_X_EN: 1
; COMPUTE_PGM_RSRC2:TGID_Y_EN: 1
; COMPUTE_PGM_RSRC2:TGID_Z_EN: 0
; COMPUTE_PGM_RSRC2:TIDIG_COMP_CNT: 1
	.section	.text._ZN9rocsolver6v33100L18getf2_small_kernelILi40EdiiPKPdEEvT1_T3_lS5_lPS5_llPT2_S5_S5_S7_l,"axG",@progbits,_ZN9rocsolver6v33100L18getf2_small_kernelILi40EdiiPKPdEEvT1_T3_lS5_lPS5_llPT2_S5_S5_S7_l,comdat
	.globl	_ZN9rocsolver6v33100L18getf2_small_kernelILi40EdiiPKPdEEvT1_T3_lS5_lPS5_llPT2_S5_S5_S7_l ; -- Begin function _ZN9rocsolver6v33100L18getf2_small_kernelILi40EdiiPKPdEEvT1_T3_lS5_lPS5_llPT2_S5_S5_S7_l
	.p2align	8
	.type	_ZN9rocsolver6v33100L18getf2_small_kernelILi40EdiiPKPdEEvT1_T3_lS5_lPS5_llPT2_S5_S5_S7_l,@function
_ZN9rocsolver6v33100L18getf2_small_kernelILi40EdiiPKPdEEvT1_T3_lS5_lPS5_llPT2_S5_S5_S7_l: ; @_ZN9rocsolver6v33100L18getf2_small_kernelILi40EdiiPKPdEEvT1_T3_lS5_lPS5_llPT2_S5_S5_S7_l
; %bb.0:
	s_clause 0x1
	s_load_dword s0, s[4:5], 0x6c
	s_load_dwordx2 s[12:13], s[4:5], 0x48
	s_waitcnt lgkmcnt(0)
	s_lshr_b32 s0, s0, 16
	v_mad_u64_u32 v[2:3], null, s7, s0, v[1:2]
	s_mov_b32 s0, exec_lo
	v_cmpx_gt_i32_e64 s12, v2
	s_cbranch_execz .LBB78_677
; %bb.1:
	s_clause 0x1
	s_load_dwordx4 s[0:3], s[4:5], 0x8
	s_load_dwordx4 s[8:11], s[4:5], 0x50
	v_ashrrev_i32_e32 v3, 31, v2
	v_lshlrev_b64 v[4:5], 3, v[2:3]
	s_waitcnt lgkmcnt(0)
	v_add_co_u32 v4, vcc_lo, s0, v4
	v_add_co_ci_u32_e64 v5, null, s1, v5, vcc_lo
	s_cmp_eq_u64 s[8:9], 0
	s_cselect_b32 s6, -1, 0
	global_load_dwordx2 v[6:7], v[4:5], off
	v_mov_b32_e32 v4, 0
	v_mov_b32_e32 v5, 0
	s_and_b32 vcc_lo, exec_lo, s6
	s_cbranch_vccnz .LBB78_3
; %bb.2:
	v_mul_lo_u32 v8, s11, v2
	v_mul_lo_u32 v9, s10, v3
	v_mad_u64_u32 v[4:5], null, s10, v2, 0
	v_add3_u32 v5, v5, v9, v8
	v_lshlrev_b64 v[4:5], 2, v[4:5]
	v_add_co_u32 v4, vcc_lo, s8, v4
	v_add_co_ci_u32_e64 v5, null, s9, v5, vcc_lo
.LBB78_3:
	s_clause 0x1
	s_load_dword s8, s[4:5], 0x18
	s_load_dword s7, s[4:5], 0x0
	s_lshl_b64 s[0:1], s[2:3], 3
	v_lshlrev_b32_e32 v124, 3, v0
	s_waitcnt vmcnt(0)
	v_add_co_u32 v90, vcc_lo, v6, s0
	v_add_co_ci_u32_e64 v91, null, s1, v7, vcc_lo
	s_waitcnt lgkmcnt(0)
	v_add3_u32 v8, s8, s8, v0
	s_ashr_i32 s9, s8, 31
	s_max_i32 s0, s7, 40
	s_lshl_b64 s[10:11], s[8:9], 3
	v_mul_lo_u32 v1, s0, v1
	v_add_nc_u32_e32 v10, s8, v8
	v_ashrrev_i32_e32 v9, 31, v8
	s_cmp_lt_i32 s7, 2
	v_ashrrev_i32_e32 v11, 31, v10
	v_add_nc_u32_e32 v12, s8, v10
	v_lshlrev_b64 v[8:9], 3, v[8:9]
	v_lshlrev_b64 v[6:7], 3, v[10:11]
	v_add_nc_u32_e32 v10, s8, v12
	v_ashrrev_i32_e32 v13, 31, v12
	v_add_co_u32 v8, vcc_lo, v90, v8
	v_add_co_ci_u32_e64 v9, null, v91, v9, vcc_lo
	v_add_nc_u32_e32 v14, s8, v10
	v_ashrrev_i32_e32 v11, 31, v10
	v_lshlrev_b64 v[12:13], 3, v[12:13]
	v_add_co_u32 v6, vcc_lo, v90, v6
	v_add_nc_u32_e32 v16, s8, v14
	v_ashrrev_i32_e32 v15, 31, v14
	v_lshlrev_b64 v[10:11], 3, v[10:11]
	v_add_co_ci_u32_e64 v7, null, v91, v7, vcc_lo
	v_add_nc_u32_e32 v18, s8, v16
	v_ashrrev_i32_e32 v17, 31, v16
	v_lshlrev_b64 v[14:15], 3, v[14:15]
	v_add_co_u32 v12, vcc_lo, v90, v12
	v_add_nc_u32_e32 v20, s8, v18
	v_ashrrev_i32_e32 v19, 31, v18
	v_lshlrev_b64 v[16:17], 3, v[16:17]
	v_add_co_ci_u32_e64 v13, null, v91, v13, vcc_lo
	v_add_nc_u32_e32 v22, s8, v20
	v_ashrrev_i32_e32 v21, 31, v20
	v_add_co_u32 v10, vcc_lo, v90, v10
	v_lshlrev_b64 v[18:19], 3, v[18:19]
	v_add_nc_u32_e32 v24, s8, v22
	v_ashrrev_i32_e32 v23, 31, v22
	v_add_co_ci_u32_e64 v11, null, v91, v11, vcc_lo
	v_add_co_u32 v14, vcc_lo, v90, v14
	v_add_nc_u32_e32 v26, s8, v24
	v_ashrrev_i32_e32 v25, 31, v24
	v_lshlrev_b64 v[20:21], 3, v[20:21]
	v_add_co_ci_u32_e64 v15, null, v91, v15, vcc_lo
	v_add_nc_u32_e32 v28, s8, v26
	v_ashrrev_i32_e32 v27, 31, v26
	v_add_co_u32 v16, vcc_lo, v90, v16
	v_lshlrev_b64 v[22:23], 3, v[22:23]
	v_add_nc_u32_e32 v30, s8, v28
	v_ashrrev_i32_e32 v29, 31, v28
	v_add_co_ci_u32_e64 v17, null, v91, v17, vcc_lo
	v_add_co_u32 v18, vcc_lo, v90, v18
	v_add_nc_u32_e32 v32, s8, v30
	v_lshlrev_b64 v[24:25], 3, v[24:25]
	v_ashrrev_i32_e32 v31, 31, v30
	v_add_co_ci_u32_e64 v19, null, v91, v19, vcc_lo
	v_add_nc_u32_e32 v34, s8, v32
	v_add_co_u32 v20, vcc_lo, v90, v20
	v_lshlrev_b64 v[26:27], 3, v[26:27]
	v_ashrrev_i32_e32 v33, 31, v32
	v_add_nc_u32_e32 v36, s8, v34
	v_add_co_ci_u32_e64 v21, null, v91, v21, vcc_lo
	v_add_co_u32 v22, vcc_lo, v90, v22
	v_add_nc_u32_e32 v38, s8, v36
	v_lshlrev_b64 v[28:29], 3, v[28:29]
	v_ashrrev_i32_e32 v35, 31, v34
	v_add_co_ci_u32_e64 v23, null, v91, v23, vcc_lo
	v_add_nc_u32_e32 v40, s8, v38
	v_add_co_u32 v24, vcc_lo, v90, v24
	v_lshlrev_b64 v[30:31], 3, v[30:31]
	v_ashrrev_i32_e32 v37, 31, v36
	v_add_nc_u32_e32 v42, s8, v40
	v_add_co_ci_u32_e64 v25, null, v91, v25, vcc_lo
	v_add_co_u32 v26, vcc_lo, v90, v26
	v_lshlrev_b64 v[32:33], 3, v[32:33]
	v_add_nc_u32_e32 v44, s8, v42
	v_ashrrev_i32_e32 v39, 31, v38
	v_add_co_ci_u32_e64 v27, null, v91, v27, vcc_lo
	v_add_co_u32 v28, vcc_lo, v90, v28
	v_lshlrev_b64 v[34:35], 3, v[34:35]
	v_ashrrev_i32_e32 v41, 31, v40
	v_add_co_ci_u32_e64 v29, null, v91, v29, vcc_lo
	v_add_co_u32 v30, vcc_lo, v90, v30
	v_lshlrev_b64 v[36:37], 3, v[36:37]
	v_ashrrev_i32_e32 v43, 31, v42
	v_add_nc_u32_e32 v46, s8, v44
	v_add_co_ci_u32_e64 v31, null, v91, v31, vcc_lo
	v_add_co_u32 v32, vcc_lo, v90, v32
	v_lshlrev_b64 v[38:39], 3, v[38:39]
	v_ashrrev_i32_e32 v45, 31, v44
	v_add_co_ci_u32_e64 v33, null, v91, v33, vcc_lo
	v_add_co_u32 v34, vcc_lo, v90, v34
	v_lshlrev_b64 v[40:41], 3, v[40:41]
	v_add_co_ci_u32_e64 v35, null, v91, v35, vcc_lo
	v_add_co_u32 v36, vcc_lo, v90, v36
	v_lshlrev_b64 v[42:43], 3, v[42:43]
	v_add_nc_u32_e32 v48, s8, v46
	v_add_co_ci_u32_e64 v37, null, v91, v37, vcc_lo
	v_add_co_u32 v38, vcc_lo, v90, v38
	v_lshlrev_b64 v[44:45], 3, v[44:45]
	v_ashrrev_i32_e32 v47, 31, v46
	v_add_co_ci_u32_e64 v39, null, v91, v39, vcc_lo
	v_add_co_u32 v40, vcc_lo, v90, v40
	v_ashrrev_i32_e32 v49, 31, v48
	v_add_nc_u32_e32 v50, s8, v48
	v_add_co_ci_u32_e64 v41, null, v91, v41, vcc_lo
	v_add_co_u32 v42, vcc_lo, v90, v42
	v_lshlrev_b64 v[46:47], 3, v[46:47]
	v_add_co_ci_u32_e64 v43, null, v91, v43, vcc_lo
	v_add_co_u32 v84, vcc_lo, v90, v44
	v_add_co_ci_u32_e64 v85, null, v91, v45, vcc_lo
	v_lshlrev_b64 v[44:45], 3, v[48:49]
	v_ashrrev_i32_e32 v51, 31, v50
	v_add_nc_u32_e32 v48, s8, v50
	v_add_co_u32 v86, vcc_lo, v90, v46
	v_add_co_ci_u32_e64 v87, null, v91, v47, vcc_lo
	v_lshlrev_b64 v[46:47], 3, v[50:51]
	v_ashrrev_i32_e32 v49, 31, v48
	v_add_nc_u32_e32 v50, s8, v48
	;; [unrolled: 5-line block ×13, first 2 shown]
	v_add_co_u32 v112, vcc_lo, v90, v46
	v_add_co_ci_u32_e64 v113, null, v91, v47, vcc_lo
	v_lshlrev_b64 v[46:47], 3, v[50:51]
	v_add_nc_u32_e32 v50, s8, v48
	v_ashrrev_i32_e32 v49, 31, v48
	v_add_co_u32 v114, vcc_lo, v90, v44
	v_add_co_ci_u32_e64 v115, null, v91, v45, vcc_lo
	v_ashrrev_i32_e32 v51, 31, v50
	v_lshlrev_b64 v[44:45], 3, v[48:49]
	v_add_co_u32 v116, vcc_lo, v90, v46
	v_add_co_ci_u32_e64 v117, null, v91, v47, vcc_lo
	v_lshlrev_b64 v[46:47], 3, v[50:51]
	v_add_nc_u32_e32 v48, s8, v50
	v_add_co_u32 v118, vcc_lo, v90, v44
	v_add_co_ci_u32_e64 v119, null, v91, v45, vcc_lo
	v_ashrrev_i32_e32 v49, 31, v48
	v_add_co_u32 v120, vcc_lo, v90, v46
	v_add_co_ci_u32_e64 v121, null, v91, v47, vcc_lo
	v_add_co_u32 v46, vcc_lo, v90, v124
	v_add_co_ci_u32_e64 v47, null, 0, v91, vcc_lo
	v_lshlrev_b64 v[44:45], 3, v[48:49]
	v_add_co_u32 v48, vcc_lo, v46, s10
	v_add_co_ci_u32_e64 v49, null, s11, v47, vcc_lo
	v_add_co_u32 v122, vcc_lo, v90, v44
	v_add_co_ci_u32_e64 v123, null, v91, v45, vcc_lo
	s_clause 0x27
	flat_load_dwordx2 v[82:83], v[46:47]
	flat_load_dwordx2 v[78:79], v[48:49]
	flat_load_dwordx2 v[80:81], v[8:9]
	flat_load_dwordx2 v[74:75], v[6:7]
	flat_load_dwordx2 v[76:77], v[12:13]
	flat_load_dwordx2 v[72:73], v[10:11]
	flat_load_dwordx2 v[70:71], v[14:15]
	flat_load_dwordx2 v[68:69], v[16:17]
	flat_load_dwordx2 v[66:67], v[18:19]
	flat_load_dwordx2 v[64:65], v[20:21]
	flat_load_dwordx2 v[62:63], v[22:23]
	flat_load_dwordx2 v[58:59], v[24:25]
	flat_load_dwordx2 v[60:61], v[26:27]
	flat_load_dwordx2 v[54:55], v[28:29]
	flat_load_dwordx2 v[56:57], v[30:31]
	flat_load_dwordx2 v[52:53], v[32:33]
	flat_load_dwordx2 v[50:51], v[34:35]
	flat_load_dwordx2 v[48:49], v[36:37]
	flat_load_dwordx2 v[46:47], v[38:39]
	flat_load_dwordx2 v[44:45], v[40:41]
	flat_load_dwordx2 v[42:43], v[42:43]
	flat_load_dwordx2 v[38:39], v[84:85]
	flat_load_dwordx2 v[40:41], v[86:87]
	flat_load_dwordx2 v[34:35], v[88:89]
	flat_load_dwordx2 v[36:37], v[92:93]
	flat_load_dwordx2 v[32:33], v[94:95]
	flat_load_dwordx2 v[30:31], v[96:97]
	flat_load_dwordx2 v[28:29], v[98:99]
	flat_load_dwordx2 v[26:27], v[100:101]
	flat_load_dwordx2 v[24:25], v[102:103]
	flat_load_dwordx2 v[22:23], v[104:105]
	flat_load_dwordx2 v[18:19], v[106:107]
	flat_load_dwordx2 v[20:21], v[108:109]
	flat_load_dwordx2 v[16:17], v[110:111]
	flat_load_dwordx2 v[14:15], v[112:113]
	flat_load_dwordx2 v[8:9], v[114:115]
	flat_load_dwordx2 v[12:13], v[116:117]
	flat_load_dwordx2 v[6:7], v[118:119]
	flat_load_dwordx2 v[10:11], v[120:121]
	flat_load_dwordx2 v[84:85], v[122:123]
	v_lshl_add_u32 v92, v1, 3, 0
	v_lshlrev_b32_e32 v93, 3, v1
	v_mov_b32_e32 v88, 0
	v_add_nc_u32_e32 v86, v92, v124
	s_waitcnt vmcnt(39) lgkmcnt(39)
	ds_write_b64 v86, v[82:83]
	s_waitcnt vmcnt(0) lgkmcnt(0)
	s_barrier
	buffer_gl0_inv
	ds_read_b64 v[86:87], v92
	s_cbranch_scc1 .LBB78_6
; %bb.4:
	v_add3_u32 v1, v93, 0, 8
	v_mov_b32_e32 v88, 0
	s_mov_b32 s0, 1
.LBB78_5:                               ; =>This Inner Loop Header: Depth=1
	ds_read_b64 v[94:95], v1
	v_add_nc_u32_e32 v1, 8, v1
	s_waitcnt lgkmcnt(0)
	v_cmp_lt_f64_e64 vcc_lo, |v[86:87]|, |v[94:95]|
	v_cndmask_b32_e32 v87, v87, v95, vcc_lo
	v_cndmask_b32_e32 v86, v86, v94, vcc_lo
	v_cndmask_b32_e64 v88, v88, s0, vcc_lo
	s_add_i32 s0, s0, 1
	s_cmp_eq_u32 s7, s0
	s_cbranch_scc0 .LBB78_5
.LBB78_6:
	s_mov_b32 s0, exec_lo
                                        ; implicit-def: $vgpr95
	v_cmpx_ne_u32_e64 v0, v88
	s_xor_b32 s0, exec_lo, s0
	s_cbranch_execz .LBB78_12
; %bb.7:
	s_mov_b32 s1, exec_lo
	v_cmpx_eq_u32_e32 0, v0
	s_cbranch_execz .LBB78_11
; %bb.8:
	v_cmp_ne_u32_e32 vcc_lo, 0, v88
	s_xor_b32 s2, s6, -1
	s_and_b32 s3, s2, vcc_lo
	s_and_saveexec_b32 s2, s3
	s_cbranch_execz .LBB78_10
; %bb.9:
	v_ashrrev_i32_e32 v89, 31, v88
	v_lshlrev_b64 v[0:1], 2, v[88:89]
	v_add_co_u32 v0, vcc_lo, v4, v0
	v_add_co_ci_u32_e64 v1, null, v5, v1, vcc_lo
	s_clause 0x1
	global_load_dword v89, v[0:1], off
	global_load_dword v94, v[4:5], off
	s_waitcnt vmcnt(1)
	global_store_dword v[4:5], v89, off
	s_waitcnt vmcnt(0)
	global_store_dword v[0:1], v94, off
.LBB78_10:
	s_or_b32 exec_lo, exec_lo, s2
	v_mov_b32_e32 v0, v88
.LBB78_11:
	s_or_b32 exec_lo, exec_lo, s1
	v_mov_b32_e32 v95, v0
                                        ; implicit-def: $vgpr0
.LBB78_12:
	s_or_saveexec_b32 s0, s0
	v_mov_b32_e32 v94, v95
	s_xor_b32 exec_lo, exec_lo, s0
	s_cbranch_execz .LBB78_14
; %bb.13:
	v_mov_b32_e32 v95, 0
	v_mov_b32_e32 v94, v0
	ds_write2_b64 v92, v[78:79], v[80:81] offset0:1 offset1:2
	ds_write2_b64 v92, v[74:75], v[76:77] offset0:3 offset1:4
	;; [unrolled: 1-line block ×19, first 2 shown]
	ds_write_b64 v92, v[84:85] offset:312
.LBB78_14:
	s_or_b32 exec_lo, exec_lo, s0
	s_waitcnt lgkmcnt(0)
	v_cmp_eq_f64_e64 s0, 0, v[86:87]
	s_mov_b32 s1, exec_lo
	s_waitcnt_vscnt null, 0x0
	s_barrier
	buffer_gl0_inv
	v_cmpx_lt_i32_e32 0, v95
	s_cbranch_execz .LBB78_16
; %bb.15:
	v_div_scale_f64 v[0:1], null, v[86:87], v[86:87], 1.0
	v_div_scale_f64 v[98:99], vcc_lo, 1.0, v[86:87], 1.0
	v_rcp_f64_e32 v[88:89], v[0:1]
	v_fma_f64 v[96:97], -v[0:1], v[88:89], 1.0
	v_fma_f64 v[88:89], v[88:89], v[96:97], v[88:89]
	v_fma_f64 v[96:97], -v[0:1], v[88:89], 1.0
	v_fma_f64 v[88:89], v[88:89], v[96:97], v[88:89]
	v_mul_f64 v[96:97], v[98:99], v[88:89]
	v_fma_f64 v[0:1], -v[0:1], v[96:97], v[98:99]
	v_div_fmas_f64 v[0:1], v[0:1], v[88:89], v[96:97]
	v_div_fixup_f64 v[0:1], v[0:1], v[86:87], 1.0
	v_cndmask_b32_e64 v1, v1, v87, s0
	v_cndmask_b32_e64 v0, v0, v86, s0
	ds_read2_b64 v[86:89], v92 offset0:1 offset1:2
	ds_read2_b64 v[96:99], v92 offset0:3 offset1:4
	;; [unrolled: 1-line block ×18, first 2 shown]
	v_mul_f64 v[82:83], v[0:1], v[82:83]
	s_waitcnt lgkmcnt(17)
	v_fma_f64 v[78:79], -v[82:83], v[86:87], v[78:79]
	v_fma_f64 v[80:81], -v[82:83], v[88:89], v[80:81]
	ds_read2_b64 v[86:89], v92 offset0:37 offset1:38
	ds_read_b64 v[0:1], v92 offset:312
	s_waitcnt lgkmcnt(18)
	v_fma_f64 v[74:75], -v[82:83], v[96:97], v[74:75]
	v_fma_f64 v[76:77], -v[82:83], v[98:99], v[76:77]
	s_waitcnt lgkmcnt(17)
	v_fma_f64 v[72:73], -v[82:83], v[100:101], v[72:73]
	v_fma_f64 v[70:71], -v[82:83], v[102:103], v[70:71]
	;; [unrolled: 3-line block ×18, first 2 shown]
	s_waitcnt lgkmcnt(0)
	v_fma_f64 v[84:85], -v[82:83], v[0:1], v[84:85]
.LBB78_16:
	s_or_b32 exec_lo, exec_lo, s1
	v_lshl_add_u32 v0, v95, 3, v92
	s_barrier
	buffer_gl0_inv
	v_mov_b32_e32 v86, 1
	ds_write_b64 v0, v[78:79]
	s_waitcnt lgkmcnt(0)
	s_barrier
	buffer_gl0_inv
	ds_read_b64 v[0:1], v92 offset:8
	s_cmp_lt_i32 s7, 3
	s_cbranch_scc1 .LBB78_19
; %bb.17:
	v_add3_u32 v87, v93, 0, 16
	v_mov_b32_e32 v86, 1
	s_mov_b32 s1, 2
.LBB78_18:                              ; =>This Inner Loop Header: Depth=1
	ds_read_b64 v[88:89], v87
	v_add_nc_u32_e32 v87, 8, v87
	s_waitcnt lgkmcnt(0)
	v_cmp_lt_f64_e64 vcc_lo, |v[0:1]|, |v[88:89]|
	v_cndmask_b32_e32 v1, v1, v89, vcc_lo
	v_cndmask_b32_e32 v0, v0, v88, vcc_lo
	v_cndmask_b32_e64 v86, v86, s1, vcc_lo
	s_add_i32 s1, s1, 1
	s_cmp_lg_u32 s7, s1
	s_cbranch_scc1 .LBB78_18
.LBB78_19:
	s_mov_b32 s1, exec_lo
	v_cmpx_ne_u32_e64 v95, v86
	s_xor_b32 s1, exec_lo, s1
	s_cbranch_execz .LBB78_25
; %bb.20:
	s_mov_b32 s2, exec_lo
	v_cmpx_eq_u32_e32 1, v95
	s_cbranch_execz .LBB78_24
; %bb.21:
	v_cmp_ne_u32_e32 vcc_lo, 1, v86
	s_xor_b32 s3, s6, -1
	s_and_b32 s9, s3, vcc_lo
	s_and_saveexec_b32 s3, s9
	s_cbranch_execz .LBB78_23
; %bb.22:
	v_ashrrev_i32_e32 v87, 31, v86
	v_lshlrev_b64 v[87:88], 2, v[86:87]
	v_add_co_u32 v87, vcc_lo, v4, v87
	v_add_co_ci_u32_e64 v88, null, v5, v88, vcc_lo
	s_clause 0x1
	global_load_dword v89, v[87:88], off
	global_load_dword v94, v[4:5], off offset:4
	s_waitcnt vmcnt(1)
	global_store_dword v[4:5], v89, off offset:4
	s_waitcnt vmcnt(0)
	global_store_dword v[87:88], v94, off
.LBB78_23:
	s_or_b32 exec_lo, exec_lo, s3
	v_mov_b32_e32 v94, v86
	v_mov_b32_e32 v95, v86
.LBB78_24:
	s_or_b32 exec_lo, exec_lo, s2
.LBB78_25:
	s_andn2_saveexec_b32 s1, s1
	s_cbranch_execz .LBB78_27
; %bb.26:
	v_mov_b32_e32 v86, v80
	v_mov_b32_e32 v87, v81
	v_mov_b32_e32 v88, v74
	v_mov_b32_e32 v89, v75
	v_mov_b32_e32 v95, v76
	v_mov_b32_e32 v96, v77
	v_mov_b32_e32 v97, v72
	v_mov_b32_e32 v98, v73
	v_mov_b32_e32 v99, v70
	v_mov_b32_e32 v100, v71
	v_mov_b32_e32 v101, v68
	v_mov_b32_e32 v102, v69
	v_mov_b32_e32 v103, v66
	v_mov_b32_e32 v104, v67
	v_mov_b32_e32 v105, v64
	v_mov_b32_e32 v106, v65
	v_mov_b32_e32 v107, v62
	v_mov_b32_e32 v108, v63
	v_mov_b32_e32 v109, v58
	v_mov_b32_e32 v110, v59
	ds_write2_b64 v92, v[86:87], v[88:89] offset0:2 offset1:3
	ds_write2_b64 v92, v[95:96], v[97:98] offset0:4 offset1:5
	ds_write2_b64 v92, v[99:100], v[101:102] offset0:6 offset1:7
	ds_write2_b64 v92, v[103:104], v[105:106] offset0:8 offset1:9
	ds_write2_b64 v92, v[107:108], v[109:110] offset0:10 offset1:11
	v_mov_b32_e32 v86, v60
	v_mov_b32_e32 v87, v61
	v_mov_b32_e32 v88, v54
	v_mov_b32_e32 v89, v55
	v_mov_b32_e32 v95, v56
	v_mov_b32_e32 v96, v57
	v_mov_b32_e32 v97, v52
	v_mov_b32_e32 v98, v53
	v_mov_b32_e32 v99, v50
	v_mov_b32_e32 v100, v51
	v_mov_b32_e32 v101, v48
	v_mov_b32_e32 v102, v49
	v_mov_b32_e32 v103, v46
	v_mov_b32_e32 v104, v47
	v_mov_b32_e32 v105, v44
	v_mov_b32_e32 v106, v45
	v_mov_b32_e32 v107, v42
	v_mov_b32_e32 v108, v43
	v_mov_b32_e32 v109, v38
	v_mov_b32_e32 v110, v39
	ds_write2_b64 v92, v[86:87], v[88:89] offset0:12 offset1:13
	ds_write2_b64 v92, v[95:96], v[97:98] offset0:14 offset1:15
	ds_write2_b64 v92, v[99:100], v[101:102] offset0:16 offset1:17
	ds_write2_b64 v92, v[103:104], v[105:106] offset0:18 offset1:19
	ds_write2_b64 v92, v[107:108], v[109:110] offset0:20 offset1:21
	;; [unrolled: 25-line block ×3, first 2 shown]
	v_mov_b32_e32 v86, v20
	v_mov_b32_e32 v87, v21
	;; [unrolled: 1-line block ×15, first 2 shown]
	ds_write2_b64 v92, v[86:87], v[88:89] offset0:32 offset1:33
	ds_write2_b64 v92, v[96:97], v[98:99] offset0:34 offset1:35
	;; [unrolled: 1-line block ×4, first 2 shown]
.LBB78_27:
	s_or_b32 exec_lo, exec_lo, s1
	s_waitcnt lgkmcnt(0)
	v_cmp_neq_f64_e64 s1, 0, v[0:1]
	s_mov_b32 s2, exec_lo
	s_waitcnt_vscnt null, 0x0
	s_barrier
	buffer_gl0_inv
	v_cmpx_lt_i32_e32 1, v95
	s_cbranch_execz .LBB78_29
; %bb.28:
	v_div_scale_f64 v[86:87], null, v[0:1], v[0:1], 1.0
	v_div_scale_f64 v[98:99], vcc_lo, 1.0, v[0:1], 1.0
	v_rcp_f64_e32 v[88:89], v[86:87]
	v_fma_f64 v[96:97], -v[86:87], v[88:89], 1.0
	v_fma_f64 v[88:89], v[88:89], v[96:97], v[88:89]
	v_fma_f64 v[96:97], -v[86:87], v[88:89], 1.0
	v_fma_f64 v[88:89], v[88:89], v[96:97], v[88:89]
	v_mul_f64 v[96:97], v[98:99], v[88:89]
	v_fma_f64 v[86:87], -v[86:87], v[96:97], v[98:99]
	v_div_fmas_f64 v[86:87], v[86:87], v[88:89], v[96:97]
	v_div_fixup_f64 v[86:87], v[86:87], v[0:1], 1.0
	v_cndmask_b32_e64 v1, v1, v87, s1
	v_cndmask_b32_e64 v0, v0, v86, s1
	ds_read2_b64 v[86:89], v92 offset0:2 offset1:3
	ds_read2_b64 v[96:99], v92 offset0:4 offset1:5
	;; [unrolled: 1-line block ×19, first 2 shown]
	v_mul_f64 v[78:79], v[0:1], v[78:79]
	s_waitcnt lgkmcnt(18)
	v_fma_f64 v[80:81], -v[78:79], v[86:87], v[80:81]
	v_fma_f64 v[74:75], -v[78:79], v[88:89], v[74:75]
	s_waitcnt lgkmcnt(17)
	v_fma_f64 v[76:77], -v[78:79], v[96:97], v[76:77]
	v_fma_f64 v[72:73], -v[78:79], v[98:99], v[72:73]
	s_waitcnt lgkmcnt(16)
	v_fma_f64 v[70:71], -v[78:79], v[100:101], v[70:71]
	v_fma_f64 v[68:69], -v[78:79], v[102:103], v[68:69]
	s_waitcnt lgkmcnt(15)
	v_fma_f64 v[66:67], -v[78:79], v[104:105], v[66:67]
	v_fma_f64 v[64:65], -v[78:79], v[106:107], v[64:65]
	s_waitcnt lgkmcnt(14)
	v_fma_f64 v[62:63], -v[78:79], v[108:109], v[62:63]
	v_fma_f64 v[58:59], -v[78:79], v[110:111], v[58:59]
	s_waitcnt lgkmcnt(13)
	v_fma_f64 v[60:61], -v[78:79], v[112:113], v[60:61]
	v_fma_f64 v[54:55], -v[78:79], v[114:115], v[54:55]
	s_waitcnt lgkmcnt(12)
	v_fma_f64 v[56:57], -v[78:79], v[116:117], v[56:57]
	v_fma_f64 v[52:53], -v[78:79], v[118:119], v[52:53]
	s_waitcnt lgkmcnt(11)
	v_fma_f64 v[50:51], -v[78:79], v[120:121], v[50:51]
	v_fma_f64 v[48:49], -v[78:79], v[122:123], v[48:49]
	s_waitcnt lgkmcnt(10)
	v_fma_f64 v[46:47], -v[78:79], v[124:125], v[46:47]
	v_fma_f64 v[44:45], -v[78:79], v[126:127], v[44:45]
	s_waitcnt lgkmcnt(9)
	v_fma_f64 v[42:43], -v[78:79], v[128:129], v[42:43]
	v_fma_f64 v[38:39], -v[78:79], v[130:131], v[38:39]
	s_waitcnt lgkmcnt(8)
	v_fma_f64 v[40:41], -v[78:79], v[132:133], v[40:41]
	v_fma_f64 v[34:35], -v[78:79], v[134:135], v[34:35]
	s_waitcnt lgkmcnt(7)
	v_fma_f64 v[36:37], -v[78:79], v[136:137], v[36:37]
	v_fma_f64 v[32:33], -v[78:79], v[138:139], v[32:33]
	s_waitcnt lgkmcnt(6)
	v_fma_f64 v[30:31], -v[78:79], v[140:141], v[30:31]
	v_fma_f64 v[28:29], -v[78:79], v[142:143], v[28:29]
	s_waitcnt lgkmcnt(5)
	v_fma_f64 v[26:27], -v[78:79], v[144:145], v[26:27]
	v_fma_f64 v[24:25], -v[78:79], v[146:147], v[24:25]
	s_waitcnt lgkmcnt(4)
	v_fma_f64 v[22:23], -v[78:79], v[148:149], v[22:23]
	v_fma_f64 v[18:19], -v[78:79], v[150:151], v[18:19]
	s_waitcnt lgkmcnt(3)
	v_fma_f64 v[20:21], -v[78:79], v[152:153], v[20:21]
	v_fma_f64 v[16:17], -v[78:79], v[154:155], v[16:17]
	s_waitcnt lgkmcnt(2)
	v_fma_f64 v[14:15], -v[78:79], v[156:157], v[14:15]
	v_fma_f64 v[8:9], -v[78:79], v[158:159], v[8:9]
	s_waitcnt lgkmcnt(1)
	v_fma_f64 v[12:13], -v[78:79], v[160:161], v[12:13]
	v_fma_f64 v[6:7], -v[78:79], v[162:163], v[6:7]
	s_waitcnt lgkmcnt(0)
	v_fma_f64 v[10:11], -v[78:79], v[164:165], v[10:11]
	v_fma_f64 v[84:85], -v[78:79], v[166:167], v[84:85]
.LBB78_29:
	s_or_b32 exec_lo, exec_lo, s2
	v_lshl_add_u32 v0, v95, 3, v92
	s_barrier
	buffer_gl0_inv
	v_mov_b32_e32 v86, 2
	ds_write_b64 v0, v[80:81]
	s_waitcnt lgkmcnt(0)
	s_barrier
	buffer_gl0_inv
	ds_read_b64 v[0:1], v92 offset:16
	s_cmp_lt_i32 s7, 4
	s_mov_b32 s2, 3
	s_cbranch_scc1 .LBB78_32
; %bb.30:
	v_add3_u32 v87, v93, 0, 24
	v_mov_b32_e32 v86, 2
.LBB78_31:                              ; =>This Inner Loop Header: Depth=1
	ds_read_b64 v[88:89], v87
	v_add_nc_u32_e32 v87, 8, v87
	s_waitcnt lgkmcnt(0)
	v_cmp_lt_f64_e64 vcc_lo, |v[0:1]|, |v[88:89]|
	v_cndmask_b32_e32 v1, v1, v89, vcc_lo
	v_cndmask_b32_e32 v0, v0, v88, vcc_lo
	v_cndmask_b32_e64 v86, v86, s2, vcc_lo
	s_add_i32 s2, s2, 1
	s_cmp_lg_u32 s7, s2
	s_cbranch_scc1 .LBB78_31
.LBB78_32:
	v_cndmask_b32_e64 v87, 2, 1, s0
	v_cndmask_b32_e64 v88, 0, 1, s0
	s_mov_b32 s0, exec_lo
	v_cndmask_b32_e64 v89, v87, v88, s1
	s_waitcnt lgkmcnt(0)
	v_cmpx_eq_f64_e32 0, v[0:1]
	s_xor_b32 s0, exec_lo, s0
; %bb.33:
	v_cmp_ne_u32_e32 vcc_lo, 0, v89
	v_cndmask_b32_e32 v89, 3, v89, vcc_lo
; %bb.34:
	s_andn2_saveexec_b32 s0, s0
	s_cbranch_execz .LBB78_36
; %bb.35:
	v_div_scale_f64 v[87:88], null, v[0:1], v[0:1], 1.0
	v_rcp_f64_e32 v[96:97], v[87:88]
	v_fma_f64 v[98:99], -v[87:88], v[96:97], 1.0
	v_fma_f64 v[96:97], v[96:97], v[98:99], v[96:97]
	v_fma_f64 v[98:99], -v[87:88], v[96:97], 1.0
	v_fma_f64 v[96:97], v[96:97], v[98:99], v[96:97]
	v_div_scale_f64 v[98:99], vcc_lo, 1.0, v[0:1], 1.0
	v_mul_f64 v[100:101], v[98:99], v[96:97]
	v_fma_f64 v[87:88], -v[87:88], v[100:101], v[98:99]
	v_div_fmas_f64 v[87:88], v[87:88], v[96:97], v[100:101]
	v_div_fixup_f64 v[0:1], v[87:88], v[0:1], 1.0
.LBB78_36:
	s_or_b32 exec_lo, exec_lo, s0
	s_mov_b32 s0, exec_lo
	v_cmpx_ne_u32_e64 v95, v86
	s_xor_b32 s0, exec_lo, s0
	s_cbranch_execz .LBB78_42
; %bb.37:
	s_mov_b32 s1, exec_lo
	v_cmpx_eq_u32_e32 2, v95
	s_cbranch_execz .LBB78_41
; %bb.38:
	v_cmp_ne_u32_e32 vcc_lo, 2, v86
	s_xor_b32 s2, s6, -1
	s_and_b32 s3, s2, vcc_lo
	s_and_saveexec_b32 s2, s3
	s_cbranch_execz .LBB78_40
; %bb.39:
	v_ashrrev_i32_e32 v87, 31, v86
	v_lshlrev_b64 v[87:88], 2, v[86:87]
	v_add_co_u32 v87, vcc_lo, v4, v87
	v_add_co_ci_u32_e64 v88, null, v5, v88, vcc_lo
	s_clause 0x1
	global_load_dword v94, v[87:88], off
	global_load_dword v95, v[4:5], off offset:8
	s_waitcnt vmcnt(1)
	global_store_dword v[4:5], v94, off offset:8
	s_waitcnt vmcnt(0)
	global_store_dword v[87:88], v95, off
.LBB78_40:
	s_or_b32 exec_lo, exec_lo, s2
	v_mov_b32_e32 v94, v86
	v_mov_b32_e32 v95, v86
.LBB78_41:
	s_or_b32 exec_lo, exec_lo, s1
.LBB78_42:
	s_andn2_saveexec_b32 s0, s0
	s_cbranch_execz .LBB78_44
; %bb.43:
	v_mov_b32_e32 v95, 2
	ds_write2_b64 v92, v[74:75], v[76:77] offset0:3 offset1:4
	ds_write2_b64 v92, v[72:73], v[70:71] offset0:5 offset1:6
	;; [unrolled: 1-line block ×18, first 2 shown]
	ds_write_b64 v92, v[84:85] offset:312
.LBB78_44:
	s_or_b32 exec_lo, exec_lo, s0
	s_mov_b32 s0, exec_lo
	s_waitcnt lgkmcnt(0)
	s_waitcnt_vscnt null, 0x0
	s_barrier
	buffer_gl0_inv
	v_cmpx_lt_i32_e32 2, v95
	s_cbranch_execz .LBB78_46
; %bb.45:
	v_mul_f64 v[80:81], v[0:1], v[80:81]
	ds_read2_b64 v[96:99], v92 offset0:3 offset1:4
	ds_read2_b64 v[100:103], v92 offset0:5 offset1:6
	;; [unrolled: 1-line block ×12, first 2 shown]
	ds_read_b64 v[0:1], v92 offset:312
	s_waitcnt lgkmcnt(12)
	v_fma_f64 v[74:75], -v[80:81], v[96:97], v[74:75]
	v_fma_f64 v[76:77], -v[80:81], v[98:99], v[76:77]
	s_waitcnt lgkmcnt(11)
	v_fma_f64 v[72:73], -v[80:81], v[100:101], v[72:73]
	v_fma_f64 v[70:71], -v[80:81], v[102:103], v[70:71]
	;; [unrolled: 3-line block ×5, first 2 shown]
	s_waitcnt lgkmcnt(7)
	v_fma_f64 v[54:55], -v[80:81], v[116:117], v[54:55]
	ds_read2_b64 v[96:99], v92 offset0:27 offset1:28
	ds_read2_b64 v[100:103], v92 offset0:29 offset1:30
	v_fma_f64 v[56:57], -v[80:81], v[118:119], v[56:57]
	ds_read2_b64 v[104:107], v92 offset0:31 offset1:32
	ds_read2_b64 v[108:111], v92 offset0:33 offset1:34
	;; [unrolled: 1-line block ×4, first 2 shown]
	s_waitcnt lgkmcnt(12)
	v_fma_f64 v[52:53], -v[80:81], v[120:121], v[52:53]
	v_fma_f64 v[50:51], -v[80:81], v[122:123], v[50:51]
	s_waitcnt lgkmcnt(11)
	v_fma_f64 v[48:49], -v[80:81], v[124:125], v[48:49]
	v_fma_f64 v[46:47], -v[80:81], v[126:127], v[46:47]
	;; [unrolled: 3-line block ×6, first 2 shown]
	s_waitcnt lgkmcnt(6)
	v_fma_f64 v[84:85], -v[80:81], v[0:1], v[84:85]
	s_waitcnt lgkmcnt(5)
	v_fma_f64 v[28:29], -v[80:81], v[96:97], v[28:29]
	v_fma_f64 v[26:27], -v[80:81], v[98:99], v[26:27]
	s_waitcnt lgkmcnt(4)
	v_fma_f64 v[24:25], -v[80:81], v[100:101], v[24:25]
	v_fma_f64 v[22:23], -v[80:81], v[102:103], v[22:23]
	s_waitcnt lgkmcnt(3)
	v_fma_f64 v[18:19], -v[80:81], v[104:105], v[18:19]
	v_fma_f64 v[20:21], -v[80:81], v[106:107], v[20:21]
	s_waitcnt lgkmcnt(2)
	v_fma_f64 v[16:17], -v[80:81], v[108:109], v[16:17]
	v_fma_f64 v[14:15], -v[80:81], v[110:111], v[14:15]
	s_waitcnt lgkmcnt(1)
	v_fma_f64 v[8:9], -v[80:81], v[112:113], v[8:9]
	v_fma_f64 v[12:13], -v[80:81], v[114:115], v[12:13]
	s_waitcnt lgkmcnt(0)
	v_fma_f64 v[6:7], -v[80:81], v[116:117], v[6:7]
	v_fma_f64 v[10:11], -v[80:81], v[118:119], v[10:11]
.LBB78_46:
	s_or_b32 exec_lo, exec_lo, s0
	v_lshl_add_u32 v0, v95, 3, v92
	s_barrier
	buffer_gl0_inv
	v_mov_b32_e32 v86, 3
	ds_write_b64 v0, v[74:75]
	s_waitcnt lgkmcnt(0)
	s_barrier
	buffer_gl0_inv
	ds_read_b64 v[0:1], v92 offset:24
	s_cmp_lt_i32 s7, 5
	s_cbranch_scc1 .LBB78_49
; %bb.47:
	v_mov_b32_e32 v86, 3
	v_add3_u32 v87, v93, 0, 32
	s_mov_b32 s0, 4
.LBB78_48:                              ; =>This Inner Loop Header: Depth=1
	ds_read_b64 v[96:97], v87
	v_add_nc_u32_e32 v87, 8, v87
	s_waitcnt lgkmcnt(0)
	v_cmp_lt_f64_e64 vcc_lo, |v[0:1]|, |v[96:97]|
	v_cndmask_b32_e32 v1, v1, v97, vcc_lo
	v_cndmask_b32_e32 v0, v0, v96, vcc_lo
	v_cndmask_b32_e64 v86, v86, s0, vcc_lo
	s_add_i32 s0, s0, 1
	s_cmp_lg_u32 s7, s0
	s_cbranch_scc1 .LBB78_48
.LBB78_49:
	s_mov_b32 s0, exec_lo
	s_waitcnt lgkmcnt(0)
	v_cmpx_eq_f64_e32 0, v[0:1]
	s_xor_b32 s0, exec_lo, s0
; %bb.50:
	v_cmp_ne_u32_e32 vcc_lo, 0, v89
	v_cndmask_b32_e32 v89, 4, v89, vcc_lo
; %bb.51:
	s_andn2_saveexec_b32 s0, s0
	s_cbranch_execz .LBB78_53
; %bb.52:
	v_div_scale_f64 v[87:88], null, v[0:1], v[0:1], 1.0
	v_rcp_f64_e32 v[96:97], v[87:88]
	v_fma_f64 v[98:99], -v[87:88], v[96:97], 1.0
	v_fma_f64 v[96:97], v[96:97], v[98:99], v[96:97]
	v_fma_f64 v[98:99], -v[87:88], v[96:97], 1.0
	v_fma_f64 v[96:97], v[96:97], v[98:99], v[96:97]
	v_div_scale_f64 v[98:99], vcc_lo, 1.0, v[0:1], 1.0
	v_mul_f64 v[100:101], v[98:99], v[96:97]
	v_fma_f64 v[87:88], -v[87:88], v[100:101], v[98:99]
	v_div_fmas_f64 v[87:88], v[87:88], v[96:97], v[100:101]
	v_div_fixup_f64 v[0:1], v[87:88], v[0:1], 1.0
.LBB78_53:
	s_or_b32 exec_lo, exec_lo, s0
	s_mov_b32 s0, exec_lo
	v_cmpx_ne_u32_e64 v95, v86
	s_xor_b32 s0, exec_lo, s0
	s_cbranch_execz .LBB78_59
; %bb.54:
	s_mov_b32 s1, exec_lo
	v_cmpx_eq_u32_e32 3, v95
	s_cbranch_execz .LBB78_58
; %bb.55:
	v_cmp_ne_u32_e32 vcc_lo, 3, v86
	s_xor_b32 s2, s6, -1
	s_and_b32 s3, s2, vcc_lo
	s_and_saveexec_b32 s2, s3
	s_cbranch_execz .LBB78_57
; %bb.56:
	v_ashrrev_i32_e32 v87, 31, v86
	v_lshlrev_b64 v[87:88], 2, v[86:87]
	v_add_co_u32 v87, vcc_lo, v4, v87
	v_add_co_ci_u32_e64 v88, null, v5, v88, vcc_lo
	s_clause 0x1
	global_load_dword v94, v[87:88], off
	global_load_dword v95, v[4:5], off offset:12
	s_waitcnt vmcnt(1)
	global_store_dword v[4:5], v94, off offset:12
	s_waitcnt vmcnt(0)
	global_store_dword v[87:88], v95, off
.LBB78_57:
	s_or_b32 exec_lo, exec_lo, s2
	v_mov_b32_e32 v94, v86
	v_mov_b32_e32 v95, v86
.LBB78_58:
	s_or_b32 exec_lo, exec_lo, s1
.LBB78_59:
	s_andn2_saveexec_b32 s0, s0
	s_cbranch_execz .LBB78_61
; %bb.60:
	v_mov_b32_e32 v86, v76
	v_mov_b32_e32 v87, v77
	;; [unrolled: 1-line block ×16, first 2 shown]
	ds_write2_b64 v92, v[86:87], v[95:96] offset0:4 offset1:5
	ds_write2_b64 v92, v[97:98], v[99:100] offset0:6 offset1:7
	;; [unrolled: 1-line block ×4, first 2 shown]
	v_mov_b32_e32 v86, v60
	v_mov_b32_e32 v87, v61
	;; [unrolled: 1-line block ×20, first 2 shown]
	ds_write2_b64 v92, v[86:87], v[95:96] offset0:12 offset1:13
	ds_write2_b64 v92, v[97:98], v[99:100] offset0:14 offset1:15
	;; [unrolled: 1-line block ×5, first 2 shown]
	v_mov_b32_e32 v86, v40
	v_mov_b32_e32 v87, v41
	;; [unrolled: 1-line block ×20, first 2 shown]
	ds_write2_b64 v92, v[86:87], v[95:96] offset0:22 offset1:23
	ds_write2_b64 v92, v[97:98], v[99:100] offset0:24 offset1:25
	;; [unrolled: 1-line block ×5, first 2 shown]
	v_mov_b32_e32 v86, v20
	v_mov_b32_e32 v87, v21
	;; [unrolled: 1-line block ×15, first 2 shown]
	ds_write2_b64 v92, v[86:87], v[96:97] offset0:32 offset1:33
	ds_write2_b64 v92, v[98:99], v[100:101] offset0:34 offset1:35
	;; [unrolled: 1-line block ×4, first 2 shown]
.LBB78_61:
	s_or_b32 exec_lo, exec_lo, s0
	s_mov_b32 s0, exec_lo
	s_waitcnt lgkmcnt(0)
	s_waitcnt_vscnt null, 0x0
	s_barrier
	buffer_gl0_inv
	v_cmpx_lt_i32_e32 3, v95
	s_cbranch_execz .LBB78_63
; %bb.62:
	v_mul_f64 v[74:75], v[0:1], v[74:75]
	ds_read2_b64 v[96:99], v92 offset0:4 offset1:5
	ds_read2_b64 v[100:103], v92 offset0:6 offset1:7
	ds_read2_b64 v[104:107], v92 offset0:8 offset1:9
	ds_read2_b64 v[108:111], v92 offset0:10 offset1:11
	ds_read2_b64 v[112:115], v92 offset0:12 offset1:13
	ds_read2_b64 v[116:119], v92 offset0:14 offset1:15
	ds_read2_b64 v[120:123], v92 offset0:16 offset1:17
	ds_read2_b64 v[124:127], v92 offset0:18 offset1:19
	ds_read2_b64 v[128:131], v92 offset0:20 offset1:21
	ds_read2_b64 v[132:135], v92 offset0:22 offset1:23
	ds_read2_b64 v[136:139], v92 offset0:24 offset1:25
	ds_read2_b64 v[140:143], v92 offset0:26 offset1:27
	s_waitcnt lgkmcnt(11)
	v_fma_f64 v[76:77], -v[74:75], v[96:97], v[76:77]
	v_fma_f64 v[72:73], -v[74:75], v[98:99], v[72:73]
	s_waitcnt lgkmcnt(10)
	v_fma_f64 v[70:71], -v[74:75], v[100:101], v[70:71]
	v_fma_f64 v[68:69], -v[74:75], v[102:103], v[68:69]
	;; [unrolled: 3-line block ×5, first 2 shown]
	ds_read2_b64 v[96:99], v92 offset0:28 offset1:29
	ds_read2_b64 v[100:103], v92 offset0:30 offset1:31
	s_waitcnt lgkmcnt(8)
	v_fma_f64 v[56:57], -v[74:75], v[116:117], v[56:57]
	v_fma_f64 v[52:53], -v[74:75], v[118:119], v[52:53]
	ds_read2_b64 v[104:107], v92 offset0:32 offset1:33
	ds_read2_b64 v[108:111], v92 offset0:34 offset1:35
	;; [unrolled: 1-line block ×4, first 2 shown]
	s_waitcnt lgkmcnt(11)
	v_fma_f64 v[50:51], -v[74:75], v[120:121], v[50:51]
	v_fma_f64 v[48:49], -v[74:75], v[122:123], v[48:49]
	s_waitcnt lgkmcnt(10)
	v_fma_f64 v[46:47], -v[74:75], v[124:125], v[46:47]
	v_fma_f64 v[44:45], -v[74:75], v[126:127], v[44:45]
	;; [unrolled: 3-line block ×12, first 2 shown]
.LBB78_63:
	s_or_b32 exec_lo, exec_lo, s0
	v_lshl_add_u32 v0, v95, 3, v92
	s_barrier
	buffer_gl0_inv
	v_mov_b32_e32 v86, 4
	ds_write_b64 v0, v[76:77]
	s_waitcnt lgkmcnt(0)
	s_barrier
	buffer_gl0_inv
	ds_read_b64 v[0:1], v92 offset:32
	s_cmp_lt_i32 s7, 6
	s_cbranch_scc1 .LBB78_66
; %bb.64:
	v_add3_u32 v87, v93, 0, 40
	v_mov_b32_e32 v86, 4
	s_mov_b32 s0, 5
.LBB78_65:                              ; =>This Inner Loop Header: Depth=1
	ds_read_b64 v[96:97], v87
	v_add_nc_u32_e32 v87, 8, v87
	s_waitcnt lgkmcnt(0)
	v_cmp_lt_f64_e64 vcc_lo, |v[0:1]|, |v[96:97]|
	v_cndmask_b32_e32 v1, v1, v97, vcc_lo
	v_cndmask_b32_e32 v0, v0, v96, vcc_lo
	v_cndmask_b32_e64 v86, v86, s0, vcc_lo
	s_add_i32 s0, s0, 1
	s_cmp_lg_u32 s7, s0
	s_cbranch_scc1 .LBB78_65
.LBB78_66:
	s_mov_b32 s0, exec_lo
	s_waitcnt lgkmcnt(0)
	v_cmpx_eq_f64_e32 0, v[0:1]
	s_xor_b32 s0, exec_lo, s0
; %bb.67:
	v_cmp_ne_u32_e32 vcc_lo, 0, v89
	v_cndmask_b32_e32 v89, 5, v89, vcc_lo
; %bb.68:
	s_andn2_saveexec_b32 s0, s0
	s_cbranch_execz .LBB78_70
; %bb.69:
	v_div_scale_f64 v[87:88], null, v[0:1], v[0:1], 1.0
	v_rcp_f64_e32 v[96:97], v[87:88]
	v_fma_f64 v[98:99], -v[87:88], v[96:97], 1.0
	v_fma_f64 v[96:97], v[96:97], v[98:99], v[96:97]
	v_fma_f64 v[98:99], -v[87:88], v[96:97], 1.0
	v_fma_f64 v[96:97], v[96:97], v[98:99], v[96:97]
	v_div_scale_f64 v[98:99], vcc_lo, 1.0, v[0:1], 1.0
	v_mul_f64 v[100:101], v[98:99], v[96:97]
	v_fma_f64 v[87:88], -v[87:88], v[100:101], v[98:99]
	v_div_fmas_f64 v[87:88], v[87:88], v[96:97], v[100:101]
	v_div_fixup_f64 v[0:1], v[87:88], v[0:1], 1.0
.LBB78_70:
	s_or_b32 exec_lo, exec_lo, s0
	s_mov_b32 s0, exec_lo
	v_cmpx_ne_u32_e64 v95, v86
	s_xor_b32 s0, exec_lo, s0
	s_cbranch_execz .LBB78_76
; %bb.71:
	s_mov_b32 s1, exec_lo
	v_cmpx_eq_u32_e32 4, v95
	s_cbranch_execz .LBB78_75
; %bb.72:
	v_cmp_ne_u32_e32 vcc_lo, 4, v86
	s_xor_b32 s2, s6, -1
	s_and_b32 s3, s2, vcc_lo
	s_and_saveexec_b32 s2, s3
	s_cbranch_execz .LBB78_74
; %bb.73:
	v_ashrrev_i32_e32 v87, 31, v86
	v_lshlrev_b64 v[87:88], 2, v[86:87]
	v_add_co_u32 v87, vcc_lo, v4, v87
	v_add_co_ci_u32_e64 v88, null, v5, v88, vcc_lo
	s_clause 0x1
	global_load_dword v94, v[87:88], off
	global_load_dword v95, v[4:5], off offset:16
	s_waitcnt vmcnt(1)
	global_store_dword v[4:5], v94, off offset:16
	s_waitcnt vmcnt(0)
	global_store_dword v[87:88], v95, off
.LBB78_74:
	s_or_b32 exec_lo, exec_lo, s2
	v_mov_b32_e32 v94, v86
	v_mov_b32_e32 v95, v86
.LBB78_75:
	s_or_b32 exec_lo, exec_lo, s1
.LBB78_76:
	s_andn2_saveexec_b32 s0, s0
	s_cbranch_execz .LBB78_78
; %bb.77:
	v_mov_b32_e32 v95, 4
	ds_write2_b64 v92, v[72:73], v[70:71] offset0:5 offset1:6
	ds_write2_b64 v92, v[68:69], v[66:67] offset0:7 offset1:8
	;; [unrolled: 1-line block ×17, first 2 shown]
	ds_write_b64 v92, v[84:85] offset:312
.LBB78_78:
	s_or_b32 exec_lo, exec_lo, s0
	s_mov_b32 s0, exec_lo
	s_waitcnt lgkmcnt(0)
	s_waitcnt_vscnt null, 0x0
	s_barrier
	buffer_gl0_inv
	v_cmpx_lt_i32_e32 4, v95
	s_cbranch_execz .LBB78_80
; %bb.79:
	v_mul_f64 v[76:77], v[0:1], v[76:77]
	ds_read2_b64 v[96:99], v92 offset0:5 offset1:6
	ds_read2_b64 v[100:103], v92 offset0:7 offset1:8
	;; [unrolled: 1-line block ×12, first 2 shown]
	ds_read_b64 v[0:1], v92 offset:312
	s_waitcnt lgkmcnt(12)
	v_fma_f64 v[72:73], -v[76:77], v[96:97], v[72:73]
	v_fma_f64 v[70:71], -v[76:77], v[98:99], v[70:71]
	s_waitcnt lgkmcnt(11)
	v_fma_f64 v[68:69], -v[76:77], v[100:101], v[68:69]
	v_fma_f64 v[66:67], -v[76:77], v[102:103], v[66:67]
	;; [unrolled: 3-line block ×5, first 2 shown]
	ds_read2_b64 v[96:99], v92 offset0:29 offset1:30
	ds_read2_b64 v[100:103], v92 offset0:31 offset1:32
	;; [unrolled: 1-line block ×5, first 2 shown]
	s_waitcnt lgkmcnt(12)
	v_fma_f64 v[52:53], -v[76:77], v[116:117], v[52:53]
	v_fma_f64 v[50:51], -v[76:77], v[118:119], v[50:51]
	s_waitcnt lgkmcnt(11)
	v_fma_f64 v[48:49], -v[76:77], v[120:121], v[48:49]
	v_fma_f64 v[46:47], -v[76:77], v[122:123], v[46:47]
	;; [unrolled: 3-line block ×7, first 2 shown]
	s_waitcnt lgkmcnt(5)
	v_fma_f64 v[84:85], -v[76:77], v[0:1], v[84:85]
	s_waitcnt lgkmcnt(4)
	v_fma_f64 v[24:25], -v[76:77], v[96:97], v[24:25]
	v_fma_f64 v[22:23], -v[76:77], v[98:99], v[22:23]
	s_waitcnt lgkmcnt(3)
	v_fma_f64 v[18:19], -v[76:77], v[100:101], v[18:19]
	;; [unrolled: 3-line block ×5, first 2 shown]
	v_fma_f64 v[10:11], -v[76:77], v[114:115], v[10:11]
.LBB78_80:
	s_or_b32 exec_lo, exec_lo, s0
	v_lshl_add_u32 v0, v95, 3, v92
	s_barrier
	buffer_gl0_inv
	v_mov_b32_e32 v86, 5
	ds_write_b64 v0, v[72:73]
	s_waitcnt lgkmcnt(0)
	s_barrier
	buffer_gl0_inv
	ds_read_b64 v[0:1], v92 offset:40
	s_cmp_lt_i32 s7, 7
	s_cbranch_scc1 .LBB78_83
; %bb.81:
	v_add3_u32 v87, v93, 0, 48
	v_mov_b32_e32 v86, 5
	s_mov_b32 s0, 6
.LBB78_82:                              ; =>This Inner Loop Header: Depth=1
	ds_read_b64 v[96:97], v87
	v_add_nc_u32_e32 v87, 8, v87
	s_waitcnt lgkmcnt(0)
	v_cmp_lt_f64_e64 vcc_lo, |v[0:1]|, |v[96:97]|
	v_cndmask_b32_e32 v1, v1, v97, vcc_lo
	v_cndmask_b32_e32 v0, v0, v96, vcc_lo
	v_cndmask_b32_e64 v86, v86, s0, vcc_lo
	s_add_i32 s0, s0, 1
	s_cmp_lg_u32 s7, s0
	s_cbranch_scc1 .LBB78_82
.LBB78_83:
	s_mov_b32 s0, exec_lo
	s_waitcnt lgkmcnt(0)
	v_cmpx_eq_f64_e32 0, v[0:1]
	s_xor_b32 s0, exec_lo, s0
; %bb.84:
	v_cmp_ne_u32_e32 vcc_lo, 0, v89
	v_cndmask_b32_e32 v89, 6, v89, vcc_lo
; %bb.85:
	s_andn2_saveexec_b32 s0, s0
	s_cbranch_execz .LBB78_87
; %bb.86:
	v_div_scale_f64 v[87:88], null, v[0:1], v[0:1], 1.0
	v_rcp_f64_e32 v[96:97], v[87:88]
	v_fma_f64 v[98:99], -v[87:88], v[96:97], 1.0
	v_fma_f64 v[96:97], v[96:97], v[98:99], v[96:97]
	v_fma_f64 v[98:99], -v[87:88], v[96:97], 1.0
	v_fma_f64 v[96:97], v[96:97], v[98:99], v[96:97]
	v_div_scale_f64 v[98:99], vcc_lo, 1.0, v[0:1], 1.0
	v_mul_f64 v[100:101], v[98:99], v[96:97]
	v_fma_f64 v[87:88], -v[87:88], v[100:101], v[98:99]
	v_div_fmas_f64 v[87:88], v[87:88], v[96:97], v[100:101]
	v_div_fixup_f64 v[0:1], v[87:88], v[0:1], 1.0
.LBB78_87:
	s_or_b32 exec_lo, exec_lo, s0
	s_mov_b32 s0, exec_lo
	v_cmpx_ne_u32_e64 v95, v86
	s_xor_b32 s0, exec_lo, s0
	s_cbranch_execz .LBB78_93
; %bb.88:
	s_mov_b32 s1, exec_lo
	v_cmpx_eq_u32_e32 5, v95
	s_cbranch_execz .LBB78_92
; %bb.89:
	v_cmp_ne_u32_e32 vcc_lo, 5, v86
	s_xor_b32 s2, s6, -1
	s_and_b32 s3, s2, vcc_lo
	s_and_saveexec_b32 s2, s3
	s_cbranch_execz .LBB78_91
; %bb.90:
	v_ashrrev_i32_e32 v87, 31, v86
	v_lshlrev_b64 v[87:88], 2, v[86:87]
	v_add_co_u32 v87, vcc_lo, v4, v87
	v_add_co_ci_u32_e64 v88, null, v5, v88, vcc_lo
	s_clause 0x1
	global_load_dword v94, v[87:88], off
	global_load_dword v95, v[4:5], off offset:20
	s_waitcnt vmcnt(1)
	global_store_dword v[4:5], v94, off offset:20
	s_waitcnt vmcnt(0)
	global_store_dword v[87:88], v95, off
.LBB78_91:
	s_or_b32 exec_lo, exec_lo, s2
	v_mov_b32_e32 v94, v86
	v_mov_b32_e32 v95, v86
.LBB78_92:
	s_or_b32 exec_lo, exec_lo, s1
.LBB78_93:
	s_andn2_saveexec_b32 s0, s0
	s_cbranch_execz .LBB78_95
; %bb.94:
	v_mov_b32_e32 v86, v70
	v_mov_b32_e32 v87, v71
	;; [unrolled: 1-line block ×12, first 2 shown]
	ds_write2_b64 v92, v[86:87], v[95:96] offset0:6 offset1:7
	ds_write2_b64 v92, v[97:98], v[99:100] offset0:8 offset1:9
	;; [unrolled: 1-line block ×3, first 2 shown]
	v_mov_b32_e32 v86, v60
	v_mov_b32_e32 v87, v61
	;; [unrolled: 1-line block ×20, first 2 shown]
	ds_write2_b64 v92, v[86:87], v[95:96] offset0:12 offset1:13
	ds_write2_b64 v92, v[97:98], v[99:100] offset0:14 offset1:15
	;; [unrolled: 1-line block ×5, first 2 shown]
	v_mov_b32_e32 v86, v40
	v_mov_b32_e32 v87, v41
	;; [unrolled: 1-line block ×20, first 2 shown]
	ds_write2_b64 v92, v[86:87], v[95:96] offset0:22 offset1:23
	ds_write2_b64 v92, v[97:98], v[99:100] offset0:24 offset1:25
	;; [unrolled: 1-line block ×5, first 2 shown]
	v_mov_b32_e32 v86, v20
	v_mov_b32_e32 v87, v21
	;; [unrolled: 1-line block ×15, first 2 shown]
	ds_write2_b64 v92, v[86:87], v[96:97] offset0:32 offset1:33
	ds_write2_b64 v92, v[98:99], v[100:101] offset0:34 offset1:35
	;; [unrolled: 1-line block ×4, first 2 shown]
.LBB78_95:
	s_or_b32 exec_lo, exec_lo, s0
	s_mov_b32 s0, exec_lo
	s_waitcnt lgkmcnt(0)
	s_waitcnt_vscnt null, 0x0
	s_barrier
	buffer_gl0_inv
	v_cmpx_lt_i32_e32 5, v95
	s_cbranch_execz .LBB78_97
; %bb.96:
	v_mul_f64 v[72:73], v[0:1], v[72:73]
	ds_read2_b64 v[96:99], v92 offset0:6 offset1:7
	ds_read2_b64 v[100:103], v92 offset0:8 offset1:9
	ds_read2_b64 v[104:107], v92 offset0:10 offset1:11
	ds_read2_b64 v[108:111], v92 offset0:12 offset1:13
	ds_read2_b64 v[112:115], v92 offset0:14 offset1:15
	ds_read2_b64 v[116:119], v92 offset0:16 offset1:17
	ds_read2_b64 v[120:123], v92 offset0:18 offset1:19
	ds_read2_b64 v[124:127], v92 offset0:20 offset1:21
	ds_read2_b64 v[128:131], v92 offset0:22 offset1:23
	ds_read2_b64 v[132:135], v92 offset0:24 offset1:25
	ds_read2_b64 v[136:139], v92 offset0:26 offset1:27
	ds_read2_b64 v[140:143], v92 offset0:28 offset1:29
	ds_read2_b64 v[144:147], v92 offset0:30 offset1:31
	s_waitcnt lgkmcnt(12)
	v_fma_f64 v[70:71], -v[72:73], v[96:97], v[70:71]
	v_fma_f64 v[68:69], -v[72:73], v[98:99], v[68:69]
	s_waitcnt lgkmcnt(11)
	v_fma_f64 v[66:67], -v[72:73], v[100:101], v[66:67]
	v_fma_f64 v[64:65], -v[72:73], v[102:103], v[64:65]
	;; [unrolled: 3-line block ×4, first 2 shown]
	ds_read2_b64 v[96:99], v92 offset0:32 offset1:33
	ds_read2_b64 v[100:103], v92 offset0:34 offset1:35
	;; [unrolled: 1-line block ×4, first 2 shown]
	s_waitcnt lgkmcnt(12)
	v_fma_f64 v[56:57], -v[72:73], v[112:113], v[56:57]
	v_fma_f64 v[52:53], -v[72:73], v[114:115], v[52:53]
	s_waitcnt lgkmcnt(11)
	v_fma_f64 v[50:51], -v[72:73], v[116:117], v[50:51]
	v_fma_f64 v[48:49], -v[72:73], v[118:119], v[48:49]
	;; [unrolled: 3-line block ×13, first 2 shown]
.LBB78_97:
	s_or_b32 exec_lo, exec_lo, s0
	v_lshl_add_u32 v0, v95, 3, v92
	s_barrier
	buffer_gl0_inv
	v_mov_b32_e32 v86, 6
	ds_write_b64 v0, v[70:71]
	s_waitcnt lgkmcnt(0)
	s_barrier
	buffer_gl0_inv
	ds_read_b64 v[0:1], v92 offset:48
	s_cmp_lt_i32 s7, 8
	s_cbranch_scc1 .LBB78_100
; %bb.98:
	v_add3_u32 v87, v93, 0, 56
	v_mov_b32_e32 v86, 6
	s_mov_b32 s0, 7
.LBB78_99:                              ; =>This Inner Loop Header: Depth=1
	ds_read_b64 v[96:97], v87
	v_add_nc_u32_e32 v87, 8, v87
	s_waitcnt lgkmcnt(0)
	v_cmp_lt_f64_e64 vcc_lo, |v[0:1]|, |v[96:97]|
	v_cndmask_b32_e32 v1, v1, v97, vcc_lo
	v_cndmask_b32_e32 v0, v0, v96, vcc_lo
	v_cndmask_b32_e64 v86, v86, s0, vcc_lo
	s_add_i32 s0, s0, 1
	s_cmp_lg_u32 s7, s0
	s_cbranch_scc1 .LBB78_99
.LBB78_100:
	s_mov_b32 s0, exec_lo
	s_waitcnt lgkmcnt(0)
	v_cmpx_eq_f64_e32 0, v[0:1]
	s_xor_b32 s0, exec_lo, s0
; %bb.101:
	v_cmp_ne_u32_e32 vcc_lo, 0, v89
	v_cndmask_b32_e32 v89, 7, v89, vcc_lo
; %bb.102:
	s_andn2_saveexec_b32 s0, s0
	s_cbranch_execz .LBB78_104
; %bb.103:
	v_div_scale_f64 v[87:88], null, v[0:1], v[0:1], 1.0
	v_rcp_f64_e32 v[96:97], v[87:88]
	v_fma_f64 v[98:99], -v[87:88], v[96:97], 1.0
	v_fma_f64 v[96:97], v[96:97], v[98:99], v[96:97]
	v_fma_f64 v[98:99], -v[87:88], v[96:97], 1.0
	v_fma_f64 v[96:97], v[96:97], v[98:99], v[96:97]
	v_div_scale_f64 v[98:99], vcc_lo, 1.0, v[0:1], 1.0
	v_mul_f64 v[100:101], v[98:99], v[96:97]
	v_fma_f64 v[87:88], -v[87:88], v[100:101], v[98:99]
	v_div_fmas_f64 v[87:88], v[87:88], v[96:97], v[100:101]
	v_div_fixup_f64 v[0:1], v[87:88], v[0:1], 1.0
.LBB78_104:
	s_or_b32 exec_lo, exec_lo, s0
	s_mov_b32 s0, exec_lo
	v_cmpx_ne_u32_e64 v95, v86
	s_xor_b32 s0, exec_lo, s0
	s_cbranch_execz .LBB78_110
; %bb.105:
	s_mov_b32 s1, exec_lo
	v_cmpx_eq_u32_e32 6, v95
	s_cbranch_execz .LBB78_109
; %bb.106:
	v_cmp_ne_u32_e32 vcc_lo, 6, v86
	s_xor_b32 s2, s6, -1
	s_and_b32 s3, s2, vcc_lo
	s_and_saveexec_b32 s2, s3
	s_cbranch_execz .LBB78_108
; %bb.107:
	v_ashrrev_i32_e32 v87, 31, v86
	v_lshlrev_b64 v[87:88], 2, v[86:87]
	v_add_co_u32 v87, vcc_lo, v4, v87
	v_add_co_ci_u32_e64 v88, null, v5, v88, vcc_lo
	s_clause 0x1
	global_load_dword v94, v[87:88], off
	global_load_dword v95, v[4:5], off offset:24
	s_waitcnt vmcnt(1)
	global_store_dword v[4:5], v94, off offset:24
	s_waitcnt vmcnt(0)
	global_store_dword v[87:88], v95, off
.LBB78_108:
	s_or_b32 exec_lo, exec_lo, s2
	v_mov_b32_e32 v94, v86
	v_mov_b32_e32 v95, v86
.LBB78_109:
	s_or_b32 exec_lo, exec_lo, s1
.LBB78_110:
	s_andn2_saveexec_b32 s0, s0
	s_cbranch_execz .LBB78_112
; %bb.111:
	v_mov_b32_e32 v95, 6
	ds_write2_b64 v92, v[68:69], v[66:67] offset0:7 offset1:8
	ds_write2_b64 v92, v[64:65], v[62:63] offset0:9 offset1:10
	;; [unrolled: 1-line block ×16, first 2 shown]
	ds_write_b64 v92, v[84:85] offset:312
.LBB78_112:
	s_or_b32 exec_lo, exec_lo, s0
	s_mov_b32 s0, exec_lo
	s_waitcnt lgkmcnt(0)
	s_waitcnt_vscnt null, 0x0
	s_barrier
	buffer_gl0_inv
	v_cmpx_lt_i32_e32 6, v95
	s_cbranch_execz .LBB78_114
; %bb.113:
	v_mul_f64 v[70:71], v[0:1], v[70:71]
	ds_read2_b64 v[96:99], v92 offset0:7 offset1:8
	ds_read2_b64 v[100:103], v92 offset0:9 offset1:10
	;; [unrolled: 1-line block ×13, first 2 shown]
	ds_read_b64 v[0:1], v92 offset:312
	s_waitcnt lgkmcnt(13)
	v_fma_f64 v[68:69], -v[70:71], v[96:97], v[68:69]
	v_fma_f64 v[66:67], -v[70:71], v[98:99], v[66:67]
	s_waitcnt lgkmcnt(12)
	v_fma_f64 v[64:65], -v[70:71], v[100:101], v[64:65]
	v_fma_f64 v[62:63], -v[70:71], v[102:103], v[62:63]
	;; [unrolled: 3-line block ×3, first 2 shown]
	ds_read2_b64 v[96:99], v92 offset0:33 offset1:34
	ds_read2_b64 v[100:103], v92 offset0:35 offset1:36
	;; [unrolled: 1-line block ×3, first 2 shown]
	s_waitcnt lgkmcnt(13)
	v_fma_f64 v[54:55], -v[70:71], v[108:109], v[54:55]
	v_fma_f64 v[56:57], -v[70:71], v[110:111], v[56:57]
	s_waitcnt lgkmcnt(12)
	v_fma_f64 v[52:53], -v[70:71], v[112:113], v[52:53]
	v_fma_f64 v[50:51], -v[70:71], v[114:115], v[50:51]
	;; [unrolled: 3-line block ×13, first 2 shown]
	v_fma_f64 v[84:85], -v[70:71], v[0:1], v[84:85]
.LBB78_114:
	s_or_b32 exec_lo, exec_lo, s0
	v_lshl_add_u32 v0, v95, 3, v92
	s_barrier
	buffer_gl0_inv
	v_mov_b32_e32 v86, 7
	ds_write_b64 v0, v[68:69]
	s_waitcnt lgkmcnt(0)
	s_barrier
	buffer_gl0_inv
	ds_read_b64 v[0:1], v92 offset:56
	s_cmp_lt_i32 s7, 9
	s_cbranch_scc1 .LBB78_117
; %bb.115:
	v_add3_u32 v87, v93, 0, 64
	v_mov_b32_e32 v86, 7
	s_mov_b32 s0, 8
.LBB78_116:                             ; =>This Inner Loop Header: Depth=1
	ds_read_b64 v[96:97], v87
	v_add_nc_u32_e32 v87, 8, v87
	s_waitcnt lgkmcnt(0)
	v_cmp_lt_f64_e64 vcc_lo, |v[0:1]|, |v[96:97]|
	v_cndmask_b32_e32 v1, v1, v97, vcc_lo
	v_cndmask_b32_e32 v0, v0, v96, vcc_lo
	v_cndmask_b32_e64 v86, v86, s0, vcc_lo
	s_add_i32 s0, s0, 1
	s_cmp_lg_u32 s7, s0
	s_cbranch_scc1 .LBB78_116
.LBB78_117:
	s_mov_b32 s0, exec_lo
	s_waitcnt lgkmcnt(0)
	v_cmpx_eq_f64_e32 0, v[0:1]
	s_xor_b32 s0, exec_lo, s0
; %bb.118:
	v_cmp_ne_u32_e32 vcc_lo, 0, v89
	v_cndmask_b32_e32 v89, 8, v89, vcc_lo
; %bb.119:
	s_andn2_saveexec_b32 s0, s0
	s_cbranch_execz .LBB78_121
; %bb.120:
	v_div_scale_f64 v[87:88], null, v[0:1], v[0:1], 1.0
	v_rcp_f64_e32 v[96:97], v[87:88]
	v_fma_f64 v[98:99], -v[87:88], v[96:97], 1.0
	v_fma_f64 v[96:97], v[96:97], v[98:99], v[96:97]
	v_fma_f64 v[98:99], -v[87:88], v[96:97], 1.0
	v_fma_f64 v[96:97], v[96:97], v[98:99], v[96:97]
	v_div_scale_f64 v[98:99], vcc_lo, 1.0, v[0:1], 1.0
	v_mul_f64 v[100:101], v[98:99], v[96:97]
	v_fma_f64 v[87:88], -v[87:88], v[100:101], v[98:99]
	v_div_fmas_f64 v[87:88], v[87:88], v[96:97], v[100:101]
	v_div_fixup_f64 v[0:1], v[87:88], v[0:1], 1.0
.LBB78_121:
	s_or_b32 exec_lo, exec_lo, s0
	s_mov_b32 s0, exec_lo
	v_cmpx_ne_u32_e64 v95, v86
	s_xor_b32 s0, exec_lo, s0
	s_cbranch_execz .LBB78_127
; %bb.122:
	s_mov_b32 s1, exec_lo
	v_cmpx_eq_u32_e32 7, v95
	s_cbranch_execz .LBB78_126
; %bb.123:
	v_cmp_ne_u32_e32 vcc_lo, 7, v86
	s_xor_b32 s2, s6, -1
	s_and_b32 s3, s2, vcc_lo
	s_and_saveexec_b32 s2, s3
	s_cbranch_execz .LBB78_125
; %bb.124:
	v_ashrrev_i32_e32 v87, 31, v86
	v_lshlrev_b64 v[87:88], 2, v[86:87]
	v_add_co_u32 v87, vcc_lo, v4, v87
	v_add_co_ci_u32_e64 v88, null, v5, v88, vcc_lo
	s_clause 0x1
	global_load_dword v94, v[87:88], off
	global_load_dword v95, v[4:5], off offset:28
	s_waitcnt vmcnt(1)
	global_store_dword v[4:5], v94, off offset:28
	s_waitcnt vmcnt(0)
	global_store_dword v[87:88], v95, off
.LBB78_125:
	s_or_b32 exec_lo, exec_lo, s2
	v_mov_b32_e32 v94, v86
	v_mov_b32_e32 v95, v86
.LBB78_126:
	s_or_b32 exec_lo, exec_lo, s1
.LBB78_127:
	s_andn2_saveexec_b32 s0, s0
	s_cbranch_execz .LBB78_129
; %bb.128:
	v_mov_b32_e32 v86, v66
	v_mov_b32_e32 v87, v67
	;; [unrolled: 1-line block ×8, first 2 shown]
	ds_write2_b64 v92, v[86:87], v[95:96] offset0:8 offset1:9
	ds_write2_b64 v92, v[97:98], v[99:100] offset0:10 offset1:11
	v_mov_b32_e32 v86, v60
	v_mov_b32_e32 v87, v61
	;; [unrolled: 1-line block ×20, first 2 shown]
	ds_write2_b64 v92, v[86:87], v[95:96] offset0:12 offset1:13
	ds_write2_b64 v92, v[97:98], v[99:100] offset0:14 offset1:15
	;; [unrolled: 1-line block ×5, first 2 shown]
	v_mov_b32_e32 v86, v40
	v_mov_b32_e32 v87, v41
	;; [unrolled: 1-line block ×20, first 2 shown]
	ds_write2_b64 v92, v[86:87], v[95:96] offset0:22 offset1:23
	ds_write2_b64 v92, v[97:98], v[99:100] offset0:24 offset1:25
	;; [unrolled: 1-line block ×5, first 2 shown]
	v_mov_b32_e32 v86, v20
	v_mov_b32_e32 v87, v21
	;; [unrolled: 1-line block ×15, first 2 shown]
	ds_write2_b64 v92, v[86:87], v[96:97] offset0:32 offset1:33
	ds_write2_b64 v92, v[98:99], v[100:101] offset0:34 offset1:35
	;; [unrolled: 1-line block ×4, first 2 shown]
.LBB78_129:
	s_or_b32 exec_lo, exec_lo, s0
	s_mov_b32 s0, exec_lo
	s_waitcnt lgkmcnt(0)
	s_waitcnt_vscnt null, 0x0
	s_barrier
	buffer_gl0_inv
	v_cmpx_lt_i32_e32 7, v95
	s_cbranch_execz .LBB78_131
; %bb.130:
	v_mul_f64 v[68:69], v[0:1], v[68:69]
	ds_read2_b64 v[96:99], v92 offset0:8 offset1:9
	ds_read2_b64 v[100:103], v92 offset0:10 offset1:11
	;; [unrolled: 1-line block ×13, first 2 shown]
	s_waitcnt lgkmcnt(12)
	v_fma_f64 v[66:67], -v[68:69], v[96:97], v[66:67]
	v_fma_f64 v[64:65], -v[68:69], v[98:99], v[64:65]
	s_waitcnt lgkmcnt(11)
	v_fma_f64 v[62:63], -v[68:69], v[100:101], v[62:63]
	v_fma_f64 v[58:59], -v[68:69], v[102:103], v[58:59]
	s_waitcnt lgkmcnt(10)
	v_fma_f64 v[60:61], -v[68:69], v[104:105], v[60:61]
	v_fma_f64 v[54:55], -v[68:69], v[106:107], v[54:55]
	ds_read2_b64 v[96:99], v92 offset0:34 offset1:35
	ds_read2_b64 v[100:103], v92 offset0:36 offset1:37
	;; [unrolled: 1-line block ×3, first 2 shown]
	s_waitcnt lgkmcnt(12)
	v_fma_f64 v[56:57], -v[68:69], v[108:109], v[56:57]
	v_fma_f64 v[52:53], -v[68:69], v[110:111], v[52:53]
	s_waitcnt lgkmcnt(11)
	v_fma_f64 v[50:51], -v[68:69], v[112:113], v[50:51]
	v_fma_f64 v[48:49], -v[68:69], v[114:115], v[48:49]
	;; [unrolled: 3-line block ×13, first 2 shown]
.LBB78_131:
	s_or_b32 exec_lo, exec_lo, s0
	v_lshl_add_u32 v0, v95, 3, v92
	s_barrier
	buffer_gl0_inv
	v_mov_b32_e32 v86, 8
	ds_write_b64 v0, v[66:67]
	s_waitcnt lgkmcnt(0)
	s_barrier
	buffer_gl0_inv
	ds_read_b64 v[0:1], v92 offset:64
	s_cmp_lt_i32 s7, 10
	s_cbranch_scc1 .LBB78_134
; %bb.132:
	v_add3_u32 v87, v93, 0, 0x48
	v_mov_b32_e32 v86, 8
	s_mov_b32 s0, 9
.LBB78_133:                             ; =>This Inner Loop Header: Depth=1
	ds_read_b64 v[96:97], v87
	v_add_nc_u32_e32 v87, 8, v87
	s_waitcnt lgkmcnt(0)
	v_cmp_lt_f64_e64 vcc_lo, |v[0:1]|, |v[96:97]|
	v_cndmask_b32_e32 v1, v1, v97, vcc_lo
	v_cndmask_b32_e32 v0, v0, v96, vcc_lo
	v_cndmask_b32_e64 v86, v86, s0, vcc_lo
	s_add_i32 s0, s0, 1
	s_cmp_lg_u32 s7, s0
	s_cbranch_scc1 .LBB78_133
.LBB78_134:
	s_mov_b32 s0, exec_lo
	s_waitcnt lgkmcnt(0)
	v_cmpx_eq_f64_e32 0, v[0:1]
	s_xor_b32 s0, exec_lo, s0
; %bb.135:
	v_cmp_ne_u32_e32 vcc_lo, 0, v89
	v_cndmask_b32_e32 v89, 9, v89, vcc_lo
; %bb.136:
	s_andn2_saveexec_b32 s0, s0
	s_cbranch_execz .LBB78_138
; %bb.137:
	v_div_scale_f64 v[87:88], null, v[0:1], v[0:1], 1.0
	v_rcp_f64_e32 v[96:97], v[87:88]
	v_fma_f64 v[98:99], -v[87:88], v[96:97], 1.0
	v_fma_f64 v[96:97], v[96:97], v[98:99], v[96:97]
	v_fma_f64 v[98:99], -v[87:88], v[96:97], 1.0
	v_fma_f64 v[96:97], v[96:97], v[98:99], v[96:97]
	v_div_scale_f64 v[98:99], vcc_lo, 1.0, v[0:1], 1.0
	v_mul_f64 v[100:101], v[98:99], v[96:97]
	v_fma_f64 v[87:88], -v[87:88], v[100:101], v[98:99]
	v_div_fmas_f64 v[87:88], v[87:88], v[96:97], v[100:101]
	v_div_fixup_f64 v[0:1], v[87:88], v[0:1], 1.0
.LBB78_138:
	s_or_b32 exec_lo, exec_lo, s0
	s_mov_b32 s0, exec_lo
	v_cmpx_ne_u32_e64 v95, v86
	s_xor_b32 s0, exec_lo, s0
	s_cbranch_execz .LBB78_144
; %bb.139:
	s_mov_b32 s1, exec_lo
	v_cmpx_eq_u32_e32 8, v95
	s_cbranch_execz .LBB78_143
; %bb.140:
	v_cmp_ne_u32_e32 vcc_lo, 8, v86
	s_xor_b32 s2, s6, -1
	s_and_b32 s3, s2, vcc_lo
	s_and_saveexec_b32 s2, s3
	s_cbranch_execz .LBB78_142
; %bb.141:
	v_ashrrev_i32_e32 v87, 31, v86
	v_lshlrev_b64 v[87:88], 2, v[86:87]
	v_add_co_u32 v87, vcc_lo, v4, v87
	v_add_co_ci_u32_e64 v88, null, v5, v88, vcc_lo
	s_clause 0x1
	global_load_dword v94, v[87:88], off
	global_load_dword v95, v[4:5], off offset:32
	s_waitcnt vmcnt(1)
	global_store_dword v[4:5], v94, off offset:32
	s_waitcnt vmcnt(0)
	global_store_dword v[87:88], v95, off
.LBB78_142:
	s_or_b32 exec_lo, exec_lo, s2
	v_mov_b32_e32 v94, v86
	v_mov_b32_e32 v95, v86
.LBB78_143:
	s_or_b32 exec_lo, exec_lo, s1
.LBB78_144:
	s_andn2_saveexec_b32 s0, s0
	s_cbranch_execz .LBB78_146
; %bb.145:
	v_mov_b32_e32 v95, 8
	ds_write2_b64 v92, v[64:65], v[62:63] offset0:9 offset1:10
	ds_write2_b64 v92, v[58:59], v[60:61] offset0:11 offset1:12
	;; [unrolled: 1-line block ×15, first 2 shown]
	ds_write_b64 v92, v[84:85] offset:312
.LBB78_146:
	s_or_b32 exec_lo, exec_lo, s0
	s_mov_b32 s0, exec_lo
	s_waitcnt lgkmcnt(0)
	s_waitcnt_vscnt null, 0x0
	s_barrier
	buffer_gl0_inv
	v_cmpx_lt_i32_e32 8, v95
	s_cbranch_execz .LBB78_148
; %bb.147:
	v_mul_f64 v[66:67], v[0:1], v[66:67]
	ds_read2_b64 v[96:99], v92 offset0:9 offset1:10
	ds_read2_b64 v[100:103], v92 offset0:11 offset1:12
	;; [unrolled: 1-line block ×13, first 2 shown]
	ds_read_b64 v[0:1], v92 offset:312
	s_waitcnt lgkmcnt(13)
	v_fma_f64 v[64:65], -v[66:67], v[96:97], v[64:65]
	v_fma_f64 v[62:63], -v[66:67], v[98:99], v[62:63]
	s_waitcnt lgkmcnt(12)
	v_fma_f64 v[58:59], -v[66:67], v[100:101], v[58:59]
	v_fma_f64 v[60:61], -v[66:67], v[102:103], v[60:61]
	ds_read2_b64 v[96:99], v92 offset0:35 offset1:36
	ds_read2_b64 v[100:103], v92 offset0:37 offset1:38
	s_waitcnt lgkmcnt(13)
	v_fma_f64 v[54:55], -v[66:67], v[104:105], v[54:55]
	v_fma_f64 v[56:57], -v[66:67], v[106:107], v[56:57]
	s_waitcnt lgkmcnt(12)
	v_fma_f64 v[52:53], -v[66:67], v[108:109], v[52:53]
	v_fma_f64 v[50:51], -v[66:67], v[110:111], v[50:51]
	s_waitcnt lgkmcnt(11)
	v_fma_f64 v[48:49], -v[66:67], v[112:113], v[48:49]
	v_fma_f64 v[46:47], -v[66:67], v[114:115], v[46:47]
	s_waitcnt lgkmcnt(10)
	v_fma_f64 v[44:45], -v[66:67], v[116:117], v[44:45]
	v_fma_f64 v[42:43], -v[66:67], v[118:119], v[42:43]
	s_waitcnt lgkmcnt(9)
	v_fma_f64 v[38:39], -v[66:67], v[120:121], v[38:39]
	v_fma_f64 v[40:41], -v[66:67], v[122:123], v[40:41]
	s_waitcnt lgkmcnt(8)
	v_fma_f64 v[34:35], -v[66:67], v[124:125], v[34:35]
	v_fma_f64 v[36:37], -v[66:67], v[126:127], v[36:37]
	s_waitcnt lgkmcnt(7)
	v_fma_f64 v[32:33], -v[66:67], v[128:129], v[32:33]
	v_fma_f64 v[30:31], -v[66:67], v[130:131], v[30:31]
	s_waitcnt lgkmcnt(6)
	v_fma_f64 v[28:29], -v[66:67], v[132:133], v[28:29]
	v_fma_f64 v[26:27], -v[66:67], v[134:135], v[26:27]
	s_waitcnt lgkmcnt(5)
	v_fma_f64 v[24:25], -v[66:67], v[136:137], v[24:25]
	v_fma_f64 v[22:23], -v[66:67], v[138:139], v[22:23]
	s_waitcnt lgkmcnt(4)
	v_fma_f64 v[18:19], -v[66:67], v[140:141], v[18:19]
	v_fma_f64 v[20:21], -v[66:67], v[142:143], v[20:21]
	s_waitcnt lgkmcnt(3)
	v_fma_f64 v[16:17], -v[66:67], v[144:145], v[16:17]
	v_fma_f64 v[14:15], -v[66:67], v[146:147], v[14:15]
	s_waitcnt lgkmcnt(1)
	v_fma_f64 v[8:9], -v[66:67], v[96:97], v[8:9]
	v_fma_f64 v[12:13], -v[66:67], v[98:99], v[12:13]
	s_waitcnt lgkmcnt(0)
	v_fma_f64 v[6:7], -v[66:67], v[100:101], v[6:7]
	v_fma_f64 v[10:11], -v[66:67], v[102:103], v[10:11]
	v_fma_f64 v[84:85], -v[66:67], v[0:1], v[84:85]
.LBB78_148:
	s_or_b32 exec_lo, exec_lo, s0
	v_lshl_add_u32 v0, v95, 3, v92
	s_barrier
	buffer_gl0_inv
	v_mov_b32_e32 v86, 9
	ds_write_b64 v0, v[64:65]
	s_waitcnt lgkmcnt(0)
	s_barrier
	buffer_gl0_inv
	ds_read_b64 v[0:1], v92 offset:72
	s_cmp_lt_i32 s7, 11
	s_cbranch_scc1 .LBB78_151
; %bb.149:
	v_add3_u32 v87, v93, 0, 0x50
	v_mov_b32_e32 v86, 9
	s_mov_b32 s0, 10
.LBB78_150:                             ; =>This Inner Loop Header: Depth=1
	ds_read_b64 v[96:97], v87
	v_add_nc_u32_e32 v87, 8, v87
	s_waitcnt lgkmcnt(0)
	v_cmp_lt_f64_e64 vcc_lo, |v[0:1]|, |v[96:97]|
	v_cndmask_b32_e32 v1, v1, v97, vcc_lo
	v_cndmask_b32_e32 v0, v0, v96, vcc_lo
	v_cndmask_b32_e64 v86, v86, s0, vcc_lo
	s_add_i32 s0, s0, 1
	s_cmp_lg_u32 s7, s0
	s_cbranch_scc1 .LBB78_150
.LBB78_151:
	s_mov_b32 s0, exec_lo
	s_waitcnt lgkmcnt(0)
	v_cmpx_eq_f64_e32 0, v[0:1]
	s_xor_b32 s0, exec_lo, s0
; %bb.152:
	v_cmp_ne_u32_e32 vcc_lo, 0, v89
	v_cndmask_b32_e32 v89, 10, v89, vcc_lo
; %bb.153:
	s_andn2_saveexec_b32 s0, s0
	s_cbranch_execz .LBB78_155
; %bb.154:
	v_div_scale_f64 v[87:88], null, v[0:1], v[0:1], 1.0
	v_rcp_f64_e32 v[96:97], v[87:88]
	v_fma_f64 v[98:99], -v[87:88], v[96:97], 1.0
	v_fma_f64 v[96:97], v[96:97], v[98:99], v[96:97]
	v_fma_f64 v[98:99], -v[87:88], v[96:97], 1.0
	v_fma_f64 v[96:97], v[96:97], v[98:99], v[96:97]
	v_div_scale_f64 v[98:99], vcc_lo, 1.0, v[0:1], 1.0
	v_mul_f64 v[100:101], v[98:99], v[96:97]
	v_fma_f64 v[87:88], -v[87:88], v[100:101], v[98:99]
	v_div_fmas_f64 v[87:88], v[87:88], v[96:97], v[100:101]
	v_div_fixup_f64 v[0:1], v[87:88], v[0:1], 1.0
.LBB78_155:
	s_or_b32 exec_lo, exec_lo, s0
	s_mov_b32 s0, exec_lo
	v_cmpx_ne_u32_e64 v95, v86
	s_xor_b32 s0, exec_lo, s0
	s_cbranch_execz .LBB78_161
; %bb.156:
	s_mov_b32 s1, exec_lo
	v_cmpx_eq_u32_e32 9, v95
	s_cbranch_execz .LBB78_160
; %bb.157:
	v_cmp_ne_u32_e32 vcc_lo, 9, v86
	s_xor_b32 s2, s6, -1
	s_and_b32 s3, s2, vcc_lo
	s_and_saveexec_b32 s2, s3
	s_cbranch_execz .LBB78_159
; %bb.158:
	v_ashrrev_i32_e32 v87, 31, v86
	v_lshlrev_b64 v[87:88], 2, v[86:87]
	v_add_co_u32 v87, vcc_lo, v4, v87
	v_add_co_ci_u32_e64 v88, null, v5, v88, vcc_lo
	s_clause 0x1
	global_load_dword v94, v[87:88], off
	global_load_dword v95, v[4:5], off offset:36
	s_waitcnt vmcnt(1)
	global_store_dword v[4:5], v94, off offset:36
	s_waitcnt vmcnt(0)
	global_store_dword v[87:88], v95, off
.LBB78_159:
	s_or_b32 exec_lo, exec_lo, s2
	v_mov_b32_e32 v94, v86
	v_mov_b32_e32 v95, v86
.LBB78_160:
	s_or_b32 exec_lo, exec_lo, s1
.LBB78_161:
	s_andn2_saveexec_b32 s0, s0
	s_cbranch_execz .LBB78_163
; %bb.162:
	v_mov_b32_e32 v86, v62
	v_mov_b32_e32 v87, v63
	;; [unrolled: 1-line block ×8, first 2 shown]
	ds_write2_b64 v92, v[86:87], v[95:96] offset0:10 offset1:11
	v_mov_b32_e32 v86, v54
	v_mov_b32_e32 v87, v55
	;; [unrolled: 1-line block ×16, first 2 shown]
	ds_write2_b64 v92, v[97:98], v[86:87] offset0:12 offset1:13
	ds_write2_b64 v92, v[95:96], v[99:100] offset0:14 offset1:15
	ds_write2_b64 v92, v[101:102], v[103:104] offset0:16 offset1:17
	ds_write2_b64 v92, v[105:106], v[107:108] offset0:18 offset1:19
	ds_write2_b64 v92, v[109:110], v[111:112] offset0:20 offset1:21
	v_mov_b32_e32 v86, v40
	v_mov_b32_e32 v87, v41
	;; [unrolled: 1-line block ×20, first 2 shown]
	ds_write2_b64 v92, v[86:87], v[95:96] offset0:22 offset1:23
	ds_write2_b64 v92, v[97:98], v[99:100] offset0:24 offset1:25
	;; [unrolled: 1-line block ×5, first 2 shown]
	v_mov_b32_e32 v86, v20
	v_mov_b32_e32 v87, v21
	;; [unrolled: 1-line block ×15, first 2 shown]
	ds_write2_b64 v92, v[86:87], v[96:97] offset0:32 offset1:33
	ds_write2_b64 v92, v[98:99], v[100:101] offset0:34 offset1:35
	;; [unrolled: 1-line block ×4, first 2 shown]
.LBB78_163:
	s_or_b32 exec_lo, exec_lo, s0
	s_mov_b32 s0, exec_lo
	s_waitcnt lgkmcnt(0)
	s_waitcnt_vscnt null, 0x0
	s_barrier
	buffer_gl0_inv
	v_cmpx_lt_i32_e32 9, v95
	s_cbranch_execz .LBB78_165
; %bb.164:
	v_mul_f64 v[64:65], v[0:1], v[64:65]
	ds_read2_b64 v[96:99], v92 offset0:10 offset1:11
	ds_read2_b64 v[100:103], v92 offset0:12 offset1:13
	ds_read2_b64 v[104:107], v92 offset0:14 offset1:15
	ds_read2_b64 v[108:111], v92 offset0:16 offset1:17
	ds_read2_b64 v[112:115], v92 offset0:18 offset1:19
	ds_read2_b64 v[116:119], v92 offset0:20 offset1:21
	ds_read2_b64 v[120:123], v92 offset0:22 offset1:23
	ds_read2_b64 v[124:127], v92 offset0:24 offset1:25
	ds_read2_b64 v[128:131], v92 offset0:26 offset1:27
	ds_read2_b64 v[132:135], v92 offset0:28 offset1:29
	ds_read2_b64 v[136:139], v92 offset0:30 offset1:31
	ds_read2_b64 v[140:143], v92 offset0:32 offset1:33
	ds_read2_b64 v[144:147], v92 offset0:34 offset1:35
	ds_read2_b64 v[148:151], v92 offset0:36 offset1:37
	s_waitcnt lgkmcnt(13)
	v_fma_f64 v[62:63], -v[64:65], v[96:97], v[62:63]
	v_fma_f64 v[58:59], -v[64:65], v[98:99], v[58:59]
	ds_read2_b64 v[96:99], v92 offset0:38 offset1:39
	s_waitcnt lgkmcnt(13)
	v_fma_f64 v[60:61], -v[64:65], v[100:101], v[60:61]
	v_fma_f64 v[54:55], -v[64:65], v[102:103], v[54:55]
	s_waitcnt lgkmcnt(12)
	v_fma_f64 v[56:57], -v[64:65], v[104:105], v[56:57]
	v_fma_f64 v[52:53], -v[64:65], v[106:107], v[52:53]
	;; [unrolled: 3-line block ×14, first 2 shown]
.LBB78_165:
	s_or_b32 exec_lo, exec_lo, s0
	v_lshl_add_u32 v0, v95, 3, v92
	s_barrier
	buffer_gl0_inv
	v_mov_b32_e32 v86, 10
	ds_write_b64 v0, v[62:63]
	s_waitcnt lgkmcnt(0)
	s_barrier
	buffer_gl0_inv
	ds_read_b64 v[0:1], v92 offset:80
	s_cmp_lt_i32 s7, 12
	s_cbranch_scc1 .LBB78_168
; %bb.166:
	v_add3_u32 v87, v93, 0, 0x58
	v_mov_b32_e32 v86, 10
	s_mov_b32 s0, 11
.LBB78_167:                             ; =>This Inner Loop Header: Depth=1
	ds_read_b64 v[96:97], v87
	v_add_nc_u32_e32 v87, 8, v87
	s_waitcnt lgkmcnt(0)
	v_cmp_lt_f64_e64 vcc_lo, |v[0:1]|, |v[96:97]|
	v_cndmask_b32_e32 v1, v1, v97, vcc_lo
	v_cndmask_b32_e32 v0, v0, v96, vcc_lo
	v_cndmask_b32_e64 v86, v86, s0, vcc_lo
	s_add_i32 s0, s0, 1
	s_cmp_lg_u32 s7, s0
	s_cbranch_scc1 .LBB78_167
.LBB78_168:
	s_mov_b32 s0, exec_lo
	s_waitcnt lgkmcnt(0)
	v_cmpx_eq_f64_e32 0, v[0:1]
	s_xor_b32 s0, exec_lo, s0
; %bb.169:
	v_cmp_ne_u32_e32 vcc_lo, 0, v89
	v_cndmask_b32_e32 v89, 11, v89, vcc_lo
; %bb.170:
	s_andn2_saveexec_b32 s0, s0
	s_cbranch_execz .LBB78_172
; %bb.171:
	v_div_scale_f64 v[87:88], null, v[0:1], v[0:1], 1.0
	v_rcp_f64_e32 v[96:97], v[87:88]
	v_fma_f64 v[98:99], -v[87:88], v[96:97], 1.0
	v_fma_f64 v[96:97], v[96:97], v[98:99], v[96:97]
	v_fma_f64 v[98:99], -v[87:88], v[96:97], 1.0
	v_fma_f64 v[96:97], v[96:97], v[98:99], v[96:97]
	v_div_scale_f64 v[98:99], vcc_lo, 1.0, v[0:1], 1.0
	v_mul_f64 v[100:101], v[98:99], v[96:97]
	v_fma_f64 v[87:88], -v[87:88], v[100:101], v[98:99]
	v_div_fmas_f64 v[87:88], v[87:88], v[96:97], v[100:101]
	v_div_fixup_f64 v[0:1], v[87:88], v[0:1], 1.0
.LBB78_172:
	s_or_b32 exec_lo, exec_lo, s0
	s_mov_b32 s0, exec_lo
	v_cmpx_ne_u32_e64 v95, v86
	s_xor_b32 s0, exec_lo, s0
	s_cbranch_execz .LBB78_178
; %bb.173:
	s_mov_b32 s1, exec_lo
	v_cmpx_eq_u32_e32 10, v95
	s_cbranch_execz .LBB78_177
; %bb.174:
	v_cmp_ne_u32_e32 vcc_lo, 10, v86
	s_xor_b32 s2, s6, -1
	s_and_b32 s3, s2, vcc_lo
	s_and_saveexec_b32 s2, s3
	s_cbranch_execz .LBB78_176
; %bb.175:
	v_ashrrev_i32_e32 v87, 31, v86
	v_lshlrev_b64 v[87:88], 2, v[86:87]
	v_add_co_u32 v87, vcc_lo, v4, v87
	v_add_co_ci_u32_e64 v88, null, v5, v88, vcc_lo
	s_clause 0x1
	global_load_dword v94, v[87:88], off
	global_load_dword v95, v[4:5], off offset:40
	s_waitcnt vmcnt(1)
	global_store_dword v[4:5], v94, off offset:40
	s_waitcnt vmcnt(0)
	global_store_dword v[87:88], v95, off
.LBB78_176:
	s_or_b32 exec_lo, exec_lo, s2
	v_mov_b32_e32 v94, v86
	v_mov_b32_e32 v95, v86
.LBB78_177:
	s_or_b32 exec_lo, exec_lo, s1
.LBB78_178:
	s_andn2_saveexec_b32 s0, s0
	s_cbranch_execz .LBB78_180
; %bb.179:
	v_mov_b32_e32 v95, 10
	ds_write2_b64 v92, v[58:59], v[60:61] offset0:11 offset1:12
	ds_write2_b64 v92, v[54:55], v[56:57] offset0:13 offset1:14
	;; [unrolled: 1-line block ×14, first 2 shown]
	ds_write_b64 v92, v[84:85] offset:312
.LBB78_180:
	s_or_b32 exec_lo, exec_lo, s0
	s_mov_b32 s0, exec_lo
	s_waitcnt lgkmcnt(0)
	s_waitcnt_vscnt null, 0x0
	s_barrier
	buffer_gl0_inv
	v_cmpx_lt_i32_e32 10, v95
	s_cbranch_execz .LBB78_182
; %bb.181:
	v_mul_f64 v[62:63], v[0:1], v[62:63]
	ds_read2_b64 v[96:99], v92 offset0:11 offset1:12
	ds_read2_b64 v[100:103], v92 offset0:13 offset1:14
	;; [unrolled: 1-line block ×14, first 2 shown]
	ds_read_b64 v[0:1], v92 offset:312
	s_waitcnt lgkmcnt(14)
	v_fma_f64 v[58:59], -v[62:63], v[96:97], v[58:59]
	v_fma_f64 v[60:61], -v[62:63], v[98:99], v[60:61]
	s_waitcnt lgkmcnt(13)
	v_fma_f64 v[54:55], -v[62:63], v[100:101], v[54:55]
	v_fma_f64 v[56:57], -v[62:63], v[102:103], v[56:57]
	;; [unrolled: 3-line block ×14, first 2 shown]
	s_waitcnt lgkmcnt(0)
	v_fma_f64 v[84:85], -v[62:63], v[0:1], v[84:85]
.LBB78_182:
	s_or_b32 exec_lo, exec_lo, s0
	v_lshl_add_u32 v0, v95, 3, v92
	s_barrier
	buffer_gl0_inv
	v_mov_b32_e32 v86, 11
	ds_write_b64 v0, v[58:59]
	s_waitcnt lgkmcnt(0)
	s_barrier
	buffer_gl0_inv
	ds_read_b64 v[0:1], v92 offset:88
	s_cmp_lt_i32 s7, 13
	s_cbranch_scc1 .LBB78_185
; %bb.183:
	v_add3_u32 v87, v93, 0, 0x60
	v_mov_b32_e32 v86, 11
	s_mov_b32 s0, 12
.LBB78_184:                             ; =>This Inner Loop Header: Depth=1
	ds_read_b64 v[96:97], v87
	v_add_nc_u32_e32 v87, 8, v87
	s_waitcnt lgkmcnt(0)
	v_cmp_lt_f64_e64 vcc_lo, |v[0:1]|, |v[96:97]|
	v_cndmask_b32_e32 v1, v1, v97, vcc_lo
	v_cndmask_b32_e32 v0, v0, v96, vcc_lo
	v_cndmask_b32_e64 v86, v86, s0, vcc_lo
	s_add_i32 s0, s0, 1
	s_cmp_lg_u32 s7, s0
	s_cbranch_scc1 .LBB78_184
.LBB78_185:
	s_mov_b32 s0, exec_lo
	s_waitcnt lgkmcnt(0)
	v_cmpx_eq_f64_e32 0, v[0:1]
	s_xor_b32 s0, exec_lo, s0
; %bb.186:
	v_cmp_ne_u32_e32 vcc_lo, 0, v89
	v_cndmask_b32_e32 v89, 12, v89, vcc_lo
; %bb.187:
	s_andn2_saveexec_b32 s0, s0
	s_cbranch_execz .LBB78_189
; %bb.188:
	v_div_scale_f64 v[87:88], null, v[0:1], v[0:1], 1.0
	v_rcp_f64_e32 v[96:97], v[87:88]
	v_fma_f64 v[98:99], -v[87:88], v[96:97], 1.0
	v_fma_f64 v[96:97], v[96:97], v[98:99], v[96:97]
	v_fma_f64 v[98:99], -v[87:88], v[96:97], 1.0
	v_fma_f64 v[96:97], v[96:97], v[98:99], v[96:97]
	v_div_scale_f64 v[98:99], vcc_lo, 1.0, v[0:1], 1.0
	v_mul_f64 v[100:101], v[98:99], v[96:97]
	v_fma_f64 v[87:88], -v[87:88], v[100:101], v[98:99]
	v_div_fmas_f64 v[87:88], v[87:88], v[96:97], v[100:101]
	v_div_fixup_f64 v[0:1], v[87:88], v[0:1], 1.0
.LBB78_189:
	s_or_b32 exec_lo, exec_lo, s0
	s_mov_b32 s0, exec_lo
	v_cmpx_ne_u32_e64 v95, v86
	s_xor_b32 s0, exec_lo, s0
	s_cbranch_execz .LBB78_195
; %bb.190:
	s_mov_b32 s1, exec_lo
	v_cmpx_eq_u32_e32 11, v95
	s_cbranch_execz .LBB78_194
; %bb.191:
	v_cmp_ne_u32_e32 vcc_lo, 11, v86
	s_xor_b32 s2, s6, -1
	s_and_b32 s3, s2, vcc_lo
	s_and_saveexec_b32 s2, s3
	s_cbranch_execz .LBB78_193
; %bb.192:
	v_ashrrev_i32_e32 v87, 31, v86
	v_lshlrev_b64 v[87:88], 2, v[86:87]
	v_add_co_u32 v87, vcc_lo, v4, v87
	v_add_co_ci_u32_e64 v88, null, v5, v88, vcc_lo
	s_clause 0x1
	global_load_dword v94, v[87:88], off
	global_load_dword v95, v[4:5], off offset:44
	s_waitcnt vmcnt(1)
	global_store_dword v[4:5], v94, off offset:44
	s_waitcnt vmcnt(0)
	global_store_dword v[87:88], v95, off
.LBB78_193:
	s_or_b32 exec_lo, exec_lo, s2
	v_mov_b32_e32 v94, v86
	v_mov_b32_e32 v95, v86
.LBB78_194:
	s_or_b32 exec_lo, exec_lo, s1
.LBB78_195:
	s_andn2_saveexec_b32 s0, s0
	s_cbranch_execz .LBB78_197
; %bb.196:
	v_mov_b32_e32 v86, v60
	v_mov_b32_e32 v87, v61
	;; [unrolled: 1-line block ×20, first 2 shown]
	ds_write2_b64 v92, v[86:87], v[95:96] offset0:12 offset1:13
	ds_write2_b64 v92, v[97:98], v[99:100] offset0:14 offset1:15
	;; [unrolled: 1-line block ×5, first 2 shown]
	v_mov_b32_e32 v86, v40
	v_mov_b32_e32 v87, v41
	;; [unrolled: 1-line block ×20, first 2 shown]
	ds_write2_b64 v92, v[86:87], v[95:96] offset0:22 offset1:23
	ds_write2_b64 v92, v[97:98], v[99:100] offset0:24 offset1:25
	;; [unrolled: 1-line block ×5, first 2 shown]
	v_mov_b32_e32 v86, v20
	v_mov_b32_e32 v87, v21
	;; [unrolled: 1-line block ×15, first 2 shown]
	ds_write2_b64 v92, v[86:87], v[96:97] offset0:32 offset1:33
	ds_write2_b64 v92, v[98:99], v[100:101] offset0:34 offset1:35
	;; [unrolled: 1-line block ×4, first 2 shown]
.LBB78_197:
	s_or_b32 exec_lo, exec_lo, s0
	s_mov_b32 s0, exec_lo
	s_waitcnt lgkmcnt(0)
	s_waitcnt_vscnt null, 0x0
	s_barrier
	buffer_gl0_inv
	v_cmpx_lt_i32_e32 11, v95
	s_cbranch_execz .LBB78_199
; %bb.198:
	v_mul_f64 v[58:59], v[0:1], v[58:59]
	ds_read2_b64 v[96:99], v92 offset0:12 offset1:13
	ds_read2_b64 v[100:103], v92 offset0:14 offset1:15
	;; [unrolled: 1-line block ×14, first 2 shown]
	s_waitcnt lgkmcnt(13)
	v_fma_f64 v[60:61], -v[58:59], v[96:97], v[60:61]
	v_fma_f64 v[54:55], -v[58:59], v[98:99], v[54:55]
	s_waitcnt lgkmcnt(12)
	v_fma_f64 v[56:57], -v[58:59], v[100:101], v[56:57]
	v_fma_f64 v[52:53], -v[58:59], v[102:103], v[52:53]
	;; [unrolled: 3-line block ×14, first 2 shown]
.LBB78_199:
	s_or_b32 exec_lo, exec_lo, s0
	v_lshl_add_u32 v0, v95, 3, v92
	s_barrier
	buffer_gl0_inv
	v_mov_b32_e32 v86, 12
	ds_write_b64 v0, v[60:61]
	s_waitcnt lgkmcnt(0)
	s_barrier
	buffer_gl0_inv
	ds_read_b64 v[0:1], v92 offset:96
	s_cmp_lt_i32 s7, 14
	s_cbranch_scc1 .LBB78_202
; %bb.200:
	v_add3_u32 v87, v93, 0, 0x68
	v_mov_b32_e32 v86, 12
	s_mov_b32 s0, 13
.LBB78_201:                             ; =>This Inner Loop Header: Depth=1
	ds_read_b64 v[96:97], v87
	v_add_nc_u32_e32 v87, 8, v87
	s_waitcnt lgkmcnt(0)
	v_cmp_lt_f64_e64 vcc_lo, |v[0:1]|, |v[96:97]|
	v_cndmask_b32_e32 v1, v1, v97, vcc_lo
	v_cndmask_b32_e32 v0, v0, v96, vcc_lo
	v_cndmask_b32_e64 v86, v86, s0, vcc_lo
	s_add_i32 s0, s0, 1
	s_cmp_lg_u32 s7, s0
	s_cbranch_scc1 .LBB78_201
.LBB78_202:
	s_mov_b32 s0, exec_lo
	s_waitcnt lgkmcnt(0)
	v_cmpx_eq_f64_e32 0, v[0:1]
	s_xor_b32 s0, exec_lo, s0
; %bb.203:
	v_cmp_ne_u32_e32 vcc_lo, 0, v89
	v_cndmask_b32_e32 v89, 13, v89, vcc_lo
; %bb.204:
	s_andn2_saveexec_b32 s0, s0
	s_cbranch_execz .LBB78_206
; %bb.205:
	v_div_scale_f64 v[87:88], null, v[0:1], v[0:1], 1.0
	v_rcp_f64_e32 v[96:97], v[87:88]
	v_fma_f64 v[98:99], -v[87:88], v[96:97], 1.0
	v_fma_f64 v[96:97], v[96:97], v[98:99], v[96:97]
	v_fma_f64 v[98:99], -v[87:88], v[96:97], 1.0
	v_fma_f64 v[96:97], v[96:97], v[98:99], v[96:97]
	v_div_scale_f64 v[98:99], vcc_lo, 1.0, v[0:1], 1.0
	v_mul_f64 v[100:101], v[98:99], v[96:97]
	v_fma_f64 v[87:88], -v[87:88], v[100:101], v[98:99]
	v_div_fmas_f64 v[87:88], v[87:88], v[96:97], v[100:101]
	v_div_fixup_f64 v[0:1], v[87:88], v[0:1], 1.0
.LBB78_206:
	s_or_b32 exec_lo, exec_lo, s0
	s_mov_b32 s0, exec_lo
	v_cmpx_ne_u32_e64 v95, v86
	s_xor_b32 s0, exec_lo, s0
	s_cbranch_execz .LBB78_212
; %bb.207:
	s_mov_b32 s1, exec_lo
	v_cmpx_eq_u32_e32 12, v95
	s_cbranch_execz .LBB78_211
; %bb.208:
	v_cmp_ne_u32_e32 vcc_lo, 12, v86
	s_xor_b32 s2, s6, -1
	s_and_b32 s3, s2, vcc_lo
	s_and_saveexec_b32 s2, s3
	s_cbranch_execz .LBB78_210
; %bb.209:
	v_ashrrev_i32_e32 v87, 31, v86
	v_lshlrev_b64 v[87:88], 2, v[86:87]
	v_add_co_u32 v87, vcc_lo, v4, v87
	v_add_co_ci_u32_e64 v88, null, v5, v88, vcc_lo
	s_clause 0x1
	global_load_dword v94, v[87:88], off
	global_load_dword v95, v[4:5], off offset:48
	s_waitcnt vmcnt(1)
	global_store_dword v[4:5], v94, off offset:48
	s_waitcnt vmcnt(0)
	global_store_dword v[87:88], v95, off
.LBB78_210:
	s_or_b32 exec_lo, exec_lo, s2
	v_mov_b32_e32 v94, v86
	v_mov_b32_e32 v95, v86
.LBB78_211:
	s_or_b32 exec_lo, exec_lo, s1
.LBB78_212:
	s_andn2_saveexec_b32 s0, s0
	s_cbranch_execz .LBB78_214
; %bb.213:
	v_mov_b32_e32 v95, 12
	ds_write2_b64 v92, v[54:55], v[56:57] offset0:13 offset1:14
	ds_write2_b64 v92, v[52:53], v[50:51] offset0:15 offset1:16
	;; [unrolled: 1-line block ×13, first 2 shown]
	ds_write_b64 v92, v[84:85] offset:312
.LBB78_214:
	s_or_b32 exec_lo, exec_lo, s0
	s_mov_b32 s0, exec_lo
	s_waitcnt lgkmcnt(0)
	s_waitcnt_vscnt null, 0x0
	s_barrier
	buffer_gl0_inv
	v_cmpx_lt_i32_e32 12, v95
	s_cbranch_execz .LBB78_216
; %bb.215:
	v_mul_f64 v[60:61], v[0:1], v[60:61]
	ds_read2_b64 v[96:99], v92 offset0:13 offset1:14
	ds_read2_b64 v[100:103], v92 offset0:15 offset1:16
	;; [unrolled: 1-line block ×13, first 2 shown]
	ds_read_b64 v[0:1], v92 offset:312
	s_waitcnt lgkmcnt(13)
	v_fma_f64 v[54:55], -v[60:61], v[96:97], v[54:55]
	v_fma_f64 v[56:57], -v[60:61], v[98:99], v[56:57]
	s_waitcnt lgkmcnt(12)
	v_fma_f64 v[52:53], -v[60:61], v[100:101], v[52:53]
	v_fma_f64 v[50:51], -v[60:61], v[102:103], v[50:51]
	;; [unrolled: 3-line block ×13, first 2 shown]
	s_waitcnt lgkmcnt(0)
	v_fma_f64 v[84:85], -v[60:61], v[0:1], v[84:85]
.LBB78_216:
	s_or_b32 exec_lo, exec_lo, s0
	v_lshl_add_u32 v0, v95, 3, v92
	s_barrier
	buffer_gl0_inv
	v_mov_b32_e32 v86, 13
	ds_write_b64 v0, v[54:55]
	s_waitcnt lgkmcnt(0)
	s_barrier
	buffer_gl0_inv
	ds_read_b64 v[0:1], v92 offset:104
	s_cmp_lt_i32 s7, 15
	s_cbranch_scc1 .LBB78_219
; %bb.217:
	v_add3_u32 v87, v93, 0, 0x70
	v_mov_b32_e32 v86, 13
	s_mov_b32 s0, 14
.LBB78_218:                             ; =>This Inner Loop Header: Depth=1
	ds_read_b64 v[96:97], v87
	v_add_nc_u32_e32 v87, 8, v87
	s_waitcnt lgkmcnt(0)
	v_cmp_lt_f64_e64 vcc_lo, |v[0:1]|, |v[96:97]|
	v_cndmask_b32_e32 v1, v1, v97, vcc_lo
	v_cndmask_b32_e32 v0, v0, v96, vcc_lo
	v_cndmask_b32_e64 v86, v86, s0, vcc_lo
	s_add_i32 s0, s0, 1
	s_cmp_lg_u32 s7, s0
	s_cbranch_scc1 .LBB78_218
.LBB78_219:
	s_mov_b32 s0, exec_lo
	s_waitcnt lgkmcnt(0)
	v_cmpx_eq_f64_e32 0, v[0:1]
	s_xor_b32 s0, exec_lo, s0
; %bb.220:
	v_cmp_ne_u32_e32 vcc_lo, 0, v89
	v_cndmask_b32_e32 v89, 14, v89, vcc_lo
; %bb.221:
	s_andn2_saveexec_b32 s0, s0
	s_cbranch_execz .LBB78_223
; %bb.222:
	v_div_scale_f64 v[87:88], null, v[0:1], v[0:1], 1.0
	v_rcp_f64_e32 v[96:97], v[87:88]
	v_fma_f64 v[98:99], -v[87:88], v[96:97], 1.0
	v_fma_f64 v[96:97], v[96:97], v[98:99], v[96:97]
	v_fma_f64 v[98:99], -v[87:88], v[96:97], 1.0
	v_fma_f64 v[96:97], v[96:97], v[98:99], v[96:97]
	v_div_scale_f64 v[98:99], vcc_lo, 1.0, v[0:1], 1.0
	v_mul_f64 v[100:101], v[98:99], v[96:97]
	v_fma_f64 v[87:88], -v[87:88], v[100:101], v[98:99]
	v_div_fmas_f64 v[87:88], v[87:88], v[96:97], v[100:101]
	v_div_fixup_f64 v[0:1], v[87:88], v[0:1], 1.0
.LBB78_223:
	s_or_b32 exec_lo, exec_lo, s0
	s_mov_b32 s0, exec_lo
	v_cmpx_ne_u32_e64 v95, v86
	s_xor_b32 s0, exec_lo, s0
	s_cbranch_execz .LBB78_229
; %bb.224:
	s_mov_b32 s1, exec_lo
	v_cmpx_eq_u32_e32 13, v95
	s_cbranch_execz .LBB78_228
; %bb.225:
	v_cmp_ne_u32_e32 vcc_lo, 13, v86
	s_xor_b32 s2, s6, -1
	s_and_b32 s3, s2, vcc_lo
	s_and_saveexec_b32 s2, s3
	s_cbranch_execz .LBB78_227
; %bb.226:
	v_ashrrev_i32_e32 v87, 31, v86
	v_lshlrev_b64 v[87:88], 2, v[86:87]
	v_add_co_u32 v87, vcc_lo, v4, v87
	v_add_co_ci_u32_e64 v88, null, v5, v88, vcc_lo
	s_clause 0x1
	global_load_dword v94, v[87:88], off
	global_load_dword v95, v[4:5], off offset:52
	s_waitcnt vmcnt(1)
	global_store_dword v[4:5], v94, off offset:52
	s_waitcnt vmcnt(0)
	global_store_dword v[87:88], v95, off
.LBB78_227:
	s_or_b32 exec_lo, exec_lo, s2
	v_mov_b32_e32 v94, v86
	v_mov_b32_e32 v95, v86
.LBB78_228:
	s_or_b32 exec_lo, exec_lo, s1
.LBB78_229:
	s_andn2_saveexec_b32 s0, s0
	s_cbranch_execz .LBB78_231
; %bb.230:
	v_mov_b32_e32 v86, v56
	v_mov_b32_e32 v87, v57
	;; [unrolled: 1-line block ×16, first 2 shown]
	ds_write2_b64 v92, v[86:87], v[95:96] offset0:14 offset1:15
	ds_write2_b64 v92, v[97:98], v[99:100] offset0:16 offset1:17
	;; [unrolled: 1-line block ×4, first 2 shown]
	v_mov_b32_e32 v86, v40
	v_mov_b32_e32 v87, v41
	;; [unrolled: 1-line block ×20, first 2 shown]
	ds_write2_b64 v92, v[86:87], v[95:96] offset0:22 offset1:23
	ds_write2_b64 v92, v[97:98], v[99:100] offset0:24 offset1:25
	;; [unrolled: 1-line block ×5, first 2 shown]
	v_mov_b32_e32 v86, v20
	v_mov_b32_e32 v87, v21
	;; [unrolled: 1-line block ×15, first 2 shown]
	ds_write2_b64 v92, v[86:87], v[96:97] offset0:32 offset1:33
	ds_write2_b64 v92, v[98:99], v[100:101] offset0:34 offset1:35
	;; [unrolled: 1-line block ×4, first 2 shown]
.LBB78_231:
	s_or_b32 exec_lo, exec_lo, s0
	s_mov_b32 s0, exec_lo
	s_waitcnt lgkmcnt(0)
	s_waitcnt_vscnt null, 0x0
	s_barrier
	buffer_gl0_inv
	v_cmpx_lt_i32_e32 13, v95
	s_cbranch_execz .LBB78_233
; %bb.232:
	v_mul_f64 v[54:55], v[0:1], v[54:55]
	ds_read2_b64 v[96:99], v92 offset0:14 offset1:15
	ds_read2_b64 v[100:103], v92 offset0:16 offset1:17
	;; [unrolled: 1-line block ×13, first 2 shown]
	s_waitcnt lgkmcnt(12)
	v_fma_f64 v[56:57], -v[54:55], v[96:97], v[56:57]
	v_fma_f64 v[52:53], -v[54:55], v[98:99], v[52:53]
	s_waitcnt lgkmcnt(11)
	v_fma_f64 v[50:51], -v[54:55], v[100:101], v[50:51]
	v_fma_f64 v[48:49], -v[54:55], v[102:103], v[48:49]
	;; [unrolled: 3-line block ×13, first 2 shown]
.LBB78_233:
	s_or_b32 exec_lo, exec_lo, s0
	v_lshl_add_u32 v0, v95, 3, v92
	s_barrier
	buffer_gl0_inv
	v_mov_b32_e32 v86, 14
	ds_write_b64 v0, v[56:57]
	s_waitcnt lgkmcnt(0)
	s_barrier
	buffer_gl0_inv
	ds_read_b64 v[0:1], v92 offset:112
	s_cmp_lt_i32 s7, 16
	s_cbranch_scc1 .LBB78_236
; %bb.234:
	v_add3_u32 v87, v93, 0, 0x78
	v_mov_b32_e32 v86, 14
	s_mov_b32 s0, 15
.LBB78_235:                             ; =>This Inner Loop Header: Depth=1
	ds_read_b64 v[96:97], v87
	v_add_nc_u32_e32 v87, 8, v87
	s_waitcnt lgkmcnt(0)
	v_cmp_lt_f64_e64 vcc_lo, |v[0:1]|, |v[96:97]|
	v_cndmask_b32_e32 v1, v1, v97, vcc_lo
	v_cndmask_b32_e32 v0, v0, v96, vcc_lo
	v_cndmask_b32_e64 v86, v86, s0, vcc_lo
	s_add_i32 s0, s0, 1
	s_cmp_lg_u32 s7, s0
	s_cbranch_scc1 .LBB78_235
.LBB78_236:
	s_mov_b32 s0, exec_lo
	s_waitcnt lgkmcnt(0)
	v_cmpx_eq_f64_e32 0, v[0:1]
	s_xor_b32 s0, exec_lo, s0
; %bb.237:
	v_cmp_ne_u32_e32 vcc_lo, 0, v89
	v_cndmask_b32_e32 v89, 15, v89, vcc_lo
; %bb.238:
	s_andn2_saveexec_b32 s0, s0
	s_cbranch_execz .LBB78_240
; %bb.239:
	v_div_scale_f64 v[87:88], null, v[0:1], v[0:1], 1.0
	v_rcp_f64_e32 v[96:97], v[87:88]
	v_fma_f64 v[98:99], -v[87:88], v[96:97], 1.0
	v_fma_f64 v[96:97], v[96:97], v[98:99], v[96:97]
	v_fma_f64 v[98:99], -v[87:88], v[96:97], 1.0
	v_fma_f64 v[96:97], v[96:97], v[98:99], v[96:97]
	v_div_scale_f64 v[98:99], vcc_lo, 1.0, v[0:1], 1.0
	v_mul_f64 v[100:101], v[98:99], v[96:97]
	v_fma_f64 v[87:88], -v[87:88], v[100:101], v[98:99]
	v_div_fmas_f64 v[87:88], v[87:88], v[96:97], v[100:101]
	v_div_fixup_f64 v[0:1], v[87:88], v[0:1], 1.0
.LBB78_240:
	s_or_b32 exec_lo, exec_lo, s0
	s_mov_b32 s0, exec_lo
	v_cmpx_ne_u32_e64 v95, v86
	s_xor_b32 s0, exec_lo, s0
	s_cbranch_execz .LBB78_246
; %bb.241:
	s_mov_b32 s1, exec_lo
	v_cmpx_eq_u32_e32 14, v95
	s_cbranch_execz .LBB78_245
; %bb.242:
	v_cmp_ne_u32_e32 vcc_lo, 14, v86
	s_xor_b32 s2, s6, -1
	s_and_b32 s3, s2, vcc_lo
	s_and_saveexec_b32 s2, s3
	s_cbranch_execz .LBB78_244
; %bb.243:
	v_ashrrev_i32_e32 v87, 31, v86
	v_lshlrev_b64 v[87:88], 2, v[86:87]
	v_add_co_u32 v87, vcc_lo, v4, v87
	v_add_co_ci_u32_e64 v88, null, v5, v88, vcc_lo
	s_clause 0x1
	global_load_dword v94, v[87:88], off
	global_load_dword v95, v[4:5], off offset:56
	s_waitcnt vmcnt(1)
	global_store_dword v[4:5], v94, off offset:56
	s_waitcnt vmcnt(0)
	global_store_dword v[87:88], v95, off
.LBB78_244:
	s_or_b32 exec_lo, exec_lo, s2
	v_mov_b32_e32 v94, v86
	v_mov_b32_e32 v95, v86
.LBB78_245:
	s_or_b32 exec_lo, exec_lo, s1
.LBB78_246:
	s_andn2_saveexec_b32 s0, s0
	s_cbranch_execz .LBB78_248
; %bb.247:
	v_mov_b32_e32 v95, 14
	ds_write2_b64 v92, v[52:53], v[50:51] offset0:15 offset1:16
	ds_write2_b64 v92, v[48:49], v[46:47] offset0:17 offset1:18
	;; [unrolled: 1-line block ×12, first 2 shown]
	ds_write_b64 v92, v[84:85] offset:312
.LBB78_248:
	s_or_b32 exec_lo, exec_lo, s0
	s_mov_b32 s0, exec_lo
	s_waitcnt lgkmcnt(0)
	s_waitcnt_vscnt null, 0x0
	s_barrier
	buffer_gl0_inv
	v_cmpx_lt_i32_e32 14, v95
	s_cbranch_execz .LBB78_250
; %bb.249:
	v_mul_f64 v[56:57], v[0:1], v[56:57]
	ds_read2_b64 v[96:99], v92 offset0:15 offset1:16
	ds_read2_b64 v[100:103], v92 offset0:17 offset1:18
	;; [unrolled: 1-line block ×12, first 2 shown]
	ds_read_b64 v[0:1], v92 offset:312
	s_waitcnt lgkmcnt(12)
	v_fma_f64 v[52:53], -v[56:57], v[96:97], v[52:53]
	v_fma_f64 v[50:51], -v[56:57], v[98:99], v[50:51]
	s_waitcnt lgkmcnt(11)
	v_fma_f64 v[48:49], -v[56:57], v[100:101], v[48:49]
	v_fma_f64 v[46:47], -v[56:57], v[102:103], v[46:47]
	;; [unrolled: 3-line block ×12, first 2 shown]
	s_waitcnt lgkmcnt(0)
	v_fma_f64 v[84:85], -v[56:57], v[0:1], v[84:85]
.LBB78_250:
	s_or_b32 exec_lo, exec_lo, s0
	v_lshl_add_u32 v0, v95, 3, v92
	s_barrier
	buffer_gl0_inv
	v_mov_b32_e32 v86, 15
	ds_write_b64 v0, v[52:53]
	s_waitcnt lgkmcnt(0)
	s_barrier
	buffer_gl0_inv
	ds_read_b64 v[0:1], v92 offset:120
	s_cmp_lt_i32 s7, 17
	s_cbranch_scc1 .LBB78_253
; %bb.251:
	v_add3_u32 v87, v93, 0, 0x80
	v_mov_b32_e32 v86, 15
	s_mov_b32 s0, 16
.LBB78_252:                             ; =>This Inner Loop Header: Depth=1
	ds_read_b64 v[96:97], v87
	v_add_nc_u32_e32 v87, 8, v87
	s_waitcnt lgkmcnt(0)
	v_cmp_lt_f64_e64 vcc_lo, |v[0:1]|, |v[96:97]|
	v_cndmask_b32_e32 v1, v1, v97, vcc_lo
	v_cndmask_b32_e32 v0, v0, v96, vcc_lo
	v_cndmask_b32_e64 v86, v86, s0, vcc_lo
	s_add_i32 s0, s0, 1
	s_cmp_lg_u32 s7, s0
	s_cbranch_scc1 .LBB78_252
.LBB78_253:
	s_mov_b32 s0, exec_lo
	s_waitcnt lgkmcnt(0)
	v_cmpx_eq_f64_e32 0, v[0:1]
	s_xor_b32 s0, exec_lo, s0
; %bb.254:
	v_cmp_ne_u32_e32 vcc_lo, 0, v89
	v_cndmask_b32_e32 v89, 16, v89, vcc_lo
; %bb.255:
	s_andn2_saveexec_b32 s0, s0
	s_cbranch_execz .LBB78_257
; %bb.256:
	v_div_scale_f64 v[87:88], null, v[0:1], v[0:1], 1.0
	v_rcp_f64_e32 v[96:97], v[87:88]
	v_fma_f64 v[98:99], -v[87:88], v[96:97], 1.0
	v_fma_f64 v[96:97], v[96:97], v[98:99], v[96:97]
	v_fma_f64 v[98:99], -v[87:88], v[96:97], 1.0
	v_fma_f64 v[96:97], v[96:97], v[98:99], v[96:97]
	v_div_scale_f64 v[98:99], vcc_lo, 1.0, v[0:1], 1.0
	v_mul_f64 v[100:101], v[98:99], v[96:97]
	v_fma_f64 v[87:88], -v[87:88], v[100:101], v[98:99]
	v_div_fmas_f64 v[87:88], v[87:88], v[96:97], v[100:101]
	v_div_fixup_f64 v[0:1], v[87:88], v[0:1], 1.0
.LBB78_257:
	s_or_b32 exec_lo, exec_lo, s0
	s_mov_b32 s0, exec_lo
	v_cmpx_ne_u32_e64 v95, v86
	s_xor_b32 s0, exec_lo, s0
	s_cbranch_execz .LBB78_263
; %bb.258:
	s_mov_b32 s1, exec_lo
	v_cmpx_eq_u32_e32 15, v95
	s_cbranch_execz .LBB78_262
; %bb.259:
	v_cmp_ne_u32_e32 vcc_lo, 15, v86
	s_xor_b32 s2, s6, -1
	s_and_b32 s3, s2, vcc_lo
	s_and_saveexec_b32 s2, s3
	s_cbranch_execz .LBB78_261
; %bb.260:
	v_ashrrev_i32_e32 v87, 31, v86
	v_lshlrev_b64 v[87:88], 2, v[86:87]
	v_add_co_u32 v87, vcc_lo, v4, v87
	v_add_co_ci_u32_e64 v88, null, v5, v88, vcc_lo
	s_clause 0x1
	global_load_dword v94, v[87:88], off
	global_load_dword v95, v[4:5], off offset:60
	s_waitcnt vmcnt(1)
	global_store_dword v[4:5], v94, off offset:60
	s_waitcnt vmcnt(0)
	global_store_dword v[87:88], v95, off
.LBB78_261:
	s_or_b32 exec_lo, exec_lo, s2
	v_mov_b32_e32 v94, v86
	v_mov_b32_e32 v95, v86
.LBB78_262:
	s_or_b32 exec_lo, exec_lo, s1
.LBB78_263:
	s_andn2_saveexec_b32 s0, s0
	s_cbranch_execz .LBB78_265
; %bb.264:
	v_mov_b32_e32 v86, v50
	v_mov_b32_e32 v87, v51
	;; [unrolled: 1-line block ×12, first 2 shown]
	ds_write2_b64 v92, v[86:87], v[95:96] offset0:16 offset1:17
	ds_write2_b64 v92, v[97:98], v[99:100] offset0:18 offset1:19
	;; [unrolled: 1-line block ×3, first 2 shown]
	v_mov_b32_e32 v86, v40
	v_mov_b32_e32 v87, v41
	;; [unrolled: 1-line block ×20, first 2 shown]
	ds_write2_b64 v92, v[86:87], v[95:96] offset0:22 offset1:23
	ds_write2_b64 v92, v[97:98], v[99:100] offset0:24 offset1:25
	;; [unrolled: 1-line block ×5, first 2 shown]
	v_mov_b32_e32 v86, v20
	v_mov_b32_e32 v87, v21
	;; [unrolled: 1-line block ×15, first 2 shown]
	ds_write2_b64 v92, v[86:87], v[96:97] offset0:32 offset1:33
	ds_write2_b64 v92, v[98:99], v[100:101] offset0:34 offset1:35
	ds_write2_b64 v92, v[102:103], v[104:105] offset0:36 offset1:37
	ds_write2_b64 v92, v[106:107], v[84:85] offset0:38 offset1:39
.LBB78_265:
	s_or_b32 exec_lo, exec_lo, s0
	s_mov_b32 s0, exec_lo
	s_waitcnt lgkmcnt(0)
	s_waitcnt_vscnt null, 0x0
	s_barrier
	buffer_gl0_inv
	v_cmpx_lt_i32_e32 15, v95
	s_cbranch_execz .LBB78_267
; %bb.266:
	v_mul_f64 v[52:53], v[0:1], v[52:53]
	ds_read2_b64 v[96:99], v92 offset0:16 offset1:17
	ds_read2_b64 v[100:103], v92 offset0:18 offset1:19
	;; [unrolled: 1-line block ×12, first 2 shown]
	s_waitcnt lgkmcnt(11)
	v_fma_f64 v[50:51], -v[52:53], v[96:97], v[50:51]
	v_fma_f64 v[48:49], -v[52:53], v[98:99], v[48:49]
	s_waitcnt lgkmcnt(10)
	v_fma_f64 v[46:47], -v[52:53], v[100:101], v[46:47]
	v_fma_f64 v[44:45], -v[52:53], v[102:103], v[44:45]
	s_waitcnt lgkmcnt(9)
	v_fma_f64 v[42:43], -v[52:53], v[104:105], v[42:43]
	v_fma_f64 v[38:39], -v[52:53], v[106:107], v[38:39]
	s_waitcnt lgkmcnt(8)
	v_fma_f64 v[40:41], -v[52:53], v[108:109], v[40:41]
	v_fma_f64 v[34:35], -v[52:53], v[110:111], v[34:35]
	s_waitcnt lgkmcnt(7)
	v_fma_f64 v[36:37], -v[52:53], v[112:113], v[36:37]
	v_fma_f64 v[32:33], -v[52:53], v[114:115], v[32:33]
	s_waitcnt lgkmcnt(6)
	v_fma_f64 v[30:31], -v[52:53], v[116:117], v[30:31]
	v_fma_f64 v[28:29], -v[52:53], v[118:119], v[28:29]
	s_waitcnt lgkmcnt(5)
	v_fma_f64 v[26:27], -v[52:53], v[120:121], v[26:27]
	v_fma_f64 v[24:25], -v[52:53], v[122:123], v[24:25]
	s_waitcnt lgkmcnt(4)
	v_fma_f64 v[22:23], -v[52:53], v[124:125], v[22:23]
	v_fma_f64 v[18:19], -v[52:53], v[126:127], v[18:19]
	s_waitcnt lgkmcnt(3)
	v_fma_f64 v[20:21], -v[52:53], v[128:129], v[20:21]
	v_fma_f64 v[16:17], -v[52:53], v[130:131], v[16:17]
	s_waitcnt lgkmcnt(2)
	v_fma_f64 v[14:15], -v[52:53], v[132:133], v[14:15]
	v_fma_f64 v[8:9], -v[52:53], v[134:135], v[8:9]
	s_waitcnt lgkmcnt(1)
	v_fma_f64 v[12:13], -v[52:53], v[136:137], v[12:13]
	v_fma_f64 v[6:7], -v[52:53], v[138:139], v[6:7]
	s_waitcnt lgkmcnt(0)
	v_fma_f64 v[10:11], -v[52:53], v[140:141], v[10:11]
	v_fma_f64 v[84:85], -v[52:53], v[142:143], v[84:85]
.LBB78_267:
	s_or_b32 exec_lo, exec_lo, s0
	v_lshl_add_u32 v0, v95, 3, v92
	s_barrier
	buffer_gl0_inv
	v_mov_b32_e32 v86, 16
	ds_write_b64 v0, v[50:51]
	s_waitcnt lgkmcnt(0)
	s_barrier
	buffer_gl0_inv
	ds_read_b64 v[0:1], v92 offset:128
	s_cmp_lt_i32 s7, 18
	s_cbranch_scc1 .LBB78_270
; %bb.268:
	v_add3_u32 v87, v93, 0, 0x88
	v_mov_b32_e32 v86, 16
	s_mov_b32 s0, 17
.LBB78_269:                             ; =>This Inner Loop Header: Depth=1
	ds_read_b64 v[96:97], v87
	v_add_nc_u32_e32 v87, 8, v87
	s_waitcnt lgkmcnt(0)
	v_cmp_lt_f64_e64 vcc_lo, |v[0:1]|, |v[96:97]|
	v_cndmask_b32_e32 v1, v1, v97, vcc_lo
	v_cndmask_b32_e32 v0, v0, v96, vcc_lo
	v_cndmask_b32_e64 v86, v86, s0, vcc_lo
	s_add_i32 s0, s0, 1
	s_cmp_lg_u32 s7, s0
	s_cbranch_scc1 .LBB78_269
.LBB78_270:
	s_mov_b32 s0, exec_lo
	s_waitcnt lgkmcnt(0)
	v_cmpx_eq_f64_e32 0, v[0:1]
	s_xor_b32 s0, exec_lo, s0
; %bb.271:
	v_cmp_ne_u32_e32 vcc_lo, 0, v89
	v_cndmask_b32_e32 v89, 17, v89, vcc_lo
; %bb.272:
	s_andn2_saveexec_b32 s0, s0
	s_cbranch_execz .LBB78_274
; %bb.273:
	v_div_scale_f64 v[87:88], null, v[0:1], v[0:1], 1.0
	v_rcp_f64_e32 v[96:97], v[87:88]
	v_fma_f64 v[98:99], -v[87:88], v[96:97], 1.0
	v_fma_f64 v[96:97], v[96:97], v[98:99], v[96:97]
	v_fma_f64 v[98:99], -v[87:88], v[96:97], 1.0
	v_fma_f64 v[96:97], v[96:97], v[98:99], v[96:97]
	v_div_scale_f64 v[98:99], vcc_lo, 1.0, v[0:1], 1.0
	v_mul_f64 v[100:101], v[98:99], v[96:97]
	v_fma_f64 v[87:88], -v[87:88], v[100:101], v[98:99]
	v_div_fmas_f64 v[87:88], v[87:88], v[96:97], v[100:101]
	v_div_fixup_f64 v[0:1], v[87:88], v[0:1], 1.0
.LBB78_274:
	s_or_b32 exec_lo, exec_lo, s0
	s_mov_b32 s0, exec_lo
	v_cmpx_ne_u32_e64 v95, v86
	s_xor_b32 s0, exec_lo, s0
	s_cbranch_execz .LBB78_280
; %bb.275:
	s_mov_b32 s1, exec_lo
	v_cmpx_eq_u32_e32 16, v95
	s_cbranch_execz .LBB78_279
; %bb.276:
	v_cmp_ne_u32_e32 vcc_lo, 16, v86
	s_xor_b32 s2, s6, -1
	s_and_b32 s3, s2, vcc_lo
	s_and_saveexec_b32 s2, s3
	s_cbranch_execz .LBB78_278
; %bb.277:
	v_ashrrev_i32_e32 v87, 31, v86
	v_lshlrev_b64 v[87:88], 2, v[86:87]
	v_add_co_u32 v87, vcc_lo, v4, v87
	v_add_co_ci_u32_e64 v88, null, v5, v88, vcc_lo
	s_clause 0x1
	global_load_dword v94, v[87:88], off
	global_load_dword v95, v[4:5], off offset:64
	s_waitcnt vmcnt(1)
	global_store_dword v[4:5], v94, off offset:64
	s_waitcnt vmcnt(0)
	global_store_dword v[87:88], v95, off
.LBB78_278:
	s_or_b32 exec_lo, exec_lo, s2
	v_mov_b32_e32 v94, v86
	v_mov_b32_e32 v95, v86
.LBB78_279:
	s_or_b32 exec_lo, exec_lo, s1
.LBB78_280:
	s_andn2_saveexec_b32 s0, s0
	s_cbranch_execz .LBB78_282
; %bb.281:
	v_mov_b32_e32 v95, 16
	ds_write2_b64 v92, v[48:49], v[46:47] offset0:17 offset1:18
	ds_write2_b64 v92, v[44:45], v[42:43] offset0:19 offset1:20
	;; [unrolled: 1-line block ×11, first 2 shown]
	ds_write_b64 v92, v[84:85] offset:312
.LBB78_282:
	s_or_b32 exec_lo, exec_lo, s0
	s_mov_b32 s0, exec_lo
	s_waitcnt lgkmcnt(0)
	s_waitcnt_vscnt null, 0x0
	s_barrier
	buffer_gl0_inv
	v_cmpx_lt_i32_e32 16, v95
	s_cbranch_execz .LBB78_284
; %bb.283:
	v_mul_f64 v[50:51], v[0:1], v[50:51]
	ds_read2_b64 v[96:99], v92 offset0:17 offset1:18
	ds_read2_b64 v[100:103], v92 offset0:19 offset1:20
	;; [unrolled: 1-line block ×11, first 2 shown]
	ds_read_b64 v[0:1], v92 offset:312
	s_waitcnt lgkmcnt(11)
	v_fma_f64 v[48:49], -v[50:51], v[96:97], v[48:49]
	v_fma_f64 v[46:47], -v[50:51], v[98:99], v[46:47]
	s_waitcnt lgkmcnt(10)
	v_fma_f64 v[44:45], -v[50:51], v[100:101], v[44:45]
	v_fma_f64 v[42:43], -v[50:51], v[102:103], v[42:43]
	;; [unrolled: 3-line block ×11, first 2 shown]
	s_waitcnt lgkmcnt(0)
	v_fma_f64 v[84:85], -v[50:51], v[0:1], v[84:85]
.LBB78_284:
	s_or_b32 exec_lo, exec_lo, s0
	v_lshl_add_u32 v0, v95, 3, v92
	s_barrier
	buffer_gl0_inv
	v_mov_b32_e32 v86, 17
	ds_write_b64 v0, v[48:49]
	s_waitcnt lgkmcnt(0)
	s_barrier
	buffer_gl0_inv
	ds_read_b64 v[0:1], v92 offset:136
	s_cmp_lt_i32 s7, 19
	s_cbranch_scc1 .LBB78_287
; %bb.285:
	v_add3_u32 v87, v93, 0, 0x90
	v_mov_b32_e32 v86, 17
	s_mov_b32 s0, 18
.LBB78_286:                             ; =>This Inner Loop Header: Depth=1
	ds_read_b64 v[96:97], v87
	v_add_nc_u32_e32 v87, 8, v87
	s_waitcnt lgkmcnt(0)
	v_cmp_lt_f64_e64 vcc_lo, |v[0:1]|, |v[96:97]|
	v_cndmask_b32_e32 v1, v1, v97, vcc_lo
	v_cndmask_b32_e32 v0, v0, v96, vcc_lo
	v_cndmask_b32_e64 v86, v86, s0, vcc_lo
	s_add_i32 s0, s0, 1
	s_cmp_lg_u32 s7, s0
	s_cbranch_scc1 .LBB78_286
.LBB78_287:
	s_mov_b32 s0, exec_lo
	s_waitcnt lgkmcnt(0)
	v_cmpx_eq_f64_e32 0, v[0:1]
	s_xor_b32 s0, exec_lo, s0
; %bb.288:
	v_cmp_ne_u32_e32 vcc_lo, 0, v89
	v_cndmask_b32_e32 v89, 18, v89, vcc_lo
; %bb.289:
	s_andn2_saveexec_b32 s0, s0
	s_cbranch_execz .LBB78_291
; %bb.290:
	v_div_scale_f64 v[87:88], null, v[0:1], v[0:1], 1.0
	v_rcp_f64_e32 v[96:97], v[87:88]
	v_fma_f64 v[98:99], -v[87:88], v[96:97], 1.0
	v_fma_f64 v[96:97], v[96:97], v[98:99], v[96:97]
	v_fma_f64 v[98:99], -v[87:88], v[96:97], 1.0
	v_fma_f64 v[96:97], v[96:97], v[98:99], v[96:97]
	v_div_scale_f64 v[98:99], vcc_lo, 1.0, v[0:1], 1.0
	v_mul_f64 v[100:101], v[98:99], v[96:97]
	v_fma_f64 v[87:88], -v[87:88], v[100:101], v[98:99]
	v_div_fmas_f64 v[87:88], v[87:88], v[96:97], v[100:101]
	v_div_fixup_f64 v[0:1], v[87:88], v[0:1], 1.0
.LBB78_291:
	s_or_b32 exec_lo, exec_lo, s0
	s_mov_b32 s0, exec_lo
	v_cmpx_ne_u32_e64 v95, v86
	s_xor_b32 s0, exec_lo, s0
	s_cbranch_execz .LBB78_297
; %bb.292:
	s_mov_b32 s1, exec_lo
	v_cmpx_eq_u32_e32 17, v95
	s_cbranch_execz .LBB78_296
; %bb.293:
	v_cmp_ne_u32_e32 vcc_lo, 17, v86
	s_xor_b32 s2, s6, -1
	s_and_b32 s3, s2, vcc_lo
	s_and_saveexec_b32 s2, s3
	s_cbranch_execz .LBB78_295
; %bb.294:
	v_ashrrev_i32_e32 v87, 31, v86
	v_lshlrev_b64 v[87:88], 2, v[86:87]
	v_add_co_u32 v87, vcc_lo, v4, v87
	v_add_co_ci_u32_e64 v88, null, v5, v88, vcc_lo
	s_clause 0x1
	global_load_dword v94, v[87:88], off
	global_load_dword v95, v[4:5], off offset:68
	s_waitcnt vmcnt(1)
	global_store_dword v[4:5], v94, off offset:68
	s_waitcnt vmcnt(0)
	global_store_dword v[87:88], v95, off
.LBB78_295:
	s_or_b32 exec_lo, exec_lo, s2
	v_mov_b32_e32 v94, v86
	v_mov_b32_e32 v95, v86
.LBB78_296:
	s_or_b32 exec_lo, exec_lo, s1
.LBB78_297:
	s_andn2_saveexec_b32 s0, s0
	s_cbranch_execz .LBB78_299
; %bb.298:
	v_mov_b32_e32 v86, v46
	v_mov_b32_e32 v87, v47
	;; [unrolled: 1-line block ×8, first 2 shown]
	ds_write2_b64 v92, v[86:87], v[95:96] offset0:18 offset1:19
	ds_write2_b64 v92, v[97:98], v[99:100] offset0:20 offset1:21
	v_mov_b32_e32 v86, v40
	v_mov_b32_e32 v87, v41
	;; [unrolled: 1-line block ×20, first 2 shown]
	ds_write2_b64 v92, v[86:87], v[95:96] offset0:22 offset1:23
	ds_write2_b64 v92, v[97:98], v[99:100] offset0:24 offset1:25
	;; [unrolled: 1-line block ×5, first 2 shown]
	v_mov_b32_e32 v86, v20
	v_mov_b32_e32 v87, v21
	;; [unrolled: 1-line block ×15, first 2 shown]
	ds_write2_b64 v92, v[86:87], v[96:97] offset0:32 offset1:33
	ds_write2_b64 v92, v[98:99], v[100:101] offset0:34 offset1:35
	;; [unrolled: 1-line block ×4, first 2 shown]
.LBB78_299:
	s_or_b32 exec_lo, exec_lo, s0
	s_mov_b32 s0, exec_lo
	s_waitcnt lgkmcnt(0)
	s_waitcnt_vscnt null, 0x0
	s_barrier
	buffer_gl0_inv
	v_cmpx_lt_i32_e32 17, v95
	s_cbranch_execz .LBB78_301
; %bb.300:
	v_mul_f64 v[48:49], v[0:1], v[48:49]
	ds_read2_b64 v[96:99], v92 offset0:18 offset1:19
	ds_read2_b64 v[100:103], v92 offset0:20 offset1:21
	;; [unrolled: 1-line block ×11, first 2 shown]
	s_waitcnt lgkmcnt(10)
	v_fma_f64 v[46:47], -v[48:49], v[96:97], v[46:47]
	v_fma_f64 v[44:45], -v[48:49], v[98:99], v[44:45]
	s_waitcnt lgkmcnt(9)
	v_fma_f64 v[42:43], -v[48:49], v[100:101], v[42:43]
	v_fma_f64 v[38:39], -v[48:49], v[102:103], v[38:39]
	;; [unrolled: 3-line block ×11, first 2 shown]
.LBB78_301:
	s_or_b32 exec_lo, exec_lo, s0
	v_lshl_add_u32 v0, v95, 3, v92
	s_barrier
	buffer_gl0_inv
	v_mov_b32_e32 v86, 18
	ds_write_b64 v0, v[46:47]
	s_waitcnt lgkmcnt(0)
	s_barrier
	buffer_gl0_inv
	ds_read_b64 v[0:1], v92 offset:144
	s_cmp_lt_i32 s7, 20
	s_cbranch_scc1 .LBB78_304
; %bb.302:
	v_add3_u32 v87, v93, 0, 0x98
	v_mov_b32_e32 v86, 18
	s_mov_b32 s0, 19
.LBB78_303:                             ; =>This Inner Loop Header: Depth=1
	ds_read_b64 v[96:97], v87
	v_add_nc_u32_e32 v87, 8, v87
	s_waitcnt lgkmcnt(0)
	v_cmp_lt_f64_e64 vcc_lo, |v[0:1]|, |v[96:97]|
	v_cndmask_b32_e32 v1, v1, v97, vcc_lo
	v_cndmask_b32_e32 v0, v0, v96, vcc_lo
	v_cndmask_b32_e64 v86, v86, s0, vcc_lo
	s_add_i32 s0, s0, 1
	s_cmp_lg_u32 s7, s0
	s_cbranch_scc1 .LBB78_303
.LBB78_304:
	s_mov_b32 s0, exec_lo
	s_waitcnt lgkmcnt(0)
	v_cmpx_eq_f64_e32 0, v[0:1]
	s_xor_b32 s0, exec_lo, s0
; %bb.305:
	v_cmp_ne_u32_e32 vcc_lo, 0, v89
	v_cndmask_b32_e32 v89, 19, v89, vcc_lo
; %bb.306:
	s_andn2_saveexec_b32 s0, s0
	s_cbranch_execz .LBB78_308
; %bb.307:
	v_div_scale_f64 v[87:88], null, v[0:1], v[0:1], 1.0
	v_rcp_f64_e32 v[96:97], v[87:88]
	v_fma_f64 v[98:99], -v[87:88], v[96:97], 1.0
	v_fma_f64 v[96:97], v[96:97], v[98:99], v[96:97]
	v_fma_f64 v[98:99], -v[87:88], v[96:97], 1.0
	v_fma_f64 v[96:97], v[96:97], v[98:99], v[96:97]
	v_div_scale_f64 v[98:99], vcc_lo, 1.0, v[0:1], 1.0
	v_mul_f64 v[100:101], v[98:99], v[96:97]
	v_fma_f64 v[87:88], -v[87:88], v[100:101], v[98:99]
	v_div_fmas_f64 v[87:88], v[87:88], v[96:97], v[100:101]
	v_div_fixup_f64 v[0:1], v[87:88], v[0:1], 1.0
.LBB78_308:
	s_or_b32 exec_lo, exec_lo, s0
	s_mov_b32 s0, exec_lo
	v_cmpx_ne_u32_e64 v95, v86
	s_xor_b32 s0, exec_lo, s0
	s_cbranch_execz .LBB78_314
; %bb.309:
	s_mov_b32 s1, exec_lo
	v_cmpx_eq_u32_e32 18, v95
	s_cbranch_execz .LBB78_313
; %bb.310:
	v_cmp_ne_u32_e32 vcc_lo, 18, v86
	s_xor_b32 s2, s6, -1
	s_and_b32 s3, s2, vcc_lo
	s_and_saveexec_b32 s2, s3
	s_cbranch_execz .LBB78_312
; %bb.311:
	v_ashrrev_i32_e32 v87, 31, v86
	v_lshlrev_b64 v[87:88], 2, v[86:87]
	v_add_co_u32 v87, vcc_lo, v4, v87
	v_add_co_ci_u32_e64 v88, null, v5, v88, vcc_lo
	s_clause 0x1
	global_load_dword v94, v[87:88], off
	global_load_dword v95, v[4:5], off offset:72
	s_waitcnt vmcnt(1)
	global_store_dword v[4:5], v94, off offset:72
	s_waitcnt vmcnt(0)
	global_store_dword v[87:88], v95, off
.LBB78_312:
	s_or_b32 exec_lo, exec_lo, s2
	v_mov_b32_e32 v94, v86
	v_mov_b32_e32 v95, v86
.LBB78_313:
	s_or_b32 exec_lo, exec_lo, s1
.LBB78_314:
	s_andn2_saveexec_b32 s0, s0
	s_cbranch_execz .LBB78_316
; %bb.315:
	v_mov_b32_e32 v95, 18
	ds_write2_b64 v92, v[44:45], v[42:43] offset0:19 offset1:20
	ds_write2_b64 v92, v[38:39], v[40:41] offset0:21 offset1:22
	;; [unrolled: 1-line block ×10, first 2 shown]
	ds_write_b64 v92, v[84:85] offset:312
.LBB78_316:
	s_or_b32 exec_lo, exec_lo, s0
	s_mov_b32 s0, exec_lo
	s_waitcnt lgkmcnt(0)
	s_waitcnt_vscnt null, 0x0
	s_barrier
	buffer_gl0_inv
	v_cmpx_lt_i32_e32 18, v95
	s_cbranch_execz .LBB78_318
; %bb.317:
	v_mul_f64 v[46:47], v[0:1], v[46:47]
	ds_read2_b64 v[96:99], v92 offset0:19 offset1:20
	ds_read2_b64 v[100:103], v92 offset0:21 offset1:22
	;; [unrolled: 1-line block ×10, first 2 shown]
	ds_read_b64 v[0:1], v92 offset:312
	s_waitcnt lgkmcnt(10)
	v_fma_f64 v[44:45], -v[46:47], v[96:97], v[44:45]
	v_fma_f64 v[42:43], -v[46:47], v[98:99], v[42:43]
	s_waitcnt lgkmcnt(9)
	v_fma_f64 v[38:39], -v[46:47], v[100:101], v[38:39]
	v_fma_f64 v[40:41], -v[46:47], v[102:103], v[40:41]
	;; [unrolled: 3-line block ×10, first 2 shown]
	s_waitcnt lgkmcnt(0)
	v_fma_f64 v[84:85], -v[46:47], v[0:1], v[84:85]
.LBB78_318:
	s_or_b32 exec_lo, exec_lo, s0
	v_lshl_add_u32 v0, v95, 3, v92
	s_barrier
	buffer_gl0_inv
	v_mov_b32_e32 v86, 19
	ds_write_b64 v0, v[44:45]
	s_waitcnt lgkmcnt(0)
	s_barrier
	buffer_gl0_inv
	ds_read_b64 v[0:1], v92 offset:152
	s_cmp_lt_i32 s7, 21
	s_cbranch_scc1 .LBB78_321
; %bb.319:
	v_add3_u32 v87, v93, 0, 0xa0
	v_mov_b32_e32 v86, 19
	s_mov_b32 s0, 20
.LBB78_320:                             ; =>This Inner Loop Header: Depth=1
	ds_read_b64 v[96:97], v87
	v_add_nc_u32_e32 v87, 8, v87
	s_waitcnt lgkmcnt(0)
	v_cmp_lt_f64_e64 vcc_lo, |v[0:1]|, |v[96:97]|
	v_cndmask_b32_e32 v1, v1, v97, vcc_lo
	v_cndmask_b32_e32 v0, v0, v96, vcc_lo
	v_cndmask_b32_e64 v86, v86, s0, vcc_lo
	s_add_i32 s0, s0, 1
	s_cmp_lg_u32 s7, s0
	s_cbranch_scc1 .LBB78_320
.LBB78_321:
	s_mov_b32 s0, exec_lo
	s_waitcnt lgkmcnt(0)
	v_cmpx_eq_f64_e32 0, v[0:1]
	s_xor_b32 s0, exec_lo, s0
; %bb.322:
	v_cmp_ne_u32_e32 vcc_lo, 0, v89
	v_cndmask_b32_e32 v89, 20, v89, vcc_lo
; %bb.323:
	s_andn2_saveexec_b32 s0, s0
	s_cbranch_execz .LBB78_325
; %bb.324:
	v_div_scale_f64 v[87:88], null, v[0:1], v[0:1], 1.0
	v_rcp_f64_e32 v[96:97], v[87:88]
	v_fma_f64 v[98:99], -v[87:88], v[96:97], 1.0
	v_fma_f64 v[96:97], v[96:97], v[98:99], v[96:97]
	v_fma_f64 v[98:99], -v[87:88], v[96:97], 1.0
	v_fma_f64 v[96:97], v[96:97], v[98:99], v[96:97]
	v_div_scale_f64 v[98:99], vcc_lo, 1.0, v[0:1], 1.0
	v_mul_f64 v[100:101], v[98:99], v[96:97]
	v_fma_f64 v[87:88], -v[87:88], v[100:101], v[98:99]
	v_div_fmas_f64 v[87:88], v[87:88], v[96:97], v[100:101]
	v_div_fixup_f64 v[0:1], v[87:88], v[0:1], 1.0
.LBB78_325:
	s_or_b32 exec_lo, exec_lo, s0
	s_mov_b32 s0, exec_lo
	v_cmpx_ne_u32_e64 v95, v86
	s_xor_b32 s0, exec_lo, s0
	s_cbranch_execz .LBB78_331
; %bb.326:
	s_mov_b32 s1, exec_lo
	v_cmpx_eq_u32_e32 19, v95
	s_cbranch_execz .LBB78_330
; %bb.327:
	v_cmp_ne_u32_e32 vcc_lo, 19, v86
	s_xor_b32 s2, s6, -1
	s_and_b32 s3, s2, vcc_lo
	s_and_saveexec_b32 s2, s3
	s_cbranch_execz .LBB78_329
; %bb.328:
	v_ashrrev_i32_e32 v87, 31, v86
	v_lshlrev_b64 v[87:88], 2, v[86:87]
	v_add_co_u32 v87, vcc_lo, v4, v87
	v_add_co_ci_u32_e64 v88, null, v5, v88, vcc_lo
	s_clause 0x1
	global_load_dword v94, v[87:88], off
	global_load_dword v95, v[4:5], off offset:76
	s_waitcnt vmcnt(1)
	global_store_dword v[4:5], v94, off offset:76
	s_waitcnt vmcnt(0)
	global_store_dword v[87:88], v95, off
.LBB78_329:
	s_or_b32 exec_lo, exec_lo, s2
	v_mov_b32_e32 v94, v86
	v_mov_b32_e32 v95, v86
.LBB78_330:
	s_or_b32 exec_lo, exec_lo, s1
.LBB78_331:
	s_andn2_saveexec_b32 s0, s0
	s_cbranch_execz .LBB78_333
; %bb.332:
	v_mov_b32_e32 v86, v42
	v_mov_b32_e32 v87, v43
	;; [unrolled: 1-line block ×8, first 2 shown]
	ds_write2_b64 v92, v[86:87], v[95:96] offset0:20 offset1:21
	v_mov_b32_e32 v86, v34
	v_mov_b32_e32 v87, v35
	;; [unrolled: 1-line block ×16, first 2 shown]
	ds_write2_b64 v92, v[97:98], v[86:87] offset0:22 offset1:23
	ds_write2_b64 v92, v[95:96], v[99:100] offset0:24 offset1:25
	;; [unrolled: 1-line block ×5, first 2 shown]
	v_mov_b32_e32 v86, v20
	v_mov_b32_e32 v87, v21
	;; [unrolled: 1-line block ×15, first 2 shown]
	ds_write2_b64 v92, v[86:87], v[96:97] offset0:32 offset1:33
	ds_write2_b64 v92, v[98:99], v[100:101] offset0:34 offset1:35
	;; [unrolled: 1-line block ×4, first 2 shown]
.LBB78_333:
	s_or_b32 exec_lo, exec_lo, s0
	s_mov_b32 s0, exec_lo
	s_waitcnt lgkmcnt(0)
	s_waitcnt_vscnt null, 0x0
	s_barrier
	buffer_gl0_inv
	v_cmpx_lt_i32_e32 19, v95
	s_cbranch_execz .LBB78_335
; %bb.334:
	v_mul_f64 v[44:45], v[0:1], v[44:45]
	ds_read2_b64 v[96:99], v92 offset0:20 offset1:21
	ds_read2_b64 v[100:103], v92 offset0:22 offset1:23
	;; [unrolled: 1-line block ×10, first 2 shown]
	s_waitcnt lgkmcnt(9)
	v_fma_f64 v[42:43], -v[44:45], v[96:97], v[42:43]
	v_fma_f64 v[38:39], -v[44:45], v[98:99], v[38:39]
	s_waitcnt lgkmcnt(8)
	v_fma_f64 v[40:41], -v[44:45], v[100:101], v[40:41]
	v_fma_f64 v[34:35], -v[44:45], v[102:103], v[34:35]
	;; [unrolled: 3-line block ×10, first 2 shown]
.LBB78_335:
	s_or_b32 exec_lo, exec_lo, s0
	v_lshl_add_u32 v0, v95, 3, v92
	s_barrier
	buffer_gl0_inv
	v_mov_b32_e32 v86, 20
	ds_write_b64 v0, v[42:43]
	s_waitcnt lgkmcnt(0)
	s_barrier
	buffer_gl0_inv
	ds_read_b64 v[0:1], v92 offset:160
	s_cmp_lt_i32 s7, 22
	s_cbranch_scc1 .LBB78_338
; %bb.336:
	v_add3_u32 v87, v93, 0, 0xa8
	v_mov_b32_e32 v86, 20
	s_mov_b32 s0, 21
.LBB78_337:                             ; =>This Inner Loop Header: Depth=1
	ds_read_b64 v[96:97], v87
	v_add_nc_u32_e32 v87, 8, v87
	s_waitcnt lgkmcnt(0)
	v_cmp_lt_f64_e64 vcc_lo, |v[0:1]|, |v[96:97]|
	v_cndmask_b32_e32 v1, v1, v97, vcc_lo
	v_cndmask_b32_e32 v0, v0, v96, vcc_lo
	v_cndmask_b32_e64 v86, v86, s0, vcc_lo
	s_add_i32 s0, s0, 1
	s_cmp_lg_u32 s7, s0
	s_cbranch_scc1 .LBB78_337
.LBB78_338:
	s_mov_b32 s0, exec_lo
	s_waitcnt lgkmcnt(0)
	v_cmpx_eq_f64_e32 0, v[0:1]
	s_xor_b32 s0, exec_lo, s0
; %bb.339:
	v_cmp_ne_u32_e32 vcc_lo, 0, v89
	v_cndmask_b32_e32 v89, 21, v89, vcc_lo
; %bb.340:
	s_andn2_saveexec_b32 s0, s0
	s_cbranch_execz .LBB78_342
; %bb.341:
	v_div_scale_f64 v[87:88], null, v[0:1], v[0:1], 1.0
	v_rcp_f64_e32 v[96:97], v[87:88]
	v_fma_f64 v[98:99], -v[87:88], v[96:97], 1.0
	v_fma_f64 v[96:97], v[96:97], v[98:99], v[96:97]
	v_fma_f64 v[98:99], -v[87:88], v[96:97], 1.0
	v_fma_f64 v[96:97], v[96:97], v[98:99], v[96:97]
	v_div_scale_f64 v[98:99], vcc_lo, 1.0, v[0:1], 1.0
	v_mul_f64 v[100:101], v[98:99], v[96:97]
	v_fma_f64 v[87:88], -v[87:88], v[100:101], v[98:99]
	v_div_fmas_f64 v[87:88], v[87:88], v[96:97], v[100:101]
	v_div_fixup_f64 v[0:1], v[87:88], v[0:1], 1.0
.LBB78_342:
	s_or_b32 exec_lo, exec_lo, s0
	s_mov_b32 s0, exec_lo
	v_cmpx_ne_u32_e64 v95, v86
	s_xor_b32 s0, exec_lo, s0
	s_cbranch_execz .LBB78_348
; %bb.343:
	s_mov_b32 s1, exec_lo
	v_cmpx_eq_u32_e32 20, v95
	s_cbranch_execz .LBB78_347
; %bb.344:
	v_cmp_ne_u32_e32 vcc_lo, 20, v86
	s_xor_b32 s2, s6, -1
	s_and_b32 s3, s2, vcc_lo
	s_and_saveexec_b32 s2, s3
	s_cbranch_execz .LBB78_346
; %bb.345:
	v_ashrrev_i32_e32 v87, 31, v86
	v_lshlrev_b64 v[87:88], 2, v[86:87]
	v_add_co_u32 v87, vcc_lo, v4, v87
	v_add_co_ci_u32_e64 v88, null, v5, v88, vcc_lo
	s_clause 0x1
	global_load_dword v94, v[87:88], off
	global_load_dword v95, v[4:5], off offset:80
	s_waitcnt vmcnt(1)
	global_store_dword v[4:5], v94, off offset:80
	s_waitcnt vmcnt(0)
	global_store_dword v[87:88], v95, off
.LBB78_346:
	s_or_b32 exec_lo, exec_lo, s2
	v_mov_b32_e32 v94, v86
	v_mov_b32_e32 v95, v86
.LBB78_347:
	s_or_b32 exec_lo, exec_lo, s1
.LBB78_348:
	s_andn2_saveexec_b32 s0, s0
	s_cbranch_execz .LBB78_350
; %bb.349:
	v_mov_b32_e32 v95, 20
	ds_write2_b64 v92, v[38:39], v[40:41] offset0:21 offset1:22
	ds_write2_b64 v92, v[34:35], v[36:37] offset0:23 offset1:24
	;; [unrolled: 1-line block ×9, first 2 shown]
	ds_write_b64 v92, v[84:85] offset:312
.LBB78_350:
	s_or_b32 exec_lo, exec_lo, s0
	s_mov_b32 s0, exec_lo
	s_waitcnt lgkmcnt(0)
	s_waitcnt_vscnt null, 0x0
	s_barrier
	buffer_gl0_inv
	v_cmpx_lt_i32_e32 20, v95
	s_cbranch_execz .LBB78_352
; %bb.351:
	v_mul_f64 v[42:43], v[0:1], v[42:43]
	ds_read2_b64 v[96:99], v92 offset0:21 offset1:22
	ds_read2_b64 v[100:103], v92 offset0:23 offset1:24
	;; [unrolled: 1-line block ×9, first 2 shown]
	ds_read_b64 v[0:1], v92 offset:312
	s_waitcnt lgkmcnt(9)
	v_fma_f64 v[38:39], -v[42:43], v[96:97], v[38:39]
	v_fma_f64 v[40:41], -v[42:43], v[98:99], v[40:41]
	s_waitcnt lgkmcnt(8)
	v_fma_f64 v[34:35], -v[42:43], v[100:101], v[34:35]
	v_fma_f64 v[36:37], -v[42:43], v[102:103], v[36:37]
	;; [unrolled: 3-line block ×9, first 2 shown]
	s_waitcnt lgkmcnt(0)
	v_fma_f64 v[84:85], -v[42:43], v[0:1], v[84:85]
.LBB78_352:
	s_or_b32 exec_lo, exec_lo, s0
	v_lshl_add_u32 v0, v95, 3, v92
	s_barrier
	buffer_gl0_inv
	v_mov_b32_e32 v86, 21
	ds_write_b64 v0, v[38:39]
	s_waitcnt lgkmcnt(0)
	s_barrier
	buffer_gl0_inv
	ds_read_b64 v[0:1], v92 offset:168
	s_cmp_lt_i32 s7, 23
	s_cbranch_scc1 .LBB78_355
; %bb.353:
	v_add3_u32 v87, v93, 0, 0xb0
	v_mov_b32_e32 v86, 21
	s_mov_b32 s0, 22
.LBB78_354:                             ; =>This Inner Loop Header: Depth=1
	ds_read_b64 v[96:97], v87
	v_add_nc_u32_e32 v87, 8, v87
	s_waitcnt lgkmcnt(0)
	v_cmp_lt_f64_e64 vcc_lo, |v[0:1]|, |v[96:97]|
	v_cndmask_b32_e32 v1, v1, v97, vcc_lo
	v_cndmask_b32_e32 v0, v0, v96, vcc_lo
	v_cndmask_b32_e64 v86, v86, s0, vcc_lo
	s_add_i32 s0, s0, 1
	s_cmp_lg_u32 s7, s0
	s_cbranch_scc1 .LBB78_354
.LBB78_355:
	s_mov_b32 s0, exec_lo
	s_waitcnt lgkmcnt(0)
	v_cmpx_eq_f64_e32 0, v[0:1]
	s_xor_b32 s0, exec_lo, s0
; %bb.356:
	v_cmp_ne_u32_e32 vcc_lo, 0, v89
	v_cndmask_b32_e32 v89, 22, v89, vcc_lo
; %bb.357:
	s_andn2_saveexec_b32 s0, s0
	s_cbranch_execz .LBB78_359
; %bb.358:
	v_div_scale_f64 v[87:88], null, v[0:1], v[0:1], 1.0
	v_rcp_f64_e32 v[96:97], v[87:88]
	v_fma_f64 v[98:99], -v[87:88], v[96:97], 1.0
	v_fma_f64 v[96:97], v[96:97], v[98:99], v[96:97]
	v_fma_f64 v[98:99], -v[87:88], v[96:97], 1.0
	v_fma_f64 v[96:97], v[96:97], v[98:99], v[96:97]
	v_div_scale_f64 v[98:99], vcc_lo, 1.0, v[0:1], 1.0
	v_mul_f64 v[100:101], v[98:99], v[96:97]
	v_fma_f64 v[87:88], -v[87:88], v[100:101], v[98:99]
	v_div_fmas_f64 v[87:88], v[87:88], v[96:97], v[100:101]
	v_div_fixup_f64 v[0:1], v[87:88], v[0:1], 1.0
.LBB78_359:
	s_or_b32 exec_lo, exec_lo, s0
	s_mov_b32 s0, exec_lo
	v_cmpx_ne_u32_e64 v95, v86
	s_xor_b32 s0, exec_lo, s0
	s_cbranch_execz .LBB78_365
; %bb.360:
	s_mov_b32 s1, exec_lo
	v_cmpx_eq_u32_e32 21, v95
	s_cbranch_execz .LBB78_364
; %bb.361:
	v_cmp_ne_u32_e32 vcc_lo, 21, v86
	s_xor_b32 s2, s6, -1
	s_and_b32 s3, s2, vcc_lo
	s_and_saveexec_b32 s2, s3
	s_cbranch_execz .LBB78_363
; %bb.362:
	v_ashrrev_i32_e32 v87, 31, v86
	v_lshlrev_b64 v[87:88], 2, v[86:87]
	v_add_co_u32 v87, vcc_lo, v4, v87
	v_add_co_ci_u32_e64 v88, null, v5, v88, vcc_lo
	s_clause 0x1
	global_load_dword v94, v[87:88], off
	global_load_dword v95, v[4:5], off offset:84
	s_waitcnt vmcnt(1)
	global_store_dword v[4:5], v94, off offset:84
	s_waitcnt vmcnt(0)
	global_store_dword v[87:88], v95, off
.LBB78_363:
	s_or_b32 exec_lo, exec_lo, s2
	v_mov_b32_e32 v94, v86
	v_mov_b32_e32 v95, v86
.LBB78_364:
	s_or_b32 exec_lo, exec_lo, s1
.LBB78_365:
	s_andn2_saveexec_b32 s0, s0
	s_cbranch_execz .LBB78_367
; %bb.366:
	v_mov_b32_e32 v86, v40
	v_mov_b32_e32 v87, v41
	;; [unrolled: 1-line block ×20, first 2 shown]
	ds_write2_b64 v92, v[86:87], v[95:96] offset0:22 offset1:23
	ds_write2_b64 v92, v[97:98], v[99:100] offset0:24 offset1:25
	;; [unrolled: 1-line block ×5, first 2 shown]
	v_mov_b32_e32 v86, v20
	v_mov_b32_e32 v87, v21
	;; [unrolled: 1-line block ×15, first 2 shown]
	ds_write2_b64 v92, v[86:87], v[96:97] offset0:32 offset1:33
	ds_write2_b64 v92, v[98:99], v[100:101] offset0:34 offset1:35
	ds_write2_b64 v92, v[102:103], v[104:105] offset0:36 offset1:37
	ds_write2_b64 v92, v[106:107], v[84:85] offset0:38 offset1:39
.LBB78_367:
	s_or_b32 exec_lo, exec_lo, s0
	s_mov_b32 s0, exec_lo
	s_waitcnt lgkmcnt(0)
	s_waitcnt_vscnt null, 0x0
	s_barrier
	buffer_gl0_inv
	v_cmpx_lt_i32_e32 21, v95
	s_cbranch_execz .LBB78_369
; %bb.368:
	v_mul_f64 v[38:39], v[0:1], v[38:39]
	ds_read2_b64 v[96:99], v92 offset0:22 offset1:23
	ds_read2_b64 v[100:103], v92 offset0:24 offset1:25
	;; [unrolled: 1-line block ×9, first 2 shown]
	s_waitcnt lgkmcnt(8)
	v_fma_f64 v[40:41], -v[38:39], v[96:97], v[40:41]
	v_fma_f64 v[34:35], -v[38:39], v[98:99], v[34:35]
	s_waitcnt lgkmcnt(7)
	v_fma_f64 v[36:37], -v[38:39], v[100:101], v[36:37]
	v_fma_f64 v[32:33], -v[38:39], v[102:103], v[32:33]
	;; [unrolled: 3-line block ×9, first 2 shown]
.LBB78_369:
	s_or_b32 exec_lo, exec_lo, s0
	v_lshl_add_u32 v0, v95, 3, v92
	s_barrier
	buffer_gl0_inv
	v_mov_b32_e32 v86, 22
	ds_write_b64 v0, v[40:41]
	s_waitcnt lgkmcnt(0)
	s_barrier
	buffer_gl0_inv
	ds_read_b64 v[0:1], v92 offset:176
	s_cmp_lt_i32 s7, 24
	s_cbranch_scc1 .LBB78_372
; %bb.370:
	v_add3_u32 v87, v93, 0, 0xb8
	v_mov_b32_e32 v86, 22
	s_mov_b32 s0, 23
.LBB78_371:                             ; =>This Inner Loop Header: Depth=1
	ds_read_b64 v[96:97], v87
	v_add_nc_u32_e32 v87, 8, v87
	s_waitcnt lgkmcnt(0)
	v_cmp_lt_f64_e64 vcc_lo, |v[0:1]|, |v[96:97]|
	v_cndmask_b32_e32 v1, v1, v97, vcc_lo
	v_cndmask_b32_e32 v0, v0, v96, vcc_lo
	v_cndmask_b32_e64 v86, v86, s0, vcc_lo
	s_add_i32 s0, s0, 1
	s_cmp_lg_u32 s7, s0
	s_cbranch_scc1 .LBB78_371
.LBB78_372:
	s_mov_b32 s0, exec_lo
	s_waitcnt lgkmcnt(0)
	v_cmpx_eq_f64_e32 0, v[0:1]
	s_xor_b32 s0, exec_lo, s0
; %bb.373:
	v_cmp_ne_u32_e32 vcc_lo, 0, v89
	v_cndmask_b32_e32 v89, 23, v89, vcc_lo
; %bb.374:
	s_andn2_saveexec_b32 s0, s0
	s_cbranch_execz .LBB78_376
; %bb.375:
	v_div_scale_f64 v[87:88], null, v[0:1], v[0:1], 1.0
	v_rcp_f64_e32 v[96:97], v[87:88]
	v_fma_f64 v[98:99], -v[87:88], v[96:97], 1.0
	v_fma_f64 v[96:97], v[96:97], v[98:99], v[96:97]
	v_fma_f64 v[98:99], -v[87:88], v[96:97], 1.0
	v_fma_f64 v[96:97], v[96:97], v[98:99], v[96:97]
	v_div_scale_f64 v[98:99], vcc_lo, 1.0, v[0:1], 1.0
	v_mul_f64 v[100:101], v[98:99], v[96:97]
	v_fma_f64 v[87:88], -v[87:88], v[100:101], v[98:99]
	v_div_fmas_f64 v[87:88], v[87:88], v[96:97], v[100:101]
	v_div_fixup_f64 v[0:1], v[87:88], v[0:1], 1.0
.LBB78_376:
	s_or_b32 exec_lo, exec_lo, s0
	s_mov_b32 s0, exec_lo
	v_cmpx_ne_u32_e64 v95, v86
	s_xor_b32 s0, exec_lo, s0
	s_cbranch_execz .LBB78_382
; %bb.377:
	s_mov_b32 s1, exec_lo
	v_cmpx_eq_u32_e32 22, v95
	s_cbranch_execz .LBB78_381
; %bb.378:
	v_cmp_ne_u32_e32 vcc_lo, 22, v86
	s_xor_b32 s2, s6, -1
	s_and_b32 s3, s2, vcc_lo
	s_and_saveexec_b32 s2, s3
	s_cbranch_execz .LBB78_380
; %bb.379:
	v_ashrrev_i32_e32 v87, 31, v86
	v_lshlrev_b64 v[87:88], 2, v[86:87]
	v_add_co_u32 v87, vcc_lo, v4, v87
	v_add_co_ci_u32_e64 v88, null, v5, v88, vcc_lo
	s_clause 0x1
	global_load_dword v94, v[87:88], off
	global_load_dword v95, v[4:5], off offset:88
	s_waitcnt vmcnt(1)
	global_store_dword v[4:5], v94, off offset:88
	s_waitcnt vmcnt(0)
	global_store_dword v[87:88], v95, off
.LBB78_380:
	s_or_b32 exec_lo, exec_lo, s2
	v_mov_b32_e32 v94, v86
	v_mov_b32_e32 v95, v86
.LBB78_381:
	s_or_b32 exec_lo, exec_lo, s1
.LBB78_382:
	s_andn2_saveexec_b32 s0, s0
	s_cbranch_execz .LBB78_384
; %bb.383:
	v_mov_b32_e32 v95, 22
	ds_write2_b64 v92, v[34:35], v[36:37] offset0:23 offset1:24
	ds_write2_b64 v92, v[32:33], v[30:31] offset0:25 offset1:26
	;; [unrolled: 1-line block ×8, first 2 shown]
	ds_write_b64 v92, v[84:85] offset:312
.LBB78_384:
	s_or_b32 exec_lo, exec_lo, s0
	s_mov_b32 s0, exec_lo
	s_waitcnt lgkmcnt(0)
	s_waitcnt_vscnt null, 0x0
	s_barrier
	buffer_gl0_inv
	v_cmpx_lt_i32_e32 22, v95
	s_cbranch_execz .LBB78_386
; %bb.385:
	v_mul_f64 v[40:41], v[0:1], v[40:41]
	ds_read2_b64 v[96:99], v92 offset0:23 offset1:24
	ds_read2_b64 v[100:103], v92 offset0:25 offset1:26
	;; [unrolled: 1-line block ×8, first 2 shown]
	ds_read_b64 v[0:1], v92 offset:312
	s_waitcnt lgkmcnt(8)
	v_fma_f64 v[34:35], -v[40:41], v[96:97], v[34:35]
	v_fma_f64 v[36:37], -v[40:41], v[98:99], v[36:37]
	s_waitcnt lgkmcnt(7)
	v_fma_f64 v[32:33], -v[40:41], v[100:101], v[32:33]
	v_fma_f64 v[30:31], -v[40:41], v[102:103], v[30:31]
	;; [unrolled: 3-line block ×8, first 2 shown]
	s_waitcnt lgkmcnt(0)
	v_fma_f64 v[84:85], -v[40:41], v[0:1], v[84:85]
.LBB78_386:
	s_or_b32 exec_lo, exec_lo, s0
	v_lshl_add_u32 v0, v95, 3, v92
	s_barrier
	buffer_gl0_inv
	v_mov_b32_e32 v86, 23
	ds_write_b64 v0, v[34:35]
	s_waitcnt lgkmcnt(0)
	s_barrier
	buffer_gl0_inv
	ds_read_b64 v[0:1], v92 offset:184
	s_cmp_lt_i32 s7, 25
	s_cbranch_scc1 .LBB78_389
; %bb.387:
	v_add3_u32 v87, v93, 0, 0xc0
	v_mov_b32_e32 v86, 23
	s_mov_b32 s0, 24
.LBB78_388:                             ; =>This Inner Loop Header: Depth=1
	ds_read_b64 v[96:97], v87
	v_add_nc_u32_e32 v87, 8, v87
	s_waitcnt lgkmcnt(0)
	v_cmp_lt_f64_e64 vcc_lo, |v[0:1]|, |v[96:97]|
	v_cndmask_b32_e32 v1, v1, v97, vcc_lo
	v_cndmask_b32_e32 v0, v0, v96, vcc_lo
	v_cndmask_b32_e64 v86, v86, s0, vcc_lo
	s_add_i32 s0, s0, 1
	s_cmp_lg_u32 s7, s0
	s_cbranch_scc1 .LBB78_388
.LBB78_389:
	s_mov_b32 s0, exec_lo
	s_waitcnt lgkmcnt(0)
	v_cmpx_eq_f64_e32 0, v[0:1]
	s_xor_b32 s0, exec_lo, s0
; %bb.390:
	v_cmp_ne_u32_e32 vcc_lo, 0, v89
	v_cndmask_b32_e32 v89, 24, v89, vcc_lo
; %bb.391:
	s_andn2_saveexec_b32 s0, s0
	s_cbranch_execz .LBB78_393
; %bb.392:
	v_div_scale_f64 v[87:88], null, v[0:1], v[0:1], 1.0
	v_rcp_f64_e32 v[96:97], v[87:88]
	v_fma_f64 v[98:99], -v[87:88], v[96:97], 1.0
	v_fma_f64 v[96:97], v[96:97], v[98:99], v[96:97]
	v_fma_f64 v[98:99], -v[87:88], v[96:97], 1.0
	v_fma_f64 v[96:97], v[96:97], v[98:99], v[96:97]
	v_div_scale_f64 v[98:99], vcc_lo, 1.0, v[0:1], 1.0
	v_mul_f64 v[100:101], v[98:99], v[96:97]
	v_fma_f64 v[87:88], -v[87:88], v[100:101], v[98:99]
	v_div_fmas_f64 v[87:88], v[87:88], v[96:97], v[100:101]
	v_div_fixup_f64 v[0:1], v[87:88], v[0:1], 1.0
.LBB78_393:
	s_or_b32 exec_lo, exec_lo, s0
	s_mov_b32 s0, exec_lo
	v_cmpx_ne_u32_e64 v95, v86
	s_xor_b32 s0, exec_lo, s0
	s_cbranch_execz .LBB78_399
; %bb.394:
	s_mov_b32 s1, exec_lo
	v_cmpx_eq_u32_e32 23, v95
	s_cbranch_execz .LBB78_398
; %bb.395:
	v_cmp_ne_u32_e32 vcc_lo, 23, v86
	s_xor_b32 s2, s6, -1
	s_and_b32 s3, s2, vcc_lo
	s_and_saveexec_b32 s2, s3
	s_cbranch_execz .LBB78_397
; %bb.396:
	v_ashrrev_i32_e32 v87, 31, v86
	v_lshlrev_b64 v[87:88], 2, v[86:87]
	v_add_co_u32 v87, vcc_lo, v4, v87
	v_add_co_ci_u32_e64 v88, null, v5, v88, vcc_lo
	s_clause 0x1
	global_load_dword v94, v[87:88], off
	global_load_dword v95, v[4:5], off offset:92
	s_waitcnt vmcnt(1)
	global_store_dword v[4:5], v94, off offset:92
	s_waitcnt vmcnt(0)
	global_store_dword v[87:88], v95, off
.LBB78_397:
	s_or_b32 exec_lo, exec_lo, s2
	v_mov_b32_e32 v94, v86
	v_mov_b32_e32 v95, v86
.LBB78_398:
	s_or_b32 exec_lo, exec_lo, s1
.LBB78_399:
	s_andn2_saveexec_b32 s0, s0
	s_cbranch_execz .LBB78_401
; %bb.400:
	v_mov_b32_e32 v86, v36
	v_mov_b32_e32 v87, v37
	;; [unrolled: 1-line block ×16, first 2 shown]
	ds_write2_b64 v92, v[86:87], v[95:96] offset0:24 offset1:25
	ds_write2_b64 v92, v[97:98], v[99:100] offset0:26 offset1:27
	;; [unrolled: 1-line block ×4, first 2 shown]
	v_mov_b32_e32 v86, v20
	v_mov_b32_e32 v87, v21
	v_mov_b32_e32 v96, v16
	v_mov_b32_e32 v97, v17
	v_mov_b32_e32 v95, 23
	v_mov_b32_e32 v98, v14
	v_mov_b32_e32 v99, v15
	v_mov_b32_e32 v100, v8
	v_mov_b32_e32 v101, v9
	v_mov_b32_e32 v102, v12
	v_mov_b32_e32 v103, v13
	v_mov_b32_e32 v104, v6
	v_mov_b32_e32 v105, v7
	v_mov_b32_e32 v106, v10
	v_mov_b32_e32 v107, v11
	ds_write2_b64 v92, v[86:87], v[96:97] offset0:32 offset1:33
	ds_write2_b64 v92, v[98:99], v[100:101] offset0:34 offset1:35
	;; [unrolled: 1-line block ×4, first 2 shown]
.LBB78_401:
	s_or_b32 exec_lo, exec_lo, s0
	s_mov_b32 s0, exec_lo
	s_waitcnt lgkmcnt(0)
	s_waitcnt_vscnt null, 0x0
	s_barrier
	buffer_gl0_inv
	v_cmpx_lt_i32_e32 23, v95
	s_cbranch_execz .LBB78_403
; %bb.402:
	v_mul_f64 v[34:35], v[0:1], v[34:35]
	ds_read2_b64 v[96:99], v92 offset0:24 offset1:25
	ds_read2_b64 v[100:103], v92 offset0:26 offset1:27
	;; [unrolled: 1-line block ×8, first 2 shown]
	s_waitcnt lgkmcnt(7)
	v_fma_f64 v[36:37], -v[34:35], v[96:97], v[36:37]
	v_fma_f64 v[32:33], -v[34:35], v[98:99], v[32:33]
	s_waitcnt lgkmcnt(6)
	v_fma_f64 v[30:31], -v[34:35], v[100:101], v[30:31]
	v_fma_f64 v[28:29], -v[34:35], v[102:103], v[28:29]
	;; [unrolled: 3-line block ×8, first 2 shown]
.LBB78_403:
	s_or_b32 exec_lo, exec_lo, s0
	v_lshl_add_u32 v0, v95, 3, v92
	s_barrier
	buffer_gl0_inv
	v_mov_b32_e32 v86, 24
	ds_write_b64 v0, v[36:37]
	s_waitcnt lgkmcnt(0)
	s_barrier
	buffer_gl0_inv
	ds_read_b64 v[0:1], v92 offset:192
	s_cmp_lt_i32 s7, 26
	s_cbranch_scc1 .LBB78_406
; %bb.404:
	v_add3_u32 v87, v93, 0, 0xc8
	v_mov_b32_e32 v86, 24
	s_mov_b32 s0, 25
.LBB78_405:                             ; =>This Inner Loop Header: Depth=1
	ds_read_b64 v[96:97], v87
	v_add_nc_u32_e32 v87, 8, v87
	s_waitcnt lgkmcnt(0)
	v_cmp_lt_f64_e64 vcc_lo, |v[0:1]|, |v[96:97]|
	v_cndmask_b32_e32 v1, v1, v97, vcc_lo
	v_cndmask_b32_e32 v0, v0, v96, vcc_lo
	v_cndmask_b32_e64 v86, v86, s0, vcc_lo
	s_add_i32 s0, s0, 1
	s_cmp_lg_u32 s7, s0
	s_cbranch_scc1 .LBB78_405
.LBB78_406:
	s_mov_b32 s0, exec_lo
	s_waitcnt lgkmcnt(0)
	v_cmpx_eq_f64_e32 0, v[0:1]
	s_xor_b32 s0, exec_lo, s0
; %bb.407:
	v_cmp_ne_u32_e32 vcc_lo, 0, v89
	v_cndmask_b32_e32 v89, 25, v89, vcc_lo
; %bb.408:
	s_andn2_saveexec_b32 s0, s0
	s_cbranch_execz .LBB78_410
; %bb.409:
	v_div_scale_f64 v[87:88], null, v[0:1], v[0:1], 1.0
	v_rcp_f64_e32 v[96:97], v[87:88]
	v_fma_f64 v[98:99], -v[87:88], v[96:97], 1.0
	v_fma_f64 v[96:97], v[96:97], v[98:99], v[96:97]
	v_fma_f64 v[98:99], -v[87:88], v[96:97], 1.0
	v_fma_f64 v[96:97], v[96:97], v[98:99], v[96:97]
	v_div_scale_f64 v[98:99], vcc_lo, 1.0, v[0:1], 1.0
	v_mul_f64 v[100:101], v[98:99], v[96:97]
	v_fma_f64 v[87:88], -v[87:88], v[100:101], v[98:99]
	v_div_fmas_f64 v[87:88], v[87:88], v[96:97], v[100:101]
	v_div_fixup_f64 v[0:1], v[87:88], v[0:1], 1.0
.LBB78_410:
	s_or_b32 exec_lo, exec_lo, s0
	s_mov_b32 s0, exec_lo
	v_cmpx_ne_u32_e64 v95, v86
	s_xor_b32 s0, exec_lo, s0
	s_cbranch_execz .LBB78_416
; %bb.411:
	s_mov_b32 s1, exec_lo
	v_cmpx_eq_u32_e32 24, v95
	s_cbranch_execz .LBB78_415
; %bb.412:
	v_cmp_ne_u32_e32 vcc_lo, 24, v86
	s_xor_b32 s2, s6, -1
	s_and_b32 s3, s2, vcc_lo
	s_and_saveexec_b32 s2, s3
	s_cbranch_execz .LBB78_414
; %bb.413:
	v_ashrrev_i32_e32 v87, 31, v86
	v_lshlrev_b64 v[87:88], 2, v[86:87]
	v_add_co_u32 v87, vcc_lo, v4, v87
	v_add_co_ci_u32_e64 v88, null, v5, v88, vcc_lo
	s_clause 0x1
	global_load_dword v94, v[87:88], off
	global_load_dword v95, v[4:5], off offset:96
	s_waitcnt vmcnt(1)
	global_store_dword v[4:5], v94, off offset:96
	s_waitcnt vmcnt(0)
	global_store_dword v[87:88], v95, off
.LBB78_414:
	s_or_b32 exec_lo, exec_lo, s2
	v_mov_b32_e32 v94, v86
	v_mov_b32_e32 v95, v86
.LBB78_415:
	s_or_b32 exec_lo, exec_lo, s1
.LBB78_416:
	s_andn2_saveexec_b32 s0, s0
	s_cbranch_execz .LBB78_418
; %bb.417:
	v_mov_b32_e32 v95, 24
	ds_write2_b64 v92, v[32:33], v[30:31] offset0:25 offset1:26
	ds_write2_b64 v92, v[28:29], v[26:27] offset0:27 offset1:28
	;; [unrolled: 1-line block ×7, first 2 shown]
	ds_write_b64 v92, v[84:85] offset:312
.LBB78_418:
	s_or_b32 exec_lo, exec_lo, s0
	s_mov_b32 s0, exec_lo
	s_waitcnt lgkmcnt(0)
	s_waitcnt_vscnt null, 0x0
	s_barrier
	buffer_gl0_inv
	v_cmpx_lt_i32_e32 24, v95
	s_cbranch_execz .LBB78_420
; %bb.419:
	v_mul_f64 v[36:37], v[0:1], v[36:37]
	ds_read2_b64 v[96:99], v92 offset0:25 offset1:26
	ds_read2_b64 v[100:103], v92 offset0:27 offset1:28
	;; [unrolled: 1-line block ×7, first 2 shown]
	ds_read_b64 v[0:1], v92 offset:312
	s_waitcnt lgkmcnt(7)
	v_fma_f64 v[32:33], -v[36:37], v[96:97], v[32:33]
	v_fma_f64 v[30:31], -v[36:37], v[98:99], v[30:31]
	s_waitcnt lgkmcnt(6)
	v_fma_f64 v[28:29], -v[36:37], v[100:101], v[28:29]
	v_fma_f64 v[26:27], -v[36:37], v[102:103], v[26:27]
	;; [unrolled: 3-line block ×7, first 2 shown]
	s_waitcnt lgkmcnt(0)
	v_fma_f64 v[84:85], -v[36:37], v[0:1], v[84:85]
.LBB78_420:
	s_or_b32 exec_lo, exec_lo, s0
	v_lshl_add_u32 v0, v95, 3, v92
	s_barrier
	buffer_gl0_inv
	v_mov_b32_e32 v86, 25
	ds_write_b64 v0, v[32:33]
	s_waitcnt lgkmcnt(0)
	s_barrier
	buffer_gl0_inv
	ds_read_b64 v[0:1], v92 offset:200
	s_cmp_lt_i32 s7, 27
	s_cbranch_scc1 .LBB78_423
; %bb.421:
	v_add3_u32 v87, v93, 0, 0xd0
	v_mov_b32_e32 v86, 25
	s_mov_b32 s0, 26
.LBB78_422:                             ; =>This Inner Loop Header: Depth=1
	ds_read_b64 v[96:97], v87
	v_add_nc_u32_e32 v87, 8, v87
	s_waitcnt lgkmcnt(0)
	v_cmp_lt_f64_e64 vcc_lo, |v[0:1]|, |v[96:97]|
	v_cndmask_b32_e32 v1, v1, v97, vcc_lo
	v_cndmask_b32_e32 v0, v0, v96, vcc_lo
	v_cndmask_b32_e64 v86, v86, s0, vcc_lo
	s_add_i32 s0, s0, 1
	s_cmp_lg_u32 s7, s0
	s_cbranch_scc1 .LBB78_422
.LBB78_423:
	s_mov_b32 s0, exec_lo
	s_waitcnt lgkmcnt(0)
	v_cmpx_eq_f64_e32 0, v[0:1]
	s_xor_b32 s0, exec_lo, s0
; %bb.424:
	v_cmp_ne_u32_e32 vcc_lo, 0, v89
	v_cndmask_b32_e32 v89, 26, v89, vcc_lo
; %bb.425:
	s_andn2_saveexec_b32 s0, s0
	s_cbranch_execz .LBB78_427
; %bb.426:
	v_div_scale_f64 v[87:88], null, v[0:1], v[0:1], 1.0
	v_rcp_f64_e32 v[96:97], v[87:88]
	v_fma_f64 v[98:99], -v[87:88], v[96:97], 1.0
	v_fma_f64 v[96:97], v[96:97], v[98:99], v[96:97]
	v_fma_f64 v[98:99], -v[87:88], v[96:97], 1.0
	v_fma_f64 v[96:97], v[96:97], v[98:99], v[96:97]
	v_div_scale_f64 v[98:99], vcc_lo, 1.0, v[0:1], 1.0
	v_mul_f64 v[100:101], v[98:99], v[96:97]
	v_fma_f64 v[87:88], -v[87:88], v[100:101], v[98:99]
	v_div_fmas_f64 v[87:88], v[87:88], v[96:97], v[100:101]
	v_div_fixup_f64 v[0:1], v[87:88], v[0:1], 1.0
.LBB78_427:
	s_or_b32 exec_lo, exec_lo, s0
	s_mov_b32 s0, exec_lo
	v_cmpx_ne_u32_e64 v95, v86
	s_xor_b32 s0, exec_lo, s0
	s_cbranch_execz .LBB78_433
; %bb.428:
	s_mov_b32 s1, exec_lo
	v_cmpx_eq_u32_e32 25, v95
	s_cbranch_execz .LBB78_432
; %bb.429:
	v_cmp_ne_u32_e32 vcc_lo, 25, v86
	s_xor_b32 s2, s6, -1
	s_and_b32 s3, s2, vcc_lo
	s_and_saveexec_b32 s2, s3
	s_cbranch_execz .LBB78_431
; %bb.430:
	v_ashrrev_i32_e32 v87, 31, v86
	v_lshlrev_b64 v[87:88], 2, v[86:87]
	v_add_co_u32 v87, vcc_lo, v4, v87
	v_add_co_ci_u32_e64 v88, null, v5, v88, vcc_lo
	s_clause 0x1
	global_load_dword v94, v[87:88], off
	global_load_dword v95, v[4:5], off offset:100
	s_waitcnt vmcnt(1)
	global_store_dword v[4:5], v94, off offset:100
	s_waitcnt vmcnt(0)
	global_store_dword v[87:88], v95, off
.LBB78_431:
	s_or_b32 exec_lo, exec_lo, s2
	v_mov_b32_e32 v94, v86
	v_mov_b32_e32 v95, v86
.LBB78_432:
	s_or_b32 exec_lo, exec_lo, s1
.LBB78_433:
	s_andn2_saveexec_b32 s0, s0
	s_cbranch_execz .LBB78_435
; %bb.434:
	v_mov_b32_e32 v86, v30
	v_mov_b32_e32 v87, v31
	;; [unrolled: 1-line block ×12, first 2 shown]
	ds_write2_b64 v92, v[86:87], v[95:96] offset0:26 offset1:27
	ds_write2_b64 v92, v[97:98], v[99:100] offset0:28 offset1:29
	;; [unrolled: 1-line block ×3, first 2 shown]
	v_mov_b32_e32 v86, v20
	v_mov_b32_e32 v87, v21
	;; [unrolled: 1-line block ×15, first 2 shown]
	ds_write2_b64 v92, v[86:87], v[96:97] offset0:32 offset1:33
	ds_write2_b64 v92, v[98:99], v[100:101] offset0:34 offset1:35
	;; [unrolled: 1-line block ×4, first 2 shown]
.LBB78_435:
	s_or_b32 exec_lo, exec_lo, s0
	s_mov_b32 s0, exec_lo
	s_waitcnt lgkmcnt(0)
	s_waitcnt_vscnt null, 0x0
	s_barrier
	buffer_gl0_inv
	v_cmpx_lt_i32_e32 25, v95
	s_cbranch_execz .LBB78_437
; %bb.436:
	v_mul_f64 v[32:33], v[0:1], v[32:33]
	ds_read2_b64 v[96:99], v92 offset0:26 offset1:27
	ds_read2_b64 v[100:103], v92 offset0:28 offset1:29
	;; [unrolled: 1-line block ×7, first 2 shown]
	s_waitcnt lgkmcnt(6)
	v_fma_f64 v[30:31], -v[32:33], v[96:97], v[30:31]
	v_fma_f64 v[28:29], -v[32:33], v[98:99], v[28:29]
	s_waitcnt lgkmcnt(5)
	v_fma_f64 v[26:27], -v[32:33], v[100:101], v[26:27]
	v_fma_f64 v[24:25], -v[32:33], v[102:103], v[24:25]
	;; [unrolled: 3-line block ×7, first 2 shown]
.LBB78_437:
	s_or_b32 exec_lo, exec_lo, s0
	v_lshl_add_u32 v0, v95, 3, v92
	s_barrier
	buffer_gl0_inv
	v_mov_b32_e32 v86, 26
	ds_write_b64 v0, v[30:31]
	s_waitcnt lgkmcnt(0)
	s_barrier
	buffer_gl0_inv
	ds_read_b64 v[0:1], v92 offset:208
	s_cmp_lt_i32 s7, 28
	s_cbranch_scc1 .LBB78_440
; %bb.438:
	v_add3_u32 v87, v93, 0, 0xd8
	v_mov_b32_e32 v86, 26
	s_mov_b32 s0, 27
.LBB78_439:                             ; =>This Inner Loop Header: Depth=1
	ds_read_b64 v[96:97], v87
	v_add_nc_u32_e32 v87, 8, v87
	s_waitcnt lgkmcnt(0)
	v_cmp_lt_f64_e64 vcc_lo, |v[0:1]|, |v[96:97]|
	v_cndmask_b32_e32 v1, v1, v97, vcc_lo
	v_cndmask_b32_e32 v0, v0, v96, vcc_lo
	v_cndmask_b32_e64 v86, v86, s0, vcc_lo
	s_add_i32 s0, s0, 1
	s_cmp_lg_u32 s7, s0
	s_cbranch_scc1 .LBB78_439
.LBB78_440:
	s_mov_b32 s0, exec_lo
	s_waitcnt lgkmcnt(0)
	v_cmpx_eq_f64_e32 0, v[0:1]
	s_xor_b32 s0, exec_lo, s0
; %bb.441:
	v_cmp_ne_u32_e32 vcc_lo, 0, v89
	v_cndmask_b32_e32 v89, 27, v89, vcc_lo
; %bb.442:
	s_andn2_saveexec_b32 s0, s0
	s_cbranch_execz .LBB78_444
; %bb.443:
	v_div_scale_f64 v[87:88], null, v[0:1], v[0:1], 1.0
	v_rcp_f64_e32 v[96:97], v[87:88]
	v_fma_f64 v[98:99], -v[87:88], v[96:97], 1.0
	v_fma_f64 v[96:97], v[96:97], v[98:99], v[96:97]
	v_fma_f64 v[98:99], -v[87:88], v[96:97], 1.0
	v_fma_f64 v[96:97], v[96:97], v[98:99], v[96:97]
	v_div_scale_f64 v[98:99], vcc_lo, 1.0, v[0:1], 1.0
	v_mul_f64 v[100:101], v[98:99], v[96:97]
	v_fma_f64 v[87:88], -v[87:88], v[100:101], v[98:99]
	v_div_fmas_f64 v[87:88], v[87:88], v[96:97], v[100:101]
	v_div_fixup_f64 v[0:1], v[87:88], v[0:1], 1.0
.LBB78_444:
	s_or_b32 exec_lo, exec_lo, s0
	s_mov_b32 s0, exec_lo
	v_cmpx_ne_u32_e64 v95, v86
	s_xor_b32 s0, exec_lo, s0
	s_cbranch_execz .LBB78_450
; %bb.445:
	s_mov_b32 s1, exec_lo
	v_cmpx_eq_u32_e32 26, v95
	s_cbranch_execz .LBB78_449
; %bb.446:
	v_cmp_ne_u32_e32 vcc_lo, 26, v86
	s_xor_b32 s2, s6, -1
	s_and_b32 s3, s2, vcc_lo
	s_and_saveexec_b32 s2, s3
	s_cbranch_execz .LBB78_448
; %bb.447:
	v_ashrrev_i32_e32 v87, 31, v86
	v_lshlrev_b64 v[87:88], 2, v[86:87]
	v_add_co_u32 v87, vcc_lo, v4, v87
	v_add_co_ci_u32_e64 v88, null, v5, v88, vcc_lo
	s_clause 0x1
	global_load_dword v94, v[87:88], off
	global_load_dword v95, v[4:5], off offset:104
	s_waitcnt vmcnt(1)
	global_store_dword v[4:5], v94, off offset:104
	s_waitcnt vmcnt(0)
	global_store_dword v[87:88], v95, off
.LBB78_448:
	s_or_b32 exec_lo, exec_lo, s2
	v_mov_b32_e32 v94, v86
	v_mov_b32_e32 v95, v86
.LBB78_449:
	s_or_b32 exec_lo, exec_lo, s1
.LBB78_450:
	s_andn2_saveexec_b32 s0, s0
	s_cbranch_execz .LBB78_452
; %bb.451:
	v_mov_b32_e32 v95, 26
	ds_write2_b64 v92, v[28:29], v[26:27] offset0:27 offset1:28
	ds_write2_b64 v92, v[24:25], v[22:23] offset0:29 offset1:30
	ds_write2_b64 v92, v[18:19], v[20:21] offset0:31 offset1:32
	ds_write2_b64 v92, v[16:17], v[14:15] offset0:33 offset1:34
	ds_write2_b64 v92, v[8:9], v[12:13] offset0:35 offset1:36
	ds_write2_b64 v92, v[6:7], v[10:11] offset0:37 offset1:38
	ds_write_b64 v92, v[84:85] offset:312
.LBB78_452:
	s_or_b32 exec_lo, exec_lo, s0
	s_mov_b32 s0, exec_lo
	s_waitcnt lgkmcnt(0)
	s_waitcnt_vscnt null, 0x0
	s_barrier
	buffer_gl0_inv
	v_cmpx_lt_i32_e32 26, v95
	s_cbranch_execz .LBB78_454
; %bb.453:
	v_mul_f64 v[30:31], v[0:1], v[30:31]
	ds_read2_b64 v[96:99], v92 offset0:27 offset1:28
	ds_read2_b64 v[100:103], v92 offset0:29 offset1:30
	;; [unrolled: 1-line block ×6, first 2 shown]
	ds_read_b64 v[0:1], v92 offset:312
	s_waitcnt lgkmcnt(6)
	v_fma_f64 v[28:29], -v[30:31], v[96:97], v[28:29]
	v_fma_f64 v[26:27], -v[30:31], v[98:99], v[26:27]
	s_waitcnt lgkmcnt(5)
	v_fma_f64 v[24:25], -v[30:31], v[100:101], v[24:25]
	v_fma_f64 v[22:23], -v[30:31], v[102:103], v[22:23]
	;; [unrolled: 3-line block ×6, first 2 shown]
	s_waitcnt lgkmcnt(0)
	v_fma_f64 v[84:85], -v[30:31], v[0:1], v[84:85]
.LBB78_454:
	s_or_b32 exec_lo, exec_lo, s0
	v_lshl_add_u32 v0, v95, 3, v92
	s_barrier
	buffer_gl0_inv
	v_mov_b32_e32 v86, 27
	ds_write_b64 v0, v[28:29]
	s_waitcnt lgkmcnt(0)
	s_barrier
	buffer_gl0_inv
	ds_read_b64 v[0:1], v92 offset:216
	s_cmp_lt_i32 s7, 29
	s_cbranch_scc1 .LBB78_457
; %bb.455:
	v_add3_u32 v87, v93, 0, 0xe0
	v_mov_b32_e32 v86, 27
	s_mov_b32 s0, 28
.LBB78_456:                             ; =>This Inner Loop Header: Depth=1
	ds_read_b64 v[96:97], v87
	v_add_nc_u32_e32 v87, 8, v87
	s_waitcnt lgkmcnt(0)
	v_cmp_lt_f64_e64 vcc_lo, |v[0:1]|, |v[96:97]|
	v_cndmask_b32_e32 v1, v1, v97, vcc_lo
	v_cndmask_b32_e32 v0, v0, v96, vcc_lo
	v_cndmask_b32_e64 v86, v86, s0, vcc_lo
	s_add_i32 s0, s0, 1
	s_cmp_lg_u32 s7, s0
	s_cbranch_scc1 .LBB78_456
.LBB78_457:
	s_mov_b32 s0, exec_lo
	s_waitcnt lgkmcnt(0)
	v_cmpx_eq_f64_e32 0, v[0:1]
	s_xor_b32 s0, exec_lo, s0
; %bb.458:
	v_cmp_ne_u32_e32 vcc_lo, 0, v89
	v_cndmask_b32_e32 v89, 28, v89, vcc_lo
; %bb.459:
	s_andn2_saveexec_b32 s0, s0
	s_cbranch_execz .LBB78_461
; %bb.460:
	v_div_scale_f64 v[87:88], null, v[0:1], v[0:1], 1.0
	v_rcp_f64_e32 v[96:97], v[87:88]
	v_fma_f64 v[98:99], -v[87:88], v[96:97], 1.0
	v_fma_f64 v[96:97], v[96:97], v[98:99], v[96:97]
	v_fma_f64 v[98:99], -v[87:88], v[96:97], 1.0
	v_fma_f64 v[96:97], v[96:97], v[98:99], v[96:97]
	v_div_scale_f64 v[98:99], vcc_lo, 1.0, v[0:1], 1.0
	v_mul_f64 v[100:101], v[98:99], v[96:97]
	v_fma_f64 v[87:88], -v[87:88], v[100:101], v[98:99]
	v_div_fmas_f64 v[87:88], v[87:88], v[96:97], v[100:101]
	v_div_fixup_f64 v[0:1], v[87:88], v[0:1], 1.0
.LBB78_461:
	s_or_b32 exec_lo, exec_lo, s0
	s_mov_b32 s0, exec_lo
	v_cmpx_ne_u32_e64 v95, v86
	s_xor_b32 s0, exec_lo, s0
	s_cbranch_execz .LBB78_467
; %bb.462:
	s_mov_b32 s1, exec_lo
	v_cmpx_eq_u32_e32 27, v95
	s_cbranch_execz .LBB78_466
; %bb.463:
	v_cmp_ne_u32_e32 vcc_lo, 27, v86
	s_xor_b32 s2, s6, -1
	s_and_b32 s3, s2, vcc_lo
	s_and_saveexec_b32 s2, s3
	s_cbranch_execz .LBB78_465
; %bb.464:
	v_ashrrev_i32_e32 v87, 31, v86
	v_lshlrev_b64 v[87:88], 2, v[86:87]
	v_add_co_u32 v87, vcc_lo, v4, v87
	v_add_co_ci_u32_e64 v88, null, v5, v88, vcc_lo
	s_clause 0x1
	global_load_dword v94, v[87:88], off
	global_load_dword v95, v[4:5], off offset:108
	s_waitcnt vmcnt(1)
	global_store_dword v[4:5], v94, off offset:108
	s_waitcnt vmcnt(0)
	global_store_dword v[87:88], v95, off
.LBB78_465:
	s_or_b32 exec_lo, exec_lo, s2
	v_mov_b32_e32 v94, v86
	v_mov_b32_e32 v95, v86
.LBB78_466:
	s_or_b32 exec_lo, exec_lo, s1
.LBB78_467:
	s_andn2_saveexec_b32 s0, s0
	s_cbranch_execz .LBB78_469
; %bb.468:
	v_mov_b32_e32 v86, v26
	v_mov_b32_e32 v87, v27
	;; [unrolled: 1-line block ×8, first 2 shown]
	ds_write2_b64 v92, v[86:87], v[95:96] offset0:28 offset1:29
	ds_write2_b64 v92, v[97:98], v[99:100] offset0:30 offset1:31
	v_mov_b32_e32 v86, v20
	v_mov_b32_e32 v87, v21
	;; [unrolled: 1-line block ×15, first 2 shown]
	ds_write2_b64 v92, v[86:87], v[96:97] offset0:32 offset1:33
	ds_write2_b64 v92, v[98:99], v[100:101] offset0:34 offset1:35
	;; [unrolled: 1-line block ×4, first 2 shown]
.LBB78_469:
	s_or_b32 exec_lo, exec_lo, s0
	s_mov_b32 s0, exec_lo
	s_waitcnt lgkmcnt(0)
	s_waitcnt_vscnt null, 0x0
	s_barrier
	buffer_gl0_inv
	v_cmpx_lt_i32_e32 27, v95
	s_cbranch_execz .LBB78_471
; %bb.470:
	v_mul_f64 v[28:29], v[0:1], v[28:29]
	ds_read2_b64 v[96:99], v92 offset0:28 offset1:29
	ds_read2_b64 v[100:103], v92 offset0:30 offset1:31
	;; [unrolled: 1-line block ×6, first 2 shown]
	s_waitcnt lgkmcnt(5)
	v_fma_f64 v[26:27], -v[28:29], v[96:97], v[26:27]
	v_fma_f64 v[24:25], -v[28:29], v[98:99], v[24:25]
	s_waitcnt lgkmcnt(4)
	v_fma_f64 v[22:23], -v[28:29], v[100:101], v[22:23]
	v_fma_f64 v[18:19], -v[28:29], v[102:103], v[18:19]
	;; [unrolled: 3-line block ×6, first 2 shown]
.LBB78_471:
	s_or_b32 exec_lo, exec_lo, s0
	v_lshl_add_u32 v0, v95, 3, v92
	s_barrier
	buffer_gl0_inv
	v_mov_b32_e32 v86, 28
	ds_write_b64 v0, v[26:27]
	s_waitcnt lgkmcnt(0)
	s_barrier
	buffer_gl0_inv
	ds_read_b64 v[0:1], v92 offset:224
	s_cmp_lt_i32 s7, 30
	s_cbranch_scc1 .LBB78_474
; %bb.472:
	v_add3_u32 v87, v93, 0, 0xe8
	v_mov_b32_e32 v86, 28
	s_mov_b32 s0, 29
.LBB78_473:                             ; =>This Inner Loop Header: Depth=1
	ds_read_b64 v[96:97], v87
	v_add_nc_u32_e32 v87, 8, v87
	s_waitcnt lgkmcnt(0)
	v_cmp_lt_f64_e64 vcc_lo, |v[0:1]|, |v[96:97]|
	v_cndmask_b32_e32 v1, v1, v97, vcc_lo
	v_cndmask_b32_e32 v0, v0, v96, vcc_lo
	v_cndmask_b32_e64 v86, v86, s0, vcc_lo
	s_add_i32 s0, s0, 1
	s_cmp_lg_u32 s7, s0
	s_cbranch_scc1 .LBB78_473
.LBB78_474:
	s_mov_b32 s0, exec_lo
	s_waitcnt lgkmcnt(0)
	v_cmpx_eq_f64_e32 0, v[0:1]
	s_xor_b32 s0, exec_lo, s0
; %bb.475:
	v_cmp_ne_u32_e32 vcc_lo, 0, v89
	v_cndmask_b32_e32 v89, 29, v89, vcc_lo
; %bb.476:
	s_andn2_saveexec_b32 s0, s0
	s_cbranch_execz .LBB78_478
; %bb.477:
	v_div_scale_f64 v[87:88], null, v[0:1], v[0:1], 1.0
	v_rcp_f64_e32 v[96:97], v[87:88]
	v_fma_f64 v[98:99], -v[87:88], v[96:97], 1.0
	v_fma_f64 v[96:97], v[96:97], v[98:99], v[96:97]
	v_fma_f64 v[98:99], -v[87:88], v[96:97], 1.0
	v_fma_f64 v[96:97], v[96:97], v[98:99], v[96:97]
	v_div_scale_f64 v[98:99], vcc_lo, 1.0, v[0:1], 1.0
	v_mul_f64 v[100:101], v[98:99], v[96:97]
	v_fma_f64 v[87:88], -v[87:88], v[100:101], v[98:99]
	v_div_fmas_f64 v[87:88], v[87:88], v[96:97], v[100:101]
	v_div_fixup_f64 v[0:1], v[87:88], v[0:1], 1.0
.LBB78_478:
	s_or_b32 exec_lo, exec_lo, s0
	s_mov_b32 s0, exec_lo
	v_cmpx_ne_u32_e64 v95, v86
	s_xor_b32 s0, exec_lo, s0
	s_cbranch_execz .LBB78_484
; %bb.479:
	s_mov_b32 s1, exec_lo
	v_cmpx_eq_u32_e32 28, v95
	s_cbranch_execz .LBB78_483
; %bb.480:
	v_cmp_ne_u32_e32 vcc_lo, 28, v86
	s_xor_b32 s2, s6, -1
	s_and_b32 s3, s2, vcc_lo
	s_and_saveexec_b32 s2, s3
	s_cbranch_execz .LBB78_482
; %bb.481:
	v_ashrrev_i32_e32 v87, 31, v86
	v_lshlrev_b64 v[87:88], 2, v[86:87]
	v_add_co_u32 v87, vcc_lo, v4, v87
	v_add_co_ci_u32_e64 v88, null, v5, v88, vcc_lo
	s_clause 0x1
	global_load_dword v94, v[87:88], off
	global_load_dword v95, v[4:5], off offset:112
	s_waitcnt vmcnt(1)
	global_store_dword v[4:5], v94, off offset:112
	s_waitcnt vmcnt(0)
	global_store_dword v[87:88], v95, off
.LBB78_482:
	s_or_b32 exec_lo, exec_lo, s2
	v_mov_b32_e32 v94, v86
	v_mov_b32_e32 v95, v86
.LBB78_483:
	s_or_b32 exec_lo, exec_lo, s1
.LBB78_484:
	s_andn2_saveexec_b32 s0, s0
	s_cbranch_execz .LBB78_486
; %bb.485:
	v_mov_b32_e32 v95, 28
	ds_write2_b64 v92, v[24:25], v[22:23] offset0:29 offset1:30
	ds_write2_b64 v92, v[18:19], v[20:21] offset0:31 offset1:32
	;; [unrolled: 1-line block ×5, first 2 shown]
	ds_write_b64 v92, v[84:85] offset:312
.LBB78_486:
	s_or_b32 exec_lo, exec_lo, s0
	s_mov_b32 s0, exec_lo
	s_waitcnt lgkmcnt(0)
	s_waitcnt_vscnt null, 0x0
	s_barrier
	buffer_gl0_inv
	v_cmpx_lt_i32_e32 28, v95
	s_cbranch_execz .LBB78_488
; %bb.487:
	v_mul_f64 v[26:27], v[0:1], v[26:27]
	ds_read2_b64 v[96:99], v92 offset0:29 offset1:30
	ds_read2_b64 v[100:103], v92 offset0:31 offset1:32
	;; [unrolled: 1-line block ×5, first 2 shown]
	ds_read_b64 v[0:1], v92 offset:312
	s_waitcnt lgkmcnt(5)
	v_fma_f64 v[24:25], -v[26:27], v[96:97], v[24:25]
	v_fma_f64 v[22:23], -v[26:27], v[98:99], v[22:23]
	s_waitcnt lgkmcnt(4)
	v_fma_f64 v[18:19], -v[26:27], v[100:101], v[18:19]
	v_fma_f64 v[20:21], -v[26:27], v[102:103], v[20:21]
	;; [unrolled: 3-line block ×5, first 2 shown]
	s_waitcnt lgkmcnt(0)
	v_fma_f64 v[84:85], -v[26:27], v[0:1], v[84:85]
.LBB78_488:
	s_or_b32 exec_lo, exec_lo, s0
	v_lshl_add_u32 v0, v95, 3, v92
	s_barrier
	buffer_gl0_inv
	v_mov_b32_e32 v86, 29
	ds_write_b64 v0, v[24:25]
	s_waitcnt lgkmcnt(0)
	s_barrier
	buffer_gl0_inv
	ds_read_b64 v[0:1], v92 offset:232
	s_cmp_lt_i32 s7, 31
	s_cbranch_scc1 .LBB78_491
; %bb.489:
	v_add3_u32 v87, v93, 0, 0xf0
	v_mov_b32_e32 v86, 29
	s_mov_b32 s0, 30
.LBB78_490:                             ; =>This Inner Loop Header: Depth=1
	ds_read_b64 v[96:97], v87
	v_add_nc_u32_e32 v87, 8, v87
	s_waitcnt lgkmcnt(0)
	v_cmp_lt_f64_e64 vcc_lo, |v[0:1]|, |v[96:97]|
	v_cndmask_b32_e32 v1, v1, v97, vcc_lo
	v_cndmask_b32_e32 v0, v0, v96, vcc_lo
	v_cndmask_b32_e64 v86, v86, s0, vcc_lo
	s_add_i32 s0, s0, 1
	s_cmp_lg_u32 s7, s0
	s_cbranch_scc1 .LBB78_490
.LBB78_491:
	s_mov_b32 s0, exec_lo
	s_waitcnt lgkmcnt(0)
	v_cmpx_eq_f64_e32 0, v[0:1]
	s_xor_b32 s0, exec_lo, s0
; %bb.492:
	v_cmp_ne_u32_e32 vcc_lo, 0, v89
	v_cndmask_b32_e32 v89, 30, v89, vcc_lo
; %bb.493:
	s_andn2_saveexec_b32 s0, s0
	s_cbranch_execz .LBB78_495
; %bb.494:
	v_div_scale_f64 v[87:88], null, v[0:1], v[0:1], 1.0
	v_rcp_f64_e32 v[96:97], v[87:88]
	v_fma_f64 v[98:99], -v[87:88], v[96:97], 1.0
	v_fma_f64 v[96:97], v[96:97], v[98:99], v[96:97]
	v_fma_f64 v[98:99], -v[87:88], v[96:97], 1.0
	v_fma_f64 v[96:97], v[96:97], v[98:99], v[96:97]
	v_div_scale_f64 v[98:99], vcc_lo, 1.0, v[0:1], 1.0
	v_mul_f64 v[100:101], v[98:99], v[96:97]
	v_fma_f64 v[87:88], -v[87:88], v[100:101], v[98:99]
	v_div_fmas_f64 v[87:88], v[87:88], v[96:97], v[100:101]
	v_div_fixup_f64 v[0:1], v[87:88], v[0:1], 1.0
.LBB78_495:
	s_or_b32 exec_lo, exec_lo, s0
	s_mov_b32 s0, exec_lo
	v_cmpx_ne_u32_e64 v95, v86
	s_xor_b32 s0, exec_lo, s0
	s_cbranch_execz .LBB78_501
; %bb.496:
	s_mov_b32 s1, exec_lo
	v_cmpx_eq_u32_e32 29, v95
	s_cbranch_execz .LBB78_500
; %bb.497:
	v_cmp_ne_u32_e32 vcc_lo, 29, v86
	s_xor_b32 s2, s6, -1
	s_and_b32 s3, s2, vcc_lo
	s_and_saveexec_b32 s2, s3
	s_cbranch_execz .LBB78_499
; %bb.498:
	v_ashrrev_i32_e32 v87, 31, v86
	v_lshlrev_b64 v[87:88], 2, v[86:87]
	v_add_co_u32 v87, vcc_lo, v4, v87
	v_add_co_ci_u32_e64 v88, null, v5, v88, vcc_lo
	s_clause 0x1
	global_load_dword v94, v[87:88], off
	global_load_dword v95, v[4:5], off offset:116
	s_waitcnt vmcnt(1)
	global_store_dword v[4:5], v94, off offset:116
	s_waitcnt vmcnt(0)
	global_store_dword v[87:88], v95, off
.LBB78_499:
	s_or_b32 exec_lo, exec_lo, s2
	v_mov_b32_e32 v94, v86
	v_mov_b32_e32 v95, v86
.LBB78_500:
	s_or_b32 exec_lo, exec_lo, s1
.LBB78_501:
	s_andn2_saveexec_b32 s0, s0
	s_cbranch_execz .LBB78_503
; %bb.502:
	v_mov_b32_e32 v86, v22
	v_mov_b32_e32 v87, v23
	;; [unrolled: 1-line block ×8, first 2 shown]
	ds_write2_b64 v92, v[86:87], v[95:96] offset0:30 offset1:31
	v_mov_b32_e32 v86, v16
	v_mov_b32_e32 v87, v17
	;; [unrolled: 1-line block ×11, first 2 shown]
	ds_write2_b64 v92, v[97:98], v[86:87] offset0:32 offset1:33
	ds_write2_b64 v92, v[99:100], v[101:102] offset0:34 offset1:35
	;; [unrolled: 1-line block ×4, first 2 shown]
.LBB78_503:
	s_or_b32 exec_lo, exec_lo, s0
	s_mov_b32 s0, exec_lo
	s_waitcnt lgkmcnt(0)
	s_waitcnt_vscnt null, 0x0
	s_barrier
	buffer_gl0_inv
	v_cmpx_lt_i32_e32 29, v95
	s_cbranch_execz .LBB78_505
; %bb.504:
	v_mul_f64 v[24:25], v[0:1], v[24:25]
	ds_read2_b64 v[96:99], v92 offset0:30 offset1:31
	ds_read2_b64 v[100:103], v92 offset0:32 offset1:33
	ds_read2_b64 v[104:107], v92 offset0:34 offset1:35
	ds_read2_b64 v[108:111], v92 offset0:36 offset1:37
	ds_read2_b64 v[112:115], v92 offset0:38 offset1:39
	s_waitcnt lgkmcnt(4)
	v_fma_f64 v[22:23], -v[24:25], v[96:97], v[22:23]
	v_fma_f64 v[18:19], -v[24:25], v[98:99], v[18:19]
	s_waitcnt lgkmcnt(3)
	v_fma_f64 v[20:21], -v[24:25], v[100:101], v[20:21]
	v_fma_f64 v[16:17], -v[24:25], v[102:103], v[16:17]
	;; [unrolled: 3-line block ×5, first 2 shown]
.LBB78_505:
	s_or_b32 exec_lo, exec_lo, s0
	v_lshl_add_u32 v0, v95, 3, v92
	s_barrier
	buffer_gl0_inv
	v_mov_b32_e32 v86, 30
	ds_write_b64 v0, v[22:23]
	s_waitcnt lgkmcnt(0)
	s_barrier
	buffer_gl0_inv
	ds_read_b64 v[0:1], v92 offset:240
	s_cmp_lt_i32 s7, 32
	s_cbranch_scc1 .LBB78_508
; %bb.506:
	v_add3_u32 v87, v93, 0, 0xf8
	v_mov_b32_e32 v86, 30
	s_mov_b32 s0, 31
.LBB78_507:                             ; =>This Inner Loop Header: Depth=1
	ds_read_b64 v[96:97], v87
	v_add_nc_u32_e32 v87, 8, v87
	s_waitcnt lgkmcnt(0)
	v_cmp_lt_f64_e64 vcc_lo, |v[0:1]|, |v[96:97]|
	v_cndmask_b32_e32 v1, v1, v97, vcc_lo
	v_cndmask_b32_e32 v0, v0, v96, vcc_lo
	v_cndmask_b32_e64 v86, v86, s0, vcc_lo
	s_add_i32 s0, s0, 1
	s_cmp_lg_u32 s7, s0
	s_cbranch_scc1 .LBB78_507
.LBB78_508:
	s_mov_b32 s0, exec_lo
	s_waitcnt lgkmcnt(0)
	v_cmpx_eq_f64_e32 0, v[0:1]
	s_xor_b32 s0, exec_lo, s0
; %bb.509:
	v_cmp_ne_u32_e32 vcc_lo, 0, v89
	v_cndmask_b32_e32 v89, 31, v89, vcc_lo
; %bb.510:
	s_andn2_saveexec_b32 s0, s0
	s_cbranch_execz .LBB78_512
; %bb.511:
	v_div_scale_f64 v[87:88], null, v[0:1], v[0:1], 1.0
	v_rcp_f64_e32 v[96:97], v[87:88]
	v_fma_f64 v[98:99], -v[87:88], v[96:97], 1.0
	v_fma_f64 v[96:97], v[96:97], v[98:99], v[96:97]
	v_fma_f64 v[98:99], -v[87:88], v[96:97], 1.0
	v_fma_f64 v[96:97], v[96:97], v[98:99], v[96:97]
	v_div_scale_f64 v[98:99], vcc_lo, 1.0, v[0:1], 1.0
	v_mul_f64 v[100:101], v[98:99], v[96:97]
	v_fma_f64 v[87:88], -v[87:88], v[100:101], v[98:99]
	v_div_fmas_f64 v[87:88], v[87:88], v[96:97], v[100:101]
	v_div_fixup_f64 v[0:1], v[87:88], v[0:1], 1.0
.LBB78_512:
	s_or_b32 exec_lo, exec_lo, s0
	s_mov_b32 s0, exec_lo
	v_cmpx_ne_u32_e64 v95, v86
	s_xor_b32 s0, exec_lo, s0
	s_cbranch_execz .LBB78_518
; %bb.513:
	s_mov_b32 s1, exec_lo
	v_cmpx_eq_u32_e32 30, v95
	s_cbranch_execz .LBB78_517
; %bb.514:
	v_cmp_ne_u32_e32 vcc_lo, 30, v86
	s_xor_b32 s2, s6, -1
	s_and_b32 s3, s2, vcc_lo
	s_and_saveexec_b32 s2, s3
	s_cbranch_execz .LBB78_516
; %bb.515:
	v_ashrrev_i32_e32 v87, 31, v86
	v_lshlrev_b64 v[87:88], 2, v[86:87]
	v_add_co_u32 v87, vcc_lo, v4, v87
	v_add_co_ci_u32_e64 v88, null, v5, v88, vcc_lo
	s_clause 0x1
	global_load_dword v94, v[87:88], off
	global_load_dword v95, v[4:5], off offset:120
	s_waitcnt vmcnt(1)
	global_store_dword v[4:5], v94, off offset:120
	s_waitcnt vmcnt(0)
	global_store_dword v[87:88], v95, off
.LBB78_516:
	s_or_b32 exec_lo, exec_lo, s2
	v_mov_b32_e32 v94, v86
	v_mov_b32_e32 v95, v86
.LBB78_517:
	s_or_b32 exec_lo, exec_lo, s1
.LBB78_518:
	s_andn2_saveexec_b32 s0, s0
	s_cbranch_execz .LBB78_520
; %bb.519:
	v_mov_b32_e32 v95, 30
	ds_write2_b64 v92, v[18:19], v[20:21] offset0:31 offset1:32
	ds_write2_b64 v92, v[16:17], v[14:15] offset0:33 offset1:34
	;; [unrolled: 1-line block ×4, first 2 shown]
	ds_write_b64 v92, v[84:85] offset:312
.LBB78_520:
	s_or_b32 exec_lo, exec_lo, s0
	s_mov_b32 s0, exec_lo
	s_waitcnt lgkmcnt(0)
	s_waitcnt_vscnt null, 0x0
	s_barrier
	buffer_gl0_inv
	v_cmpx_lt_i32_e32 30, v95
	s_cbranch_execz .LBB78_522
; %bb.521:
	v_mul_f64 v[22:23], v[0:1], v[22:23]
	ds_read2_b64 v[96:99], v92 offset0:31 offset1:32
	ds_read2_b64 v[100:103], v92 offset0:33 offset1:34
	;; [unrolled: 1-line block ×4, first 2 shown]
	ds_read_b64 v[0:1], v92 offset:312
	s_waitcnt lgkmcnt(4)
	v_fma_f64 v[18:19], -v[22:23], v[96:97], v[18:19]
	v_fma_f64 v[20:21], -v[22:23], v[98:99], v[20:21]
	s_waitcnt lgkmcnt(3)
	v_fma_f64 v[16:17], -v[22:23], v[100:101], v[16:17]
	v_fma_f64 v[14:15], -v[22:23], v[102:103], v[14:15]
	;; [unrolled: 3-line block ×4, first 2 shown]
	s_waitcnt lgkmcnt(0)
	v_fma_f64 v[84:85], -v[22:23], v[0:1], v[84:85]
.LBB78_522:
	s_or_b32 exec_lo, exec_lo, s0
	v_lshl_add_u32 v0, v95, 3, v92
	s_barrier
	buffer_gl0_inv
	v_mov_b32_e32 v86, 31
	ds_write_b64 v0, v[18:19]
	s_waitcnt lgkmcnt(0)
	s_barrier
	buffer_gl0_inv
	ds_read_b64 v[0:1], v92 offset:248
	s_cmp_lt_i32 s7, 33
	s_cbranch_scc1 .LBB78_525
; %bb.523:
	v_add3_u32 v87, v93, 0, 0x100
	v_mov_b32_e32 v86, 31
	s_mov_b32 s0, 32
.LBB78_524:                             ; =>This Inner Loop Header: Depth=1
	ds_read_b64 v[96:97], v87
	v_add_nc_u32_e32 v87, 8, v87
	s_waitcnt lgkmcnt(0)
	v_cmp_lt_f64_e64 vcc_lo, |v[0:1]|, |v[96:97]|
	v_cndmask_b32_e32 v1, v1, v97, vcc_lo
	v_cndmask_b32_e32 v0, v0, v96, vcc_lo
	v_cndmask_b32_e64 v86, v86, s0, vcc_lo
	s_add_i32 s0, s0, 1
	s_cmp_lg_u32 s7, s0
	s_cbranch_scc1 .LBB78_524
.LBB78_525:
	s_mov_b32 s0, exec_lo
	s_waitcnt lgkmcnt(0)
	v_cmpx_eq_f64_e32 0, v[0:1]
	s_xor_b32 s0, exec_lo, s0
; %bb.526:
	v_cmp_ne_u32_e32 vcc_lo, 0, v89
	v_cndmask_b32_e32 v89, 32, v89, vcc_lo
; %bb.527:
	s_andn2_saveexec_b32 s0, s0
	s_cbranch_execz .LBB78_529
; %bb.528:
	v_div_scale_f64 v[87:88], null, v[0:1], v[0:1], 1.0
	v_rcp_f64_e32 v[96:97], v[87:88]
	v_fma_f64 v[98:99], -v[87:88], v[96:97], 1.0
	v_fma_f64 v[96:97], v[96:97], v[98:99], v[96:97]
	v_fma_f64 v[98:99], -v[87:88], v[96:97], 1.0
	v_fma_f64 v[96:97], v[96:97], v[98:99], v[96:97]
	v_div_scale_f64 v[98:99], vcc_lo, 1.0, v[0:1], 1.0
	v_mul_f64 v[100:101], v[98:99], v[96:97]
	v_fma_f64 v[87:88], -v[87:88], v[100:101], v[98:99]
	v_div_fmas_f64 v[87:88], v[87:88], v[96:97], v[100:101]
	v_div_fixup_f64 v[0:1], v[87:88], v[0:1], 1.0
.LBB78_529:
	s_or_b32 exec_lo, exec_lo, s0
	s_mov_b32 s0, exec_lo
	v_cmpx_ne_u32_e64 v95, v86
	s_xor_b32 s0, exec_lo, s0
	s_cbranch_execz .LBB78_535
; %bb.530:
	s_mov_b32 s1, exec_lo
	v_cmpx_eq_u32_e32 31, v95
	s_cbranch_execz .LBB78_534
; %bb.531:
	v_cmp_ne_u32_e32 vcc_lo, 31, v86
	s_xor_b32 s2, s6, -1
	s_and_b32 s3, s2, vcc_lo
	s_and_saveexec_b32 s2, s3
	s_cbranch_execz .LBB78_533
; %bb.532:
	v_ashrrev_i32_e32 v87, 31, v86
	v_lshlrev_b64 v[87:88], 2, v[86:87]
	v_add_co_u32 v87, vcc_lo, v4, v87
	v_add_co_ci_u32_e64 v88, null, v5, v88, vcc_lo
	s_clause 0x1
	global_load_dword v94, v[87:88], off
	global_load_dword v95, v[4:5], off offset:124
	s_waitcnt vmcnt(1)
	global_store_dword v[4:5], v94, off offset:124
	s_waitcnt vmcnt(0)
	global_store_dword v[87:88], v95, off
.LBB78_533:
	s_or_b32 exec_lo, exec_lo, s2
	v_mov_b32_e32 v94, v86
	v_mov_b32_e32 v95, v86
.LBB78_534:
	s_or_b32 exec_lo, exec_lo, s1
.LBB78_535:
	s_andn2_saveexec_b32 s0, s0
	s_cbranch_execz .LBB78_537
; %bb.536:
	v_mov_b32_e32 v86, v20
	v_mov_b32_e32 v87, v21
	;; [unrolled: 1-line block ×15, first 2 shown]
	ds_write2_b64 v92, v[86:87], v[96:97] offset0:32 offset1:33
	ds_write2_b64 v92, v[98:99], v[100:101] offset0:34 offset1:35
	;; [unrolled: 1-line block ×4, first 2 shown]
.LBB78_537:
	s_or_b32 exec_lo, exec_lo, s0
	s_mov_b32 s0, exec_lo
	s_waitcnt lgkmcnt(0)
	s_waitcnt_vscnt null, 0x0
	s_barrier
	buffer_gl0_inv
	v_cmpx_lt_i32_e32 31, v95
	s_cbranch_execz .LBB78_539
; %bb.538:
	v_mul_f64 v[18:19], v[0:1], v[18:19]
	ds_read2_b64 v[96:99], v92 offset0:32 offset1:33
	ds_read2_b64 v[100:103], v92 offset0:34 offset1:35
	;; [unrolled: 1-line block ×4, first 2 shown]
	s_waitcnt lgkmcnt(3)
	v_fma_f64 v[20:21], -v[18:19], v[96:97], v[20:21]
	v_fma_f64 v[16:17], -v[18:19], v[98:99], v[16:17]
	s_waitcnt lgkmcnt(2)
	v_fma_f64 v[14:15], -v[18:19], v[100:101], v[14:15]
	v_fma_f64 v[8:9], -v[18:19], v[102:103], v[8:9]
	;; [unrolled: 3-line block ×4, first 2 shown]
.LBB78_539:
	s_or_b32 exec_lo, exec_lo, s0
	v_lshl_add_u32 v0, v95, 3, v92
	s_barrier
	buffer_gl0_inv
	v_mov_b32_e32 v86, 32
	ds_write_b64 v0, v[20:21]
	s_waitcnt lgkmcnt(0)
	s_barrier
	buffer_gl0_inv
	ds_read_b64 v[0:1], v92 offset:256
	s_cmp_lt_i32 s7, 34
	s_cbranch_scc1 .LBB78_542
; %bb.540:
	v_add3_u32 v87, v93, 0, 0x108
	v_mov_b32_e32 v86, 32
	s_mov_b32 s0, 33
.LBB78_541:                             ; =>This Inner Loop Header: Depth=1
	ds_read_b64 v[96:97], v87
	v_add_nc_u32_e32 v87, 8, v87
	s_waitcnt lgkmcnt(0)
	v_cmp_lt_f64_e64 vcc_lo, |v[0:1]|, |v[96:97]|
	v_cndmask_b32_e32 v1, v1, v97, vcc_lo
	v_cndmask_b32_e32 v0, v0, v96, vcc_lo
	v_cndmask_b32_e64 v86, v86, s0, vcc_lo
	s_add_i32 s0, s0, 1
	s_cmp_lg_u32 s7, s0
	s_cbranch_scc1 .LBB78_541
.LBB78_542:
	s_mov_b32 s0, exec_lo
	s_waitcnt lgkmcnt(0)
	v_cmpx_eq_f64_e32 0, v[0:1]
	s_xor_b32 s0, exec_lo, s0
; %bb.543:
	v_cmp_ne_u32_e32 vcc_lo, 0, v89
	v_cndmask_b32_e32 v89, 33, v89, vcc_lo
; %bb.544:
	s_andn2_saveexec_b32 s0, s0
	s_cbranch_execz .LBB78_546
; %bb.545:
	v_div_scale_f64 v[87:88], null, v[0:1], v[0:1], 1.0
	v_rcp_f64_e32 v[96:97], v[87:88]
	v_fma_f64 v[98:99], -v[87:88], v[96:97], 1.0
	v_fma_f64 v[96:97], v[96:97], v[98:99], v[96:97]
	v_fma_f64 v[98:99], -v[87:88], v[96:97], 1.0
	v_fma_f64 v[96:97], v[96:97], v[98:99], v[96:97]
	v_div_scale_f64 v[98:99], vcc_lo, 1.0, v[0:1], 1.0
	v_mul_f64 v[100:101], v[98:99], v[96:97]
	v_fma_f64 v[87:88], -v[87:88], v[100:101], v[98:99]
	v_div_fmas_f64 v[87:88], v[87:88], v[96:97], v[100:101]
	v_div_fixup_f64 v[0:1], v[87:88], v[0:1], 1.0
.LBB78_546:
	s_or_b32 exec_lo, exec_lo, s0
	s_mov_b32 s0, exec_lo
	v_cmpx_ne_u32_e64 v95, v86
	s_xor_b32 s0, exec_lo, s0
	s_cbranch_execz .LBB78_552
; %bb.547:
	s_mov_b32 s1, exec_lo
	v_cmpx_eq_u32_e32 32, v95
	s_cbranch_execz .LBB78_551
; %bb.548:
	v_cmp_ne_u32_e32 vcc_lo, 32, v86
	s_xor_b32 s2, s6, -1
	s_and_b32 s3, s2, vcc_lo
	s_and_saveexec_b32 s2, s3
	s_cbranch_execz .LBB78_550
; %bb.549:
	v_ashrrev_i32_e32 v87, 31, v86
	v_lshlrev_b64 v[87:88], 2, v[86:87]
	v_add_co_u32 v87, vcc_lo, v4, v87
	v_add_co_ci_u32_e64 v88, null, v5, v88, vcc_lo
	s_clause 0x1
	global_load_dword v94, v[87:88], off
	global_load_dword v95, v[4:5], off offset:128
	s_waitcnt vmcnt(1)
	global_store_dword v[4:5], v94, off offset:128
	s_waitcnt vmcnt(0)
	global_store_dword v[87:88], v95, off
.LBB78_550:
	s_or_b32 exec_lo, exec_lo, s2
	v_mov_b32_e32 v94, v86
	v_mov_b32_e32 v95, v86
.LBB78_551:
	s_or_b32 exec_lo, exec_lo, s1
.LBB78_552:
	s_andn2_saveexec_b32 s0, s0
	s_cbranch_execz .LBB78_554
; %bb.553:
	v_mov_b32_e32 v95, 32
	ds_write2_b64 v92, v[16:17], v[14:15] offset0:33 offset1:34
	ds_write2_b64 v92, v[8:9], v[12:13] offset0:35 offset1:36
	;; [unrolled: 1-line block ×3, first 2 shown]
	ds_write_b64 v92, v[84:85] offset:312
.LBB78_554:
	s_or_b32 exec_lo, exec_lo, s0
	s_mov_b32 s0, exec_lo
	s_waitcnt lgkmcnt(0)
	s_waitcnt_vscnt null, 0x0
	s_barrier
	buffer_gl0_inv
	v_cmpx_lt_i32_e32 32, v95
	s_cbranch_execz .LBB78_556
; %bb.555:
	v_mul_f64 v[20:21], v[0:1], v[20:21]
	ds_read2_b64 v[96:99], v92 offset0:33 offset1:34
	ds_read2_b64 v[100:103], v92 offset0:35 offset1:36
	;; [unrolled: 1-line block ×3, first 2 shown]
	ds_read_b64 v[0:1], v92 offset:312
	s_waitcnt lgkmcnt(3)
	v_fma_f64 v[16:17], -v[20:21], v[96:97], v[16:17]
	v_fma_f64 v[14:15], -v[20:21], v[98:99], v[14:15]
	s_waitcnt lgkmcnt(2)
	v_fma_f64 v[8:9], -v[20:21], v[100:101], v[8:9]
	v_fma_f64 v[12:13], -v[20:21], v[102:103], v[12:13]
	;; [unrolled: 3-line block ×3, first 2 shown]
	s_waitcnt lgkmcnt(0)
	v_fma_f64 v[84:85], -v[20:21], v[0:1], v[84:85]
.LBB78_556:
	s_or_b32 exec_lo, exec_lo, s0
	v_lshl_add_u32 v0, v95, 3, v92
	s_barrier
	buffer_gl0_inv
	v_mov_b32_e32 v86, 33
	ds_write_b64 v0, v[16:17]
	s_waitcnt lgkmcnt(0)
	s_barrier
	buffer_gl0_inv
	ds_read_b64 v[0:1], v92 offset:264
	s_cmp_lt_i32 s7, 35
	s_cbranch_scc1 .LBB78_559
; %bb.557:
	v_add3_u32 v87, v93, 0, 0x110
	v_mov_b32_e32 v86, 33
	s_mov_b32 s0, 34
.LBB78_558:                             ; =>This Inner Loop Header: Depth=1
	ds_read_b64 v[96:97], v87
	v_add_nc_u32_e32 v87, 8, v87
	s_waitcnt lgkmcnt(0)
	v_cmp_lt_f64_e64 vcc_lo, |v[0:1]|, |v[96:97]|
	v_cndmask_b32_e32 v1, v1, v97, vcc_lo
	v_cndmask_b32_e32 v0, v0, v96, vcc_lo
	v_cndmask_b32_e64 v86, v86, s0, vcc_lo
	s_add_i32 s0, s0, 1
	s_cmp_lg_u32 s7, s0
	s_cbranch_scc1 .LBB78_558
.LBB78_559:
	s_mov_b32 s0, exec_lo
	s_waitcnt lgkmcnt(0)
	v_cmpx_eq_f64_e32 0, v[0:1]
	s_xor_b32 s0, exec_lo, s0
; %bb.560:
	v_cmp_ne_u32_e32 vcc_lo, 0, v89
	v_cndmask_b32_e32 v89, 34, v89, vcc_lo
; %bb.561:
	s_andn2_saveexec_b32 s0, s0
	s_cbranch_execz .LBB78_563
; %bb.562:
	v_div_scale_f64 v[87:88], null, v[0:1], v[0:1], 1.0
	v_rcp_f64_e32 v[96:97], v[87:88]
	v_fma_f64 v[98:99], -v[87:88], v[96:97], 1.0
	v_fma_f64 v[96:97], v[96:97], v[98:99], v[96:97]
	v_fma_f64 v[98:99], -v[87:88], v[96:97], 1.0
	v_fma_f64 v[96:97], v[96:97], v[98:99], v[96:97]
	v_div_scale_f64 v[98:99], vcc_lo, 1.0, v[0:1], 1.0
	v_mul_f64 v[100:101], v[98:99], v[96:97]
	v_fma_f64 v[87:88], -v[87:88], v[100:101], v[98:99]
	v_div_fmas_f64 v[87:88], v[87:88], v[96:97], v[100:101]
	v_div_fixup_f64 v[0:1], v[87:88], v[0:1], 1.0
.LBB78_563:
	s_or_b32 exec_lo, exec_lo, s0
	s_mov_b32 s0, exec_lo
	v_cmpx_ne_u32_e64 v95, v86
	s_xor_b32 s0, exec_lo, s0
	s_cbranch_execz .LBB78_569
; %bb.564:
	s_mov_b32 s1, exec_lo
	v_cmpx_eq_u32_e32 33, v95
	s_cbranch_execz .LBB78_568
; %bb.565:
	v_cmp_ne_u32_e32 vcc_lo, 33, v86
	s_xor_b32 s2, s6, -1
	s_and_b32 s3, s2, vcc_lo
	s_and_saveexec_b32 s2, s3
	s_cbranch_execz .LBB78_567
; %bb.566:
	v_ashrrev_i32_e32 v87, 31, v86
	v_lshlrev_b64 v[87:88], 2, v[86:87]
	v_add_co_u32 v87, vcc_lo, v4, v87
	v_add_co_ci_u32_e64 v88, null, v5, v88, vcc_lo
	s_clause 0x1
	global_load_dword v94, v[87:88], off
	global_load_dword v95, v[4:5], off offset:132
	s_waitcnt vmcnt(1)
	global_store_dword v[4:5], v94, off offset:132
	s_waitcnt vmcnt(0)
	global_store_dword v[87:88], v95, off
.LBB78_567:
	s_or_b32 exec_lo, exec_lo, s2
	v_mov_b32_e32 v94, v86
	v_mov_b32_e32 v95, v86
.LBB78_568:
	s_or_b32 exec_lo, exec_lo, s1
.LBB78_569:
	s_andn2_saveexec_b32 s0, s0
	s_cbranch_execz .LBB78_571
; %bb.570:
	v_mov_b32_e32 v86, v14
	v_mov_b32_e32 v87, v15
	;; [unrolled: 1-line block ×11, first 2 shown]
	ds_write2_b64 v92, v[86:87], v[96:97] offset0:34 offset1:35
	ds_write2_b64 v92, v[98:99], v[100:101] offset0:36 offset1:37
	;; [unrolled: 1-line block ×3, first 2 shown]
.LBB78_571:
	s_or_b32 exec_lo, exec_lo, s0
	s_mov_b32 s0, exec_lo
	s_waitcnt lgkmcnt(0)
	s_waitcnt_vscnt null, 0x0
	s_barrier
	buffer_gl0_inv
	v_cmpx_lt_i32_e32 33, v95
	s_cbranch_execz .LBB78_573
; %bb.572:
	v_mul_f64 v[16:17], v[0:1], v[16:17]
	ds_read2_b64 v[96:99], v92 offset0:34 offset1:35
	ds_read2_b64 v[100:103], v92 offset0:36 offset1:37
	;; [unrolled: 1-line block ×3, first 2 shown]
	s_waitcnt lgkmcnt(2)
	v_fma_f64 v[14:15], -v[16:17], v[96:97], v[14:15]
	v_fma_f64 v[8:9], -v[16:17], v[98:99], v[8:9]
	s_waitcnt lgkmcnt(1)
	v_fma_f64 v[12:13], -v[16:17], v[100:101], v[12:13]
	v_fma_f64 v[6:7], -v[16:17], v[102:103], v[6:7]
	;; [unrolled: 3-line block ×3, first 2 shown]
.LBB78_573:
	s_or_b32 exec_lo, exec_lo, s0
	v_lshl_add_u32 v0, v95, 3, v92
	s_barrier
	buffer_gl0_inv
	v_mov_b32_e32 v86, 34
	ds_write_b64 v0, v[14:15]
	s_waitcnt lgkmcnt(0)
	s_barrier
	buffer_gl0_inv
	ds_read_b64 v[0:1], v92 offset:272
	s_cmp_lt_i32 s7, 36
	s_cbranch_scc1 .LBB78_576
; %bb.574:
	v_add3_u32 v87, v93, 0, 0x118
	v_mov_b32_e32 v86, 34
	s_mov_b32 s0, 35
.LBB78_575:                             ; =>This Inner Loop Header: Depth=1
	ds_read_b64 v[96:97], v87
	v_add_nc_u32_e32 v87, 8, v87
	s_waitcnt lgkmcnt(0)
	v_cmp_lt_f64_e64 vcc_lo, |v[0:1]|, |v[96:97]|
	v_cndmask_b32_e32 v1, v1, v97, vcc_lo
	v_cndmask_b32_e32 v0, v0, v96, vcc_lo
	v_cndmask_b32_e64 v86, v86, s0, vcc_lo
	s_add_i32 s0, s0, 1
	s_cmp_lg_u32 s7, s0
	s_cbranch_scc1 .LBB78_575
.LBB78_576:
	s_mov_b32 s0, exec_lo
	s_waitcnt lgkmcnt(0)
	v_cmpx_eq_f64_e32 0, v[0:1]
	s_xor_b32 s0, exec_lo, s0
; %bb.577:
	v_cmp_ne_u32_e32 vcc_lo, 0, v89
	v_cndmask_b32_e32 v89, 35, v89, vcc_lo
; %bb.578:
	s_andn2_saveexec_b32 s0, s0
	s_cbranch_execz .LBB78_580
; %bb.579:
	v_div_scale_f64 v[87:88], null, v[0:1], v[0:1], 1.0
	v_rcp_f64_e32 v[96:97], v[87:88]
	v_fma_f64 v[98:99], -v[87:88], v[96:97], 1.0
	v_fma_f64 v[96:97], v[96:97], v[98:99], v[96:97]
	v_fma_f64 v[98:99], -v[87:88], v[96:97], 1.0
	v_fma_f64 v[96:97], v[96:97], v[98:99], v[96:97]
	v_div_scale_f64 v[98:99], vcc_lo, 1.0, v[0:1], 1.0
	v_mul_f64 v[100:101], v[98:99], v[96:97]
	v_fma_f64 v[87:88], -v[87:88], v[100:101], v[98:99]
	v_div_fmas_f64 v[87:88], v[87:88], v[96:97], v[100:101]
	v_div_fixup_f64 v[0:1], v[87:88], v[0:1], 1.0
.LBB78_580:
	s_or_b32 exec_lo, exec_lo, s0
	s_mov_b32 s0, exec_lo
	v_cmpx_ne_u32_e64 v95, v86
	s_xor_b32 s0, exec_lo, s0
	s_cbranch_execz .LBB78_586
; %bb.581:
	s_mov_b32 s1, exec_lo
	v_cmpx_eq_u32_e32 34, v95
	s_cbranch_execz .LBB78_585
; %bb.582:
	v_cmp_ne_u32_e32 vcc_lo, 34, v86
	s_xor_b32 s2, s6, -1
	s_and_b32 s3, s2, vcc_lo
	s_and_saveexec_b32 s2, s3
	s_cbranch_execz .LBB78_584
; %bb.583:
	v_ashrrev_i32_e32 v87, 31, v86
	v_lshlrev_b64 v[87:88], 2, v[86:87]
	v_add_co_u32 v87, vcc_lo, v4, v87
	v_add_co_ci_u32_e64 v88, null, v5, v88, vcc_lo
	s_clause 0x1
	global_load_dword v94, v[87:88], off
	global_load_dword v95, v[4:5], off offset:136
	s_waitcnt vmcnt(1)
	global_store_dword v[4:5], v94, off offset:136
	s_waitcnt vmcnt(0)
	global_store_dword v[87:88], v95, off
.LBB78_584:
	s_or_b32 exec_lo, exec_lo, s2
	v_mov_b32_e32 v94, v86
	v_mov_b32_e32 v95, v86
.LBB78_585:
	s_or_b32 exec_lo, exec_lo, s1
.LBB78_586:
	s_andn2_saveexec_b32 s0, s0
	s_cbranch_execz .LBB78_588
; %bb.587:
	v_mov_b32_e32 v95, 34
	ds_write2_b64 v92, v[8:9], v[12:13] offset0:35 offset1:36
	ds_write2_b64 v92, v[6:7], v[10:11] offset0:37 offset1:38
	ds_write_b64 v92, v[84:85] offset:312
.LBB78_588:
	s_or_b32 exec_lo, exec_lo, s0
	s_mov_b32 s0, exec_lo
	s_waitcnt lgkmcnt(0)
	s_waitcnt_vscnt null, 0x0
	s_barrier
	buffer_gl0_inv
	v_cmpx_lt_i32_e32 34, v95
	s_cbranch_execz .LBB78_590
; %bb.589:
	v_mul_f64 v[14:15], v[0:1], v[14:15]
	ds_read2_b64 v[96:99], v92 offset0:35 offset1:36
	ds_read2_b64 v[100:103], v92 offset0:37 offset1:38
	ds_read_b64 v[0:1], v92 offset:312
	s_waitcnt lgkmcnt(2)
	v_fma_f64 v[8:9], -v[14:15], v[96:97], v[8:9]
	v_fma_f64 v[12:13], -v[14:15], v[98:99], v[12:13]
	s_waitcnt lgkmcnt(1)
	v_fma_f64 v[6:7], -v[14:15], v[100:101], v[6:7]
	v_fma_f64 v[10:11], -v[14:15], v[102:103], v[10:11]
	s_waitcnt lgkmcnt(0)
	v_fma_f64 v[84:85], -v[14:15], v[0:1], v[84:85]
.LBB78_590:
	s_or_b32 exec_lo, exec_lo, s0
	v_lshl_add_u32 v0, v95, 3, v92
	s_barrier
	buffer_gl0_inv
	v_mov_b32_e32 v86, 35
	ds_write_b64 v0, v[8:9]
	s_waitcnt lgkmcnt(0)
	s_barrier
	buffer_gl0_inv
	ds_read_b64 v[0:1], v92 offset:280
	s_cmp_lt_i32 s7, 37
	s_cbranch_scc1 .LBB78_593
; %bb.591:
	v_add3_u32 v87, v93, 0, 0x120
	v_mov_b32_e32 v86, 35
	s_mov_b32 s0, 36
.LBB78_592:                             ; =>This Inner Loop Header: Depth=1
	ds_read_b64 v[96:97], v87
	v_add_nc_u32_e32 v87, 8, v87
	s_waitcnt lgkmcnt(0)
	v_cmp_lt_f64_e64 vcc_lo, |v[0:1]|, |v[96:97]|
	v_cndmask_b32_e32 v1, v1, v97, vcc_lo
	v_cndmask_b32_e32 v0, v0, v96, vcc_lo
	v_cndmask_b32_e64 v86, v86, s0, vcc_lo
	s_add_i32 s0, s0, 1
	s_cmp_lg_u32 s7, s0
	s_cbranch_scc1 .LBB78_592
.LBB78_593:
	s_mov_b32 s0, exec_lo
	s_waitcnt lgkmcnt(0)
	v_cmpx_eq_f64_e32 0, v[0:1]
	s_xor_b32 s0, exec_lo, s0
; %bb.594:
	v_cmp_ne_u32_e32 vcc_lo, 0, v89
	v_cndmask_b32_e32 v89, 36, v89, vcc_lo
; %bb.595:
	s_andn2_saveexec_b32 s0, s0
	s_cbranch_execz .LBB78_597
; %bb.596:
	v_div_scale_f64 v[87:88], null, v[0:1], v[0:1], 1.0
	v_rcp_f64_e32 v[96:97], v[87:88]
	v_fma_f64 v[98:99], -v[87:88], v[96:97], 1.0
	v_fma_f64 v[96:97], v[96:97], v[98:99], v[96:97]
	v_fma_f64 v[98:99], -v[87:88], v[96:97], 1.0
	v_fma_f64 v[96:97], v[96:97], v[98:99], v[96:97]
	v_div_scale_f64 v[98:99], vcc_lo, 1.0, v[0:1], 1.0
	v_mul_f64 v[100:101], v[98:99], v[96:97]
	v_fma_f64 v[87:88], -v[87:88], v[100:101], v[98:99]
	v_div_fmas_f64 v[87:88], v[87:88], v[96:97], v[100:101]
	v_div_fixup_f64 v[0:1], v[87:88], v[0:1], 1.0
.LBB78_597:
	s_or_b32 exec_lo, exec_lo, s0
	s_mov_b32 s0, exec_lo
	v_cmpx_ne_u32_e64 v95, v86
	s_xor_b32 s0, exec_lo, s0
	s_cbranch_execz .LBB78_603
; %bb.598:
	s_mov_b32 s1, exec_lo
	v_cmpx_eq_u32_e32 35, v95
	s_cbranch_execz .LBB78_602
; %bb.599:
	v_cmp_ne_u32_e32 vcc_lo, 35, v86
	s_xor_b32 s2, s6, -1
	s_and_b32 s3, s2, vcc_lo
	s_and_saveexec_b32 s2, s3
	s_cbranch_execz .LBB78_601
; %bb.600:
	v_ashrrev_i32_e32 v87, 31, v86
	v_lshlrev_b64 v[87:88], 2, v[86:87]
	v_add_co_u32 v87, vcc_lo, v4, v87
	v_add_co_ci_u32_e64 v88, null, v5, v88, vcc_lo
	s_clause 0x1
	global_load_dword v94, v[87:88], off
	global_load_dword v95, v[4:5], off offset:140
	s_waitcnt vmcnt(1)
	global_store_dword v[4:5], v94, off offset:140
	s_waitcnt vmcnt(0)
	global_store_dword v[87:88], v95, off
.LBB78_601:
	s_or_b32 exec_lo, exec_lo, s2
	v_mov_b32_e32 v94, v86
	v_mov_b32_e32 v95, v86
.LBB78_602:
	s_or_b32 exec_lo, exec_lo, s1
.LBB78_603:
	s_andn2_saveexec_b32 s0, s0
	s_cbranch_execz .LBB78_605
; %bb.604:
	v_mov_b32_e32 v86, v12
	v_mov_b32_e32 v87, v13
	;; [unrolled: 1-line block ×7, first 2 shown]
	ds_write2_b64 v92, v[86:87], v[96:97] offset0:36 offset1:37
	ds_write2_b64 v92, v[98:99], v[84:85] offset0:38 offset1:39
.LBB78_605:
	s_or_b32 exec_lo, exec_lo, s0
	s_mov_b32 s0, exec_lo
	s_waitcnt lgkmcnt(0)
	s_waitcnt_vscnt null, 0x0
	s_barrier
	buffer_gl0_inv
	v_cmpx_lt_i32_e32 35, v95
	s_cbranch_execz .LBB78_607
; %bb.606:
	v_mul_f64 v[8:9], v[0:1], v[8:9]
	ds_read2_b64 v[96:99], v92 offset0:36 offset1:37
	ds_read2_b64 v[100:103], v92 offset0:38 offset1:39
	s_waitcnt lgkmcnt(1)
	v_fma_f64 v[12:13], -v[8:9], v[96:97], v[12:13]
	v_fma_f64 v[6:7], -v[8:9], v[98:99], v[6:7]
	s_waitcnt lgkmcnt(0)
	v_fma_f64 v[10:11], -v[8:9], v[100:101], v[10:11]
	v_fma_f64 v[84:85], -v[8:9], v[102:103], v[84:85]
.LBB78_607:
	s_or_b32 exec_lo, exec_lo, s0
	v_lshl_add_u32 v0, v95, 3, v92
	s_barrier
	buffer_gl0_inv
	v_mov_b32_e32 v86, 36
	ds_write_b64 v0, v[12:13]
	s_waitcnt lgkmcnt(0)
	s_barrier
	buffer_gl0_inv
	ds_read_b64 v[0:1], v92 offset:288
	s_cmp_lt_i32 s7, 38
	s_cbranch_scc1 .LBB78_610
; %bb.608:
	v_add3_u32 v87, v93, 0, 0x128
	v_mov_b32_e32 v86, 36
	s_mov_b32 s0, 37
.LBB78_609:                             ; =>This Inner Loop Header: Depth=1
	ds_read_b64 v[96:97], v87
	v_add_nc_u32_e32 v87, 8, v87
	s_waitcnt lgkmcnt(0)
	v_cmp_lt_f64_e64 vcc_lo, |v[0:1]|, |v[96:97]|
	v_cndmask_b32_e32 v1, v1, v97, vcc_lo
	v_cndmask_b32_e32 v0, v0, v96, vcc_lo
	v_cndmask_b32_e64 v86, v86, s0, vcc_lo
	s_add_i32 s0, s0, 1
	s_cmp_lg_u32 s7, s0
	s_cbranch_scc1 .LBB78_609
.LBB78_610:
	s_mov_b32 s0, exec_lo
	s_waitcnt lgkmcnt(0)
	v_cmpx_eq_f64_e32 0, v[0:1]
	s_xor_b32 s0, exec_lo, s0
; %bb.611:
	v_cmp_ne_u32_e32 vcc_lo, 0, v89
	v_cndmask_b32_e32 v89, 37, v89, vcc_lo
; %bb.612:
	s_andn2_saveexec_b32 s0, s0
	s_cbranch_execz .LBB78_614
; %bb.613:
	v_div_scale_f64 v[87:88], null, v[0:1], v[0:1], 1.0
	v_rcp_f64_e32 v[96:97], v[87:88]
	v_fma_f64 v[98:99], -v[87:88], v[96:97], 1.0
	v_fma_f64 v[96:97], v[96:97], v[98:99], v[96:97]
	v_fma_f64 v[98:99], -v[87:88], v[96:97], 1.0
	v_fma_f64 v[96:97], v[96:97], v[98:99], v[96:97]
	v_div_scale_f64 v[98:99], vcc_lo, 1.0, v[0:1], 1.0
	v_mul_f64 v[100:101], v[98:99], v[96:97]
	v_fma_f64 v[87:88], -v[87:88], v[100:101], v[98:99]
	v_div_fmas_f64 v[87:88], v[87:88], v[96:97], v[100:101]
	v_div_fixup_f64 v[0:1], v[87:88], v[0:1], 1.0
.LBB78_614:
	s_or_b32 exec_lo, exec_lo, s0
	s_mov_b32 s0, exec_lo
	v_cmpx_ne_u32_e64 v95, v86
	s_xor_b32 s0, exec_lo, s0
	s_cbranch_execz .LBB78_620
; %bb.615:
	s_mov_b32 s1, exec_lo
	v_cmpx_eq_u32_e32 36, v95
	s_cbranch_execz .LBB78_619
; %bb.616:
	v_cmp_ne_u32_e32 vcc_lo, 36, v86
	s_xor_b32 s2, s6, -1
	s_and_b32 s3, s2, vcc_lo
	s_and_saveexec_b32 s2, s3
	s_cbranch_execz .LBB78_618
; %bb.617:
	v_ashrrev_i32_e32 v87, 31, v86
	v_lshlrev_b64 v[87:88], 2, v[86:87]
	v_add_co_u32 v87, vcc_lo, v4, v87
	v_add_co_ci_u32_e64 v88, null, v5, v88, vcc_lo
	s_clause 0x1
	global_load_dword v94, v[87:88], off
	global_load_dword v95, v[4:5], off offset:144
	s_waitcnt vmcnt(1)
	global_store_dword v[4:5], v94, off offset:144
	s_waitcnt vmcnt(0)
	global_store_dword v[87:88], v95, off
.LBB78_618:
	s_or_b32 exec_lo, exec_lo, s2
	v_mov_b32_e32 v94, v86
	v_mov_b32_e32 v95, v86
.LBB78_619:
	s_or_b32 exec_lo, exec_lo, s1
.LBB78_620:
	s_andn2_saveexec_b32 s0, s0
	s_cbranch_execz .LBB78_622
; %bb.621:
	v_mov_b32_e32 v95, 36
	ds_write2_b64 v92, v[6:7], v[10:11] offset0:37 offset1:38
	ds_write_b64 v92, v[84:85] offset:312
.LBB78_622:
	s_or_b32 exec_lo, exec_lo, s0
	s_mov_b32 s0, exec_lo
	s_waitcnt lgkmcnt(0)
	s_waitcnt_vscnt null, 0x0
	s_barrier
	buffer_gl0_inv
	v_cmpx_lt_i32_e32 36, v95
	s_cbranch_execz .LBB78_624
; %bb.623:
	v_mul_f64 v[12:13], v[0:1], v[12:13]
	ds_read2_b64 v[96:99], v92 offset0:37 offset1:38
	ds_read_b64 v[0:1], v92 offset:312
	s_waitcnt lgkmcnt(1)
	v_fma_f64 v[6:7], -v[12:13], v[96:97], v[6:7]
	v_fma_f64 v[10:11], -v[12:13], v[98:99], v[10:11]
	s_waitcnt lgkmcnt(0)
	v_fma_f64 v[84:85], -v[12:13], v[0:1], v[84:85]
.LBB78_624:
	s_or_b32 exec_lo, exec_lo, s0
	v_lshl_add_u32 v0, v95, 3, v92
	s_barrier
	buffer_gl0_inv
	v_mov_b32_e32 v86, 37
	ds_write_b64 v0, v[6:7]
	s_waitcnt lgkmcnt(0)
	s_barrier
	buffer_gl0_inv
	ds_read_b64 v[0:1], v92 offset:296
	s_cmp_lt_i32 s7, 39
	s_cbranch_scc1 .LBB78_627
; %bb.625:
	v_add3_u32 v87, v93, 0, 0x130
	v_mov_b32_e32 v86, 37
	s_mov_b32 s0, 38
.LBB78_626:                             ; =>This Inner Loop Header: Depth=1
	ds_read_b64 v[96:97], v87
	v_add_nc_u32_e32 v87, 8, v87
	s_waitcnt lgkmcnt(0)
	v_cmp_lt_f64_e64 vcc_lo, |v[0:1]|, |v[96:97]|
	v_cndmask_b32_e32 v1, v1, v97, vcc_lo
	v_cndmask_b32_e32 v0, v0, v96, vcc_lo
	v_cndmask_b32_e64 v86, v86, s0, vcc_lo
	s_add_i32 s0, s0, 1
	s_cmp_lg_u32 s7, s0
	s_cbranch_scc1 .LBB78_626
.LBB78_627:
	s_mov_b32 s0, exec_lo
	s_waitcnt lgkmcnt(0)
	v_cmpx_eq_f64_e32 0, v[0:1]
	s_xor_b32 s0, exec_lo, s0
; %bb.628:
	v_cmp_ne_u32_e32 vcc_lo, 0, v89
	v_cndmask_b32_e32 v89, 38, v89, vcc_lo
; %bb.629:
	s_andn2_saveexec_b32 s0, s0
	s_cbranch_execz .LBB78_631
; %bb.630:
	v_div_scale_f64 v[87:88], null, v[0:1], v[0:1], 1.0
	v_rcp_f64_e32 v[96:97], v[87:88]
	v_fma_f64 v[98:99], -v[87:88], v[96:97], 1.0
	v_fma_f64 v[96:97], v[96:97], v[98:99], v[96:97]
	v_fma_f64 v[98:99], -v[87:88], v[96:97], 1.0
	v_fma_f64 v[96:97], v[96:97], v[98:99], v[96:97]
	v_div_scale_f64 v[98:99], vcc_lo, 1.0, v[0:1], 1.0
	v_mul_f64 v[100:101], v[98:99], v[96:97]
	v_fma_f64 v[87:88], -v[87:88], v[100:101], v[98:99]
	v_div_fmas_f64 v[87:88], v[87:88], v[96:97], v[100:101]
	v_div_fixup_f64 v[0:1], v[87:88], v[0:1], 1.0
.LBB78_631:
	s_or_b32 exec_lo, exec_lo, s0
	s_mov_b32 s0, exec_lo
	v_cmpx_ne_u32_e64 v95, v86
	s_xor_b32 s0, exec_lo, s0
	s_cbranch_execz .LBB78_637
; %bb.632:
	s_mov_b32 s1, exec_lo
	v_cmpx_eq_u32_e32 37, v95
	s_cbranch_execz .LBB78_636
; %bb.633:
	v_cmp_ne_u32_e32 vcc_lo, 37, v86
	s_xor_b32 s2, s6, -1
	s_and_b32 s3, s2, vcc_lo
	s_and_saveexec_b32 s2, s3
	s_cbranch_execz .LBB78_635
; %bb.634:
	v_ashrrev_i32_e32 v87, 31, v86
	v_lshlrev_b64 v[87:88], 2, v[86:87]
	v_add_co_u32 v87, vcc_lo, v4, v87
	v_add_co_ci_u32_e64 v88, null, v5, v88, vcc_lo
	s_clause 0x1
	global_load_dword v94, v[87:88], off
	global_load_dword v95, v[4:5], off offset:148
	s_waitcnt vmcnt(1)
	global_store_dword v[4:5], v94, off offset:148
	s_waitcnt vmcnt(0)
	global_store_dword v[87:88], v95, off
.LBB78_635:
	s_or_b32 exec_lo, exec_lo, s2
	v_mov_b32_e32 v94, v86
	v_mov_b32_e32 v95, v86
.LBB78_636:
	s_or_b32 exec_lo, exec_lo, s1
.LBB78_637:
	s_andn2_saveexec_b32 s0, s0
	s_cbranch_execz .LBB78_639
; %bb.638:
	v_mov_b32_e32 v86, v10
	v_mov_b32_e32 v87, v11
	;; [unrolled: 1-line block ×3, first 2 shown]
	ds_write2_b64 v92, v[86:87], v[84:85] offset0:38 offset1:39
.LBB78_639:
	s_or_b32 exec_lo, exec_lo, s0
	s_mov_b32 s0, exec_lo
	s_waitcnt lgkmcnt(0)
	s_waitcnt_vscnt null, 0x0
	s_barrier
	buffer_gl0_inv
	v_cmpx_lt_i32_e32 37, v95
	s_cbranch_execz .LBB78_641
; %bb.640:
	v_mul_f64 v[6:7], v[0:1], v[6:7]
	ds_read2_b64 v[96:99], v92 offset0:38 offset1:39
	s_waitcnt lgkmcnt(0)
	v_fma_f64 v[10:11], -v[6:7], v[96:97], v[10:11]
	v_fma_f64 v[84:85], -v[6:7], v[98:99], v[84:85]
.LBB78_641:
	s_or_b32 exec_lo, exec_lo, s0
	v_lshl_add_u32 v0, v95, 3, v92
	s_barrier
	buffer_gl0_inv
	v_mov_b32_e32 v86, 38
	ds_write_b64 v0, v[10:11]
	s_waitcnt lgkmcnt(0)
	s_barrier
	buffer_gl0_inv
	ds_read_b64 v[0:1], v92 offset:304
	s_cmp_lt_i32 s7, 40
	s_cbranch_scc1 .LBB78_644
; %bb.642:
	v_add3_u32 v87, v93, 0, 0x138
	v_mov_b32_e32 v86, 38
	s_mov_b32 s0, 39
.LBB78_643:                             ; =>This Inner Loop Header: Depth=1
	ds_read_b64 v[96:97], v87
	v_add_nc_u32_e32 v87, 8, v87
	s_waitcnt lgkmcnt(0)
	v_cmp_lt_f64_e64 vcc_lo, |v[0:1]|, |v[96:97]|
	v_cndmask_b32_e32 v1, v1, v97, vcc_lo
	v_cndmask_b32_e32 v0, v0, v96, vcc_lo
	v_cndmask_b32_e64 v86, v86, s0, vcc_lo
	s_add_i32 s0, s0, 1
	s_cmp_lg_u32 s7, s0
	s_cbranch_scc1 .LBB78_643
.LBB78_644:
	s_mov_b32 s0, exec_lo
	s_waitcnt lgkmcnt(0)
	v_cmpx_eq_f64_e32 0, v[0:1]
	s_xor_b32 s0, exec_lo, s0
; %bb.645:
	v_cmp_ne_u32_e32 vcc_lo, 0, v89
	v_cndmask_b32_e32 v89, 39, v89, vcc_lo
; %bb.646:
	s_andn2_saveexec_b32 s0, s0
	s_cbranch_execz .LBB78_648
; %bb.647:
	v_div_scale_f64 v[87:88], null, v[0:1], v[0:1], 1.0
	v_rcp_f64_e32 v[96:97], v[87:88]
	v_fma_f64 v[98:99], -v[87:88], v[96:97], 1.0
	v_fma_f64 v[96:97], v[96:97], v[98:99], v[96:97]
	v_fma_f64 v[98:99], -v[87:88], v[96:97], 1.0
	v_fma_f64 v[96:97], v[96:97], v[98:99], v[96:97]
	v_div_scale_f64 v[98:99], vcc_lo, 1.0, v[0:1], 1.0
	v_mul_f64 v[100:101], v[98:99], v[96:97]
	v_fma_f64 v[87:88], -v[87:88], v[100:101], v[98:99]
	v_div_fmas_f64 v[87:88], v[87:88], v[96:97], v[100:101]
	v_div_fixup_f64 v[0:1], v[87:88], v[0:1], 1.0
.LBB78_648:
	s_or_b32 exec_lo, exec_lo, s0
	s_mov_b32 s0, exec_lo
	v_cmpx_ne_u32_e64 v95, v86
	s_xor_b32 s0, exec_lo, s0
	s_cbranch_execz .LBB78_654
; %bb.649:
	s_mov_b32 s1, exec_lo
	v_cmpx_eq_u32_e32 38, v95
	s_cbranch_execz .LBB78_653
; %bb.650:
	v_cmp_ne_u32_e32 vcc_lo, 38, v86
	s_xor_b32 s2, s6, -1
	s_and_b32 s3, s2, vcc_lo
	s_and_saveexec_b32 s2, s3
	s_cbranch_execz .LBB78_652
; %bb.651:
	v_ashrrev_i32_e32 v87, 31, v86
	v_lshlrev_b64 v[87:88], 2, v[86:87]
	v_add_co_u32 v87, vcc_lo, v4, v87
	v_add_co_ci_u32_e64 v88, null, v5, v88, vcc_lo
	s_clause 0x1
	global_load_dword v94, v[87:88], off
	global_load_dword v95, v[4:5], off offset:152
	s_waitcnt vmcnt(1)
	global_store_dword v[4:5], v94, off offset:152
	s_waitcnt vmcnt(0)
	global_store_dword v[87:88], v95, off
.LBB78_652:
	s_or_b32 exec_lo, exec_lo, s2
	v_mov_b32_e32 v94, v86
	v_mov_b32_e32 v95, v86
.LBB78_653:
	s_or_b32 exec_lo, exec_lo, s1
.LBB78_654:
	s_andn2_saveexec_b32 s0, s0
; %bb.655:
	v_mov_b32_e32 v95, 38
	ds_write_b64 v92, v[84:85] offset:312
; %bb.656:
	s_or_b32 exec_lo, exec_lo, s0
	s_mov_b32 s0, exec_lo
	s_waitcnt lgkmcnt(0)
	s_waitcnt_vscnt null, 0x0
	s_barrier
	buffer_gl0_inv
	v_cmpx_lt_i32_e32 38, v95
	s_cbranch_execz .LBB78_658
; %bb.657:
	v_mul_f64 v[10:11], v[0:1], v[10:11]
	ds_read_b64 v[0:1], v92 offset:312
	s_waitcnt lgkmcnt(0)
	v_fma_f64 v[84:85], -v[10:11], v[0:1], v[84:85]
.LBB78_658:
	s_or_b32 exec_lo, exec_lo, s0
	v_lshl_add_u32 v0, v95, 3, v92
	s_barrier
	buffer_gl0_inv
	v_mov_b32_e32 v86, 39
	ds_write_b64 v0, v[84:85]
	s_waitcnt lgkmcnt(0)
	s_barrier
	buffer_gl0_inv
	ds_read_b64 v[0:1], v92 offset:312
	s_cmp_lt_i32 s7, 41
	s_cbranch_scc1 .LBB78_661
; %bb.659:
	v_add3_u32 v87, v93, 0, 0x140
	v_mov_b32_e32 v86, 39
	s_mov_b32 s0, 40
.LBB78_660:                             ; =>This Inner Loop Header: Depth=1
	ds_read_b64 v[92:93], v87
	v_add_nc_u32_e32 v87, 8, v87
	s_waitcnt lgkmcnt(0)
	v_cmp_lt_f64_e64 vcc_lo, |v[0:1]|, |v[92:93]|
	v_cndmask_b32_e32 v1, v1, v93, vcc_lo
	v_cndmask_b32_e32 v0, v0, v92, vcc_lo
	v_cndmask_b32_e64 v86, v86, s0, vcc_lo
	s_add_i32 s0, s0, 1
	s_cmp_lg_u32 s7, s0
	s_cbranch_scc1 .LBB78_660
.LBB78_661:
	s_mov_b32 s0, exec_lo
	s_waitcnt lgkmcnt(0)
	v_cmpx_eq_f64_e32 0, v[0:1]
	s_xor_b32 s0, exec_lo, s0
; %bb.662:
	v_cmp_ne_u32_e32 vcc_lo, 0, v89
	v_cndmask_b32_e32 v89, 40, v89, vcc_lo
; %bb.663:
	s_andn2_saveexec_b32 s0, s0
	s_cbranch_execz .LBB78_665
; %bb.664:
	v_div_scale_f64 v[87:88], null, v[0:1], v[0:1], 1.0
	v_rcp_f64_e32 v[92:93], v[87:88]
	v_fma_f64 v[96:97], -v[87:88], v[92:93], 1.0
	v_fma_f64 v[92:93], v[92:93], v[96:97], v[92:93]
	v_fma_f64 v[96:97], -v[87:88], v[92:93], 1.0
	v_fma_f64 v[92:93], v[92:93], v[96:97], v[92:93]
	v_div_scale_f64 v[96:97], vcc_lo, 1.0, v[0:1], 1.0
	v_mul_f64 v[98:99], v[96:97], v[92:93]
	v_fma_f64 v[87:88], -v[87:88], v[98:99], v[96:97]
	v_div_fmas_f64 v[87:88], v[87:88], v[92:93], v[98:99]
	v_div_fixup_f64 v[0:1], v[87:88], v[0:1], 1.0
.LBB78_665:
	s_or_b32 exec_lo, exec_lo, s0
	v_mov_b32_e32 v87, 39
	s_mov_b32 s0, exec_lo
	v_cmpx_ne_u32_e64 v95, v86
	s_cbranch_execz .LBB78_671
; %bb.666:
	s_mov_b32 s1, exec_lo
	v_cmpx_eq_u32_e32 39, v95
	s_cbranch_execz .LBB78_670
; %bb.667:
	v_cmp_ne_u32_e32 vcc_lo, 39, v86
	s_xor_b32 s2, s6, -1
	s_and_b32 s3, s2, vcc_lo
	s_and_saveexec_b32 s2, s3
	s_cbranch_execz .LBB78_669
; %bb.668:
	v_ashrrev_i32_e32 v87, 31, v86
	v_lshlrev_b64 v[87:88], 2, v[86:87]
	v_add_co_u32 v87, vcc_lo, v4, v87
	v_add_co_ci_u32_e64 v88, null, v5, v88, vcc_lo
	s_clause 0x1
	global_load_dword v92, v[87:88], off
	global_load_dword v93, v[4:5], off offset:156
	s_waitcnt vmcnt(1)
	global_store_dword v[4:5], v92, off offset:156
	s_waitcnt vmcnt(0)
	global_store_dword v[87:88], v93, off
.LBB78_669:
	s_or_b32 exec_lo, exec_lo, s2
	v_mov_b32_e32 v94, v86
	v_mov_b32_e32 v95, v86
.LBB78_670:
	s_or_b32 exec_lo, exec_lo, s1
	v_mov_b32_e32 v87, v95
.LBB78_671:
	s_or_b32 exec_lo, exec_lo, s0
	s_load_dwordx8 s[0:7], s[4:5], 0x28
	v_ashrrev_i32_e32 v88, 31, v87
	s_mov_b32 s9, exec_lo
	s_waitcnt lgkmcnt(0)
	s_waitcnt_vscnt null, 0x0
	s_barrier
	buffer_gl0_inv
	s_barrier
	buffer_gl0_inv
	v_cmpx_gt_i32_e32 40, v87
	s_cbranch_execz .LBB78_673
; %bb.672:
	v_mul_lo_u32 v86, s5, v2
	v_mul_lo_u32 v92, s4, v3
	v_mad_u64_u32 v[4:5], null, s4, v2, 0
	s_lshl_b64 s[2:3], s[2:3], 2
	v_add3_u32 v5, v5, v92, v86
	v_lshlrev_b64 v[4:5], 2, v[4:5]
	v_add_co_u32 v86, vcc_lo, s0, v4
	v_add_co_ci_u32_e64 v92, null, s1, v5, vcc_lo
	v_lshlrev_b64 v[4:5], 2, v[87:88]
	v_add_co_u32 v86, vcc_lo, v86, s2
	v_add_co_ci_u32_e64 v92, null, s3, v92, vcc_lo
	v_add_co_u32 v4, vcc_lo, v86, v4
	v_add_co_ci_u32_e64 v5, null, v92, v5, vcc_lo
	v_add3_u32 v86, v94, s13, 1
	global_store_dword v[4:5], v86, off
.LBB78_673:
	s_or_b32 exec_lo, exec_lo, s9
	s_mov_b32 s1, exec_lo
	v_cmpx_eq_u32_e32 0, v87
	s_cbranch_execz .LBB78_676
; %bb.674:
	v_lshlrev_b64 v[2:3], 2, v[2:3]
	v_cmp_ne_u32_e64 s0, 0, v89
	v_add_co_u32 v2, vcc_lo, s6, v2
	v_add_co_ci_u32_e64 v3, null, s7, v3, vcc_lo
	global_load_dword v4, v[2:3], off
	s_waitcnt vmcnt(0)
	v_cmp_eq_u32_e32 vcc_lo, 0, v4
	s_and_b32 s0, vcc_lo, s0
	s_and_b32 exec_lo, exec_lo, s0
	s_cbranch_execz .LBB78_676
; %bb.675:
	v_add_nc_u32_e32 v4, s13, v89
	global_store_dword v[2:3], v4, off
.LBB78_676:
	s_or_b32 exec_lo, exec_lo, s1
	v_add3_u32 v2, s8, s8, v87
	v_lshlrev_b64 v[4:5], 3, v[87:88]
	v_mul_f64 v[0:1], v[0:1], v[84:85]
	v_cmp_lt_i32_e32 vcc_lo, 39, v87
	v_ashrrev_i32_e32 v3, 31, v2
	v_add_nc_u32_e32 v86, s8, v2
	v_add_co_u32 v4, s0, v90, v4
	v_add_co_ci_u32_e64 v5, null, v91, v5, s0
	v_lshlrev_b64 v[2:3], 3, v[2:3]
	v_add_co_u32 v92, s0, v4, s10
	v_add_co_ci_u32_e64 v93, null, s11, v5, s0
	v_add_nc_u32_e32 v88, s8, v86
	v_add_co_u32 v2, s0, v90, v2
	v_add_co_ci_u32_e64 v3, null, v91, v3, s0
	v_ashrrev_i32_e32 v87, 31, v86
	flat_store_dwordx2 v[4:5], v[82:83]
	flat_store_dwordx2 v[92:93], v[78:79]
	;; [unrolled: 1-line block ×3, first 2 shown]
	v_add_nc_u32_e32 v78, s8, v88
	v_ashrrev_i32_e32 v89, 31, v88
	v_lshlrev_b64 v[4:5], 3, v[86:87]
	v_cndmask_b32_e32 v1, v85, v1, vcc_lo
	v_cndmask_b32_e32 v0, v84, v0, vcc_lo
	v_add_nc_u32_e32 v80, s8, v78
	v_lshlrev_b64 v[2:3], 3, v[88:89]
	v_ashrrev_i32_e32 v79, 31, v78
	v_add_co_u32 v4, vcc_lo, v90, v4
	v_add_nc_u32_e32 v82, s8, v80
	v_add_co_ci_u32_e64 v5, null, v91, v5, vcc_lo
	v_add_co_u32 v2, vcc_lo, v90, v2
	v_ashrrev_i32_e32 v81, 31, v80
	v_add_co_ci_u32_e64 v3, null, v91, v3, vcc_lo
	v_ashrrev_i32_e32 v83, 31, v82
	v_lshlrev_b64 v[78:79], 3, v[78:79]
	flat_store_dwordx2 v[4:5], v[74:75]
	flat_store_dwordx2 v[2:3], v[76:77]
	v_lshlrev_b64 v[2:3], 3, v[80:81]
	v_add_nc_u32_e32 v76, s8, v82
	v_lshlrev_b64 v[74:75], 3, v[82:83]
	v_add_co_u32 v4, vcc_lo, v90, v78
	v_add_co_ci_u32_e64 v5, null, v91, v79, vcc_lo
	v_add_co_u32 v2, vcc_lo, v90, v2
	v_add_co_ci_u32_e64 v3, null, v91, v3, vcc_lo
	v_add_co_u32 v74, vcc_lo, v90, v74
	v_add_nc_u32_e32 v78, s8, v76
	v_add_co_ci_u32_e64 v75, null, v91, v75, vcc_lo
	v_ashrrev_i32_e32 v77, 31, v76
	flat_store_dwordx2 v[4:5], v[72:73]
	flat_store_dwordx2 v[2:3], v[70:71]
	flat_store_dwordx2 v[74:75], v[68:69]
	v_add_nc_u32_e32 v68, s8, v78
	v_ashrrev_i32_e32 v79, 31, v78
	v_lshlrev_b64 v[4:5], 3, v[76:77]
	v_add_nc_u32_e32 v70, s8, v68
	v_lshlrev_b64 v[2:3], 3, v[78:79]
	v_ashrrev_i32_e32 v69, 31, v68
	v_add_co_u32 v4, vcc_lo, v90, v4
	v_add_nc_u32_e32 v72, s8, v70
	v_add_co_ci_u32_e64 v5, null, v91, v5, vcc_lo
	v_add_co_u32 v2, vcc_lo, v90, v2
	v_ashrrev_i32_e32 v71, 31, v70
	v_add_co_ci_u32_e64 v3, null, v91, v3, vcc_lo
	v_ashrrev_i32_e32 v73, 31, v72
	v_lshlrev_b64 v[68:69], 3, v[68:69]
	flat_store_dwordx2 v[4:5], v[66:67]
	flat_store_dwordx2 v[2:3], v[64:65]
	v_lshlrev_b64 v[2:3], 3, v[70:71]
	v_add_nc_u32_e32 v66, s8, v72
	v_lshlrev_b64 v[64:65], 3, v[72:73]
	v_add_co_u32 v4, vcc_lo, v90, v68
	v_add_co_ci_u32_e64 v5, null, v91, v69, vcc_lo
	v_add_co_u32 v2, vcc_lo, v90, v2
	v_add_co_ci_u32_e64 v3, null, v91, v3, vcc_lo
	v_add_co_u32 v64, vcc_lo, v90, v64
	v_add_nc_u32_e32 v68, s8, v66
	v_add_co_ci_u32_e64 v65, null, v91, v65, vcc_lo
	v_ashrrev_i32_e32 v67, 31, v66
	flat_store_dwordx2 v[4:5], v[62:63]
	flat_store_dwordx2 v[2:3], v[58:59]
	flat_store_dwordx2 v[64:65], v[60:61]
	v_add_nc_u32_e32 v58, s8, v68
	v_ashrrev_i32_e32 v69, 31, v68
	v_lshlrev_b64 v[4:5], 3, v[66:67]
	;; [unrolled: 30-line block ×5, first 2 shown]
	v_add_nc_u32_e32 v30, s8, v28
	v_lshlrev_b64 v[2:3], 3, v[38:39]
	v_ashrrev_i32_e32 v29, 31, v28
	v_add_co_u32 v4, vcc_lo, v90, v4
	v_add_nc_u32_e32 v32, s8, v30
	v_add_co_ci_u32_e64 v5, null, v91, v5, vcc_lo
	v_add_co_u32 v2, vcc_lo, v90, v2
	v_ashrrev_i32_e32 v31, 31, v30
	v_add_co_ci_u32_e64 v3, null, v91, v3, vcc_lo
	v_ashrrev_i32_e32 v33, 31, v32
	v_lshlrev_b64 v[28:29], 3, v[28:29]
	flat_store_dwordx2 v[4:5], v[26:27]
	flat_store_dwordx2 v[2:3], v[24:25]
	v_lshlrev_b64 v[2:3], 3, v[30:31]
	v_add_nc_u32_e32 v26, s8, v32
	v_lshlrev_b64 v[24:25], 3, v[32:33]
	v_add_co_u32 v4, vcc_lo, v90, v28
	v_add_co_ci_u32_e64 v5, null, v91, v29, vcc_lo
	v_add_co_u32 v2, vcc_lo, v90, v2
	v_add_nc_u32_e32 v28, s8, v26
	v_add_co_ci_u32_e64 v3, null, v91, v3, vcc_lo
	v_add_co_u32 v24, vcc_lo, v90, v24
	v_ashrrev_i32_e32 v27, 31, v26
	v_add_co_ci_u32_e64 v25, null, v91, v25, vcc_lo
	v_ashrrev_i32_e32 v29, 31, v28
	flat_store_dwordx2 v[4:5], v[22:23]
	v_lshlrev_b64 v[4:5], 3, v[26:27]
	flat_store_dwordx2 v[2:3], v[18:19]
	flat_store_dwordx2 v[24:25], v[20:21]
	v_add_nc_u32_e32 v18, s8, v28
	v_lshlrev_b64 v[2:3], 3, v[28:29]
	v_add_co_u32 v4, vcc_lo, v90, v4
	v_add_nc_u32_e32 v20, s8, v18
	v_add_co_ci_u32_e64 v5, null, v91, v5, vcc_lo
	v_add_co_u32 v2, vcc_lo, v90, v2
	v_add_co_ci_u32_e64 v3, null, v91, v3, vcc_lo
	v_add_nc_u32_e32 v22, s8, v20
	v_ashrrev_i32_e32 v19, 31, v18
	flat_store_dwordx2 v[4:5], v[16:17]
	flat_store_dwordx2 v[2:3], v[14:15]
	v_ashrrev_i32_e32 v21, 31, v20
	v_add_nc_u32_e32 v14, s8, v22
	v_lshlrev_b64 v[4:5], 3, v[18:19]
	v_ashrrev_i32_e32 v23, 31, v22
	v_lshlrev_b64 v[2:3], 3, v[20:21]
	v_add_nc_u32_e32 v18, s8, v14
	v_ashrrev_i32_e32 v15, 31, v14
	v_lshlrev_b64 v[16:17], 3, v[22:23]
	v_add_co_u32 v4, vcc_lo, v90, v4
	v_ashrrev_i32_e32 v19, 31, v18
	v_lshlrev_b64 v[14:15], 3, v[14:15]
	v_add_co_ci_u32_e64 v5, null, v91, v5, vcc_lo
	v_add_co_u32 v2, vcc_lo, v90, v2
	v_lshlrev_b64 v[18:19], 3, v[18:19]
	v_add_co_ci_u32_e64 v3, null, v91, v3, vcc_lo
	v_add_co_u32 v16, vcc_lo, v90, v16
	v_add_co_ci_u32_e64 v17, null, v91, v17, vcc_lo
	v_add_co_u32 v14, vcc_lo, v90, v14
	;; [unrolled: 2-line block ×3, first 2 shown]
	v_add_co_ci_u32_e64 v19, null, v91, v19, vcc_lo
	flat_store_dwordx2 v[4:5], v[8:9]
	flat_store_dwordx2 v[2:3], v[12:13]
	;; [unrolled: 1-line block ×5, first 2 shown]
.LBB78_677:
	s_endpgm
	.section	.rodata,"a",@progbits
	.p2align	6, 0x0
	.amdhsa_kernel _ZN9rocsolver6v33100L18getf2_small_kernelILi40EdiiPKPdEEvT1_T3_lS5_lPS5_llPT2_S5_S5_S7_l
		.amdhsa_group_segment_fixed_size 0
		.amdhsa_private_segment_fixed_size 0
		.amdhsa_kernarg_size 352
		.amdhsa_user_sgpr_count 6
		.amdhsa_user_sgpr_private_segment_buffer 1
		.amdhsa_user_sgpr_dispatch_ptr 0
		.amdhsa_user_sgpr_queue_ptr 0
		.amdhsa_user_sgpr_kernarg_segment_ptr 1
		.amdhsa_user_sgpr_dispatch_id 0
		.amdhsa_user_sgpr_flat_scratch_init 0
		.amdhsa_user_sgpr_private_segment_size 0
		.amdhsa_wavefront_size32 1
		.amdhsa_uses_dynamic_stack 0
		.amdhsa_system_sgpr_private_segment_wavefront_offset 0
		.amdhsa_system_sgpr_workgroup_id_x 1
		.amdhsa_system_sgpr_workgroup_id_y 1
		.amdhsa_system_sgpr_workgroup_id_z 0
		.amdhsa_system_sgpr_workgroup_info 0
		.amdhsa_system_vgpr_workitem_id 1
		.amdhsa_next_free_vgpr 168
		.amdhsa_next_free_sgpr 14
		.amdhsa_reserve_vcc 1
		.amdhsa_reserve_flat_scratch 1
		.amdhsa_float_round_mode_32 0
		.amdhsa_float_round_mode_16_64 0
		.amdhsa_float_denorm_mode_32 3
		.amdhsa_float_denorm_mode_16_64 3
		.amdhsa_dx10_clamp 1
		.amdhsa_ieee_mode 1
		.amdhsa_fp16_overflow 0
		.amdhsa_workgroup_processor_mode 1
		.amdhsa_memory_ordered 1
		.amdhsa_forward_progress 1
		.amdhsa_shared_vgpr_count 0
		.amdhsa_exception_fp_ieee_invalid_op 0
		.amdhsa_exception_fp_denorm_src 0
		.amdhsa_exception_fp_ieee_div_zero 0
		.amdhsa_exception_fp_ieee_overflow 0
		.amdhsa_exception_fp_ieee_underflow 0
		.amdhsa_exception_fp_ieee_inexact 0
		.amdhsa_exception_int_div_zero 0
	.end_amdhsa_kernel
	.section	.text._ZN9rocsolver6v33100L18getf2_small_kernelILi40EdiiPKPdEEvT1_T3_lS5_lPS5_llPT2_S5_S5_S7_l,"axG",@progbits,_ZN9rocsolver6v33100L18getf2_small_kernelILi40EdiiPKPdEEvT1_T3_lS5_lPS5_llPT2_S5_S5_S7_l,comdat
.Lfunc_end78:
	.size	_ZN9rocsolver6v33100L18getf2_small_kernelILi40EdiiPKPdEEvT1_T3_lS5_lPS5_llPT2_S5_S5_S7_l, .Lfunc_end78-_ZN9rocsolver6v33100L18getf2_small_kernelILi40EdiiPKPdEEvT1_T3_lS5_lPS5_llPT2_S5_S5_S7_l
                                        ; -- End function
	.set _ZN9rocsolver6v33100L18getf2_small_kernelILi40EdiiPKPdEEvT1_T3_lS5_lPS5_llPT2_S5_S5_S7_l.num_vgpr, 168
	.set _ZN9rocsolver6v33100L18getf2_small_kernelILi40EdiiPKPdEEvT1_T3_lS5_lPS5_llPT2_S5_S5_S7_l.num_agpr, 0
	.set _ZN9rocsolver6v33100L18getf2_small_kernelILi40EdiiPKPdEEvT1_T3_lS5_lPS5_llPT2_S5_S5_S7_l.numbered_sgpr, 14
	.set _ZN9rocsolver6v33100L18getf2_small_kernelILi40EdiiPKPdEEvT1_T3_lS5_lPS5_llPT2_S5_S5_S7_l.num_named_barrier, 0
	.set _ZN9rocsolver6v33100L18getf2_small_kernelILi40EdiiPKPdEEvT1_T3_lS5_lPS5_llPT2_S5_S5_S7_l.private_seg_size, 0
	.set _ZN9rocsolver6v33100L18getf2_small_kernelILi40EdiiPKPdEEvT1_T3_lS5_lPS5_llPT2_S5_S5_S7_l.uses_vcc, 1
	.set _ZN9rocsolver6v33100L18getf2_small_kernelILi40EdiiPKPdEEvT1_T3_lS5_lPS5_llPT2_S5_S5_S7_l.uses_flat_scratch, 1
	.set _ZN9rocsolver6v33100L18getf2_small_kernelILi40EdiiPKPdEEvT1_T3_lS5_lPS5_llPT2_S5_S5_S7_l.has_dyn_sized_stack, 0
	.set _ZN9rocsolver6v33100L18getf2_small_kernelILi40EdiiPKPdEEvT1_T3_lS5_lPS5_llPT2_S5_S5_S7_l.has_recursion, 0
	.set _ZN9rocsolver6v33100L18getf2_small_kernelILi40EdiiPKPdEEvT1_T3_lS5_lPS5_llPT2_S5_S5_S7_l.has_indirect_call, 0
	.section	.AMDGPU.csdata,"",@progbits
; Kernel info:
; codeLenInByte = 38992
; TotalNumSgprs: 16
; NumVgprs: 168
; ScratchSize: 0
; MemoryBound: 0
; FloatMode: 240
; IeeeMode: 1
; LDSByteSize: 0 bytes/workgroup (compile time only)
; SGPRBlocks: 0
; VGPRBlocks: 20
; NumSGPRsForWavesPerEU: 16
; NumVGPRsForWavesPerEU: 168
; Occupancy: 5
; WaveLimiterHint : 1
; COMPUTE_PGM_RSRC2:SCRATCH_EN: 0
; COMPUTE_PGM_RSRC2:USER_SGPR: 6
; COMPUTE_PGM_RSRC2:TRAP_HANDLER: 0
; COMPUTE_PGM_RSRC2:TGID_X_EN: 1
; COMPUTE_PGM_RSRC2:TGID_Y_EN: 1
; COMPUTE_PGM_RSRC2:TGID_Z_EN: 0
; COMPUTE_PGM_RSRC2:TIDIG_COMP_CNT: 1
	.section	.text._ZN9rocsolver6v33100L23getf2_npvt_small_kernelILi40EdiiPKPdEEvT1_T3_lS5_lPT2_S5_S5_,"axG",@progbits,_ZN9rocsolver6v33100L23getf2_npvt_small_kernelILi40EdiiPKPdEEvT1_T3_lS5_lPT2_S5_S5_,comdat
	.globl	_ZN9rocsolver6v33100L23getf2_npvt_small_kernelILi40EdiiPKPdEEvT1_T3_lS5_lPT2_S5_S5_ ; -- Begin function _ZN9rocsolver6v33100L23getf2_npvt_small_kernelILi40EdiiPKPdEEvT1_T3_lS5_lPT2_S5_S5_
	.p2align	8
	.type	_ZN9rocsolver6v33100L23getf2_npvt_small_kernelILi40EdiiPKPdEEvT1_T3_lS5_lPT2_S5_S5_,@function
_ZN9rocsolver6v33100L23getf2_npvt_small_kernelILi40EdiiPKPdEEvT1_T3_lS5_lPT2_S5_S5_: ; @_ZN9rocsolver6v33100L23getf2_npvt_small_kernelILi40EdiiPKPdEEvT1_T3_lS5_lPT2_S5_S5_
; %bb.0:
	s_clause 0x1
	s_load_dword s0, s[4:5], 0x44
	s_load_dwordx2 s[8:9], s[4:5], 0x30
	s_waitcnt lgkmcnt(0)
	s_lshr_b32 s10, s0, 16
	s_mov_b32 s0, exec_lo
	v_mad_u64_u32 v[2:3], null, s7, s10, v[1:2]
	v_cmpx_gt_i32_e64 s8, v2
	s_cbranch_execz .LBB79_203
; %bb.1:
	s_clause 0x1
	s_load_dwordx4 s[0:3], s[4:5], 0x8
	s_load_dword s6, s[4:5], 0x18
	v_ashrrev_i32_e32 v3, 31, v2
	v_lshlrev_b32_e32 v84, 3, v0
	v_lshlrev_b32_e32 v164, 3, v1
	s_mulk_i32 s10, 0x140
	v_mad_u32_u24 v242, 0x140, v1, 0
	v_lshlrev_b64 v[4:5], 3, v[2:3]
	v_add3_u32 v1, 0, s10, v164
	s_waitcnt lgkmcnt(0)
	v_add_co_u32 v4, vcc_lo, s0, v4
	v_add_co_ci_u32_e64 v5, null, s1, v5, vcc_lo
	v_add3_u32 v6, s6, s6, v0
	s_lshl_b64 s[2:3], s[2:3], 3
	s_ashr_i32 s7, s6, 31
	global_load_dwordx2 v[4:5], v[4:5], off
	s_lshl_b64 s[0:1], s[6:7], 3
	v_add_nc_u32_e32 v8, s6, v6
	v_ashrrev_i32_e32 v7, 31, v6
	v_add_nc_u32_e32 v10, s6, v8
	v_ashrrev_i32_e32 v9, 31, v8
	v_lshlrev_b64 v[6:7], 3, v[6:7]
	v_add_nc_u32_e32 v12, s6, v10
	v_ashrrev_i32_e32 v11, 31, v10
	v_lshlrev_b64 v[8:9], 3, v[8:9]
	;; [unrolled: 3-line block ×35, first 2 shown]
	v_ashrrev_i32_e32 v79, 31, v78
	v_add_nc_u32_e32 v80, s6, v78
	v_lshlrev_b64 v[76:77], 3, v[76:77]
	v_lshlrev_b64 v[78:79], 3, v[78:79]
	v_ashrrev_i32_e32 v81, 31, v80
	v_lshlrev_b64 v[82:83], 3, v[80:81]
	s_waitcnt vmcnt(0)
	v_add_co_u32 v85, vcc_lo, v4, s2
	v_add_co_ci_u32_e64 v86, null, s3, v5, vcc_lo
	v_add_co_u32 v4, vcc_lo, v85, v6
	v_add_co_ci_u32_e64 v5, null, v86, v7, vcc_lo
	;; [unrolled: 2-line block ×41, first 2 shown]
	s_clause 0x27
	flat_load_dwordx2 v[144:145], v[8:9]
	flat_load_dwordx2 v[128:129], v[10:11]
	;; [unrolled: 1-line block ×40, first 2 shown]
	v_cmp_ne_u32_e64 s1, 0, v0
	v_cmp_eq_u32_e64 s0, 0, v0
	s_and_saveexec_b32 s2, s0
	s_cbranch_execz .LBB79_4
; %bb.2:
	s_waitcnt vmcnt(7) lgkmcnt(7)
	ds_write_b64 v1, v[156:157]
	s_waitcnt vmcnt(5) lgkmcnt(6)
	ds_write2_b64 v242, v[160:161], v[162:163] offset0:1 offset1:2
	s_waitcnt vmcnt(4) lgkmcnt(6)
	ds_write2_b64 v242, v[158:159], v[144:145] offset0:3 offset1:4
	ds_write2_b64 v242, v[128:129], v[142:143] offset0:5 offset1:6
	;; [unrolled: 1-line block ×16, first 2 shown]
	s_waitcnt vmcnt(3) lgkmcnt(21)
	ds_write2_b64 v242, v[82:83], v[152:153] offset0:35 offset1:36
	s_waitcnt vmcnt(1) lgkmcnt(20)
	ds_write2_b64 v242, v[148:149], v[150:151] offset0:37 offset1:38
	s_waitcnt vmcnt(0) lgkmcnt(20)
	ds_write_b64 v242, v[154:155] offset:312
	ds_read_b64 v[164:165], v1
	s_waitcnt lgkmcnt(0)
	v_cmp_neq_f64_e32 vcc_lo, 0, v[164:165]
	s_and_b32 exec_lo, exec_lo, vcc_lo
	s_cbranch_execz .LBB79_4
; %bb.3:
	v_div_scale_f64 v[166:167], null, v[164:165], v[164:165], 1.0
	v_rcp_f64_e32 v[168:169], v[166:167]
	v_fma_f64 v[170:171], -v[166:167], v[168:169], 1.0
	v_fma_f64 v[168:169], v[168:169], v[170:171], v[168:169]
	v_fma_f64 v[170:171], -v[166:167], v[168:169], 1.0
	v_fma_f64 v[168:169], v[168:169], v[170:171], v[168:169]
	v_div_scale_f64 v[170:171], vcc_lo, 1.0, v[164:165], 1.0
	v_mul_f64 v[172:173], v[170:171], v[168:169]
	v_fma_f64 v[166:167], -v[166:167], v[172:173], v[170:171]
	v_div_fmas_f64 v[166:167], v[166:167], v[168:169], v[172:173]
	v_div_fixup_f64 v[164:165], v[166:167], v[164:165], 1.0
	ds_write_b64 v1, v[164:165]
.LBB79_4:
	s_or_b32 exec_lo, exec_lo, s2
	s_waitcnt vmcnt(0) lgkmcnt(0)
	s_barrier
	buffer_gl0_inv
	ds_read_b64 v[164:165], v1
	s_and_saveexec_b32 s2, s1
	s_cbranch_execz .LBB79_6
; %bb.5:
	s_waitcnt lgkmcnt(0)
	v_mul_f64 v[156:157], v[164:165], v[156:157]
	ds_read2_b64 v[166:169], v242 offset0:1 offset1:2
	ds_read2_b64 v[170:173], v242 offset0:3 offset1:4
	;; [unrolled: 1-line block ×11, first 2 shown]
	s_waitcnt lgkmcnt(10)
	v_fma_f64 v[160:161], -v[156:157], v[166:167], v[160:161]
	v_fma_f64 v[162:163], -v[156:157], v[168:169], v[162:163]
	s_waitcnt lgkmcnt(9)
	v_fma_f64 v[158:159], -v[156:157], v[170:171], v[158:159]
	v_fma_f64 v[144:145], -v[156:157], v[172:173], v[144:145]
	;; [unrolled: 3-line block ×5, first 2 shown]
	s_waitcnt lgkmcnt(5)
	v_fma_f64 v[122:123], -v[156:157], v[186:187], v[122:123]
	ds_read2_b64 v[166:169], v242 offset0:23 offset1:24
	ds_read2_b64 v[170:173], v242 offset0:25 offset1:26
	v_fma_f64 v[136:137], -v[156:157], v[188:189], v[136:137]
	s_waitcnt lgkmcnt(6)
	v_fma_f64 v[120:121], -v[156:157], v[190:191], v[120:121]
	ds_read2_b64 v[174:177], v242 offset0:27 offset1:28
	ds_read2_b64 v[178:181], v242 offset0:29 offset1:30
	v_fma_f64 v[134:135], -v[156:157], v[192:193], v[134:135]
	s_waitcnt lgkmcnt(7)
	v_fma_f64 v[118:119], -v[156:157], v[194:195], v[118:119]
	ds_read2_b64 v[182:185], v242 offset0:31 offset1:32
	ds_read2_b64 v[186:189], v242 offset0:33 offset1:34
	v_fma_f64 v[132:133], -v[156:157], v[196:197], v[132:133]
	s_waitcnt lgkmcnt(8)
	v_fma_f64 v[116:117], -v[156:157], v[198:199], v[116:117]
	ds_read2_b64 v[190:193], v242 offset0:35 offset1:36
	ds_read2_b64 v[194:197], v242 offset0:37 offset1:38
	ds_read_b64 v[198:199], v242 offset:312
	v_fma_f64 v[130:131], -v[156:157], v[200:201], v[130:131]
	s_waitcnt lgkmcnt(10)
	v_fma_f64 v[98:99], -v[156:157], v[202:203], v[98:99]
	v_fma_f64 v[114:115], -v[156:157], v[204:205], v[114:115]
	s_waitcnt lgkmcnt(9)
	v_fma_f64 v[96:97], -v[156:157], v[206:207], v[96:97]
	;; [unrolled: 3-line block ×11, first 2 shown]
.LBB79_6:
	s_or_b32 exec_lo, exec_lo, s2
	s_mov_b32 s1, exec_lo
	s_waitcnt lgkmcnt(0)
	s_barrier
	buffer_gl0_inv
	v_cmpx_eq_u32_e32 1, v0
	s_cbranch_execz .LBB79_9
; %bb.7:
	v_mov_b32_e32 v166, v162
	v_mov_b32_e32 v167, v163
	;; [unrolled: 1-line block ×16, first 2 shown]
	ds_write_b64 v1, v[160:161]
	ds_write2_b64 v242, v[166:167], v[168:169] offset0:2 offset1:3
	ds_write2_b64 v242, v[170:171], v[172:173] offset0:4 offset1:5
	;; [unrolled: 1-line block ×4, first 2 shown]
	v_mov_b32_e32 v166, v138
	v_mov_b32_e32 v167, v139
	;; [unrolled: 1-line block ×20, first 2 shown]
	ds_write2_b64 v242, v[166:167], v[168:169] offset0:10 offset1:11
	ds_write2_b64 v242, v[170:171], v[172:173] offset0:12 offset1:13
	;; [unrolled: 1-line block ×5, first 2 shown]
	v_mov_b32_e32 v166, v114
	v_mov_b32_e32 v167, v115
	;; [unrolled: 1-line block ×20, first 2 shown]
	ds_write2_b64 v242, v[166:167], v[168:169] offset0:20 offset1:21
	ds_write2_b64 v242, v[170:171], v[172:173] offset0:22 offset1:23
	;; [unrolled: 1-line block ×5, first 2 shown]
	v_mov_b32_e32 v166, v104
	v_mov_b32_e32 v167, v105
	;; [unrolled: 1-line block ×18, first 2 shown]
	ds_write2_b64 v242, v[166:167], v[168:169] offset0:30 offset1:31
	ds_write2_b64 v242, v[170:171], v[172:173] offset0:32 offset1:33
	;; [unrolled: 1-line block ×5, first 2 shown]
	ds_read_b64 v[166:167], v1
	s_waitcnt lgkmcnt(0)
	v_cmp_neq_f64_e32 vcc_lo, 0, v[166:167]
	s_and_b32 exec_lo, exec_lo, vcc_lo
	s_cbranch_execz .LBB79_9
; %bb.8:
	v_div_scale_f64 v[168:169], null, v[166:167], v[166:167], 1.0
	v_rcp_f64_e32 v[170:171], v[168:169]
	v_fma_f64 v[172:173], -v[168:169], v[170:171], 1.0
	v_fma_f64 v[170:171], v[170:171], v[172:173], v[170:171]
	v_fma_f64 v[172:173], -v[168:169], v[170:171], 1.0
	v_fma_f64 v[170:171], v[170:171], v[172:173], v[170:171]
	v_div_scale_f64 v[172:173], vcc_lo, 1.0, v[166:167], 1.0
	v_mul_f64 v[174:175], v[172:173], v[170:171]
	v_fma_f64 v[168:169], -v[168:169], v[174:175], v[172:173]
	v_div_fmas_f64 v[168:169], v[168:169], v[170:171], v[174:175]
	v_div_fixup_f64 v[166:167], v[168:169], v[166:167], 1.0
	ds_write_b64 v1, v[166:167]
.LBB79_9:
	s_or_b32 exec_lo, exec_lo, s1
	s_waitcnt lgkmcnt(0)
	s_barrier
	buffer_gl0_inv
	ds_read_b64 v[166:167], v1
	s_mov_b32 s1, exec_lo
	v_cmpx_lt_u32_e32 1, v0
	s_cbranch_execz .LBB79_11
; %bb.10:
	s_waitcnt lgkmcnt(0)
	v_mul_f64 v[160:161], v[166:167], v[160:161]
	ds_read2_b64 v[168:171], v242 offset0:2 offset1:3
	ds_read2_b64 v[172:175], v242 offset0:4 offset1:5
	;; [unrolled: 1-line block ×12, first 2 shown]
	s_waitcnt lgkmcnt(11)
	v_fma_f64 v[162:163], -v[160:161], v[168:169], v[162:163]
	v_fma_f64 v[158:159], -v[160:161], v[170:171], v[158:159]
	s_waitcnt lgkmcnt(10)
	v_fma_f64 v[144:145], -v[160:161], v[172:173], v[144:145]
	v_fma_f64 v[128:129], -v[160:161], v[174:175], v[128:129]
	;; [unrolled: 3-line block ×5, first 2 shown]
	s_waitcnt lgkmcnt(6)
	v_fma_f64 v[136:137], -v[160:161], v[188:189], v[136:137]
	ds_read2_b64 v[168:171], v242 offset0:26 offset1:27
	ds_read2_b64 v[172:175], v242 offset0:28 offset1:29
	v_fma_f64 v[120:121], -v[160:161], v[190:191], v[120:121]
	s_waitcnt lgkmcnt(7)
	v_fma_f64 v[134:135], -v[160:161], v[192:193], v[134:135]
	ds_read2_b64 v[176:179], v242 offset0:30 offset1:31
	ds_read2_b64 v[180:183], v242 offset0:32 offset1:33
	v_fma_f64 v[118:119], -v[160:161], v[194:195], v[118:119]
	ds_read2_b64 v[184:187], v242 offset0:34 offset1:35
	ds_read2_b64 v[188:191], v242 offset0:36 offset1:37
	;; [unrolled: 1-line block ×3, first 2 shown]
	s_waitcnt lgkmcnt(11)
	v_fma_f64 v[132:133], -v[160:161], v[196:197], v[132:133]
	v_fma_f64 v[116:117], -v[160:161], v[198:199], v[116:117]
	s_waitcnt lgkmcnt(10)
	v_fma_f64 v[130:131], -v[160:161], v[200:201], v[130:131]
	v_fma_f64 v[98:99], -v[160:161], v[202:203], v[98:99]
	;; [unrolled: 3-line block ×12, first 2 shown]
.LBB79_11:
	s_or_b32 exec_lo, exec_lo, s1
	s_mov_b32 s1, exec_lo
	s_waitcnt lgkmcnt(0)
	s_barrier
	buffer_gl0_inv
	v_cmpx_eq_u32_e32 2, v0
	s_cbranch_execz .LBB79_14
; %bb.12:
	ds_write_b64 v1, v[162:163]
	ds_write2_b64 v242, v[158:159], v[144:145] offset0:3 offset1:4
	ds_write2_b64 v242, v[128:129], v[142:143] offset0:5 offset1:6
	;; [unrolled: 1-line block ×18, first 2 shown]
	ds_write_b64 v242, v[154:155] offset:312
	ds_read_b64 v[168:169], v1
	s_waitcnt lgkmcnt(0)
	v_cmp_neq_f64_e32 vcc_lo, 0, v[168:169]
	s_and_b32 exec_lo, exec_lo, vcc_lo
	s_cbranch_execz .LBB79_14
; %bb.13:
	v_div_scale_f64 v[170:171], null, v[168:169], v[168:169], 1.0
	v_rcp_f64_e32 v[172:173], v[170:171]
	v_fma_f64 v[174:175], -v[170:171], v[172:173], 1.0
	v_fma_f64 v[172:173], v[172:173], v[174:175], v[172:173]
	v_fma_f64 v[174:175], -v[170:171], v[172:173], 1.0
	v_fma_f64 v[172:173], v[172:173], v[174:175], v[172:173]
	v_div_scale_f64 v[174:175], vcc_lo, 1.0, v[168:169], 1.0
	v_mul_f64 v[176:177], v[174:175], v[172:173]
	v_fma_f64 v[170:171], -v[170:171], v[176:177], v[174:175]
	v_div_fmas_f64 v[170:171], v[170:171], v[172:173], v[176:177]
	v_div_fixup_f64 v[168:169], v[170:171], v[168:169], 1.0
	ds_write_b64 v1, v[168:169]
.LBB79_14:
	s_or_b32 exec_lo, exec_lo, s1
	s_waitcnt lgkmcnt(0)
	s_barrier
	buffer_gl0_inv
	ds_read_b64 v[168:169], v1
	s_mov_b32 s1, exec_lo
	v_cmpx_lt_u32_e32 2, v0
	s_cbranch_execz .LBB79_16
; %bb.15:
	s_waitcnt lgkmcnt(0)
	v_mul_f64 v[162:163], v[168:169], v[162:163]
	ds_read2_b64 v[170:173], v242 offset0:3 offset1:4
	ds_read2_b64 v[174:177], v242 offset0:5 offset1:6
	;; [unrolled: 1-line block ×12, first 2 shown]
	s_waitcnt lgkmcnt(11)
	v_fma_f64 v[158:159], -v[162:163], v[170:171], v[158:159]
	v_fma_f64 v[144:145], -v[162:163], v[172:173], v[144:145]
	s_waitcnt lgkmcnt(10)
	v_fma_f64 v[128:129], -v[162:163], v[174:175], v[128:129]
	v_fma_f64 v[142:143], -v[162:163], v[176:177], v[142:143]
	;; [unrolled: 3-line block ×5, first 2 shown]
	s_waitcnt lgkmcnt(6)
	v_fma_f64 v[120:121], -v[162:163], v[190:191], v[120:121]
	ds_read2_b64 v[170:173], v242 offset0:27 offset1:28
	ds_read2_b64 v[174:177], v242 offset0:29 offset1:30
	v_fma_f64 v[134:135], -v[162:163], v[192:193], v[134:135]
	s_waitcnt lgkmcnt(7)
	v_fma_f64 v[118:119], -v[162:163], v[194:195], v[118:119]
	ds_read2_b64 v[178:181], v242 offset0:31 offset1:32
	ds_read2_b64 v[182:185], v242 offset0:33 offset1:34
	;; [unrolled: 1-line block ×4, first 2 shown]
	ds_read_b64 v[194:195], v242 offset:312
	v_fma_f64 v[132:133], -v[162:163], v[196:197], v[132:133]
	s_waitcnt lgkmcnt(11)
	v_fma_f64 v[116:117], -v[162:163], v[198:199], v[116:117]
	v_fma_f64 v[130:131], -v[162:163], v[200:201], v[130:131]
	s_waitcnt lgkmcnt(10)
	v_fma_f64 v[98:99], -v[162:163], v[202:203], v[98:99]
	;; [unrolled: 3-line block ×12, first 2 shown]
.LBB79_16:
	s_or_b32 exec_lo, exec_lo, s1
	s_mov_b32 s1, exec_lo
	s_waitcnt lgkmcnt(0)
	s_barrier
	buffer_gl0_inv
	v_cmpx_eq_u32_e32 3, v0
	s_cbranch_execz .LBB79_19
; %bb.17:
	v_mov_b32_e32 v170, v144
	v_mov_b32_e32 v171, v145
	;; [unrolled: 1-line block ×12, first 2 shown]
	ds_write_b64 v1, v[158:159]
	ds_write2_b64 v242, v[170:171], v[172:173] offset0:4 offset1:5
	ds_write2_b64 v242, v[174:175], v[176:177] offset0:6 offset1:7
	;; [unrolled: 1-line block ×3, first 2 shown]
	v_mov_b32_e32 v170, v138
	v_mov_b32_e32 v171, v139
	;; [unrolled: 1-line block ×20, first 2 shown]
	ds_write2_b64 v242, v[170:171], v[172:173] offset0:10 offset1:11
	ds_write2_b64 v242, v[174:175], v[176:177] offset0:12 offset1:13
	;; [unrolled: 1-line block ×5, first 2 shown]
	v_mov_b32_e32 v170, v114
	v_mov_b32_e32 v171, v115
	;; [unrolled: 1-line block ×20, first 2 shown]
	ds_write2_b64 v242, v[170:171], v[172:173] offset0:20 offset1:21
	ds_write2_b64 v242, v[174:175], v[176:177] offset0:22 offset1:23
	;; [unrolled: 1-line block ×5, first 2 shown]
	v_mov_b32_e32 v170, v104
	v_mov_b32_e32 v171, v105
	;; [unrolled: 1-line block ×18, first 2 shown]
	ds_write2_b64 v242, v[170:171], v[172:173] offset0:30 offset1:31
	ds_write2_b64 v242, v[174:175], v[176:177] offset0:32 offset1:33
	;; [unrolled: 1-line block ×5, first 2 shown]
	ds_read_b64 v[170:171], v1
	s_waitcnt lgkmcnt(0)
	v_cmp_neq_f64_e32 vcc_lo, 0, v[170:171]
	s_and_b32 exec_lo, exec_lo, vcc_lo
	s_cbranch_execz .LBB79_19
; %bb.18:
	v_div_scale_f64 v[172:173], null, v[170:171], v[170:171], 1.0
	v_rcp_f64_e32 v[174:175], v[172:173]
	v_fma_f64 v[176:177], -v[172:173], v[174:175], 1.0
	v_fma_f64 v[174:175], v[174:175], v[176:177], v[174:175]
	v_fma_f64 v[176:177], -v[172:173], v[174:175], 1.0
	v_fma_f64 v[174:175], v[174:175], v[176:177], v[174:175]
	v_div_scale_f64 v[176:177], vcc_lo, 1.0, v[170:171], 1.0
	v_mul_f64 v[178:179], v[176:177], v[174:175]
	v_fma_f64 v[172:173], -v[172:173], v[178:179], v[176:177]
	v_div_fmas_f64 v[172:173], v[172:173], v[174:175], v[178:179]
	v_div_fixup_f64 v[170:171], v[172:173], v[170:171], 1.0
	ds_write_b64 v1, v[170:171]
.LBB79_19:
	s_or_b32 exec_lo, exec_lo, s1
	s_waitcnt lgkmcnt(0)
	s_barrier
	buffer_gl0_inv
	ds_read_b64 v[170:171], v1
	s_mov_b32 s1, exec_lo
	v_cmpx_lt_u32_e32 3, v0
	s_cbranch_execz .LBB79_21
; %bb.20:
	s_waitcnt lgkmcnt(0)
	v_mul_f64 v[158:159], v[170:171], v[158:159]
	ds_read2_b64 v[172:175], v242 offset0:4 offset1:5
	ds_read2_b64 v[176:179], v242 offset0:6 offset1:7
	;; [unrolled: 1-line block ×12, first 2 shown]
	s_waitcnt lgkmcnt(11)
	v_fma_f64 v[144:145], -v[158:159], v[172:173], v[144:145]
	v_fma_f64 v[128:129], -v[158:159], v[174:175], v[128:129]
	s_waitcnt lgkmcnt(10)
	v_fma_f64 v[142:143], -v[158:159], v[176:177], v[142:143]
	v_fma_f64 v[126:127], -v[158:159], v[178:179], v[126:127]
	;; [unrolled: 3-line block ×5, first 2 shown]
	ds_read2_b64 v[172:175], v242 offset0:28 offset1:29
	ds_read2_b64 v[176:179], v242 offset0:30 offset1:31
	s_waitcnt lgkmcnt(8)
	v_fma_f64 v[134:135], -v[158:159], v[192:193], v[134:135]
	v_fma_f64 v[118:119], -v[158:159], v[194:195], v[118:119]
	ds_read2_b64 v[180:183], v242 offset0:32 offset1:33
	ds_read2_b64 v[184:187], v242 offset0:34 offset1:35
	;; [unrolled: 1-line block ×4, first 2 shown]
	s_waitcnt lgkmcnt(11)
	v_fma_f64 v[132:133], -v[158:159], v[196:197], v[132:133]
	v_fma_f64 v[116:117], -v[158:159], v[198:199], v[116:117]
	s_waitcnt lgkmcnt(10)
	v_fma_f64 v[130:131], -v[158:159], v[200:201], v[130:131]
	v_fma_f64 v[98:99], -v[158:159], v[202:203], v[98:99]
	;; [unrolled: 3-line block ×12, first 2 shown]
.LBB79_21:
	s_or_b32 exec_lo, exec_lo, s1
	s_mov_b32 s1, exec_lo
	s_waitcnt lgkmcnt(0)
	s_barrier
	buffer_gl0_inv
	v_cmpx_eq_u32_e32 4, v0
	s_cbranch_execz .LBB79_24
; %bb.22:
	ds_write_b64 v1, v[144:145]
	ds_write2_b64 v242, v[128:129], v[142:143] offset0:5 offset1:6
	ds_write2_b64 v242, v[126:127], v[140:141] offset0:7 offset1:8
	;; [unrolled: 1-line block ×17, first 2 shown]
	ds_write_b64 v242, v[154:155] offset:312
	ds_read_b64 v[172:173], v1
	s_waitcnt lgkmcnt(0)
	v_cmp_neq_f64_e32 vcc_lo, 0, v[172:173]
	s_and_b32 exec_lo, exec_lo, vcc_lo
	s_cbranch_execz .LBB79_24
; %bb.23:
	v_div_scale_f64 v[174:175], null, v[172:173], v[172:173], 1.0
	v_rcp_f64_e32 v[176:177], v[174:175]
	v_fma_f64 v[178:179], -v[174:175], v[176:177], 1.0
	v_fma_f64 v[176:177], v[176:177], v[178:179], v[176:177]
	v_fma_f64 v[178:179], -v[174:175], v[176:177], 1.0
	v_fma_f64 v[176:177], v[176:177], v[178:179], v[176:177]
	v_div_scale_f64 v[178:179], vcc_lo, 1.0, v[172:173], 1.0
	v_mul_f64 v[180:181], v[178:179], v[176:177]
	v_fma_f64 v[174:175], -v[174:175], v[180:181], v[178:179]
	v_div_fmas_f64 v[174:175], v[174:175], v[176:177], v[180:181]
	v_div_fixup_f64 v[172:173], v[174:175], v[172:173], 1.0
	ds_write_b64 v1, v[172:173]
.LBB79_24:
	s_or_b32 exec_lo, exec_lo, s1
	s_waitcnt lgkmcnt(0)
	s_barrier
	buffer_gl0_inv
	ds_read_b64 v[172:173], v1
	s_mov_b32 s1, exec_lo
	v_cmpx_lt_u32_e32 4, v0
	s_cbranch_execz .LBB79_26
; %bb.25:
	s_waitcnt lgkmcnt(0)
	v_mul_f64 v[144:145], v[172:173], v[144:145]
	ds_read2_b64 v[174:177], v242 offset0:5 offset1:6
	ds_read2_b64 v[178:181], v242 offset0:7 offset1:8
	;; [unrolled: 1-line block ×12, first 2 shown]
	s_waitcnt lgkmcnt(11)
	v_fma_f64 v[128:129], -v[144:145], v[174:175], v[128:129]
	v_fma_f64 v[142:143], -v[144:145], v[176:177], v[142:143]
	s_waitcnt lgkmcnt(10)
	v_fma_f64 v[126:127], -v[144:145], v[178:179], v[126:127]
	v_fma_f64 v[140:141], -v[144:145], v[180:181], v[140:141]
	;; [unrolled: 3-line block ×5, first 2 shown]
	ds_read2_b64 v[174:177], v242 offset0:29 offset1:30
	ds_read2_b64 v[178:181], v242 offset0:31 offset1:32
	s_waitcnt lgkmcnt(8)
	v_fma_f64 v[118:119], -v[144:145], v[194:195], v[118:119]
	ds_read2_b64 v[182:185], v242 offset0:33 offset1:34
	ds_read2_b64 v[186:189], v242 offset0:35 offset1:36
	;; [unrolled: 1-line block ×3, first 2 shown]
	ds_read_b64 v[194:195], v242 offset:312
	v_fma_f64 v[132:133], -v[144:145], v[196:197], v[132:133]
	s_waitcnt lgkmcnt(11)
	v_fma_f64 v[116:117], -v[144:145], v[198:199], v[116:117]
	v_fma_f64 v[130:131], -v[144:145], v[200:201], v[130:131]
	s_waitcnt lgkmcnt(10)
	v_fma_f64 v[98:99], -v[144:145], v[202:203], v[98:99]
	;; [unrolled: 3-line block ×12, first 2 shown]
.LBB79_26:
	s_or_b32 exec_lo, exec_lo, s1
	s_mov_b32 s1, exec_lo
	s_waitcnt lgkmcnt(0)
	s_barrier
	buffer_gl0_inv
	v_cmpx_eq_u32_e32 5, v0
	s_cbranch_execz .LBB79_29
; %bb.27:
	v_mov_b32_e32 v174, v142
	v_mov_b32_e32 v175, v143
	;; [unrolled: 1-line block ×8, first 2 shown]
	ds_write_b64 v1, v[128:129]
	ds_write2_b64 v242, v[174:175], v[176:177] offset0:6 offset1:7
	ds_write2_b64 v242, v[178:179], v[180:181] offset0:8 offset1:9
	v_mov_b32_e32 v174, v138
	v_mov_b32_e32 v175, v139
	;; [unrolled: 1-line block ×20, first 2 shown]
	ds_write2_b64 v242, v[174:175], v[176:177] offset0:10 offset1:11
	ds_write2_b64 v242, v[178:179], v[180:181] offset0:12 offset1:13
	;; [unrolled: 1-line block ×5, first 2 shown]
	v_mov_b32_e32 v174, v114
	v_mov_b32_e32 v175, v115
	;; [unrolled: 1-line block ×20, first 2 shown]
	ds_write2_b64 v242, v[174:175], v[176:177] offset0:20 offset1:21
	ds_write2_b64 v242, v[178:179], v[180:181] offset0:22 offset1:23
	;; [unrolled: 1-line block ×5, first 2 shown]
	v_mov_b32_e32 v174, v104
	v_mov_b32_e32 v175, v105
	;; [unrolled: 1-line block ×18, first 2 shown]
	ds_write2_b64 v242, v[174:175], v[176:177] offset0:30 offset1:31
	ds_write2_b64 v242, v[178:179], v[180:181] offset0:32 offset1:33
	;; [unrolled: 1-line block ×5, first 2 shown]
	ds_read_b64 v[174:175], v1
	s_waitcnt lgkmcnt(0)
	v_cmp_neq_f64_e32 vcc_lo, 0, v[174:175]
	s_and_b32 exec_lo, exec_lo, vcc_lo
	s_cbranch_execz .LBB79_29
; %bb.28:
	v_div_scale_f64 v[176:177], null, v[174:175], v[174:175], 1.0
	v_rcp_f64_e32 v[178:179], v[176:177]
	v_fma_f64 v[180:181], -v[176:177], v[178:179], 1.0
	v_fma_f64 v[178:179], v[178:179], v[180:181], v[178:179]
	v_fma_f64 v[180:181], -v[176:177], v[178:179], 1.0
	v_fma_f64 v[178:179], v[178:179], v[180:181], v[178:179]
	v_div_scale_f64 v[180:181], vcc_lo, 1.0, v[174:175], 1.0
	v_mul_f64 v[182:183], v[180:181], v[178:179]
	v_fma_f64 v[176:177], -v[176:177], v[182:183], v[180:181]
	v_div_fmas_f64 v[176:177], v[176:177], v[178:179], v[182:183]
	v_div_fixup_f64 v[174:175], v[176:177], v[174:175], 1.0
	ds_write_b64 v1, v[174:175]
.LBB79_29:
	s_or_b32 exec_lo, exec_lo, s1
	s_waitcnt lgkmcnt(0)
	s_barrier
	buffer_gl0_inv
	ds_read_b64 v[174:175], v1
	s_mov_b32 s1, exec_lo
	v_cmpx_lt_u32_e32 5, v0
	s_cbranch_execz .LBB79_31
; %bb.30:
	s_waitcnt lgkmcnt(0)
	v_mul_f64 v[128:129], v[174:175], v[128:129]
	ds_read2_b64 v[176:179], v242 offset0:6 offset1:7
	ds_read2_b64 v[180:183], v242 offset0:8 offset1:9
	;; [unrolled: 1-line block ×13, first 2 shown]
	s_waitcnt lgkmcnt(12)
	v_fma_f64 v[142:143], -v[128:129], v[176:177], v[142:143]
	v_fma_f64 v[126:127], -v[128:129], v[178:179], v[126:127]
	s_waitcnt lgkmcnt(11)
	v_fma_f64 v[140:141], -v[128:129], v[180:181], v[140:141]
	v_fma_f64 v[124:125], -v[128:129], v[182:183], v[124:125]
	;; [unrolled: 3-line block ×4, first 2 shown]
	ds_read2_b64 v[176:179], v242 offset0:32 offset1:33
	ds_read2_b64 v[180:183], v242 offset0:34 offset1:35
	ds_read2_b64 v[184:187], v242 offset0:36 offset1:37
	ds_read2_b64 v[188:191], v242 offset0:38 offset1:39
	s_waitcnt lgkmcnt(12)
	v_fma_f64 v[134:135], -v[128:129], v[192:193], v[134:135]
	v_fma_f64 v[118:119], -v[128:129], v[194:195], v[118:119]
	s_waitcnt lgkmcnt(11)
	v_fma_f64 v[132:133], -v[128:129], v[196:197], v[132:133]
	v_fma_f64 v[116:117], -v[128:129], v[198:199], v[116:117]
	;; [unrolled: 3-line block ×13, first 2 shown]
.LBB79_31:
	s_or_b32 exec_lo, exec_lo, s1
	s_mov_b32 s1, exec_lo
	s_waitcnt lgkmcnt(0)
	s_barrier
	buffer_gl0_inv
	v_cmpx_eq_u32_e32 6, v0
	s_cbranch_execz .LBB79_34
; %bb.32:
	ds_write_b64 v1, v[142:143]
	ds_write2_b64 v242, v[126:127], v[140:141] offset0:7 offset1:8
	ds_write2_b64 v242, v[124:125], v[138:139] offset0:9 offset1:10
	;; [unrolled: 1-line block ×16, first 2 shown]
	ds_write_b64 v242, v[154:155] offset:312
	ds_read_b64 v[176:177], v1
	s_waitcnt lgkmcnt(0)
	v_cmp_neq_f64_e32 vcc_lo, 0, v[176:177]
	s_and_b32 exec_lo, exec_lo, vcc_lo
	s_cbranch_execz .LBB79_34
; %bb.33:
	v_div_scale_f64 v[178:179], null, v[176:177], v[176:177], 1.0
	v_rcp_f64_e32 v[180:181], v[178:179]
	v_fma_f64 v[182:183], -v[178:179], v[180:181], 1.0
	v_fma_f64 v[180:181], v[180:181], v[182:183], v[180:181]
	v_fma_f64 v[182:183], -v[178:179], v[180:181], 1.0
	v_fma_f64 v[180:181], v[180:181], v[182:183], v[180:181]
	v_div_scale_f64 v[182:183], vcc_lo, 1.0, v[176:177], 1.0
	v_mul_f64 v[184:185], v[182:183], v[180:181]
	v_fma_f64 v[178:179], -v[178:179], v[184:185], v[182:183]
	v_div_fmas_f64 v[178:179], v[178:179], v[180:181], v[184:185]
	v_div_fixup_f64 v[176:177], v[178:179], v[176:177], 1.0
	ds_write_b64 v1, v[176:177]
.LBB79_34:
	s_or_b32 exec_lo, exec_lo, s1
	s_waitcnt lgkmcnt(0)
	s_barrier
	buffer_gl0_inv
	ds_read_b64 v[176:177], v1
	s_mov_b32 s1, exec_lo
	v_cmpx_lt_u32_e32 6, v0
	s_cbranch_execz .LBB79_36
; %bb.35:
	s_waitcnt lgkmcnt(0)
	v_mul_f64 v[142:143], v[176:177], v[142:143]
	ds_read2_b64 v[178:181], v242 offset0:7 offset1:8
	ds_read2_b64 v[182:185], v242 offset0:9 offset1:10
	;; [unrolled: 1-line block ×13, first 2 shown]
	s_waitcnt lgkmcnt(12)
	v_fma_f64 v[126:127], -v[142:143], v[178:179], v[126:127]
	v_fma_f64 v[140:141], -v[142:143], v[180:181], v[140:141]
	s_waitcnt lgkmcnt(11)
	v_fma_f64 v[124:125], -v[142:143], v[182:183], v[124:125]
	v_fma_f64 v[138:139], -v[142:143], v[184:185], v[138:139]
	;; [unrolled: 3-line block ×3, first 2 shown]
	s_waitcnt lgkmcnt(9)
	v_fma_f64 v[120:121], -v[142:143], v[190:191], v[120:121]
	ds_read2_b64 v[178:181], v242 offset0:33 offset1:34
	ds_read2_b64 v[182:185], v242 offset0:35 offset1:36
	;; [unrolled: 1-line block ×3, first 2 shown]
	ds_read_b64 v[190:191], v242 offset:312
	v_fma_f64 v[134:135], -v[142:143], v[192:193], v[134:135]
	s_waitcnt lgkmcnt(12)
	v_fma_f64 v[118:119], -v[142:143], v[194:195], v[118:119]
	v_fma_f64 v[132:133], -v[142:143], v[196:197], v[132:133]
	s_waitcnt lgkmcnt(11)
	v_fma_f64 v[116:117], -v[142:143], v[198:199], v[116:117]
	;; [unrolled: 3-line block ×13, first 2 shown]
.LBB79_36:
	s_or_b32 exec_lo, exec_lo, s1
	s_mov_b32 s1, exec_lo
	s_waitcnt lgkmcnt(0)
	s_barrier
	buffer_gl0_inv
	v_cmpx_eq_u32_e32 7, v0
	s_cbranch_execz .LBB79_39
; %bb.37:
	v_mov_b32_e32 v178, v140
	v_mov_b32_e32 v179, v141
	;; [unrolled: 1-line block ×4, first 2 shown]
	ds_write_b64 v1, v[126:127]
	ds_write2_b64 v242, v[178:179], v[180:181] offset0:8 offset1:9
	v_mov_b32_e32 v178, v138
	v_mov_b32_e32 v179, v139
	;; [unrolled: 1-line block ×20, first 2 shown]
	ds_write2_b64 v242, v[178:179], v[180:181] offset0:10 offset1:11
	ds_write2_b64 v242, v[182:183], v[184:185] offset0:12 offset1:13
	;; [unrolled: 1-line block ×5, first 2 shown]
	v_mov_b32_e32 v178, v114
	v_mov_b32_e32 v179, v115
	;; [unrolled: 1-line block ×20, first 2 shown]
	ds_write2_b64 v242, v[178:179], v[180:181] offset0:20 offset1:21
	ds_write2_b64 v242, v[182:183], v[184:185] offset0:22 offset1:23
	;; [unrolled: 1-line block ×5, first 2 shown]
	v_mov_b32_e32 v178, v104
	v_mov_b32_e32 v179, v105
	;; [unrolled: 1-line block ×18, first 2 shown]
	ds_write2_b64 v242, v[178:179], v[180:181] offset0:30 offset1:31
	ds_write2_b64 v242, v[182:183], v[184:185] offset0:32 offset1:33
	;; [unrolled: 1-line block ×5, first 2 shown]
	ds_read_b64 v[178:179], v1
	s_waitcnt lgkmcnt(0)
	v_cmp_neq_f64_e32 vcc_lo, 0, v[178:179]
	s_and_b32 exec_lo, exec_lo, vcc_lo
	s_cbranch_execz .LBB79_39
; %bb.38:
	v_div_scale_f64 v[180:181], null, v[178:179], v[178:179], 1.0
	v_rcp_f64_e32 v[182:183], v[180:181]
	v_fma_f64 v[184:185], -v[180:181], v[182:183], 1.0
	v_fma_f64 v[182:183], v[182:183], v[184:185], v[182:183]
	v_fma_f64 v[184:185], -v[180:181], v[182:183], 1.0
	v_fma_f64 v[182:183], v[182:183], v[184:185], v[182:183]
	v_div_scale_f64 v[184:185], vcc_lo, 1.0, v[178:179], 1.0
	v_mul_f64 v[186:187], v[184:185], v[182:183]
	v_fma_f64 v[180:181], -v[180:181], v[186:187], v[184:185]
	v_div_fmas_f64 v[180:181], v[180:181], v[182:183], v[186:187]
	v_div_fixup_f64 v[178:179], v[180:181], v[178:179], 1.0
	ds_write_b64 v1, v[178:179]
.LBB79_39:
	s_or_b32 exec_lo, exec_lo, s1
	s_waitcnt lgkmcnt(0)
	s_barrier
	buffer_gl0_inv
	ds_read_b64 v[178:179], v1
	s_mov_b32 s1, exec_lo
	v_cmpx_lt_u32_e32 7, v0
	s_cbranch_execz .LBB79_41
; %bb.40:
	s_waitcnt lgkmcnt(0)
	v_mul_f64 v[126:127], v[178:179], v[126:127]
	ds_read2_b64 v[180:183], v242 offset0:8 offset1:9
	ds_read2_b64 v[184:187], v242 offset0:10 offset1:11
	;; [unrolled: 1-line block ×13, first 2 shown]
	s_waitcnt lgkmcnt(12)
	v_fma_f64 v[140:141], -v[126:127], v[180:181], v[140:141]
	v_fma_f64 v[124:125], -v[126:127], v[182:183], v[124:125]
	s_waitcnt lgkmcnt(11)
	v_fma_f64 v[138:139], -v[126:127], v[184:185], v[138:139]
	v_fma_f64 v[122:123], -v[126:127], v[186:187], v[122:123]
	;; [unrolled: 3-line block ×3, first 2 shown]
	ds_read2_b64 v[180:183], v242 offset0:34 offset1:35
	ds_read2_b64 v[184:187], v242 offset0:36 offset1:37
	;; [unrolled: 1-line block ×3, first 2 shown]
	s_waitcnt lgkmcnt(12)
	v_fma_f64 v[134:135], -v[126:127], v[192:193], v[134:135]
	v_fma_f64 v[118:119], -v[126:127], v[194:195], v[118:119]
	s_waitcnt lgkmcnt(11)
	v_fma_f64 v[132:133], -v[126:127], v[196:197], v[132:133]
	v_fma_f64 v[116:117], -v[126:127], v[198:199], v[116:117]
	;; [unrolled: 3-line block ×13, first 2 shown]
.LBB79_41:
	s_or_b32 exec_lo, exec_lo, s1
	s_mov_b32 s1, exec_lo
	s_waitcnt lgkmcnt(0)
	s_barrier
	buffer_gl0_inv
	v_cmpx_eq_u32_e32 8, v0
	s_cbranch_execz .LBB79_44
; %bb.42:
	ds_write_b64 v1, v[140:141]
	ds_write2_b64 v242, v[124:125], v[138:139] offset0:9 offset1:10
	ds_write2_b64 v242, v[122:123], v[136:137] offset0:11 offset1:12
	;; [unrolled: 1-line block ×15, first 2 shown]
	ds_write_b64 v242, v[154:155] offset:312
	ds_read_b64 v[180:181], v1
	s_waitcnt lgkmcnt(0)
	v_cmp_neq_f64_e32 vcc_lo, 0, v[180:181]
	s_and_b32 exec_lo, exec_lo, vcc_lo
	s_cbranch_execz .LBB79_44
; %bb.43:
	v_div_scale_f64 v[182:183], null, v[180:181], v[180:181], 1.0
	v_rcp_f64_e32 v[184:185], v[182:183]
	v_fma_f64 v[186:187], -v[182:183], v[184:185], 1.0
	v_fma_f64 v[184:185], v[184:185], v[186:187], v[184:185]
	v_fma_f64 v[186:187], -v[182:183], v[184:185], 1.0
	v_fma_f64 v[184:185], v[184:185], v[186:187], v[184:185]
	v_div_scale_f64 v[186:187], vcc_lo, 1.0, v[180:181], 1.0
	v_mul_f64 v[188:189], v[186:187], v[184:185]
	v_fma_f64 v[182:183], -v[182:183], v[188:189], v[186:187]
	v_div_fmas_f64 v[182:183], v[182:183], v[184:185], v[188:189]
	v_div_fixup_f64 v[180:181], v[182:183], v[180:181], 1.0
	ds_write_b64 v1, v[180:181]
.LBB79_44:
	s_or_b32 exec_lo, exec_lo, s1
	s_waitcnt lgkmcnt(0)
	s_barrier
	buffer_gl0_inv
	ds_read_b64 v[180:181], v1
	s_mov_b32 s1, exec_lo
	v_cmpx_lt_u32_e32 8, v0
	s_cbranch_execz .LBB79_46
; %bb.45:
	s_waitcnt lgkmcnt(0)
	v_mul_f64 v[140:141], v[180:181], v[140:141]
	ds_read2_b64 v[182:185], v242 offset0:9 offset1:10
	ds_read2_b64 v[186:189], v242 offset0:11 offset1:12
	;; [unrolled: 1-line block ×13, first 2 shown]
	s_waitcnt lgkmcnt(12)
	v_fma_f64 v[124:125], -v[140:141], v[182:183], v[124:125]
	v_fma_f64 v[138:139], -v[140:141], v[184:185], v[138:139]
	s_waitcnt lgkmcnt(11)
	v_fma_f64 v[122:123], -v[140:141], v[186:187], v[122:123]
	v_fma_f64 v[136:137], -v[140:141], v[188:189], v[136:137]
	s_waitcnt lgkmcnt(10)
	v_fma_f64 v[120:121], -v[140:141], v[190:191], v[120:121]
	ds_read2_b64 v[182:185], v242 offset0:35 offset1:36
	ds_read2_b64 v[186:189], v242 offset0:37 offset1:38
	ds_read_b64 v[190:191], v242 offset:312
	v_fma_f64 v[134:135], -v[140:141], v[192:193], v[134:135]
	s_waitcnt lgkmcnt(12)
	v_fma_f64 v[118:119], -v[140:141], v[194:195], v[118:119]
	v_fma_f64 v[132:133], -v[140:141], v[196:197], v[132:133]
	s_waitcnt lgkmcnt(11)
	v_fma_f64 v[116:117], -v[140:141], v[198:199], v[116:117]
	;; [unrolled: 3-line block ×13, first 2 shown]
.LBB79_46:
	s_or_b32 exec_lo, exec_lo, s1
	s_mov_b32 s1, exec_lo
	s_waitcnt lgkmcnt(0)
	s_barrier
	buffer_gl0_inv
	v_cmpx_eq_u32_e32 9, v0
	s_cbranch_execz .LBB79_49
; %bb.47:
	v_mov_b32_e32 v182, v138
	v_mov_b32_e32 v183, v139
	;; [unrolled: 1-line block ×20, first 2 shown]
	ds_write_b64 v1, v[124:125]
	ds_write2_b64 v242, v[182:183], v[184:185] offset0:10 offset1:11
	ds_write2_b64 v242, v[186:187], v[188:189] offset0:12 offset1:13
	;; [unrolled: 1-line block ×5, first 2 shown]
	v_mov_b32_e32 v182, v114
	v_mov_b32_e32 v183, v115
	;; [unrolled: 1-line block ×20, first 2 shown]
	ds_write2_b64 v242, v[182:183], v[184:185] offset0:20 offset1:21
	ds_write2_b64 v242, v[186:187], v[188:189] offset0:22 offset1:23
	;; [unrolled: 1-line block ×5, first 2 shown]
	v_mov_b32_e32 v182, v104
	v_mov_b32_e32 v183, v105
	;; [unrolled: 1-line block ×18, first 2 shown]
	ds_write2_b64 v242, v[182:183], v[184:185] offset0:30 offset1:31
	ds_write2_b64 v242, v[186:187], v[188:189] offset0:32 offset1:33
	;; [unrolled: 1-line block ×5, first 2 shown]
	ds_read_b64 v[182:183], v1
	s_waitcnt lgkmcnt(0)
	v_cmp_neq_f64_e32 vcc_lo, 0, v[182:183]
	s_and_b32 exec_lo, exec_lo, vcc_lo
	s_cbranch_execz .LBB79_49
; %bb.48:
	v_div_scale_f64 v[184:185], null, v[182:183], v[182:183], 1.0
	v_rcp_f64_e32 v[186:187], v[184:185]
	v_fma_f64 v[188:189], -v[184:185], v[186:187], 1.0
	v_fma_f64 v[186:187], v[186:187], v[188:189], v[186:187]
	v_fma_f64 v[188:189], -v[184:185], v[186:187], 1.0
	v_fma_f64 v[186:187], v[186:187], v[188:189], v[186:187]
	v_div_scale_f64 v[188:189], vcc_lo, 1.0, v[182:183], 1.0
	v_mul_f64 v[190:191], v[188:189], v[186:187]
	v_fma_f64 v[184:185], -v[184:185], v[190:191], v[188:189]
	v_div_fmas_f64 v[184:185], v[184:185], v[186:187], v[190:191]
	v_div_fixup_f64 v[182:183], v[184:185], v[182:183], 1.0
	ds_write_b64 v1, v[182:183]
.LBB79_49:
	s_or_b32 exec_lo, exec_lo, s1
	s_waitcnt lgkmcnt(0)
	s_barrier
	buffer_gl0_inv
	ds_read_b64 v[182:183], v1
	s_mov_b32 s1, exec_lo
	v_cmpx_lt_u32_e32 9, v0
	s_cbranch_execz .LBB79_51
; %bb.50:
	s_waitcnt lgkmcnt(0)
	v_mul_f64 v[124:125], v[182:183], v[124:125]
	ds_read2_b64 v[184:187], v242 offset0:10 offset1:11
	ds_read2_b64 v[188:191], v242 offset0:12 offset1:13
	;; [unrolled: 1-line block ×14, first 2 shown]
	s_waitcnt lgkmcnt(13)
	v_fma_f64 v[138:139], -v[124:125], v[184:185], v[138:139]
	v_fma_f64 v[122:123], -v[124:125], v[186:187], v[122:123]
	ds_read2_b64 v[184:187], v242 offset0:38 offset1:39
	s_waitcnt lgkmcnt(13)
	v_fma_f64 v[136:137], -v[124:125], v[188:189], v[136:137]
	v_fma_f64 v[120:121], -v[124:125], v[190:191], v[120:121]
	s_waitcnt lgkmcnt(12)
	v_fma_f64 v[134:135], -v[124:125], v[192:193], v[134:135]
	v_fma_f64 v[118:119], -v[124:125], v[194:195], v[118:119]
	s_waitcnt lgkmcnt(11)
	v_fma_f64 v[132:133], -v[124:125], v[196:197], v[132:133]
	v_fma_f64 v[116:117], -v[124:125], v[198:199], v[116:117]
	s_waitcnt lgkmcnt(10)
	v_fma_f64 v[130:131], -v[124:125], v[200:201], v[130:131]
	v_fma_f64 v[98:99], -v[124:125], v[202:203], v[98:99]
	s_waitcnt lgkmcnt(9)
	v_fma_f64 v[114:115], -v[124:125], v[204:205], v[114:115]
	v_fma_f64 v[96:97], -v[124:125], v[206:207], v[96:97]
	s_waitcnt lgkmcnt(8)
	v_fma_f64 v[112:113], -v[124:125], v[208:209], v[112:113]
	v_fma_f64 v[94:95], -v[124:125], v[210:211], v[94:95]
	s_waitcnt lgkmcnt(7)
	v_fma_f64 v[110:111], -v[124:125], v[212:213], v[110:111]
	v_fma_f64 v[92:93], -v[124:125], v[214:215], v[92:93]
	s_waitcnt lgkmcnt(6)
	v_fma_f64 v[108:109], -v[124:125], v[216:217], v[108:109]
	v_fma_f64 v[90:91], -v[124:125], v[218:219], v[90:91]
	s_waitcnt lgkmcnt(5)
	v_fma_f64 v[106:107], -v[124:125], v[220:221], v[106:107]
	v_fma_f64 v[88:89], -v[124:125], v[222:223], v[88:89]
	s_waitcnt lgkmcnt(4)
	v_fma_f64 v[104:105], -v[124:125], v[224:225], v[104:105]
	v_fma_f64 v[86:87], -v[124:125], v[226:227], v[86:87]
	s_waitcnt lgkmcnt(3)
	v_fma_f64 v[102:103], -v[124:125], v[228:229], v[102:103]
	v_fma_f64 v[84:85], -v[124:125], v[230:231], v[84:85]
	s_waitcnt lgkmcnt(2)
	v_fma_f64 v[100:101], -v[124:125], v[232:233], v[100:101]
	v_fma_f64 v[82:83], -v[124:125], v[234:235], v[82:83]
	s_waitcnt lgkmcnt(1)
	v_fma_f64 v[152:153], -v[124:125], v[236:237], v[152:153]
	v_fma_f64 v[148:149], -v[124:125], v[238:239], v[148:149]
	s_waitcnt lgkmcnt(0)
	v_fma_f64 v[150:151], -v[124:125], v[184:185], v[150:151]
	v_fma_f64 v[154:155], -v[124:125], v[186:187], v[154:155]
.LBB79_51:
	s_or_b32 exec_lo, exec_lo, s1
	s_mov_b32 s1, exec_lo
	s_waitcnt lgkmcnt(0)
	s_barrier
	buffer_gl0_inv
	v_cmpx_eq_u32_e32 10, v0
	s_cbranch_execz .LBB79_54
; %bb.52:
	ds_write_b64 v1, v[138:139]
	ds_write2_b64 v242, v[122:123], v[136:137] offset0:11 offset1:12
	ds_write2_b64 v242, v[120:121], v[134:135] offset0:13 offset1:14
	;; [unrolled: 1-line block ×14, first 2 shown]
	ds_write_b64 v242, v[154:155] offset:312
	ds_read_b64 v[184:185], v1
	s_waitcnt lgkmcnt(0)
	v_cmp_neq_f64_e32 vcc_lo, 0, v[184:185]
	s_and_b32 exec_lo, exec_lo, vcc_lo
	s_cbranch_execz .LBB79_54
; %bb.53:
	v_div_scale_f64 v[186:187], null, v[184:185], v[184:185], 1.0
	v_rcp_f64_e32 v[188:189], v[186:187]
	v_fma_f64 v[190:191], -v[186:187], v[188:189], 1.0
	v_fma_f64 v[188:189], v[188:189], v[190:191], v[188:189]
	v_fma_f64 v[190:191], -v[186:187], v[188:189], 1.0
	v_fma_f64 v[188:189], v[188:189], v[190:191], v[188:189]
	v_div_scale_f64 v[190:191], vcc_lo, 1.0, v[184:185], 1.0
	v_mul_f64 v[192:193], v[190:191], v[188:189]
	v_fma_f64 v[186:187], -v[186:187], v[192:193], v[190:191]
	v_div_fmas_f64 v[186:187], v[186:187], v[188:189], v[192:193]
	v_div_fixup_f64 v[184:185], v[186:187], v[184:185], 1.0
	ds_write_b64 v1, v[184:185]
.LBB79_54:
	s_or_b32 exec_lo, exec_lo, s1
	s_waitcnt lgkmcnt(0)
	s_barrier
	buffer_gl0_inv
	ds_read_b64 v[184:185], v1
	s_mov_b32 s1, exec_lo
	v_cmpx_lt_u32_e32 10, v0
	s_cbranch_execz .LBB79_56
; %bb.55:
	s_waitcnt lgkmcnt(0)
	v_mul_f64 v[138:139], v[184:185], v[138:139]
	ds_read2_b64 v[186:189], v242 offset0:11 offset1:12
	ds_read2_b64 v[190:193], v242 offset0:13 offset1:14
	;; [unrolled: 1-line block ×14, first 2 shown]
	s_waitcnt lgkmcnt(13)
	v_fma_f64 v[122:123], -v[138:139], v[186:187], v[122:123]
	ds_read_b64 v[186:187], v242 offset:312
	v_fma_f64 v[136:137], -v[138:139], v[188:189], v[136:137]
	s_waitcnt lgkmcnt(13)
	v_fma_f64 v[120:121], -v[138:139], v[190:191], v[120:121]
	v_fma_f64 v[134:135], -v[138:139], v[192:193], v[134:135]
	s_waitcnt lgkmcnt(12)
	v_fma_f64 v[118:119], -v[138:139], v[194:195], v[118:119]
	;; [unrolled: 3-line block ×14, first 2 shown]
.LBB79_56:
	s_or_b32 exec_lo, exec_lo, s1
	s_mov_b32 s1, exec_lo
	s_waitcnt lgkmcnt(0)
	s_barrier
	buffer_gl0_inv
	v_cmpx_eq_u32_e32 11, v0
	s_cbranch_execz .LBB79_59
; %bb.57:
	v_mov_b32_e32 v186, v136
	v_mov_b32_e32 v187, v137
	;; [unrolled: 1-line block ×16, first 2 shown]
	ds_write_b64 v1, v[122:123]
	ds_write2_b64 v242, v[186:187], v[188:189] offset0:12 offset1:13
	ds_write2_b64 v242, v[190:191], v[192:193] offset0:14 offset1:15
	;; [unrolled: 1-line block ×4, first 2 shown]
	v_mov_b32_e32 v186, v114
	v_mov_b32_e32 v187, v115
	;; [unrolled: 1-line block ×20, first 2 shown]
	ds_write2_b64 v242, v[186:187], v[188:189] offset0:20 offset1:21
	ds_write2_b64 v242, v[190:191], v[192:193] offset0:22 offset1:23
	;; [unrolled: 1-line block ×5, first 2 shown]
	v_mov_b32_e32 v186, v104
	v_mov_b32_e32 v187, v105
	;; [unrolled: 1-line block ×18, first 2 shown]
	ds_write2_b64 v242, v[186:187], v[188:189] offset0:30 offset1:31
	ds_write2_b64 v242, v[190:191], v[192:193] offset0:32 offset1:33
	;; [unrolled: 1-line block ×5, first 2 shown]
	ds_read_b64 v[186:187], v1
	s_waitcnt lgkmcnt(0)
	v_cmp_neq_f64_e32 vcc_lo, 0, v[186:187]
	s_and_b32 exec_lo, exec_lo, vcc_lo
	s_cbranch_execz .LBB79_59
; %bb.58:
	v_div_scale_f64 v[188:189], null, v[186:187], v[186:187], 1.0
	v_rcp_f64_e32 v[190:191], v[188:189]
	v_fma_f64 v[192:193], -v[188:189], v[190:191], 1.0
	v_fma_f64 v[190:191], v[190:191], v[192:193], v[190:191]
	v_fma_f64 v[192:193], -v[188:189], v[190:191], 1.0
	v_fma_f64 v[190:191], v[190:191], v[192:193], v[190:191]
	v_div_scale_f64 v[192:193], vcc_lo, 1.0, v[186:187], 1.0
	v_mul_f64 v[194:195], v[192:193], v[190:191]
	v_fma_f64 v[188:189], -v[188:189], v[194:195], v[192:193]
	v_div_fmas_f64 v[188:189], v[188:189], v[190:191], v[194:195]
	v_div_fixup_f64 v[186:187], v[188:189], v[186:187], 1.0
	ds_write_b64 v1, v[186:187]
.LBB79_59:
	s_or_b32 exec_lo, exec_lo, s1
	s_waitcnt lgkmcnt(0)
	s_barrier
	buffer_gl0_inv
	ds_read_b64 v[186:187], v1
	s_mov_b32 s1, exec_lo
	v_cmpx_lt_u32_e32 11, v0
	s_cbranch_execz .LBB79_61
; %bb.60:
	s_waitcnt lgkmcnt(0)
	v_mul_f64 v[122:123], v[186:187], v[122:123]
	ds_read2_b64 v[188:191], v242 offset0:12 offset1:13
	ds_read2_b64 v[192:195], v242 offset0:14 offset1:15
	ds_read2_b64 v[196:199], v242 offset0:16 offset1:17
	ds_read2_b64 v[200:203], v242 offset0:18 offset1:19
	ds_read2_b64 v[204:207], v242 offset0:20 offset1:21
	ds_read2_b64 v[208:211], v242 offset0:22 offset1:23
	ds_read2_b64 v[212:215], v242 offset0:24 offset1:25
	ds_read2_b64 v[216:219], v242 offset0:26 offset1:27
	ds_read2_b64 v[220:223], v242 offset0:28 offset1:29
	ds_read2_b64 v[224:227], v242 offset0:30 offset1:31
	ds_read2_b64 v[228:231], v242 offset0:32 offset1:33
	ds_read2_b64 v[232:235], v242 offset0:34 offset1:35
	ds_read2_b64 v[236:239], v242 offset0:36 offset1:37
	ds_read2_b64 v[243:246], v242 offset0:38 offset1:39
	s_waitcnt lgkmcnt(13)
	v_fma_f64 v[136:137], -v[122:123], v[188:189], v[136:137]
	v_fma_f64 v[120:121], -v[122:123], v[190:191], v[120:121]
	s_waitcnt lgkmcnt(12)
	v_fma_f64 v[134:135], -v[122:123], v[192:193], v[134:135]
	v_fma_f64 v[118:119], -v[122:123], v[194:195], v[118:119]
	;; [unrolled: 3-line block ×14, first 2 shown]
.LBB79_61:
	s_or_b32 exec_lo, exec_lo, s1
	s_mov_b32 s1, exec_lo
	s_waitcnt lgkmcnt(0)
	s_barrier
	buffer_gl0_inv
	v_cmpx_eq_u32_e32 12, v0
	s_cbranch_execz .LBB79_64
; %bb.62:
	ds_write_b64 v1, v[136:137]
	ds_write2_b64 v242, v[120:121], v[134:135] offset0:13 offset1:14
	ds_write2_b64 v242, v[118:119], v[132:133] offset0:15 offset1:16
	;; [unrolled: 1-line block ×13, first 2 shown]
	ds_write_b64 v242, v[154:155] offset:312
	ds_read_b64 v[188:189], v1
	s_waitcnt lgkmcnt(0)
	v_cmp_neq_f64_e32 vcc_lo, 0, v[188:189]
	s_and_b32 exec_lo, exec_lo, vcc_lo
	s_cbranch_execz .LBB79_64
; %bb.63:
	v_div_scale_f64 v[190:191], null, v[188:189], v[188:189], 1.0
	v_rcp_f64_e32 v[192:193], v[190:191]
	v_fma_f64 v[194:195], -v[190:191], v[192:193], 1.0
	v_fma_f64 v[192:193], v[192:193], v[194:195], v[192:193]
	v_fma_f64 v[194:195], -v[190:191], v[192:193], 1.0
	v_fma_f64 v[192:193], v[192:193], v[194:195], v[192:193]
	v_div_scale_f64 v[194:195], vcc_lo, 1.0, v[188:189], 1.0
	v_mul_f64 v[196:197], v[194:195], v[192:193]
	v_fma_f64 v[190:191], -v[190:191], v[196:197], v[194:195]
	v_div_fmas_f64 v[190:191], v[190:191], v[192:193], v[196:197]
	v_div_fixup_f64 v[188:189], v[190:191], v[188:189], 1.0
	ds_write_b64 v1, v[188:189]
.LBB79_64:
	s_or_b32 exec_lo, exec_lo, s1
	s_waitcnt lgkmcnt(0)
	s_barrier
	buffer_gl0_inv
	ds_read_b64 v[188:189], v1
	s_mov_b32 s1, exec_lo
	v_cmpx_lt_u32_e32 12, v0
	s_cbranch_execz .LBB79_66
; %bb.65:
	s_waitcnt lgkmcnt(0)
	v_mul_f64 v[136:137], v[188:189], v[136:137]
	ds_read2_b64 v[190:193], v242 offset0:13 offset1:14
	ds_read2_b64 v[194:197], v242 offset0:15 offset1:16
	;; [unrolled: 1-line block ×13, first 2 shown]
	ds_read_b64 v[243:244], v242 offset:312
	s_waitcnt lgkmcnt(13)
	v_fma_f64 v[120:121], -v[136:137], v[190:191], v[120:121]
	v_fma_f64 v[134:135], -v[136:137], v[192:193], v[134:135]
	s_waitcnt lgkmcnt(12)
	v_fma_f64 v[118:119], -v[136:137], v[194:195], v[118:119]
	v_fma_f64 v[132:133], -v[136:137], v[196:197], v[132:133]
	;; [unrolled: 3-line block ×13, first 2 shown]
	s_waitcnt lgkmcnt(0)
	v_fma_f64 v[154:155], -v[136:137], v[243:244], v[154:155]
.LBB79_66:
	s_or_b32 exec_lo, exec_lo, s1
	s_mov_b32 s1, exec_lo
	s_waitcnt lgkmcnt(0)
	s_barrier
	buffer_gl0_inv
	v_cmpx_eq_u32_e32 13, v0
	s_cbranch_execz .LBB79_69
; %bb.67:
	v_mov_b32_e32 v190, v134
	v_mov_b32_e32 v191, v135
	;; [unrolled: 1-line block ×12, first 2 shown]
	ds_write_b64 v1, v[120:121]
	ds_write2_b64 v242, v[190:191], v[192:193] offset0:14 offset1:15
	ds_write2_b64 v242, v[194:195], v[196:197] offset0:16 offset1:17
	;; [unrolled: 1-line block ×3, first 2 shown]
	v_mov_b32_e32 v190, v114
	v_mov_b32_e32 v191, v115
	;; [unrolled: 1-line block ×20, first 2 shown]
	ds_write2_b64 v242, v[190:191], v[192:193] offset0:20 offset1:21
	ds_write2_b64 v242, v[194:195], v[196:197] offset0:22 offset1:23
	ds_write2_b64 v242, v[198:199], v[200:201] offset0:24 offset1:25
	ds_write2_b64 v242, v[202:203], v[204:205] offset0:26 offset1:27
	ds_write2_b64 v242, v[206:207], v[208:209] offset0:28 offset1:29
	v_mov_b32_e32 v190, v104
	v_mov_b32_e32 v191, v105
	;; [unrolled: 1-line block ×18, first 2 shown]
	ds_write2_b64 v242, v[190:191], v[192:193] offset0:30 offset1:31
	ds_write2_b64 v242, v[194:195], v[196:197] offset0:32 offset1:33
	;; [unrolled: 1-line block ×5, first 2 shown]
	ds_read_b64 v[190:191], v1
	s_waitcnt lgkmcnt(0)
	v_cmp_neq_f64_e32 vcc_lo, 0, v[190:191]
	s_and_b32 exec_lo, exec_lo, vcc_lo
	s_cbranch_execz .LBB79_69
; %bb.68:
	v_div_scale_f64 v[192:193], null, v[190:191], v[190:191], 1.0
	v_rcp_f64_e32 v[194:195], v[192:193]
	v_fma_f64 v[196:197], -v[192:193], v[194:195], 1.0
	v_fma_f64 v[194:195], v[194:195], v[196:197], v[194:195]
	v_fma_f64 v[196:197], -v[192:193], v[194:195], 1.0
	v_fma_f64 v[194:195], v[194:195], v[196:197], v[194:195]
	v_div_scale_f64 v[196:197], vcc_lo, 1.0, v[190:191], 1.0
	v_mul_f64 v[198:199], v[196:197], v[194:195]
	v_fma_f64 v[192:193], -v[192:193], v[198:199], v[196:197]
	v_div_fmas_f64 v[192:193], v[192:193], v[194:195], v[198:199]
	v_div_fixup_f64 v[190:191], v[192:193], v[190:191], 1.0
	ds_write_b64 v1, v[190:191]
.LBB79_69:
	s_or_b32 exec_lo, exec_lo, s1
	s_waitcnt lgkmcnt(0)
	s_barrier
	buffer_gl0_inv
	ds_read_b64 v[190:191], v1
	s_mov_b32 s1, exec_lo
	v_cmpx_lt_u32_e32 13, v0
	s_cbranch_execz .LBB79_71
; %bb.70:
	s_waitcnt lgkmcnt(0)
	v_mul_f64 v[120:121], v[190:191], v[120:121]
	ds_read2_b64 v[192:195], v242 offset0:14 offset1:15
	ds_read2_b64 v[196:199], v242 offset0:16 offset1:17
	;; [unrolled: 1-line block ×13, first 2 shown]
	s_waitcnt lgkmcnt(12)
	v_fma_f64 v[134:135], -v[120:121], v[192:193], v[134:135]
	v_fma_f64 v[118:119], -v[120:121], v[194:195], v[118:119]
	s_waitcnt lgkmcnt(11)
	v_fma_f64 v[132:133], -v[120:121], v[196:197], v[132:133]
	v_fma_f64 v[116:117], -v[120:121], v[198:199], v[116:117]
	;; [unrolled: 3-line block ×13, first 2 shown]
.LBB79_71:
	s_or_b32 exec_lo, exec_lo, s1
	s_mov_b32 s1, exec_lo
	s_waitcnt lgkmcnt(0)
	s_barrier
	buffer_gl0_inv
	v_cmpx_eq_u32_e32 14, v0
	s_cbranch_execz .LBB79_74
; %bb.72:
	ds_write_b64 v1, v[134:135]
	ds_write2_b64 v242, v[118:119], v[132:133] offset0:15 offset1:16
	ds_write2_b64 v242, v[116:117], v[130:131] offset0:17 offset1:18
	;; [unrolled: 1-line block ×12, first 2 shown]
	ds_write_b64 v242, v[154:155] offset:312
	ds_read_b64 v[192:193], v1
	s_waitcnt lgkmcnt(0)
	v_cmp_neq_f64_e32 vcc_lo, 0, v[192:193]
	s_and_b32 exec_lo, exec_lo, vcc_lo
	s_cbranch_execz .LBB79_74
; %bb.73:
	v_div_scale_f64 v[194:195], null, v[192:193], v[192:193], 1.0
	v_rcp_f64_e32 v[196:197], v[194:195]
	v_fma_f64 v[198:199], -v[194:195], v[196:197], 1.0
	v_fma_f64 v[196:197], v[196:197], v[198:199], v[196:197]
	v_fma_f64 v[198:199], -v[194:195], v[196:197], 1.0
	v_fma_f64 v[196:197], v[196:197], v[198:199], v[196:197]
	v_div_scale_f64 v[198:199], vcc_lo, 1.0, v[192:193], 1.0
	v_mul_f64 v[200:201], v[198:199], v[196:197]
	v_fma_f64 v[194:195], -v[194:195], v[200:201], v[198:199]
	v_div_fmas_f64 v[194:195], v[194:195], v[196:197], v[200:201]
	v_div_fixup_f64 v[192:193], v[194:195], v[192:193], 1.0
	ds_write_b64 v1, v[192:193]
.LBB79_74:
	s_or_b32 exec_lo, exec_lo, s1
	s_waitcnt lgkmcnt(0)
	s_barrier
	buffer_gl0_inv
	ds_read_b64 v[192:193], v1
	s_mov_b32 s1, exec_lo
	v_cmpx_lt_u32_e32 14, v0
	s_cbranch_execz .LBB79_76
; %bb.75:
	s_waitcnt lgkmcnt(0)
	v_mul_f64 v[134:135], v[192:193], v[134:135]
	ds_read2_b64 v[194:197], v242 offset0:15 offset1:16
	ds_read2_b64 v[198:201], v242 offset0:17 offset1:18
	;; [unrolled: 1-line block ×12, first 2 shown]
	ds_read_b64 v[243:244], v242 offset:312
	s_waitcnt lgkmcnt(12)
	v_fma_f64 v[118:119], -v[134:135], v[194:195], v[118:119]
	v_fma_f64 v[132:133], -v[134:135], v[196:197], v[132:133]
	s_waitcnt lgkmcnt(11)
	v_fma_f64 v[116:117], -v[134:135], v[198:199], v[116:117]
	v_fma_f64 v[130:131], -v[134:135], v[200:201], v[130:131]
	;; [unrolled: 3-line block ×12, first 2 shown]
	s_waitcnt lgkmcnt(0)
	v_fma_f64 v[154:155], -v[134:135], v[243:244], v[154:155]
.LBB79_76:
	s_or_b32 exec_lo, exec_lo, s1
	s_mov_b32 s1, exec_lo
	s_waitcnt lgkmcnt(0)
	s_barrier
	buffer_gl0_inv
	v_cmpx_eq_u32_e32 15, v0
	s_cbranch_execz .LBB79_79
; %bb.77:
	v_mov_b32_e32 v194, v132
	v_mov_b32_e32 v195, v133
	;; [unrolled: 1-line block ×8, first 2 shown]
	ds_write_b64 v1, v[118:119]
	ds_write2_b64 v242, v[194:195], v[196:197] offset0:16 offset1:17
	ds_write2_b64 v242, v[198:199], v[200:201] offset0:18 offset1:19
	v_mov_b32_e32 v194, v114
	v_mov_b32_e32 v195, v115
	;; [unrolled: 1-line block ×20, first 2 shown]
	ds_write2_b64 v242, v[194:195], v[196:197] offset0:20 offset1:21
	ds_write2_b64 v242, v[198:199], v[200:201] offset0:22 offset1:23
	;; [unrolled: 1-line block ×5, first 2 shown]
	v_mov_b32_e32 v194, v104
	v_mov_b32_e32 v195, v105
	;; [unrolled: 1-line block ×18, first 2 shown]
	ds_write2_b64 v242, v[194:195], v[196:197] offset0:30 offset1:31
	ds_write2_b64 v242, v[198:199], v[200:201] offset0:32 offset1:33
	;; [unrolled: 1-line block ×5, first 2 shown]
	ds_read_b64 v[194:195], v1
	s_waitcnt lgkmcnt(0)
	v_cmp_neq_f64_e32 vcc_lo, 0, v[194:195]
	s_and_b32 exec_lo, exec_lo, vcc_lo
	s_cbranch_execz .LBB79_79
; %bb.78:
	v_div_scale_f64 v[196:197], null, v[194:195], v[194:195], 1.0
	v_rcp_f64_e32 v[198:199], v[196:197]
	v_fma_f64 v[200:201], -v[196:197], v[198:199], 1.0
	v_fma_f64 v[198:199], v[198:199], v[200:201], v[198:199]
	v_fma_f64 v[200:201], -v[196:197], v[198:199], 1.0
	v_fma_f64 v[198:199], v[198:199], v[200:201], v[198:199]
	v_div_scale_f64 v[200:201], vcc_lo, 1.0, v[194:195], 1.0
	v_mul_f64 v[202:203], v[200:201], v[198:199]
	v_fma_f64 v[196:197], -v[196:197], v[202:203], v[200:201]
	v_div_fmas_f64 v[196:197], v[196:197], v[198:199], v[202:203]
	v_div_fixup_f64 v[194:195], v[196:197], v[194:195], 1.0
	ds_write_b64 v1, v[194:195]
.LBB79_79:
	s_or_b32 exec_lo, exec_lo, s1
	s_waitcnt lgkmcnt(0)
	s_barrier
	buffer_gl0_inv
	ds_read_b64 v[194:195], v1
	s_mov_b32 s1, exec_lo
	v_cmpx_lt_u32_e32 15, v0
	s_cbranch_execz .LBB79_81
; %bb.80:
	s_waitcnt lgkmcnt(0)
	v_mul_f64 v[118:119], v[194:195], v[118:119]
	ds_read2_b64 v[196:199], v242 offset0:16 offset1:17
	ds_read2_b64 v[200:203], v242 offset0:18 offset1:19
	;; [unrolled: 1-line block ×12, first 2 shown]
	s_waitcnt lgkmcnt(11)
	v_fma_f64 v[132:133], -v[118:119], v[196:197], v[132:133]
	v_fma_f64 v[116:117], -v[118:119], v[198:199], v[116:117]
	s_waitcnt lgkmcnt(10)
	v_fma_f64 v[130:131], -v[118:119], v[200:201], v[130:131]
	v_fma_f64 v[98:99], -v[118:119], v[202:203], v[98:99]
	;; [unrolled: 3-line block ×12, first 2 shown]
.LBB79_81:
	s_or_b32 exec_lo, exec_lo, s1
	s_mov_b32 s1, exec_lo
	s_waitcnt lgkmcnt(0)
	s_barrier
	buffer_gl0_inv
	v_cmpx_eq_u32_e32 16, v0
	s_cbranch_execz .LBB79_84
; %bb.82:
	ds_write_b64 v1, v[132:133]
	ds_write2_b64 v242, v[116:117], v[130:131] offset0:17 offset1:18
	ds_write2_b64 v242, v[98:99], v[114:115] offset0:19 offset1:20
	;; [unrolled: 1-line block ×11, first 2 shown]
	ds_write_b64 v242, v[154:155] offset:312
	ds_read_b64 v[196:197], v1
	s_waitcnt lgkmcnt(0)
	v_cmp_neq_f64_e32 vcc_lo, 0, v[196:197]
	s_and_b32 exec_lo, exec_lo, vcc_lo
	s_cbranch_execz .LBB79_84
; %bb.83:
	v_div_scale_f64 v[198:199], null, v[196:197], v[196:197], 1.0
	v_rcp_f64_e32 v[200:201], v[198:199]
	v_fma_f64 v[202:203], -v[198:199], v[200:201], 1.0
	v_fma_f64 v[200:201], v[200:201], v[202:203], v[200:201]
	v_fma_f64 v[202:203], -v[198:199], v[200:201], 1.0
	v_fma_f64 v[200:201], v[200:201], v[202:203], v[200:201]
	v_div_scale_f64 v[202:203], vcc_lo, 1.0, v[196:197], 1.0
	v_mul_f64 v[204:205], v[202:203], v[200:201]
	v_fma_f64 v[198:199], -v[198:199], v[204:205], v[202:203]
	v_div_fmas_f64 v[198:199], v[198:199], v[200:201], v[204:205]
	v_div_fixup_f64 v[196:197], v[198:199], v[196:197], 1.0
	ds_write_b64 v1, v[196:197]
.LBB79_84:
	s_or_b32 exec_lo, exec_lo, s1
	s_waitcnt lgkmcnt(0)
	s_barrier
	buffer_gl0_inv
	ds_read_b64 v[196:197], v1
	s_mov_b32 s1, exec_lo
	v_cmpx_lt_u32_e32 16, v0
	s_cbranch_execz .LBB79_86
; %bb.85:
	s_waitcnt lgkmcnt(0)
	v_mul_f64 v[132:133], v[196:197], v[132:133]
	ds_read2_b64 v[198:201], v242 offset0:17 offset1:18
	ds_read2_b64 v[202:205], v242 offset0:19 offset1:20
	;; [unrolled: 1-line block ×11, first 2 shown]
	ds_read_b64 v[243:244], v242 offset:312
	s_waitcnt lgkmcnt(11)
	v_fma_f64 v[116:117], -v[132:133], v[198:199], v[116:117]
	v_fma_f64 v[130:131], -v[132:133], v[200:201], v[130:131]
	s_waitcnt lgkmcnt(10)
	v_fma_f64 v[98:99], -v[132:133], v[202:203], v[98:99]
	v_fma_f64 v[114:115], -v[132:133], v[204:205], v[114:115]
	;; [unrolled: 3-line block ×11, first 2 shown]
	s_waitcnt lgkmcnt(0)
	v_fma_f64 v[154:155], -v[132:133], v[243:244], v[154:155]
.LBB79_86:
	s_or_b32 exec_lo, exec_lo, s1
	s_mov_b32 s1, exec_lo
	s_waitcnt lgkmcnt(0)
	s_barrier
	buffer_gl0_inv
	v_cmpx_eq_u32_e32 17, v0
	s_cbranch_execz .LBB79_89
; %bb.87:
	v_mov_b32_e32 v198, v130
	v_mov_b32_e32 v199, v131
	;; [unrolled: 1-line block ×4, first 2 shown]
	ds_write_b64 v1, v[116:117]
	ds_write2_b64 v242, v[198:199], v[200:201] offset0:18 offset1:19
	v_mov_b32_e32 v198, v114
	v_mov_b32_e32 v199, v115
	;; [unrolled: 1-line block ×20, first 2 shown]
	ds_write2_b64 v242, v[198:199], v[200:201] offset0:20 offset1:21
	ds_write2_b64 v242, v[202:203], v[204:205] offset0:22 offset1:23
	;; [unrolled: 1-line block ×5, first 2 shown]
	v_mov_b32_e32 v198, v104
	v_mov_b32_e32 v199, v105
	;; [unrolled: 1-line block ×18, first 2 shown]
	ds_write2_b64 v242, v[198:199], v[200:201] offset0:30 offset1:31
	ds_write2_b64 v242, v[202:203], v[204:205] offset0:32 offset1:33
	ds_write2_b64 v242, v[206:207], v[208:209] offset0:34 offset1:35
	ds_write2_b64 v242, v[210:211], v[212:213] offset0:36 offset1:37
	ds_write2_b64 v242, v[214:215], v[154:155] offset0:38 offset1:39
	ds_read_b64 v[198:199], v1
	s_waitcnt lgkmcnt(0)
	v_cmp_neq_f64_e32 vcc_lo, 0, v[198:199]
	s_and_b32 exec_lo, exec_lo, vcc_lo
	s_cbranch_execz .LBB79_89
; %bb.88:
	v_div_scale_f64 v[200:201], null, v[198:199], v[198:199], 1.0
	v_rcp_f64_e32 v[202:203], v[200:201]
	v_fma_f64 v[204:205], -v[200:201], v[202:203], 1.0
	v_fma_f64 v[202:203], v[202:203], v[204:205], v[202:203]
	v_fma_f64 v[204:205], -v[200:201], v[202:203], 1.0
	v_fma_f64 v[202:203], v[202:203], v[204:205], v[202:203]
	v_div_scale_f64 v[204:205], vcc_lo, 1.0, v[198:199], 1.0
	v_mul_f64 v[206:207], v[204:205], v[202:203]
	v_fma_f64 v[200:201], -v[200:201], v[206:207], v[204:205]
	v_div_fmas_f64 v[200:201], v[200:201], v[202:203], v[206:207]
	v_div_fixup_f64 v[198:199], v[200:201], v[198:199], 1.0
	ds_write_b64 v1, v[198:199]
.LBB79_89:
	s_or_b32 exec_lo, exec_lo, s1
	s_waitcnt lgkmcnt(0)
	s_barrier
	buffer_gl0_inv
	ds_read_b64 v[198:199], v1
	s_mov_b32 s1, exec_lo
	v_cmpx_lt_u32_e32 17, v0
	s_cbranch_execz .LBB79_91
; %bb.90:
	s_waitcnt lgkmcnt(0)
	v_mul_f64 v[116:117], v[198:199], v[116:117]
	ds_read2_b64 v[200:203], v242 offset0:18 offset1:19
	ds_read2_b64 v[204:207], v242 offset0:20 offset1:21
	ds_read2_b64 v[208:211], v242 offset0:22 offset1:23
	ds_read2_b64 v[212:215], v242 offset0:24 offset1:25
	ds_read2_b64 v[216:219], v242 offset0:26 offset1:27
	ds_read2_b64 v[220:223], v242 offset0:28 offset1:29
	ds_read2_b64 v[224:227], v242 offset0:30 offset1:31
	ds_read2_b64 v[228:231], v242 offset0:32 offset1:33
	ds_read2_b64 v[232:235], v242 offset0:34 offset1:35
	ds_read2_b64 v[236:239], v242 offset0:36 offset1:37
	ds_read2_b64 v[243:246], v242 offset0:38 offset1:39
	s_waitcnt lgkmcnt(10)
	v_fma_f64 v[130:131], -v[116:117], v[200:201], v[130:131]
	v_fma_f64 v[98:99], -v[116:117], v[202:203], v[98:99]
	s_waitcnt lgkmcnt(9)
	v_fma_f64 v[114:115], -v[116:117], v[204:205], v[114:115]
	v_fma_f64 v[96:97], -v[116:117], v[206:207], v[96:97]
	s_waitcnt lgkmcnt(8)
	v_fma_f64 v[112:113], -v[116:117], v[208:209], v[112:113]
	v_fma_f64 v[94:95], -v[116:117], v[210:211], v[94:95]
	s_waitcnt lgkmcnt(7)
	v_fma_f64 v[110:111], -v[116:117], v[212:213], v[110:111]
	v_fma_f64 v[92:93], -v[116:117], v[214:215], v[92:93]
	s_waitcnt lgkmcnt(6)
	v_fma_f64 v[108:109], -v[116:117], v[216:217], v[108:109]
	v_fma_f64 v[90:91], -v[116:117], v[218:219], v[90:91]
	s_waitcnt lgkmcnt(5)
	v_fma_f64 v[106:107], -v[116:117], v[220:221], v[106:107]
	v_fma_f64 v[88:89], -v[116:117], v[222:223], v[88:89]
	s_waitcnt lgkmcnt(4)
	v_fma_f64 v[104:105], -v[116:117], v[224:225], v[104:105]
	v_fma_f64 v[86:87], -v[116:117], v[226:227], v[86:87]
	s_waitcnt lgkmcnt(3)
	v_fma_f64 v[102:103], -v[116:117], v[228:229], v[102:103]
	v_fma_f64 v[84:85], -v[116:117], v[230:231], v[84:85]
	s_waitcnt lgkmcnt(2)
	v_fma_f64 v[100:101], -v[116:117], v[232:233], v[100:101]
	v_fma_f64 v[82:83], -v[116:117], v[234:235], v[82:83]
	s_waitcnt lgkmcnt(1)
	v_fma_f64 v[152:153], -v[116:117], v[236:237], v[152:153]
	v_fma_f64 v[148:149], -v[116:117], v[238:239], v[148:149]
	s_waitcnt lgkmcnt(0)
	v_fma_f64 v[150:151], -v[116:117], v[243:244], v[150:151]
	v_fma_f64 v[154:155], -v[116:117], v[245:246], v[154:155]
.LBB79_91:
	s_or_b32 exec_lo, exec_lo, s1
	s_mov_b32 s1, exec_lo
	s_waitcnt lgkmcnt(0)
	s_barrier
	buffer_gl0_inv
	v_cmpx_eq_u32_e32 18, v0
	s_cbranch_execz .LBB79_94
; %bb.92:
	ds_write_b64 v1, v[130:131]
	ds_write2_b64 v242, v[98:99], v[114:115] offset0:19 offset1:20
	ds_write2_b64 v242, v[96:97], v[112:113] offset0:21 offset1:22
	;; [unrolled: 1-line block ×10, first 2 shown]
	ds_write_b64 v242, v[154:155] offset:312
	ds_read_b64 v[200:201], v1
	s_waitcnt lgkmcnt(0)
	v_cmp_neq_f64_e32 vcc_lo, 0, v[200:201]
	s_and_b32 exec_lo, exec_lo, vcc_lo
	s_cbranch_execz .LBB79_94
; %bb.93:
	v_div_scale_f64 v[202:203], null, v[200:201], v[200:201], 1.0
	v_rcp_f64_e32 v[204:205], v[202:203]
	v_fma_f64 v[206:207], -v[202:203], v[204:205], 1.0
	v_fma_f64 v[204:205], v[204:205], v[206:207], v[204:205]
	v_fma_f64 v[206:207], -v[202:203], v[204:205], 1.0
	v_fma_f64 v[204:205], v[204:205], v[206:207], v[204:205]
	v_div_scale_f64 v[206:207], vcc_lo, 1.0, v[200:201], 1.0
	v_mul_f64 v[208:209], v[206:207], v[204:205]
	v_fma_f64 v[202:203], -v[202:203], v[208:209], v[206:207]
	v_div_fmas_f64 v[202:203], v[202:203], v[204:205], v[208:209]
	v_div_fixup_f64 v[200:201], v[202:203], v[200:201], 1.0
	ds_write_b64 v1, v[200:201]
.LBB79_94:
	s_or_b32 exec_lo, exec_lo, s1
	s_waitcnt lgkmcnt(0)
	s_barrier
	buffer_gl0_inv
	ds_read_b64 v[200:201], v1
	s_mov_b32 s1, exec_lo
	v_cmpx_lt_u32_e32 18, v0
	s_cbranch_execz .LBB79_96
; %bb.95:
	s_waitcnt lgkmcnt(0)
	v_mul_f64 v[130:131], v[200:201], v[130:131]
	ds_read2_b64 v[202:205], v242 offset0:19 offset1:20
	ds_read2_b64 v[206:209], v242 offset0:21 offset1:22
	;; [unrolled: 1-line block ×10, first 2 shown]
	ds_read_b64 v[243:244], v242 offset:312
	s_waitcnt lgkmcnt(10)
	v_fma_f64 v[98:99], -v[130:131], v[202:203], v[98:99]
	v_fma_f64 v[114:115], -v[130:131], v[204:205], v[114:115]
	s_waitcnt lgkmcnt(9)
	v_fma_f64 v[96:97], -v[130:131], v[206:207], v[96:97]
	v_fma_f64 v[112:113], -v[130:131], v[208:209], v[112:113]
	;; [unrolled: 3-line block ×10, first 2 shown]
	s_waitcnt lgkmcnt(0)
	v_fma_f64 v[154:155], -v[130:131], v[243:244], v[154:155]
.LBB79_96:
	s_or_b32 exec_lo, exec_lo, s1
	s_mov_b32 s1, exec_lo
	s_waitcnt lgkmcnt(0)
	s_barrier
	buffer_gl0_inv
	v_cmpx_eq_u32_e32 19, v0
	s_cbranch_execz .LBB79_99
; %bb.97:
	v_mov_b32_e32 v202, v114
	v_mov_b32_e32 v203, v115
	;; [unrolled: 1-line block ×20, first 2 shown]
	ds_write_b64 v1, v[98:99]
	ds_write2_b64 v242, v[202:203], v[204:205] offset0:20 offset1:21
	ds_write2_b64 v242, v[206:207], v[208:209] offset0:22 offset1:23
	;; [unrolled: 1-line block ×5, first 2 shown]
	v_mov_b32_e32 v202, v104
	v_mov_b32_e32 v203, v105
	;; [unrolled: 1-line block ×18, first 2 shown]
	ds_write2_b64 v242, v[202:203], v[204:205] offset0:30 offset1:31
	ds_write2_b64 v242, v[206:207], v[208:209] offset0:32 offset1:33
	;; [unrolled: 1-line block ×5, first 2 shown]
	ds_read_b64 v[202:203], v1
	s_waitcnt lgkmcnt(0)
	v_cmp_neq_f64_e32 vcc_lo, 0, v[202:203]
	s_and_b32 exec_lo, exec_lo, vcc_lo
	s_cbranch_execz .LBB79_99
; %bb.98:
	v_div_scale_f64 v[204:205], null, v[202:203], v[202:203], 1.0
	v_rcp_f64_e32 v[206:207], v[204:205]
	v_fma_f64 v[208:209], -v[204:205], v[206:207], 1.0
	v_fma_f64 v[206:207], v[206:207], v[208:209], v[206:207]
	v_fma_f64 v[208:209], -v[204:205], v[206:207], 1.0
	v_fma_f64 v[206:207], v[206:207], v[208:209], v[206:207]
	v_div_scale_f64 v[208:209], vcc_lo, 1.0, v[202:203], 1.0
	v_mul_f64 v[210:211], v[208:209], v[206:207]
	v_fma_f64 v[204:205], -v[204:205], v[210:211], v[208:209]
	v_div_fmas_f64 v[204:205], v[204:205], v[206:207], v[210:211]
	v_div_fixup_f64 v[202:203], v[204:205], v[202:203], 1.0
	ds_write_b64 v1, v[202:203]
.LBB79_99:
	s_or_b32 exec_lo, exec_lo, s1
	s_waitcnt lgkmcnt(0)
	s_barrier
	buffer_gl0_inv
	ds_read_b64 v[202:203], v1
	s_mov_b32 s1, exec_lo
	v_cmpx_lt_u32_e32 19, v0
	s_cbranch_execz .LBB79_101
; %bb.100:
	s_waitcnt lgkmcnt(0)
	v_mul_f64 v[98:99], v[202:203], v[98:99]
	ds_read2_b64 v[204:207], v242 offset0:20 offset1:21
	ds_read2_b64 v[208:211], v242 offset0:22 offset1:23
	;; [unrolled: 1-line block ×10, first 2 shown]
	s_waitcnt lgkmcnt(9)
	v_fma_f64 v[114:115], -v[98:99], v[204:205], v[114:115]
	v_fma_f64 v[96:97], -v[98:99], v[206:207], v[96:97]
	s_waitcnt lgkmcnt(8)
	v_fma_f64 v[112:113], -v[98:99], v[208:209], v[112:113]
	v_fma_f64 v[94:95], -v[98:99], v[210:211], v[94:95]
	;; [unrolled: 3-line block ×10, first 2 shown]
.LBB79_101:
	s_or_b32 exec_lo, exec_lo, s1
	s_mov_b32 s1, exec_lo
	s_waitcnt lgkmcnt(0)
	s_barrier
	buffer_gl0_inv
	v_cmpx_eq_u32_e32 20, v0
	s_cbranch_execz .LBB79_104
; %bb.102:
	ds_write_b64 v1, v[114:115]
	ds_write2_b64 v242, v[96:97], v[112:113] offset0:21 offset1:22
	ds_write2_b64 v242, v[94:95], v[110:111] offset0:23 offset1:24
	;; [unrolled: 1-line block ×9, first 2 shown]
	ds_write_b64 v242, v[154:155] offset:312
	ds_read_b64 v[204:205], v1
	s_waitcnt lgkmcnt(0)
	v_cmp_neq_f64_e32 vcc_lo, 0, v[204:205]
	s_and_b32 exec_lo, exec_lo, vcc_lo
	s_cbranch_execz .LBB79_104
; %bb.103:
	v_div_scale_f64 v[206:207], null, v[204:205], v[204:205], 1.0
	v_rcp_f64_e32 v[208:209], v[206:207]
	v_fma_f64 v[210:211], -v[206:207], v[208:209], 1.0
	v_fma_f64 v[208:209], v[208:209], v[210:211], v[208:209]
	v_fma_f64 v[210:211], -v[206:207], v[208:209], 1.0
	v_fma_f64 v[208:209], v[208:209], v[210:211], v[208:209]
	v_div_scale_f64 v[210:211], vcc_lo, 1.0, v[204:205], 1.0
	v_mul_f64 v[212:213], v[210:211], v[208:209]
	v_fma_f64 v[206:207], -v[206:207], v[212:213], v[210:211]
	v_div_fmas_f64 v[206:207], v[206:207], v[208:209], v[212:213]
	v_div_fixup_f64 v[204:205], v[206:207], v[204:205], 1.0
	ds_write_b64 v1, v[204:205]
.LBB79_104:
	s_or_b32 exec_lo, exec_lo, s1
	s_waitcnt lgkmcnt(0)
	s_barrier
	buffer_gl0_inv
	ds_read_b64 v[204:205], v1
	s_mov_b32 s1, exec_lo
	v_cmpx_lt_u32_e32 20, v0
	s_cbranch_execz .LBB79_106
; %bb.105:
	s_waitcnt lgkmcnt(0)
	v_mul_f64 v[114:115], v[204:205], v[114:115]
	ds_read2_b64 v[206:209], v242 offset0:21 offset1:22
	ds_read2_b64 v[210:213], v242 offset0:23 offset1:24
	;; [unrolled: 1-line block ×9, first 2 shown]
	ds_read_b64 v[243:244], v242 offset:312
	s_waitcnt lgkmcnt(9)
	v_fma_f64 v[96:97], -v[114:115], v[206:207], v[96:97]
	v_fma_f64 v[112:113], -v[114:115], v[208:209], v[112:113]
	s_waitcnt lgkmcnt(8)
	v_fma_f64 v[94:95], -v[114:115], v[210:211], v[94:95]
	v_fma_f64 v[110:111], -v[114:115], v[212:213], v[110:111]
	;; [unrolled: 3-line block ×9, first 2 shown]
	s_waitcnt lgkmcnt(0)
	v_fma_f64 v[154:155], -v[114:115], v[243:244], v[154:155]
.LBB79_106:
	s_or_b32 exec_lo, exec_lo, s1
	s_mov_b32 s1, exec_lo
	s_waitcnt lgkmcnt(0)
	s_barrier
	buffer_gl0_inv
	v_cmpx_eq_u32_e32 21, v0
	s_cbranch_execz .LBB79_109
; %bb.107:
	v_mov_b32_e32 v206, v112
	v_mov_b32_e32 v207, v113
	;; [unrolled: 1-line block ×16, first 2 shown]
	ds_write_b64 v1, v[96:97]
	ds_write2_b64 v242, v[206:207], v[208:209] offset0:22 offset1:23
	ds_write2_b64 v242, v[210:211], v[212:213] offset0:24 offset1:25
	;; [unrolled: 1-line block ×4, first 2 shown]
	v_mov_b32_e32 v206, v104
	v_mov_b32_e32 v207, v105
	;; [unrolled: 1-line block ×18, first 2 shown]
	ds_write2_b64 v242, v[206:207], v[208:209] offset0:30 offset1:31
	ds_write2_b64 v242, v[210:211], v[212:213] offset0:32 offset1:33
	;; [unrolled: 1-line block ×5, first 2 shown]
	ds_read_b64 v[206:207], v1
	s_waitcnt lgkmcnt(0)
	v_cmp_neq_f64_e32 vcc_lo, 0, v[206:207]
	s_and_b32 exec_lo, exec_lo, vcc_lo
	s_cbranch_execz .LBB79_109
; %bb.108:
	v_div_scale_f64 v[208:209], null, v[206:207], v[206:207], 1.0
	v_rcp_f64_e32 v[210:211], v[208:209]
	v_fma_f64 v[212:213], -v[208:209], v[210:211], 1.0
	v_fma_f64 v[210:211], v[210:211], v[212:213], v[210:211]
	v_fma_f64 v[212:213], -v[208:209], v[210:211], 1.0
	v_fma_f64 v[210:211], v[210:211], v[212:213], v[210:211]
	v_div_scale_f64 v[212:213], vcc_lo, 1.0, v[206:207], 1.0
	v_mul_f64 v[214:215], v[212:213], v[210:211]
	v_fma_f64 v[208:209], -v[208:209], v[214:215], v[212:213]
	v_div_fmas_f64 v[208:209], v[208:209], v[210:211], v[214:215]
	v_div_fixup_f64 v[206:207], v[208:209], v[206:207], 1.0
	ds_write_b64 v1, v[206:207]
.LBB79_109:
	s_or_b32 exec_lo, exec_lo, s1
	s_waitcnt lgkmcnt(0)
	s_barrier
	buffer_gl0_inv
	ds_read_b64 v[206:207], v1
	s_mov_b32 s1, exec_lo
	v_cmpx_lt_u32_e32 21, v0
	s_cbranch_execz .LBB79_111
; %bb.110:
	s_waitcnt lgkmcnt(0)
	v_mul_f64 v[96:97], v[206:207], v[96:97]
	ds_read2_b64 v[208:211], v242 offset0:22 offset1:23
	ds_read2_b64 v[212:215], v242 offset0:24 offset1:25
	;; [unrolled: 1-line block ×9, first 2 shown]
	s_waitcnt lgkmcnt(8)
	v_fma_f64 v[112:113], -v[96:97], v[208:209], v[112:113]
	v_fma_f64 v[94:95], -v[96:97], v[210:211], v[94:95]
	s_waitcnt lgkmcnt(7)
	v_fma_f64 v[110:111], -v[96:97], v[212:213], v[110:111]
	v_fma_f64 v[92:93], -v[96:97], v[214:215], v[92:93]
	;; [unrolled: 3-line block ×9, first 2 shown]
.LBB79_111:
	s_or_b32 exec_lo, exec_lo, s1
	s_mov_b32 s1, exec_lo
	s_waitcnt lgkmcnt(0)
	s_barrier
	buffer_gl0_inv
	v_cmpx_eq_u32_e32 22, v0
	s_cbranch_execz .LBB79_114
; %bb.112:
	ds_write_b64 v1, v[112:113]
	ds_write2_b64 v242, v[94:95], v[110:111] offset0:23 offset1:24
	ds_write2_b64 v242, v[92:93], v[108:109] offset0:25 offset1:26
	;; [unrolled: 1-line block ×8, first 2 shown]
	ds_write_b64 v242, v[154:155] offset:312
	ds_read_b64 v[208:209], v1
	s_waitcnt lgkmcnt(0)
	v_cmp_neq_f64_e32 vcc_lo, 0, v[208:209]
	s_and_b32 exec_lo, exec_lo, vcc_lo
	s_cbranch_execz .LBB79_114
; %bb.113:
	v_div_scale_f64 v[210:211], null, v[208:209], v[208:209], 1.0
	v_rcp_f64_e32 v[212:213], v[210:211]
	v_fma_f64 v[214:215], -v[210:211], v[212:213], 1.0
	v_fma_f64 v[212:213], v[212:213], v[214:215], v[212:213]
	v_fma_f64 v[214:215], -v[210:211], v[212:213], 1.0
	v_fma_f64 v[212:213], v[212:213], v[214:215], v[212:213]
	v_div_scale_f64 v[214:215], vcc_lo, 1.0, v[208:209], 1.0
	v_mul_f64 v[216:217], v[214:215], v[212:213]
	v_fma_f64 v[210:211], -v[210:211], v[216:217], v[214:215]
	v_div_fmas_f64 v[210:211], v[210:211], v[212:213], v[216:217]
	v_div_fixup_f64 v[208:209], v[210:211], v[208:209], 1.0
	ds_write_b64 v1, v[208:209]
.LBB79_114:
	s_or_b32 exec_lo, exec_lo, s1
	s_waitcnt lgkmcnt(0)
	s_barrier
	buffer_gl0_inv
	ds_read_b64 v[208:209], v1
	s_mov_b32 s1, exec_lo
	v_cmpx_lt_u32_e32 22, v0
	s_cbranch_execz .LBB79_116
; %bb.115:
	s_waitcnt lgkmcnt(0)
	v_mul_f64 v[112:113], v[208:209], v[112:113]
	ds_read2_b64 v[210:213], v242 offset0:23 offset1:24
	ds_read2_b64 v[214:217], v242 offset0:25 offset1:26
	;; [unrolled: 1-line block ×8, first 2 shown]
	ds_read_b64 v[243:244], v242 offset:312
	s_waitcnt lgkmcnt(8)
	v_fma_f64 v[94:95], -v[112:113], v[210:211], v[94:95]
	v_fma_f64 v[110:111], -v[112:113], v[212:213], v[110:111]
	s_waitcnt lgkmcnt(7)
	v_fma_f64 v[92:93], -v[112:113], v[214:215], v[92:93]
	v_fma_f64 v[108:109], -v[112:113], v[216:217], v[108:109]
	;; [unrolled: 3-line block ×8, first 2 shown]
	s_waitcnt lgkmcnt(0)
	v_fma_f64 v[154:155], -v[112:113], v[243:244], v[154:155]
.LBB79_116:
	s_or_b32 exec_lo, exec_lo, s1
	s_mov_b32 s1, exec_lo
	s_waitcnt lgkmcnt(0)
	s_barrier
	buffer_gl0_inv
	v_cmpx_eq_u32_e32 23, v0
	s_cbranch_execz .LBB79_119
; %bb.117:
	v_mov_b32_e32 v210, v110
	v_mov_b32_e32 v211, v111
	;; [unrolled: 1-line block ×12, first 2 shown]
	ds_write_b64 v1, v[94:95]
	ds_write2_b64 v242, v[210:211], v[212:213] offset0:24 offset1:25
	ds_write2_b64 v242, v[214:215], v[216:217] offset0:26 offset1:27
	;; [unrolled: 1-line block ×3, first 2 shown]
	v_mov_b32_e32 v210, v104
	v_mov_b32_e32 v211, v105
	;; [unrolled: 1-line block ×18, first 2 shown]
	ds_write2_b64 v242, v[210:211], v[212:213] offset0:30 offset1:31
	ds_write2_b64 v242, v[214:215], v[216:217] offset0:32 offset1:33
	;; [unrolled: 1-line block ×5, first 2 shown]
	ds_read_b64 v[210:211], v1
	s_waitcnt lgkmcnt(0)
	v_cmp_neq_f64_e32 vcc_lo, 0, v[210:211]
	s_and_b32 exec_lo, exec_lo, vcc_lo
	s_cbranch_execz .LBB79_119
; %bb.118:
	v_div_scale_f64 v[212:213], null, v[210:211], v[210:211], 1.0
	v_rcp_f64_e32 v[214:215], v[212:213]
	v_fma_f64 v[216:217], -v[212:213], v[214:215], 1.0
	v_fma_f64 v[214:215], v[214:215], v[216:217], v[214:215]
	v_fma_f64 v[216:217], -v[212:213], v[214:215], 1.0
	v_fma_f64 v[214:215], v[214:215], v[216:217], v[214:215]
	v_div_scale_f64 v[216:217], vcc_lo, 1.0, v[210:211], 1.0
	v_mul_f64 v[218:219], v[216:217], v[214:215]
	v_fma_f64 v[212:213], -v[212:213], v[218:219], v[216:217]
	v_div_fmas_f64 v[212:213], v[212:213], v[214:215], v[218:219]
	v_div_fixup_f64 v[210:211], v[212:213], v[210:211], 1.0
	ds_write_b64 v1, v[210:211]
.LBB79_119:
	s_or_b32 exec_lo, exec_lo, s1
	s_waitcnt lgkmcnt(0)
	s_barrier
	buffer_gl0_inv
	ds_read_b64 v[210:211], v1
	s_mov_b32 s1, exec_lo
	v_cmpx_lt_u32_e32 23, v0
	s_cbranch_execz .LBB79_121
; %bb.120:
	s_waitcnt lgkmcnt(0)
	v_mul_f64 v[94:95], v[210:211], v[94:95]
	ds_read2_b64 v[212:215], v242 offset0:24 offset1:25
	ds_read2_b64 v[216:219], v242 offset0:26 offset1:27
	;; [unrolled: 1-line block ×8, first 2 shown]
	s_waitcnt lgkmcnt(7)
	v_fma_f64 v[110:111], -v[94:95], v[212:213], v[110:111]
	v_fma_f64 v[92:93], -v[94:95], v[214:215], v[92:93]
	s_waitcnt lgkmcnt(6)
	v_fma_f64 v[108:109], -v[94:95], v[216:217], v[108:109]
	v_fma_f64 v[90:91], -v[94:95], v[218:219], v[90:91]
	;; [unrolled: 3-line block ×8, first 2 shown]
.LBB79_121:
	s_or_b32 exec_lo, exec_lo, s1
	s_mov_b32 s1, exec_lo
	s_waitcnt lgkmcnt(0)
	s_barrier
	buffer_gl0_inv
	v_cmpx_eq_u32_e32 24, v0
	s_cbranch_execz .LBB79_124
; %bb.122:
	ds_write_b64 v1, v[110:111]
	ds_write2_b64 v242, v[92:93], v[108:109] offset0:25 offset1:26
	ds_write2_b64 v242, v[90:91], v[106:107] offset0:27 offset1:28
	;; [unrolled: 1-line block ×7, first 2 shown]
	ds_write_b64 v242, v[154:155] offset:312
	ds_read_b64 v[212:213], v1
	s_waitcnt lgkmcnt(0)
	v_cmp_neq_f64_e32 vcc_lo, 0, v[212:213]
	s_and_b32 exec_lo, exec_lo, vcc_lo
	s_cbranch_execz .LBB79_124
; %bb.123:
	v_div_scale_f64 v[214:215], null, v[212:213], v[212:213], 1.0
	v_rcp_f64_e32 v[216:217], v[214:215]
	v_fma_f64 v[218:219], -v[214:215], v[216:217], 1.0
	v_fma_f64 v[216:217], v[216:217], v[218:219], v[216:217]
	v_fma_f64 v[218:219], -v[214:215], v[216:217], 1.0
	v_fma_f64 v[216:217], v[216:217], v[218:219], v[216:217]
	v_div_scale_f64 v[218:219], vcc_lo, 1.0, v[212:213], 1.0
	v_mul_f64 v[220:221], v[218:219], v[216:217]
	v_fma_f64 v[214:215], -v[214:215], v[220:221], v[218:219]
	v_div_fmas_f64 v[214:215], v[214:215], v[216:217], v[220:221]
	v_div_fixup_f64 v[212:213], v[214:215], v[212:213], 1.0
	ds_write_b64 v1, v[212:213]
.LBB79_124:
	s_or_b32 exec_lo, exec_lo, s1
	s_waitcnt lgkmcnt(0)
	s_barrier
	buffer_gl0_inv
	ds_read_b64 v[212:213], v1
	s_mov_b32 s1, exec_lo
	v_cmpx_lt_u32_e32 24, v0
	s_cbranch_execz .LBB79_126
; %bb.125:
	s_waitcnt lgkmcnt(0)
	v_mul_f64 v[110:111], v[212:213], v[110:111]
	ds_read2_b64 v[214:217], v242 offset0:25 offset1:26
	ds_read2_b64 v[218:221], v242 offset0:27 offset1:28
	;; [unrolled: 1-line block ×7, first 2 shown]
	ds_read_b64 v[243:244], v242 offset:312
	s_waitcnt lgkmcnt(7)
	v_fma_f64 v[92:93], -v[110:111], v[214:215], v[92:93]
	v_fma_f64 v[108:109], -v[110:111], v[216:217], v[108:109]
	s_waitcnt lgkmcnt(6)
	v_fma_f64 v[90:91], -v[110:111], v[218:219], v[90:91]
	v_fma_f64 v[106:107], -v[110:111], v[220:221], v[106:107]
	;; [unrolled: 3-line block ×7, first 2 shown]
	s_waitcnt lgkmcnt(0)
	v_fma_f64 v[154:155], -v[110:111], v[243:244], v[154:155]
.LBB79_126:
	s_or_b32 exec_lo, exec_lo, s1
	s_mov_b32 s1, exec_lo
	s_waitcnt lgkmcnt(0)
	s_barrier
	buffer_gl0_inv
	v_cmpx_eq_u32_e32 25, v0
	s_cbranch_execz .LBB79_129
; %bb.127:
	v_mov_b32_e32 v214, v108
	v_mov_b32_e32 v215, v109
	;; [unrolled: 1-line block ×8, first 2 shown]
	ds_write_b64 v1, v[92:93]
	ds_write2_b64 v242, v[214:215], v[216:217] offset0:26 offset1:27
	ds_write2_b64 v242, v[218:219], v[220:221] offset0:28 offset1:29
	v_mov_b32_e32 v214, v104
	v_mov_b32_e32 v215, v105
	;; [unrolled: 1-line block ×18, first 2 shown]
	ds_write2_b64 v242, v[214:215], v[216:217] offset0:30 offset1:31
	ds_write2_b64 v242, v[218:219], v[220:221] offset0:32 offset1:33
	;; [unrolled: 1-line block ×5, first 2 shown]
	ds_read_b64 v[214:215], v1
	s_waitcnt lgkmcnt(0)
	v_cmp_neq_f64_e32 vcc_lo, 0, v[214:215]
	s_and_b32 exec_lo, exec_lo, vcc_lo
	s_cbranch_execz .LBB79_129
; %bb.128:
	v_div_scale_f64 v[216:217], null, v[214:215], v[214:215], 1.0
	v_rcp_f64_e32 v[218:219], v[216:217]
	v_fma_f64 v[220:221], -v[216:217], v[218:219], 1.0
	v_fma_f64 v[218:219], v[218:219], v[220:221], v[218:219]
	v_fma_f64 v[220:221], -v[216:217], v[218:219], 1.0
	v_fma_f64 v[218:219], v[218:219], v[220:221], v[218:219]
	v_div_scale_f64 v[220:221], vcc_lo, 1.0, v[214:215], 1.0
	v_mul_f64 v[222:223], v[220:221], v[218:219]
	v_fma_f64 v[216:217], -v[216:217], v[222:223], v[220:221]
	v_div_fmas_f64 v[216:217], v[216:217], v[218:219], v[222:223]
	v_div_fixup_f64 v[214:215], v[216:217], v[214:215], 1.0
	ds_write_b64 v1, v[214:215]
.LBB79_129:
	s_or_b32 exec_lo, exec_lo, s1
	s_waitcnt lgkmcnt(0)
	s_barrier
	buffer_gl0_inv
	ds_read_b64 v[214:215], v1
	s_mov_b32 s1, exec_lo
	v_cmpx_lt_u32_e32 25, v0
	s_cbranch_execz .LBB79_131
; %bb.130:
	s_waitcnt lgkmcnt(0)
	v_mul_f64 v[92:93], v[214:215], v[92:93]
	ds_read2_b64 v[216:219], v242 offset0:26 offset1:27
	ds_read2_b64 v[220:223], v242 offset0:28 offset1:29
	;; [unrolled: 1-line block ×7, first 2 shown]
	s_waitcnt lgkmcnt(6)
	v_fma_f64 v[108:109], -v[92:93], v[216:217], v[108:109]
	v_fma_f64 v[90:91], -v[92:93], v[218:219], v[90:91]
	s_waitcnt lgkmcnt(5)
	v_fma_f64 v[106:107], -v[92:93], v[220:221], v[106:107]
	v_fma_f64 v[88:89], -v[92:93], v[222:223], v[88:89]
	;; [unrolled: 3-line block ×7, first 2 shown]
.LBB79_131:
	s_or_b32 exec_lo, exec_lo, s1
	s_mov_b32 s1, exec_lo
	s_waitcnt lgkmcnt(0)
	s_barrier
	buffer_gl0_inv
	v_cmpx_eq_u32_e32 26, v0
	s_cbranch_execz .LBB79_134
; %bb.132:
	ds_write_b64 v1, v[108:109]
	ds_write2_b64 v242, v[90:91], v[106:107] offset0:27 offset1:28
	ds_write2_b64 v242, v[88:89], v[104:105] offset0:29 offset1:30
	;; [unrolled: 1-line block ×6, first 2 shown]
	ds_write_b64 v242, v[154:155] offset:312
	ds_read_b64 v[216:217], v1
	s_waitcnt lgkmcnt(0)
	v_cmp_neq_f64_e32 vcc_lo, 0, v[216:217]
	s_and_b32 exec_lo, exec_lo, vcc_lo
	s_cbranch_execz .LBB79_134
; %bb.133:
	v_div_scale_f64 v[218:219], null, v[216:217], v[216:217], 1.0
	v_rcp_f64_e32 v[220:221], v[218:219]
	v_fma_f64 v[222:223], -v[218:219], v[220:221], 1.0
	v_fma_f64 v[220:221], v[220:221], v[222:223], v[220:221]
	v_fma_f64 v[222:223], -v[218:219], v[220:221], 1.0
	v_fma_f64 v[220:221], v[220:221], v[222:223], v[220:221]
	v_div_scale_f64 v[222:223], vcc_lo, 1.0, v[216:217], 1.0
	v_mul_f64 v[224:225], v[222:223], v[220:221]
	v_fma_f64 v[218:219], -v[218:219], v[224:225], v[222:223]
	v_div_fmas_f64 v[218:219], v[218:219], v[220:221], v[224:225]
	v_div_fixup_f64 v[216:217], v[218:219], v[216:217], 1.0
	ds_write_b64 v1, v[216:217]
.LBB79_134:
	s_or_b32 exec_lo, exec_lo, s1
	s_waitcnt lgkmcnt(0)
	s_barrier
	buffer_gl0_inv
	ds_read_b64 v[216:217], v1
	s_mov_b32 s1, exec_lo
	v_cmpx_lt_u32_e32 26, v0
	s_cbranch_execz .LBB79_136
; %bb.135:
	s_waitcnt lgkmcnt(0)
	v_mul_f64 v[108:109], v[216:217], v[108:109]
	ds_read2_b64 v[218:221], v242 offset0:27 offset1:28
	ds_read2_b64 v[222:225], v242 offset0:29 offset1:30
	;; [unrolled: 1-line block ×6, first 2 shown]
	ds_read_b64 v[243:244], v242 offset:312
	s_waitcnt lgkmcnt(6)
	v_fma_f64 v[90:91], -v[108:109], v[218:219], v[90:91]
	v_fma_f64 v[106:107], -v[108:109], v[220:221], v[106:107]
	s_waitcnt lgkmcnt(5)
	v_fma_f64 v[88:89], -v[108:109], v[222:223], v[88:89]
	v_fma_f64 v[104:105], -v[108:109], v[224:225], v[104:105]
	;; [unrolled: 3-line block ×6, first 2 shown]
	s_waitcnt lgkmcnt(0)
	v_fma_f64 v[154:155], -v[108:109], v[243:244], v[154:155]
.LBB79_136:
	s_or_b32 exec_lo, exec_lo, s1
	s_mov_b32 s1, exec_lo
	s_waitcnt lgkmcnt(0)
	s_barrier
	buffer_gl0_inv
	v_cmpx_eq_u32_e32 27, v0
	s_cbranch_execz .LBB79_139
; %bb.137:
	v_mov_b32_e32 v218, v106
	v_mov_b32_e32 v219, v107
	;; [unrolled: 1-line block ×4, first 2 shown]
	ds_write_b64 v1, v[90:91]
	ds_write2_b64 v242, v[218:219], v[220:221] offset0:28 offset1:29
	v_mov_b32_e32 v218, v104
	v_mov_b32_e32 v219, v105
	;; [unrolled: 1-line block ×18, first 2 shown]
	ds_write2_b64 v242, v[218:219], v[220:221] offset0:30 offset1:31
	ds_write2_b64 v242, v[222:223], v[224:225] offset0:32 offset1:33
	;; [unrolled: 1-line block ×5, first 2 shown]
	ds_read_b64 v[218:219], v1
	s_waitcnt lgkmcnt(0)
	v_cmp_neq_f64_e32 vcc_lo, 0, v[218:219]
	s_and_b32 exec_lo, exec_lo, vcc_lo
	s_cbranch_execz .LBB79_139
; %bb.138:
	v_div_scale_f64 v[220:221], null, v[218:219], v[218:219], 1.0
	v_rcp_f64_e32 v[222:223], v[220:221]
	v_fma_f64 v[224:225], -v[220:221], v[222:223], 1.0
	v_fma_f64 v[222:223], v[222:223], v[224:225], v[222:223]
	v_fma_f64 v[224:225], -v[220:221], v[222:223], 1.0
	v_fma_f64 v[222:223], v[222:223], v[224:225], v[222:223]
	v_div_scale_f64 v[224:225], vcc_lo, 1.0, v[218:219], 1.0
	v_mul_f64 v[226:227], v[224:225], v[222:223]
	v_fma_f64 v[220:221], -v[220:221], v[226:227], v[224:225]
	v_div_fmas_f64 v[220:221], v[220:221], v[222:223], v[226:227]
	v_div_fixup_f64 v[218:219], v[220:221], v[218:219], 1.0
	ds_write_b64 v1, v[218:219]
.LBB79_139:
	s_or_b32 exec_lo, exec_lo, s1
	s_waitcnt lgkmcnt(0)
	s_barrier
	buffer_gl0_inv
	ds_read_b64 v[218:219], v1
	s_mov_b32 s1, exec_lo
	v_cmpx_lt_u32_e32 27, v0
	s_cbranch_execz .LBB79_141
; %bb.140:
	s_waitcnt lgkmcnt(0)
	v_mul_f64 v[90:91], v[218:219], v[90:91]
	ds_read2_b64 v[220:223], v242 offset0:28 offset1:29
	ds_read2_b64 v[224:227], v242 offset0:30 offset1:31
	;; [unrolled: 1-line block ×6, first 2 shown]
	s_waitcnt lgkmcnt(5)
	v_fma_f64 v[106:107], -v[90:91], v[220:221], v[106:107]
	v_fma_f64 v[88:89], -v[90:91], v[222:223], v[88:89]
	s_waitcnt lgkmcnt(4)
	v_fma_f64 v[104:105], -v[90:91], v[224:225], v[104:105]
	v_fma_f64 v[86:87], -v[90:91], v[226:227], v[86:87]
	;; [unrolled: 3-line block ×6, first 2 shown]
.LBB79_141:
	s_or_b32 exec_lo, exec_lo, s1
	s_mov_b32 s1, exec_lo
	s_waitcnt lgkmcnt(0)
	s_barrier
	buffer_gl0_inv
	v_cmpx_eq_u32_e32 28, v0
	s_cbranch_execz .LBB79_144
; %bb.142:
	ds_write_b64 v1, v[106:107]
	ds_write2_b64 v242, v[88:89], v[104:105] offset0:29 offset1:30
	ds_write2_b64 v242, v[86:87], v[102:103] offset0:31 offset1:32
	;; [unrolled: 1-line block ×5, first 2 shown]
	ds_write_b64 v242, v[154:155] offset:312
	ds_read_b64 v[220:221], v1
	s_waitcnt lgkmcnt(0)
	v_cmp_neq_f64_e32 vcc_lo, 0, v[220:221]
	s_and_b32 exec_lo, exec_lo, vcc_lo
	s_cbranch_execz .LBB79_144
; %bb.143:
	v_div_scale_f64 v[222:223], null, v[220:221], v[220:221], 1.0
	v_rcp_f64_e32 v[224:225], v[222:223]
	v_fma_f64 v[226:227], -v[222:223], v[224:225], 1.0
	v_fma_f64 v[224:225], v[224:225], v[226:227], v[224:225]
	v_fma_f64 v[226:227], -v[222:223], v[224:225], 1.0
	v_fma_f64 v[224:225], v[224:225], v[226:227], v[224:225]
	v_div_scale_f64 v[226:227], vcc_lo, 1.0, v[220:221], 1.0
	v_mul_f64 v[228:229], v[226:227], v[224:225]
	v_fma_f64 v[222:223], -v[222:223], v[228:229], v[226:227]
	v_div_fmas_f64 v[222:223], v[222:223], v[224:225], v[228:229]
	v_div_fixup_f64 v[220:221], v[222:223], v[220:221], 1.0
	ds_write_b64 v1, v[220:221]
.LBB79_144:
	s_or_b32 exec_lo, exec_lo, s1
	s_waitcnt lgkmcnt(0)
	s_barrier
	buffer_gl0_inv
	ds_read_b64 v[220:221], v1
	s_mov_b32 s1, exec_lo
	v_cmpx_lt_u32_e32 28, v0
	s_cbranch_execz .LBB79_146
; %bb.145:
	s_waitcnt lgkmcnt(0)
	v_mul_f64 v[106:107], v[220:221], v[106:107]
	ds_read2_b64 v[222:225], v242 offset0:29 offset1:30
	ds_read2_b64 v[226:229], v242 offset0:31 offset1:32
	;; [unrolled: 1-line block ×5, first 2 shown]
	ds_read_b64 v[243:244], v242 offset:312
	s_waitcnt lgkmcnt(5)
	v_fma_f64 v[88:89], -v[106:107], v[222:223], v[88:89]
	v_fma_f64 v[104:105], -v[106:107], v[224:225], v[104:105]
	s_waitcnt lgkmcnt(4)
	v_fma_f64 v[86:87], -v[106:107], v[226:227], v[86:87]
	v_fma_f64 v[102:103], -v[106:107], v[228:229], v[102:103]
	s_waitcnt lgkmcnt(3)
	v_fma_f64 v[84:85], -v[106:107], v[230:231], v[84:85]
	v_fma_f64 v[100:101], -v[106:107], v[232:233], v[100:101]
	s_waitcnt lgkmcnt(2)
	v_fma_f64 v[82:83], -v[106:107], v[234:235], v[82:83]
	v_fma_f64 v[152:153], -v[106:107], v[236:237], v[152:153]
	s_waitcnt lgkmcnt(1)
	v_fma_f64 v[148:149], -v[106:107], v[238:239], v[148:149]
	v_fma_f64 v[150:151], -v[106:107], v[240:241], v[150:151]
	s_waitcnt lgkmcnt(0)
	v_fma_f64 v[154:155], -v[106:107], v[243:244], v[154:155]
.LBB79_146:
	s_or_b32 exec_lo, exec_lo, s1
	s_mov_b32 s1, exec_lo
	s_waitcnt lgkmcnt(0)
	s_barrier
	buffer_gl0_inv
	v_cmpx_eq_u32_e32 29, v0
	s_cbranch_execz .LBB79_149
; %bb.147:
	v_mov_b32_e32 v222, v104
	v_mov_b32_e32 v223, v105
	;; [unrolled: 1-line block ×18, first 2 shown]
	ds_write_b64 v1, v[88:89]
	ds_write2_b64 v242, v[222:223], v[224:225] offset0:30 offset1:31
	ds_write2_b64 v242, v[226:227], v[228:229] offset0:32 offset1:33
	;; [unrolled: 1-line block ×5, first 2 shown]
	ds_read_b64 v[222:223], v1
	s_waitcnt lgkmcnt(0)
	v_cmp_neq_f64_e32 vcc_lo, 0, v[222:223]
	s_and_b32 exec_lo, exec_lo, vcc_lo
	s_cbranch_execz .LBB79_149
; %bb.148:
	v_div_scale_f64 v[224:225], null, v[222:223], v[222:223], 1.0
	v_rcp_f64_e32 v[226:227], v[224:225]
	v_fma_f64 v[228:229], -v[224:225], v[226:227], 1.0
	v_fma_f64 v[226:227], v[226:227], v[228:229], v[226:227]
	v_fma_f64 v[228:229], -v[224:225], v[226:227], 1.0
	v_fma_f64 v[226:227], v[226:227], v[228:229], v[226:227]
	v_div_scale_f64 v[228:229], vcc_lo, 1.0, v[222:223], 1.0
	v_mul_f64 v[230:231], v[228:229], v[226:227]
	v_fma_f64 v[224:225], -v[224:225], v[230:231], v[228:229]
	v_div_fmas_f64 v[224:225], v[224:225], v[226:227], v[230:231]
	v_div_fixup_f64 v[222:223], v[224:225], v[222:223], 1.0
	ds_write_b64 v1, v[222:223]
.LBB79_149:
	s_or_b32 exec_lo, exec_lo, s1
	s_waitcnt lgkmcnt(0)
	s_barrier
	buffer_gl0_inv
	ds_read_b64 v[222:223], v1
	s_mov_b32 s1, exec_lo
	v_cmpx_lt_u32_e32 29, v0
	s_cbranch_execz .LBB79_151
; %bb.150:
	s_waitcnt lgkmcnt(0)
	v_mul_f64 v[88:89], v[222:223], v[88:89]
	ds_read2_b64 v[224:227], v242 offset0:30 offset1:31
	ds_read2_b64 v[228:231], v242 offset0:32 offset1:33
	;; [unrolled: 1-line block ×5, first 2 shown]
	s_waitcnt lgkmcnt(4)
	v_fma_f64 v[104:105], -v[88:89], v[224:225], v[104:105]
	v_fma_f64 v[86:87], -v[88:89], v[226:227], v[86:87]
	s_waitcnt lgkmcnt(3)
	v_fma_f64 v[102:103], -v[88:89], v[228:229], v[102:103]
	v_fma_f64 v[84:85], -v[88:89], v[230:231], v[84:85]
	;; [unrolled: 3-line block ×5, first 2 shown]
.LBB79_151:
	s_or_b32 exec_lo, exec_lo, s1
	s_mov_b32 s1, exec_lo
	s_waitcnt lgkmcnt(0)
	s_barrier
	buffer_gl0_inv
	v_cmpx_eq_u32_e32 30, v0
	s_cbranch_execz .LBB79_154
; %bb.152:
	ds_write_b64 v1, v[104:105]
	ds_write2_b64 v242, v[86:87], v[102:103] offset0:31 offset1:32
	ds_write2_b64 v242, v[84:85], v[100:101] offset0:33 offset1:34
	;; [unrolled: 1-line block ×4, first 2 shown]
	ds_write_b64 v242, v[154:155] offset:312
	ds_read_b64 v[224:225], v1
	s_waitcnt lgkmcnt(0)
	v_cmp_neq_f64_e32 vcc_lo, 0, v[224:225]
	s_and_b32 exec_lo, exec_lo, vcc_lo
	s_cbranch_execz .LBB79_154
; %bb.153:
	v_div_scale_f64 v[226:227], null, v[224:225], v[224:225], 1.0
	v_rcp_f64_e32 v[228:229], v[226:227]
	v_fma_f64 v[230:231], -v[226:227], v[228:229], 1.0
	v_fma_f64 v[228:229], v[228:229], v[230:231], v[228:229]
	v_fma_f64 v[230:231], -v[226:227], v[228:229], 1.0
	v_fma_f64 v[228:229], v[228:229], v[230:231], v[228:229]
	v_div_scale_f64 v[230:231], vcc_lo, 1.0, v[224:225], 1.0
	v_mul_f64 v[232:233], v[230:231], v[228:229]
	v_fma_f64 v[226:227], -v[226:227], v[232:233], v[230:231]
	v_div_fmas_f64 v[226:227], v[226:227], v[228:229], v[232:233]
	v_div_fixup_f64 v[224:225], v[226:227], v[224:225], 1.0
	ds_write_b64 v1, v[224:225]
.LBB79_154:
	s_or_b32 exec_lo, exec_lo, s1
	s_waitcnt lgkmcnt(0)
	s_barrier
	buffer_gl0_inv
	ds_read_b64 v[224:225], v1
	s_mov_b32 s1, exec_lo
	v_cmpx_lt_u32_e32 30, v0
	s_cbranch_execz .LBB79_156
; %bb.155:
	s_waitcnt lgkmcnt(0)
	v_mul_f64 v[104:105], v[224:225], v[104:105]
	ds_read2_b64 v[226:229], v242 offset0:31 offset1:32
	ds_read2_b64 v[230:233], v242 offset0:33 offset1:34
	;; [unrolled: 1-line block ×4, first 2 shown]
	ds_read_b64 v[243:244], v242 offset:312
	s_waitcnt lgkmcnt(4)
	v_fma_f64 v[86:87], -v[104:105], v[226:227], v[86:87]
	v_fma_f64 v[102:103], -v[104:105], v[228:229], v[102:103]
	s_waitcnt lgkmcnt(3)
	v_fma_f64 v[84:85], -v[104:105], v[230:231], v[84:85]
	v_fma_f64 v[100:101], -v[104:105], v[232:233], v[100:101]
	;; [unrolled: 3-line block ×4, first 2 shown]
	s_waitcnt lgkmcnt(0)
	v_fma_f64 v[154:155], -v[104:105], v[243:244], v[154:155]
.LBB79_156:
	s_or_b32 exec_lo, exec_lo, s1
	s_mov_b32 s1, exec_lo
	s_waitcnt lgkmcnt(0)
	s_barrier
	buffer_gl0_inv
	v_cmpx_eq_u32_e32 31, v0
	s_cbranch_execz .LBB79_159
; %bb.157:
	v_mov_b32_e32 v226, v102
	v_mov_b32_e32 v227, v103
	;; [unrolled: 1-line block ×14, first 2 shown]
	ds_write_b64 v1, v[86:87]
	ds_write2_b64 v242, v[226:227], v[228:229] offset0:32 offset1:33
	ds_write2_b64 v242, v[230:231], v[232:233] offset0:34 offset1:35
	;; [unrolled: 1-line block ×4, first 2 shown]
	ds_read_b64 v[226:227], v1
	s_waitcnt lgkmcnt(0)
	v_cmp_neq_f64_e32 vcc_lo, 0, v[226:227]
	s_and_b32 exec_lo, exec_lo, vcc_lo
	s_cbranch_execz .LBB79_159
; %bb.158:
	v_div_scale_f64 v[228:229], null, v[226:227], v[226:227], 1.0
	v_rcp_f64_e32 v[230:231], v[228:229]
	v_fma_f64 v[232:233], -v[228:229], v[230:231], 1.0
	v_fma_f64 v[230:231], v[230:231], v[232:233], v[230:231]
	v_fma_f64 v[232:233], -v[228:229], v[230:231], 1.0
	v_fma_f64 v[230:231], v[230:231], v[232:233], v[230:231]
	v_div_scale_f64 v[232:233], vcc_lo, 1.0, v[226:227], 1.0
	v_mul_f64 v[234:235], v[232:233], v[230:231]
	v_fma_f64 v[228:229], -v[228:229], v[234:235], v[232:233]
	v_div_fmas_f64 v[228:229], v[228:229], v[230:231], v[234:235]
	v_div_fixup_f64 v[226:227], v[228:229], v[226:227], 1.0
	ds_write_b64 v1, v[226:227]
.LBB79_159:
	s_or_b32 exec_lo, exec_lo, s1
	s_waitcnt lgkmcnt(0)
	s_barrier
	buffer_gl0_inv
	ds_read_b64 v[226:227], v1
	s_mov_b32 s1, exec_lo
	v_cmpx_lt_u32_e32 31, v0
	s_cbranch_execz .LBB79_161
; %bb.160:
	s_waitcnt lgkmcnt(0)
	v_mul_f64 v[86:87], v[226:227], v[86:87]
	ds_read2_b64 v[228:231], v242 offset0:32 offset1:33
	ds_read2_b64 v[232:235], v242 offset0:34 offset1:35
	;; [unrolled: 1-line block ×4, first 2 shown]
	s_waitcnt lgkmcnt(3)
	v_fma_f64 v[102:103], -v[86:87], v[228:229], v[102:103]
	v_fma_f64 v[84:85], -v[86:87], v[230:231], v[84:85]
	s_waitcnt lgkmcnt(2)
	v_fma_f64 v[100:101], -v[86:87], v[232:233], v[100:101]
	v_fma_f64 v[82:83], -v[86:87], v[234:235], v[82:83]
	;; [unrolled: 3-line block ×4, first 2 shown]
.LBB79_161:
	s_or_b32 exec_lo, exec_lo, s1
	s_mov_b32 s1, exec_lo
	s_waitcnt lgkmcnt(0)
	s_barrier
	buffer_gl0_inv
	v_cmpx_eq_u32_e32 32, v0
	s_cbranch_execz .LBB79_164
; %bb.162:
	ds_write_b64 v1, v[102:103]
	ds_write2_b64 v242, v[84:85], v[100:101] offset0:33 offset1:34
	ds_write2_b64 v242, v[82:83], v[152:153] offset0:35 offset1:36
	;; [unrolled: 1-line block ×3, first 2 shown]
	ds_write_b64 v242, v[154:155] offset:312
	ds_read_b64 v[228:229], v1
	s_waitcnt lgkmcnt(0)
	v_cmp_neq_f64_e32 vcc_lo, 0, v[228:229]
	s_and_b32 exec_lo, exec_lo, vcc_lo
	s_cbranch_execz .LBB79_164
; %bb.163:
	v_div_scale_f64 v[230:231], null, v[228:229], v[228:229], 1.0
	v_rcp_f64_e32 v[232:233], v[230:231]
	v_fma_f64 v[234:235], -v[230:231], v[232:233], 1.0
	v_fma_f64 v[232:233], v[232:233], v[234:235], v[232:233]
	v_fma_f64 v[234:235], -v[230:231], v[232:233], 1.0
	v_fma_f64 v[232:233], v[232:233], v[234:235], v[232:233]
	v_div_scale_f64 v[234:235], vcc_lo, 1.0, v[228:229], 1.0
	v_mul_f64 v[236:237], v[234:235], v[232:233]
	v_fma_f64 v[230:231], -v[230:231], v[236:237], v[234:235]
	v_div_fmas_f64 v[230:231], v[230:231], v[232:233], v[236:237]
	v_div_fixup_f64 v[228:229], v[230:231], v[228:229], 1.0
	ds_write_b64 v1, v[228:229]
.LBB79_164:
	s_or_b32 exec_lo, exec_lo, s1
	s_waitcnt lgkmcnt(0)
	s_barrier
	buffer_gl0_inv
	ds_read_b64 v[228:229], v1
	s_mov_b32 s1, exec_lo
	v_cmpx_lt_u32_e32 32, v0
	s_cbranch_execz .LBB79_166
; %bb.165:
	s_waitcnt lgkmcnt(0)
	v_mul_f64 v[102:103], v[228:229], v[102:103]
	ds_read2_b64 v[230:233], v242 offset0:33 offset1:34
	ds_read2_b64 v[234:237], v242 offset0:35 offset1:36
	;; [unrolled: 1-line block ×3, first 2 shown]
	ds_read_b64 v[243:244], v242 offset:312
	s_waitcnt lgkmcnt(3)
	v_fma_f64 v[84:85], -v[102:103], v[230:231], v[84:85]
	v_fma_f64 v[100:101], -v[102:103], v[232:233], v[100:101]
	s_waitcnt lgkmcnt(2)
	v_fma_f64 v[82:83], -v[102:103], v[234:235], v[82:83]
	v_fma_f64 v[152:153], -v[102:103], v[236:237], v[152:153]
	;; [unrolled: 3-line block ×3, first 2 shown]
	s_waitcnt lgkmcnt(0)
	v_fma_f64 v[154:155], -v[102:103], v[243:244], v[154:155]
.LBB79_166:
	s_or_b32 exec_lo, exec_lo, s1
	s_mov_b32 s1, exec_lo
	s_waitcnt lgkmcnt(0)
	s_barrier
	buffer_gl0_inv
	v_cmpx_eq_u32_e32 33, v0
	s_cbranch_execz .LBB79_169
; %bb.167:
	v_mov_b32_e32 v230, v100
	v_mov_b32_e32 v231, v101
	;; [unrolled: 1-line block ×10, first 2 shown]
	ds_write_b64 v1, v[84:85]
	ds_write2_b64 v242, v[230:231], v[232:233] offset0:34 offset1:35
	ds_write2_b64 v242, v[234:235], v[236:237] offset0:36 offset1:37
	;; [unrolled: 1-line block ×3, first 2 shown]
	ds_read_b64 v[230:231], v1
	s_waitcnt lgkmcnt(0)
	v_cmp_neq_f64_e32 vcc_lo, 0, v[230:231]
	s_and_b32 exec_lo, exec_lo, vcc_lo
	s_cbranch_execz .LBB79_169
; %bb.168:
	v_div_scale_f64 v[232:233], null, v[230:231], v[230:231], 1.0
	v_rcp_f64_e32 v[234:235], v[232:233]
	v_fma_f64 v[236:237], -v[232:233], v[234:235], 1.0
	v_fma_f64 v[234:235], v[234:235], v[236:237], v[234:235]
	v_fma_f64 v[236:237], -v[232:233], v[234:235], 1.0
	v_fma_f64 v[234:235], v[234:235], v[236:237], v[234:235]
	v_div_scale_f64 v[236:237], vcc_lo, 1.0, v[230:231], 1.0
	v_mul_f64 v[238:239], v[236:237], v[234:235]
	v_fma_f64 v[232:233], -v[232:233], v[238:239], v[236:237]
	v_div_fmas_f64 v[232:233], v[232:233], v[234:235], v[238:239]
	v_div_fixup_f64 v[230:231], v[232:233], v[230:231], 1.0
	ds_write_b64 v1, v[230:231]
.LBB79_169:
	s_or_b32 exec_lo, exec_lo, s1
	s_waitcnt lgkmcnt(0)
	s_barrier
	buffer_gl0_inv
	ds_read_b64 v[230:231], v1
	s_mov_b32 s1, exec_lo
	v_cmpx_lt_u32_e32 33, v0
	s_cbranch_execz .LBB79_171
; %bb.170:
	s_waitcnt lgkmcnt(0)
	v_mul_f64 v[84:85], v[230:231], v[84:85]
	ds_read2_b64 v[232:235], v242 offset0:34 offset1:35
	ds_read2_b64 v[236:239], v242 offset0:36 offset1:37
	;; [unrolled: 1-line block ×3, first 2 shown]
	s_waitcnt lgkmcnt(2)
	v_fma_f64 v[100:101], -v[84:85], v[232:233], v[100:101]
	v_fma_f64 v[82:83], -v[84:85], v[234:235], v[82:83]
	s_waitcnt lgkmcnt(1)
	v_fma_f64 v[152:153], -v[84:85], v[236:237], v[152:153]
	v_fma_f64 v[148:149], -v[84:85], v[238:239], v[148:149]
	;; [unrolled: 3-line block ×3, first 2 shown]
.LBB79_171:
	s_or_b32 exec_lo, exec_lo, s1
	s_mov_b32 s1, exec_lo
	s_waitcnt lgkmcnt(0)
	s_barrier
	buffer_gl0_inv
	v_cmpx_eq_u32_e32 34, v0
	s_cbranch_execz .LBB79_174
; %bb.172:
	ds_write_b64 v1, v[100:101]
	ds_write2_b64 v242, v[82:83], v[152:153] offset0:35 offset1:36
	ds_write2_b64 v242, v[148:149], v[150:151] offset0:37 offset1:38
	ds_write_b64 v242, v[154:155] offset:312
	ds_read_b64 v[232:233], v1
	s_waitcnt lgkmcnt(0)
	v_cmp_neq_f64_e32 vcc_lo, 0, v[232:233]
	s_and_b32 exec_lo, exec_lo, vcc_lo
	s_cbranch_execz .LBB79_174
; %bb.173:
	v_div_scale_f64 v[234:235], null, v[232:233], v[232:233], 1.0
	v_rcp_f64_e32 v[236:237], v[234:235]
	v_fma_f64 v[238:239], -v[234:235], v[236:237], 1.0
	v_fma_f64 v[236:237], v[236:237], v[238:239], v[236:237]
	v_fma_f64 v[238:239], -v[234:235], v[236:237], 1.0
	v_fma_f64 v[236:237], v[236:237], v[238:239], v[236:237]
	v_div_scale_f64 v[238:239], vcc_lo, 1.0, v[232:233], 1.0
	v_mul_f64 v[240:241], v[238:239], v[236:237]
	v_fma_f64 v[234:235], -v[234:235], v[240:241], v[238:239]
	v_div_fmas_f64 v[234:235], v[234:235], v[236:237], v[240:241]
	v_div_fixup_f64 v[232:233], v[234:235], v[232:233], 1.0
	ds_write_b64 v1, v[232:233]
.LBB79_174:
	s_or_b32 exec_lo, exec_lo, s1
	s_waitcnt lgkmcnt(0)
	s_barrier
	buffer_gl0_inv
	ds_read_b64 v[232:233], v1
	s_mov_b32 s1, exec_lo
	v_cmpx_lt_u32_e32 34, v0
	s_cbranch_execz .LBB79_176
; %bb.175:
	s_waitcnt lgkmcnt(0)
	v_mul_f64 v[100:101], v[232:233], v[100:101]
	ds_read2_b64 v[234:237], v242 offset0:35 offset1:36
	ds_read2_b64 v[238:241], v242 offset0:37 offset1:38
	ds_read_b64 v[243:244], v242 offset:312
	s_waitcnt lgkmcnt(2)
	v_fma_f64 v[82:83], -v[100:101], v[234:235], v[82:83]
	v_fma_f64 v[152:153], -v[100:101], v[236:237], v[152:153]
	s_waitcnt lgkmcnt(1)
	v_fma_f64 v[148:149], -v[100:101], v[238:239], v[148:149]
	v_fma_f64 v[150:151], -v[100:101], v[240:241], v[150:151]
	s_waitcnt lgkmcnt(0)
	v_fma_f64 v[154:155], -v[100:101], v[243:244], v[154:155]
.LBB79_176:
	s_or_b32 exec_lo, exec_lo, s1
	s_mov_b32 s1, exec_lo
	s_waitcnt lgkmcnt(0)
	s_barrier
	buffer_gl0_inv
	v_cmpx_eq_u32_e32 35, v0
	s_cbranch_execz .LBB79_179
; %bb.177:
	v_mov_b32_e32 v234, v152
	v_mov_b32_e32 v235, v153
	;; [unrolled: 1-line block ×6, first 2 shown]
	ds_write_b64 v1, v[82:83]
	ds_write2_b64 v242, v[234:235], v[236:237] offset0:36 offset1:37
	ds_write2_b64 v242, v[238:239], v[154:155] offset0:38 offset1:39
	ds_read_b64 v[234:235], v1
	s_waitcnt lgkmcnt(0)
	v_cmp_neq_f64_e32 vcc_lo, 0, v[234:235]
	s_and_b32 exec_lo, exec_lo, vcc_lo
	s_cbranch_execz .LBB79_179
; %bb.178:
	v_div_scale_f64 v[236:237], null, v[234:235], v[234:235], 1.0
	v_rcp_f64_e32 v[238:239], v[236:237]
	v_fma_f64 v[240:241], -v[236:237], v[238:239], 1.0
	v_fma_f64 v[238:239], v[238:239], v[240:241], v[238:239]
	v_fma_f64 v[240:241], -v[236:237], v[238:239], 1.0
	v_fma_f64 v[238:239], v[238:239], v[240:241], v[238:239]
	v_div_scale_f64 v[240:241], vcc_lo, 1.0, v[234:235], 1.0
	v_mul_f64 v[243:244], v[240:241], v[238:239]
	v_fma_f64 v[236:237], -v[236:237], v[243:244], v[240:241]
	v_div_fmas_f64 v[236:237], v[236:237], v[238:239], v[243:244]
	v_div_fixup_f64 v[234:235], v[236:237], v[234:235], 1.0
	ds_write_b64 v1, v[234:235]
.LBB79_179:
	s_or_b32 exec_lo, exec_lo, s1
	s_waitcnt lgkmcnt(0)
	s_barrier
	buffer_gl0_inv
	ds_read_b64 v[234:235], v1
	s_mov_b32 s1, exec_lo
	v_cmpx_lt_u32_e32 35, v0
	s_cbranch_execz .LBB79_181
; %bb.180:
	s_waitcnt lgkmcnt(0)
	v_mul_f64 v[82:83], v[234:235], v[82:83]
	ds_read2_b64 v[236:239], v242 offset0:36 offset1:37
	ds_read2_b64 v[243:246], v242 offset0:38 offset1:39
	s_waitcnt lgkmcnt(1)
	v_fma_f64 v[152:153], -v[82:83], v[236:237], v[152:153]
	v_fma_f64 v[148:149], -v[82:83], v[238:239], v[148:149]
	s_waitcnt lgkmcnt(0)
	v_fma_f64 v[150:151], -v[82:83], v[243:244], v[150:151]
	v_fma_f64 v[154:155], -v[82:83], v[245:246], v[154:155]
.LBB79_181:
	s_or_b32 exec_lo, exec_lo, s1
	s_mov_b32 s1, exec_lo
	s_waitcnt lgkmcnt(0)
	s_barrier
	buffer_gl0_inv
	v_cmpx_eq_u32_e32 36, v0
	s_cbranch_execz .LBB79_184
; %bb.182:
	ds_write_b64 v1, v[152:153]
	ds_write2_b64 v242, v[148:149], v[150:151] offset0:37 offset1:38
	ds_write_b64 v242, v[154:155] offset:312
	ds_read_b64 v[236:237], v1
	s_waitcnt lgkmcnt(0)
	v_cmp_neq_f64_e32 vcc_lo, 0, v[236:237]
	s_and_b32 exec_lo, exec_lo, vcc_lo
	s_cbranch_execz .LBB79_184
; %bb.183:
	v_div_scale_f64 v[238:239], null, v[236:237], v[236:237], 1.0
	v_rcp_f64_e32 v[240:241], v[238:239]
	v_fma_f64 v[243:244], -v[238:239], v[240:241], 1.0
	v_fma_f64 v[240:241], v[240:241], v[243:244], v[240:241]
	v_fma_f64 v[243:244], -v[238:239], v[240:241], 1.0
	v_fma_f64 v[240:241], v[240:241], v[243:244], v[240:241]
	v_div_scale_f64 v[243:244], vcc_lo, 1.0, v[236:237], 1.0
	v_mul_f64 v[245:246], v[243:244], v[240:241]
	v_fma_f64 v[238:239], -v[238:239], v[245:246], v[243:244]
	v_div_fmas_f64 v[238:239], v[238:239], v[240:241], v[245:246]
	v_div_fixup_f64 v[236:237], v[238:239], v[236:237], 1.0
	ds_write_b64 v1, v[236:237]
.LBB79_184:
	s_or_b32 exec_lo, exec_lo, s1
	s_waitcnt lgkmcnt(0)
	s_barrier
	buffer_gl0_inv
	ds_read_b64 v[236:237], v1
	s_mov_b32 s1, exec_lo
	v_cmpx_lt_u32_e32 36, v0
	s_cbranch_execz .LBB79_186
; %bb.185:
	s_waitcnt lgkmcnt(0)
	v_mul_f64 v[152:153], v[236:237], v[152:153]
	ds_read2_b64 v[238:241], v242 offset0:37 offset1:38
	ds_read_b64 v[243:244], v242 offset:312
	s_waitcnt lgkmcnt(1)
	v_fma_f64 v[148:149], -v[152:153], v[238:239], v[148:149]
	v_fma_f64 v[150:151], -v[152:153], v[240:241], v[150:151]
	s_waitcnt lgkmcnt(0)
	v_fma_f64 v[154:155], -v[152:153], v[243:244], v[154:155]
.LBB79_186:
	s_or_b32 exec_lo, exec_lo, s1
	s_mov_b32 s1, exec_lo
	s_waitcnt lgkmcnt(0)
	s_barrier
	buffer_gl0_inv
	v_cmpx_eq_u32_e32 37, v0
	s_cbranch_execz .LBB79_189
; %bb.187:
	v_mov_b32_e32 v238, v150
	v_mov_b32_e32 v239, v151
	ds_write_b64 v1, v[148:149]
	ds_write2_b64 v242, v[238:239], v[154:155] offset0:38 offset1:39
	ds_read_b64 v[238:239], v1
	s_waitcnt lgkmcnt(0)
	v_cmp_neq_f64_e32 vcc_lo, 0, v[238:239]
	s_and_b32 exec_lo, exec_lo, vcc_lo
	s_cbranch_execz .LBB79_189
; %bb.188:
	v_div_scale_f64 v[240:241], null, v[238:239], v[238:239], 1.0
	v_rcp_f64_e32 v[243:244], v[240:241]
	v_fma_f64 v[245:246], -v[240:241], v[243:244], 1.0
	v_fma_f64 v[243:244], v[243:244], v[245:246], v[243:244]
	v_fma_f64 v[245:246], -v[240:241], v[243:244], 1.0
	v_fma_f64 v[243:244], v[243:244], v[245:246], v[243:244]
	v_div_scale_f64 v[245:246], vcc_lo, 1.0, v[238:239], 1.0
	v_mul_f64 v[247:248], v[245:246], v[243:244]
	v_fma_f64 v[240:241], -v[240:241], v[247:248], v[245:246]
	v_div_fmas_f64 v[240:241], v[240:241], v[243:244], v[247:248]
	v_div_fixup_f64 v[238:239], v[240:241], v[238:239], 1.0
	ds_write_b64 v1, v[238:239]
.LBB79_189:
	s_or_b32 exec_lo, exec_lo, s1
	s_waitcnt lgkmcnt(0)
	s_barrier
	buffer_gl0_inv
	ds_read_b64 v[238:239], v1
	s_mov_b32 s1, exec_lo
	v_cmpx_lt_u32_e32 37, v0
	s_cbranch_execz .LBB79_191
; %bb.190:
	s_waitcnt lgkmcnt(0)
	v_mul_f64 v[148:149], v[238:239], v[148:149]
	ds_read2_b64 v[243:246], v242 offset0:38 offset1:39
	s_waitcnt lgkmcnt(0)
	v_fma_f64 v[150:151], -v[148:149], v[243:244], v[150:151]
	v_fma_f64 v[154:155], -v[148:149], v[245:246], v[154:155]
.LBB79_191:
	s_or_b32 exec_lo, exec_lo, s1
	s_mov_b32 s1, exec_lo
	s_waitcnt lgkmcnt(0)
	s_barrier
	buffer_gl0_inv
	v_cmpx_eq_u32_e32 38, v0
	s_cbranch_execz .LBB79_194
; %bb.192:
	ds_write_b64 v1, v[150:151]
	ds_write_b64 v242, v[154:155] offset:312
	ds_read_b64 v[240:241], v1
	s_waitcnt lgkmcnt(0)
	v_cmp_neq_f64_e32 vcc_lo, 0, v[240:241]
	s_and_b32 exec_lo, exec_lo, vcc_lo
	s_cbranch_execz .LBB79_194
; %bb.193:
	v_div_scale_f64 v[243:244], null, v[240:241], v[240:241], 1.0
	v_rcp_f64_e32 v[245:246], v[243:244]
	v_fma_f64 v[247:248], -v[243:244], v[245:246], 1.0
	v_fma_f64 v[245:246], v[245:246], v[247:248], v[245:246]
	v_fma_f64 v[247:248], -v[243:244], v[245:246], 1.0
	v_fma_f64 v[245:246], v[245:246], v[247:248], v[245:246]
	v_div_scale_f64 v[247:248], vcc_lo, 1.0, v[240:241], 1.0
	v_mul_f64 v[249:250], v[247:248], v[245:246]
	v_fma_f64 v[243:244], -v[243:244], v[249:250], v[247:248]
	v_div_fmas_f64 v[243:244], v[243:244], v[245:246], v[249:250]
	v_div_fixup_f64 v[240:241], v[243:244], v[240:241], 1.0
	ds_write_b64 v1, v[240:241]
.LBB79_194:
	s_or_b32 exec_lo, exec_lo, s1
	s_waitcnt lgkmcnt(0)
	s_barrier
	buffer_gl0_inv
	ds_read_b64 v[240:241], v1
	s_mov_b32 s1, exec_lo
	v_cmpx_lt_u32_e32 38, v0
	s_cbranch_execz .LBB79_196
; %bb.195:
	s_waitcnt lgkmcnt(0)
	v_mul_f64 v[150:151], v[240:241], v[150:151]
	ds_read_b64 v[242:243], v242 offset:312
	s_waitcnt lgkmcnt(0)
	v_fma_f64 v[154:155], -v[150:151], v[242:243], v[154:155]
.LBB79_196:
	s_or_b32 exec_lo, exec_lo, s1
	s_mov_b32 s1, exec_lo
	s_waitcnt lgkmcnt(0)
	s_barrier
	buffer_gl0_inv
	v_cmpx_eq_u32_e32 39, v0
	s_cbranch_execz .LBB79_199
; %bb.197:
	v_cmp_neq_f64_e32 vcc_lo, 0, v[154:155]
	ds_write_b64 v1, v[154:155]
	s_and_b32 exec_lo, exec_lo, vcc_lo
	s_cbranch_execz .LBB79_199
; %bb.198:
	v_div_scale_f64 v[242:243], null, v[154:155], v[154:155], 1.0
	v_rcp_f64_e32 v[244:245], v[242:243]
	v_fma_f64 v[246:247], -v[242:243], v[244:245], 1.0
	v_fma_f64 v[244:245], v[244:245], v[246:247], v[244:245]
	v_fma_f64 v[246:247], -v[242:243], v[244:245], 1.0
	v_fma_f64 v[244:245], v[244:245], v[246:247], v[244:245]
	v_div_scale_f64 v[246:247], vcc_lo, 1.0, v[154:155], 1.0
	v_mul_f64 v[248:249], v[246:247], v[244:245]
	v_fma_f64 v[242:243], -v[242:243], v[248:249], v[246:247]
	v_div_fmas_f64 v[242:243], v[242:243], v[244:245], v[248:249]
	v_div_fixup_f64 v[242:243], v[242:243], v[154:155], 1.0
	ds_write_b64 v1, v[242:243]
.LBB79_199:
	s_or_b32 exec_lo, exec_lo, s1
	s_waitcnt lgkmcnt(0)
	s_barrier
	buffer_gl0_inv
	ds_read_b64 v[242:243], v1
	s_waitcnt lgkmcnt(0)
	s_barrier
	buffer_gl0_inv
	s_and_saveexec_b32 s6, s0
	s_cbranch_execz .LBB79_202
; %bb.200:
	v_cmp_eq_f64_e32 vcc_lo, 0, v[164:165]
	v_cmp_neq_f64_e64 s0, 0, v[166:167]
	v_cmp_eq_f64_e64 s1, 0, v[168:169]
	v_cmp_eq_f64_e64 s2, 0, v[170:171]
	s_load_dwordx2 s[4:5], s[4:5], 0x28
	v_cndmask_b32_e64 v1, 0, 1, vcc_lo
	s_or_b32 vcc_lo, s0, vcc_lo
	v_cmp_eq_f64_e64 s0, 0, v[172:173]
	v_cndmask_b32_e32 v1, 2, v1, vcc_lo
	v_cmp_eq_u32_e32 vcc_lo, 0, v1
	s_and_b32 s1, s1, vcc_lo
	v_cndmask_b32_e64 v1, v1, 3, s1
	v_cmp_eq_f64_e64 s1, 0, v[174:175]
	v_cmp_eq_u32_e32 vcc_lo, 0, v1
	s_and_b32 s2, s2, vcc_lo
	v_cndmask_b32_e64 v1, v1, 4, s2
	v_cmp_eq_f64_e64 s2, 0, v[176:177]
	;; [unrolled: 4-line block ×7, first 2 shown]
	v_cmp_eq_u32_e32 vcc_lo, 0, v1
	s_and_b32 s2, s2, vcc_lo
	v_cmp_eq_f64_e32 vcc_lo, 0, v[188:189]
	v_cndmask_b32_e64 v164, v1, 10, s2
	v_lshlrev_b64 v[1:2], 2, v[2:3]
	v_cmp_eq_u32_e64 s2, 0, v164
	s_waitcnt lgkmcnt(0)
	v_add_co_u32 v1, s3, s4, v1
	v_add_co_ci_u32_e64 v2, null, s5, v2, s3
	s_and_b32 s0, s0, s2
	v_cmp_eq_f64_e64 s2, 0, v[190:191]
	v_cndmask_b32_e64 v3, v164, 11, s0
	global_load_dword v164, v[1:2], off
	v_cmp_eq_u32_e64 s0, 0, v3
	s_and_b32 s0, s1, s0
	v_cmp_eq_f64_e64 s1, 0, v[192:193]
	v_cndmask_b32_e64 v3, v3, 12, s0
	v_cmp_eq_u32_e64 s0, 0, v3
	s_and_b32 s0, vcc_lo, s0
	v_cndmask_b32_e64 v3, v3, 13, s0
	v_cmp_eq_f64_e64 s0, 0, v[194:195]
	v_cmp_eq_u32_e32 vcc_lo, 0, v3
	s_and_b32 s2, s2, vcc_lo
	v_cndmask_b32_e64 v3, v3, 14, s2
	v_cmp_eq_f64_e64 s2, 0, v[196:197]
	v_cmp_eq_u32_e32 vcc_lo, 0, v3
	s_and_b32 s1, s1, vcc_lo
	;; [unrolled: 4-line block ×25, first 2 shown]
	v_cndmask_b32_e64 v3, v3, 38, s2
	v_cmp_eq_u32_e32 vcc_lo, 0, v3
	s_and_b32 s1, s1, vcc_lo
	v_cndmask_b32_e64 v3, v3, 39, s1
	v_cmp_eq_u32_e32 vcc_lo, 0, v3
	s_and_b32 s0, s0, vcc_lo
	s_waitcnt vmcnt(0)
	v_cmp_eq_u32_e32 vcc_lo, 0, v164
	v_cndmask_b32_e64 v3, v3, 40, s0
	v_cmp_ne_u32_e64 s0, 0, v3
	s_and_b32 s0, vcc_lo, s0
	s_and_b32 exec_lo, exec_lo, s0
	s_cbranch_execz .LBB79_202
; %bb.201:
	v_add_nc_u32_e32 v3, s9, v3
	global_store_dword v[1:2], v3, off
.LBB79_202:
	s_or_b32 exec_lo, exec_lo, s6
	v_mul_f64 v[1:2], v[242:243], v[154:155]
	v_cmp_lt_u32_e32 vcc_lo, 39, v0
	flat_store_dwordx2 v[80:81], v[156:157]
	flat_store_dwordx2 v[146:147], v[160:161]
	;; [unrolled: 1-line block ×19, first 2 shown]
	v_cndmask_b32_e32 v2, v155, v2, vcc_lo
	v_cndmask_b32_e32 v1, v154, v1, vcc_lo
	flat_store_dwordx2 v[36:37], v[98:99]
	flat_store_dwordx2 v[40:41], v[114:115]
	;; [unrolled: 1-line block ×21, first 2 shown]
.LBB79_203:
	s_endpgm
	.section	.rodata,"a",@progbits
	.p2align	6, 0x0
	.amdhsa_kernel _ZN9rocsolver6v33100L23getf2_npvt_small_kernelILi40EdiiPKPdEEvT1_T3_lS5_lPT2_S5_S5_
		.amdhsa_group_segment_fixed_size 0
		.amdhsa_private_segment_fixed_size 0
		.amdhsa_kernarg_size 312
		.amdhsa_user_sgpr_count 6
		.amdhsa_user_sgpr_private_segment_buffer 1
		.amdhsa_user_sgpr_dispatch_ptr 0
		.amdhsa_user_sgpr_queue_ptr 0
		.amdhsa_user_sgpr_kernarg_segment_ptr 1
		.amdhsa_user_sgpr_dispatch_id 0
		.amdhsa_user_sgpr_flat_scratch_init 0
		.amdhsa_user_sgpr_private_segment_size 0
		.amdhsa_wavefront_size32 1
		.amdhsa_uses_dynamic_stack 0
		.amdhsa_system_sgpr_private_segment_wavefront_offset 0
		.amdhsa_system_sgpr_workgroup_id_x 1
		.amdhsa_system_sgpr_workgroup_id_y 1
		.amdhsa_system_sgpr_workgroup_id_z 0
		.amdhsa_system_sgpr_workgroup_info 0
		.amdhsa_system_vgpr_workitem_id 1
		.amdhsa_next_free_vgpr 251
		.amdhsa_next_free_sgpr 11
		.amdhsa_reserve_vcc 1
		.amdhsa_reserve_flat_scratch 1
		.amdhsa_float_round_mode_32 0
		.amdhsa_float_round_mode_16_64 0
		.amdhsa_float_denorm_mode_32 3
		.amdhsa_float_denorm_mode_16_64 3
		.amdhsa_dx10_clamp 1
		.amdhsa_ieee_mode 1
		.amdhsa_fp16_overflow 0
		.amdhsa_workgroup_processor_mode 1
		.amdhsa_memory_ordered 1
		.amdhsa_forward_progress 1
		.amdhsa_shared_vgpr_count 0
		.amdhsa_exception_fp_ieee_invalid_op 0
		.amdhsa_exception_fp_denorm_src 0
		.amdhsa_exception_fp_ieee_div_zero 0
		.amdhsa_exception_fp_ieee_overflow 0
		.amdhsa_exception_fp_ieee_underflow 0
		.amdhsa_exception_fp_ieee_inexact 0
		.amdhsa_exception_int_div_zero 0
	.end_amdhsa_kernel
	.section	.text._ZN9rocsolver6v33100L23getf2_npvt_small_kernelILi40EdiiPKPdEEvT1_T3_lS5_lPT2_S5_S5_,"axG",@progbits,_ZN9rocsolver6v33100L23getf2_npvt_small_kernelILi40EdiiPKPdEEvT1_T3_lS5_lPT2_S5_S5_,comdat
.Lfunc_end79:
	.size	_ZN9rocsolver6v33100L23getf2_npvt_small_kernelILi40EdiiPKPdEEvT1_T3_lS5_lPT2_S5_S5_, .Lfunc_end79-_ZN9rocsolver6v33100L23getf2_npvt_small_kernelILi40EdiiPKPdEEvT1_T3_lS5_lPT2_S5_S5_
                                        ; -- End function
	.set _ZN9rocsolver6v33100L23getf2_npvt_small_kernelILi40EdiiPKPdEEvT1_T3_lS5_lPT2_S5_S5_.num_vgpr, 251
	.set _ZN9rocsolver6v33100L23getf2_npvt_small_kernelILi40EdiiPKPdEEvT1_T3_lS5_lPT2_S5_S5_.num_agpr, 0
	.set _ZN9rocsolver6v33100L23getf2_npvt_small_kernelILi40EdiiPKPdEEvT1_T3_lS5_lPT2_S5_S5_.numbered_sgpr, 11
	.set _ZN9rocsolver6v33100L23getf2_npvt_small_kernelILi40EdiiPKPdEEvT1_T3_lS5_lPT2_S5_S5_.num_named_barrier, 0
	.set _ZN9rocsolver6v33100L23getf2_npvt_small_kernelILi40EdiiPKPdEEvT1_T3_lS5_lPT2_S5_S5_.private_seg_size, 0
	.set _ZN9rocsolver6v33100L23getf2_npvt_small_kernelILi40EdiiPKPdEEvT1_T3_lS5_lPT2_S5_S5_.uses_vcc, 1
	.set _ZN9rocsolver6v33100L23getf2_npvt_small_kernelILi40EdiiPKPdEEvT1_T3_lS5_lPT2_S5_S5_.uses_flat_scratch, 1
	.set _ZN9rocsolver6v33100L23getf2_npvt_small_kernelILi40EdiiPKPdEEvT1_T3_lS5_lPT2_S5_S5_.has_dyn_sized_stack, 0
	.set _ZN9rocsolver6v33100L23getf2_npvt_small_kernelILi40EdiiPKPdEEvT1_T3_lS5_lPT2_S5_S5_.has_recursion, 0
	.set _ZN9rocsolver6v33100L23getf2_npvt_small_kernelILi40EdiiPKPdEEvT1_T3_lS5_lPT2_S5_S5_.has_indirect_call, 0
	.section	.AMDGPU.csdata,"",@progbits
; Kernel info:
; codeLenInByte = 28580
; TotalNumSgprs: 13
; NumVgprs: 251
; ScratchSize: 0
; MemoryBound: 0
; FloatMode: 240
; IeeeMode: 1
; LDSByteSize: 0 bytes/workgroup (compile time only)
; SGPRBlocks: 0
; VGPRBlocks: 31
; NumSGPRsForWavesPerEU: 13
; NumVGPRsForWavesPerEU: 251
; Occupancy: 4
; WaveLimiterHint : 1
; COMPUTE_PGM_RSRC2:SCRATCH_EN: 0
; COMPUTE_PGM_RSRC2:USER_SGPR: 6
; COMPUTE_PGM_RSRC2:TRAP_HANDLER: 0
; COMPUTE_PGM_RSRC2:TGID_X_EN: 1
; COMPUTE_PGM_RSRC2:TGID_Y_EN: 1
; COMPUTE_PGM_RSRC2:TGID_Z_EN: 0
; COMPUTE_PGM_RSRC2:TIDIG_COMP_CNT: 1
	.section	.text._ZN9rocsolver6v33100L18getf2_small_kernelILi41EdiiPKPdEEvT1_T3_lS5_lPS5_llPT2_S5_S5_S7_l,"axG",@progbits,_ZN9rocsolver6v33100L18getf2_small_kernelILi41EdiiPKPdEEvT1_T3_lS5_lPS5_llPT2_S5_S5_S7_l,comdat
	.globl	_ZN9rocsolver6v33100L18getf2_small_kernelILi41EdiiPKPdEEvT1_T3_lS5_lPS5_llPT2_S5_S5_S7_l ; -- Begin function _ZN9rocsolver6v33100L18getf2_small_kernelILi41EdiiPKPdEEvT1_T3_lS5_lPS5_llPT2_S5_S5_S7_l
	.p2align	8
	.type	_ZN9rocsolver6v33100L18getf2_small_kernelILi41EdiiPKPdEEvT1_T3_lS5_lPS5_llPT2_S5_S5_S7_l,@function
_ZN9rocsolver6v33100L18getf2_small_kernelILi41EdiiPKPdEEvT1_T3_lS5_lPS5_llPT2_S5_S5_S7_l: ; @_ZN9rocsolver6v33100L18getf2_small_kernelILi41EdiiPKPdEEvT1_T3_lS5_lPS5_llPT2_S5_S5_S7_l
; %bb.0:
	s_clause 0x1
	s_load_dword s0, s[4:5], 0x6c
	s_load_dwordx2 s[12:13], s[4:5], 0x48
	s_waitcnt lgkmcnt(0)
	s_lshr_b32 s0, s0, 16
	v_mad_u64_u32 v[2:3], null, s7, s0, v[1:2]
	s_mov_b32 s0, exec_lo
	v_cmpx_gt_i32_e64 s12, v2
	s_cbranch_execz .LBB80_694
; %bb.1:
	s_clause 0x1
	s_load_dwordx4 s[0:3], s[4:5], 0x8
	s_load_dwordx4 s[8:11], s[4:5], 0x50
	v_ashrrev_i32_e32 v3, 31, v2
	v_lshlrev_b64 v[4:5], 3, v[2:3]
	s_waitcnt lgkmcnt(0)
	v_add_co_u32 v4, vcc_lo, s0, v4
	v_add_co_ci_u32_e64 v5, null, s1, v5, vcc_lo
	s_cmp_eq_u64 s[8:9], 0
	s_cselect_b32 s6, -1, 0
	global_load_dwordx2 v[6:7], v[4:5], off
	v_mov_b32_e32 v4, 0
	v_mov_b32_e32 v5, 0
	s_and_b32 vcc_lo, exec_lo, s6
	s_cbranch_vccnz .LBB80_3
; %bb.2:
	v_mul_lo_u32 v8, s11, v2
	v_mul_lo_u32 v9, s10, v3
	v_mad_u64_u32 v[4:5], null, s10, v2, 0
	v_add3_u32 v5, v5, v9, v8
	v_lshlrev_b64 v[4:5], 2, v[4:5]
	v_add_co_u32 v4, vcc_lo, s8, v4
	v_add_co_ci_u32_e64 v5, null, s9, v5, vcc_lo
.LBB80_3:
	s_clause 0x1
	s_load_dword s8, s[4:5], 0x18
	s_load_dword s7, s[4:5], 0x0
	s_lshl_b64 s[0:1], s[2:3], 3
	v_lshlrev_b32_e32 v128, 3, v0
	s_waitcnt vmcnt(0)
	v_add_co_u32 v92, vcc_lo, v6, s0
	v_add_co_ci_u32_e64 v93, null, s1, v7, vcc_lo
	s_waitcnt lgkmcnt(0)
	v_add3_u32 v8, s8, s8, v0
	s_ashr_i32 s9, s8, 31
	s_max_i32 s0, s7, 41
	s_lshl_b64 s[10:11], s[8:9], 3
	v_mul_lo_u32 v1, s0, v1
	v_add_nc_u32_e32 v10, s8, v8
	v_ashrrev_i32_e32 v9, 31, v8
	s_cmp_lt_i32 s7, 2
	v_ashrrev_i32_e32 v11, 31, v10
	v_add_nc_u32_e32 v12, s8, v10
	v_lshlrev_b64 v[8:9], 3, v[8:9]
	v_lshlrev_b64 v[6:7], 3, v[10:11]
	v_add_nc_u32_e32 v10, s8, v12
	v_ashrrev_i32_e32 v13, 31, v12
	v_add_co_u32 v8, vcc_lo, v92, v8
	v_add_co_ci_u32_e64 v9, null, v93, v9, vcc_lo
	v_add_nc_u32_e32 v14, s8, v10
	v_ashrrev_i32_e32 v11, 31, v10
	v_lshlrev_b64 v[12:13], 3, v[12:13]
	v_add_co_u32 v6, vcc_lo, v92, v6
	v_add_nc_u32_e32 v16, s8, v14
	v_ashrrev_i32_e32 v15, 31, v14
	v_lshlrev_b64 v[10:11], 3, v[10:11]
	v_add_co_ci_u32_e64 v7, null, v93, v7, vcc_lo
	v_add_nc_u32_e32 v18, s8, v16
	v_ashrrev_i32_e32 v17, 31, v16
	v_lshlrev_b64 v[14:15], 3, v[14:15]
	v_add_co_u32 v12, vcc_lo, v92, v12
	v_add_nc_u32_e32 v20, s8, v18
	v_ashrrev_i32_e32 v19, 31, v18
	v_lshlrev_b64 v[16:17], 3, v[16:17]
	v_add_co_ci_u32_e64 v13, null, v93, v13, vcc_lo
	v_add_nc_u32_e32 v22, s8, v20
	v_ashrrev_i32_e32 v21, 31, v20
	v_add_co_u32 v10, vcc_lo, v92, v10
	v_lshlrev_b64 v[18:19], 3, v[18:19]
	v_add_nc_u32_e32 v24, s8, v22
	v_ashrrev_i32_e32 v23, 31, v22
	v_add_co_ci_u32_e64 v11, null, v93, v11, vcc_lo
	v_add_co_u32 v14, vcc_lo, v92, v14
	v_add_nc_u32_e32 v26, s8, v24
	v_ashrrev_i32_e32 v25, 31, v24
	v_lshlrev_b64 v[20:21], 3, v[20:21]
	v_add_co_ci_u32_e64 v15, null, v93, v15, vcc_lo
	v_add_nc_u32_e32 v28, s8, v26
	v_ashrrev_i32_e32 v27, 31, v26
	v_add_co_u32 v16, vcc_lo, v92, v16
	v_lshlrev_b64 v[22:23], 3, v[22:23]
	v_add_nc_u32_e32 v30, s8, v28
	v_ashrrev_i32_e32 v29, 31, v28
	v_add_co_ci_u32_e64 v17, null, v93, v17, vcc_lo
	v_add_co_u32 v18, vcc_lo, v92, v18
	v_add_nc_u32_e32 v32, s8, v30
	v_lshlrev_b64 v[24:25], 3, v[24:25]
	v_ashrrev_i32_e32 v31, 31, v30
	v_add_co_ci_u32_e64 v19, null, v93, v19, vcc_lo
	v_add_nc_u32_e32 v34, s8, v32
	v_add_co_u32 v20, vcc_lo, v92, v20
	v_lshlrev_b64 v[26:27], 3, v[26:27]
	v_ashrrev_i32_e32 v33, 31, v32
	v_add_nc_u32_e32 v36, s8, v34
	v_add_co_ci_u32_e64 v21, null, v93, v21, vcc_lo
	v_add_co_u32 v22, vcc_lo, v92, v22
	v_add_nc_u32_e32 v38, s8, v36
	v_lshlrev_b64 v[28:29], 3, v[28:29]
	v_ashrrev_i32_e32 v35, 31, v34
	v_add_co_ci_u32_e64 v23, null, v93, v23, vcc_lo
	v_add_nc_u32_e32 v40, s8, v38
	v_add_co_u32 v24, vcc_lo, v92, v24
	v_lshlrev_b64 v[30:31], 3, v[30:31]
	v_ashrrev_i32_e32 v37, 31, v36
	v_add_nc_u32_e32 v42, s8, v40
	v_add_co_ci_u32_e64 v25, null, v93, v25, vcc_lo
	v_add_co_u32 v26, vcc_lo, v92, v26
	v_lshlrev_b64 v[32:33], 3, v[32:33]
	v_add_nc_u32_e32 v44, s8, v42
	v_ashrrev_i32_e32 v39, 31, v38
	v_add_co_ci_u32_e64 v27, null, v93, v27, vcc_lo
	v_add_co_u32 v28, vcc_lo, v92, v28
	v_lshlrev_b64 v[34:35], 3, v[34:35]
	v_ashrrev_i32_e32 v41, 31, v40
	v_add_co_ci_u32_e64 v29, null, v93, v29, vcc_lo
	v_add_co_u32 v30, vcc_lo, v92, v30
	v_lshlrev_b64 v[36:37], 3, v[36:37]
	v_ashrrev_i32_e32 v43, 31, v42
	v_add_nc_u32_e32 v46, s8, v44
	v_add_co_ci_u32_e64 v31, null, v93, v31, vcc_lo
	v_add_co_u32 v32, vcc_lo, v92, v32
	v_lshlrev_b64 v[38:39], 3, v[38:39]
	v_ashrrev_i32_e32 v45, 31, v44
	v_add_co_ci_u32_e64 v33, null, v93, v33, vcc_lo
	v_add_co_u32 v34, vcc_lo, v92, v34
	v_lshlrev_b64 v[40:41], 3, v[40:41]
	v_add_co_ci_u32_e64 v35, null, v93, v35, vcc_lo
	v_add_co_u32 v36, vcc_lo, v92, v36
	v_lshlrev_b64 v[42:43], 3, v[42:43]
	v_add_nc_u32_e32 v48, s8, v46
	v_add_co_ci_u32_e64 v37, null, v93, v37, vcc_lo
	v_add_co_u32 v38, vcc_lo, v92, v38
	v_lshlrev_b64 v[44:45], 3, v[44:45]
	v_ashrrev_i32_e32 v47, 31, v46
	v_add_co_ci_u32_e64 v39, null, v93, v39, vcc_lo
	v_add_co_u32 v40, vcc_lo, v92, v40
	v_ashrrev_i32_e32 v49, 31, v48
	v_add_nc_u32_e32 v50, s8, v48
	v_add_co_ci_u32_e64 v41, null, v93, v41, vcc_lo
	v_add_co_u32 v42, vcc_lo, v92, v42
	v_lshlrev_b64 v[46:47], 3, v[46:47]
	v_add_co_ci_u32_e64 v43, null, v93, v43, vcc_lo
	v_add_co_u32 v86, vcc_lo, v92, v44
	v_add_co_ci_u32_e64 v87, null, v93, v45, vcc_lo
	v_lshlrev_b64 v[44:45], 3, v[48:49]
	v_ashrrev_i32_e32 v51, 31, v50
	v_add_nc_u32_e32 v48, s8, v50
	v_add_co_u32 v88, vcc_lo, v92, v46
	v_add_co_ci_u32_e64 v89, null, v93, v47, vcc_lo
	v_lshlrev_b64 v[46:47], 3, v[50:51]
	v_ashrrev_i32_e32 v49, 31, v48
	v_add_nc_u32_e32 v50, s8, v48
	;; [unrolled: 5-line block ×14, first 2 shown]
	v_add_co_u32 v116, vcc_lo, v92, v44
	v_add_co_ci_u32_e64 v117, null, v93, v45, vcc_lo
	v_lshlrev_b64 v[44:45], 3, v[48:49]
	v_add_nc_u32_e32 v48, s8, v50
	v_ashrrev_i32_e32 v51, 31, v50
	v_add_co_u32 v118, vcc_lo, v92, v46
	v_add_co_ci_u32_e64 v119, null, v93, v47, vcc_lo
	v_ashrrev_i32_e32 v49, 31, v48
	v_lshlrev_b64 v[46:47], 3, v[50:51]
	v_add_co_u32 v120, vcc_lo, v92, v44
	v_add_co_ci_u32_e64 v121, null, v93, v45, vcc_lo
	v_lshlrev_b64 v[44:45], 3, v[48:49]
	v_add_nc_u32_e32 v48, s8, v48
	v_add_co_u32 v122, vcc_lo, v92, v46
	v_add_co_ci_u32_e64 v123, null, v93, v47, vcc_lo
	v_ashrrev_i32_e32 v49, 31, v48
	v_add_co_u32 v124, vcc_lo, v92, v44
	v_add_co_ci_u32_e64 v125, null, v93, v45, vcc_lo
	v_add_co_u32 v46, vcc_lo, v92, v128
	v_add_co_ci_u32_e64 v47, null, 0, v93, vcc_lo
	v_lshlrev_b64 v[44:45], 3, v[48:49]
	v_add_co_u32 v48, vcc_lo, v46, s10
	v_add_co_ci_u32_e64 v49, null, s11, v47, vcc_lo
	v_add_co_u32 v126, vcc_lo, v92, v44
	v_add_co_ci_u32_e64 v127, null, v93, v45, vcc_lo
	s_clause 0x28
	flat_load_dwordx2 v[84:85], v[46:47]
	flat_load_dwordx2 v[82:83], v[48:49]
	;; [unrolled: 1-line block ×41, first 2 shown]
	v_lshl_add_u32 v94, v1, 3, 0
	v_lshlrev_b32_e32 v95, 3, v1
	v_mov_b32_e32 v90, 0
	v_add_nc_u32_e32 v88, v94, v128
	s_waitcnt vmcnt(40) lgkmcnt(40)
	ds_write_b64 v88, v[84:85]
	s_waitcnt vmcnt(0) lgkmcnt(0)
	s_barrier
	buffer_gl0_inv
	ds_read_b64 v[88:89], v94
	s_cbranch_scc1 .LBB80_6
; %bb.4:
	v_add3_u32 v1, v95, 0, 8
	v_mov_b32_e32 v90, 0
	s_mov_b32 s0, 1
.LBB80_5:                               ; =>This Inner Loop Header: Depth=1
	ds_read_b64 v[96:97], v1
	v_add_nc_u32_e32 v1, 8, v1
	s_waitcnt lgkmcnt(0)
	v_cmp_lt_f64_e64 vcc_lo, |v[88:89]|, |v[96:97]|
	v_cndmask_b32_e32 v89, v89, v97, vcc_lo
	v_cndmask_b32_e32 v88, v88, v96, vcc_lo
	v_cndmask_b32_e64 v90, v90, s0, vcc_lo
	s_add_i32 s0, s0, 1
	s_cmp_eq_u32 s7, s0
	s_cbranch_scc0 .LBB80_5
.LBB80_6:
	s_mov_b32 s0, exec_lo
                                        ; implicit-def: $vgpr97
	v_cmpx_ne_u32_e64 v0, v90
	s_xor_b32 s0, exec_lo, s0
	s_cbranch_execz .LBB80_12
; %bb.7:
	s_mov_b32 s1, exec_lo
	v_cmpx_eq_u32_e32 0, v0
	s_cbranch_execz .LBB80_11
; %bb.8:
	v_cmp_ne_u32_e32 vcc_lo, 0, v90
	s_xor_b32 s2, s6, -1
	s_and_b32 s3, s2, vcc_lo
	s_and_saveexec_b32 s2, s3
	s_cbranch_execz .LBB80_10
; %bb.9:
	v_ashrrev_i32_e32 v91, 31, v90
	v_lshlrev_b64 v[0:1], 2, v[90:91]
	v_add_co_u32 v0, vcc_lo, v4, v0
	v_add_co_ci_u32_e64 v1, null, v5, v1, vcc_lo
	s_clause 0x1
	global_load_dword v91, v[0:1], off
	global_load_dword v96, v[4:5], off
	s_waitcnt vmcnt(1)
	global_store_dword v[4:5], v91, off
	s_waitcnt vmcnt(0)
	global_store_dword v[0:1], v96, off
.LBB80_10:
	s_or_b32 exec_lo, exec_lo, s2
	v_mov_b32_e32 v0, v90
.LBB80_11:
	s_or_b32 exec_lo, exec_lo, s1
	v_mov_b32_e32 v97, v0
                                        ; implicit-def: $vgpr0
.LBB80_12:
	s_or_saveexec_b32 s0, s0
	v_mov_b32_e32 v96, v97
	s_xor_b32 exec_lo, exec_lo, s0
	s_cbranch_execz .LBB80_14
; %bb.13:
	v_mov_b32_e32 v97, 0
	v_mov_b32_e32 v96, v0
	ds_write2_b64 v94, v[82:83], v[80:81] offset0:1 offset1:2
	ds_write2_b64 v94, v[78:79], v[76:77] offset0:3 offset1:4
	;; [unrolled: 1-line block ×20, first 2 shown]
.LBB80_14:
	s_or_b32 exec_lo, exec_lo, s0
	s_waitcnt lgkmcnt(0)
	v_cmp_eq_f64_e64 s0, 0, v[88:89]
	s_mov_b32 s1, exec_lo
	s_waitcnt_vscnt null, 0x0
	s_barrier
	buffer_gl0_inv
	v_cmpx_lt_i32_e32 0, v97
	s_cbranch_execz .LBB80_16
; %bb.15:
	v_div_scale_f64 v[0:1], null, v[88:89], v[88:89], 1.0
	v_div_scale_f64 v[100:101], vcc_lo, 1.0, v[88:89], 1.0
	v_rcp_f64_e32 v[90:91], v[0:1]
	v_fma_f64 v[98:99], -v[0:1], v[90:91], 1.0
	v_fma_f64 v[90:91], v[90:91], v[98:99], v[90:91]
	v_fma_f64 v[98:99], -v[0:1], v[90:91], 1.0
	v_fma_f64 v[90:91], v[90:91], v[98:99], v[90:91]
	v_mul_f64 v[98:99], v[100:101], v[90:91]
	v_fma_f64 v[0:1], -v[0:1], v[98:99], v[100:101]
	v_div_fmas_f64 v[0:1], v[0:1], v[90:91], v[98:99]
	v_div_fixup_f64 v[0:1], v[0:1], v[88:89], 1.0
	v_cndmask_b32_e64 v1, v1, v89, s0
	v_cndmask_b32_e64 v0, v0, v88, s0
	ds_read2_b64 v[88:91], v94 offset0:1 offset1:2
	ds_read2_b64 v[98:101], v94 offset0:3 offset1:4
	;; [unrolled: 1-line block ×18, first 2 shown]
	v_mul_f64 v[84:85], v[0:1], v[84:85]
	s_waitcnt lgkmcnt(17)
	v_fma_f64 v[82:83], -v[84:85], v[88:89], v[82:83]
	v_fma_f64 v[80:81], -v[84:85], v[90:91], v[80:81]
	s_waitcnt lgkmcnt(16)
	v_fma_f64 v[78:79], -v[84:85], v[98:99], v[78:79]
	v_fma_f64 v[76:77], -v[84:85], v[100:101], v[76:77]
	ds_read2_b64 v[88:91], v94 offset0:37 offset1:38
	ds_read2_b64 v[98:101], v94 offset0:39 offset1:40
	s_waitcnt lgkmcnt(17)
	v_fma_f64 v[74:75], -v[84:85], v[102:103], v[74:75]
	v_fma_f64 v[72:73], -v[84:85], v[104:105], v[72:73]
	s_waitcnt lgkmcnt(16)
	v_fma_f64 v[68:69], -v[84:85], v[106:107], v[68:69]
	v_fma_f64 v[70:71], -v[84:85], v[108:109], v[70:71]
	;; [unrolled: 3-line block ×18, first 2 shown]
.LBB80_16:
	s_or_b32 exec_lo, exec_lo, s1
	v_lshl_add_u32 v0, v97, 3, v94
	s_barrier
	buffer_gl0_inv
	v_mov_b32_e32 v88, 1
	ds_write_b64 v0, v[82:83]
	s_waitcnt lgkmcnt(0)
	s_barrier
	buffer_gl0_inv
	ds_read_b64 v[0:1], v94 offset:8
	s_cmp_lt_i32 s7, 3
	s_cbranch_scc1 .LBB80_19
; %bb.17:
	v_add3_u32 v89, v95, 0, 16
	v_mov_b32_e32 v88, 1
	s_mov_b32 s1, 2
.LBB80_18:                              ; =>This Inner Loop Header: Depth=1
	ds_read_b64 v[90:91], v89
	v_add_nc_u32_e32 v89, 8, v89
	s_waitcnt lgkmcnt(0)
	v_cmp_lt_f64_e64 vcc_lo, |v[0:1]|, |v[90:91]|
	v_cndmask_b32_e32 v1, v1, v91, vcc_lo
	v_cndmask_b32_e32 v0, v0, v90, vcc_lo
	v_cndmask_b32_e64 v88, v88, s1, vcc_lo
	s_add_i32 s1, s1, 1
	s_cmp_lg_u32 s7, s1
	s_cbranch_scc1 .LBB80_18
.LBB80_19:
	s_mov_b32 s1, exec_lo
	v_cmpx_ne_u32_e64 v97, v88
	s_xor_b32 s1, exec_lo, s1
	s_cbranch_execz .LBB80_25
; %bb.20:
	s_mov_b32 s2, exec_lo
	v_cmpx_eq_u32_e32 1, v97
	s_cbranch_execz .LBB80_24
; %bb.21:
	v_cmp_ne_u32_e32 vcc_lo, 1, v88
	s_xor_b32 s3, s6, -1
	s_and_b32 s9, s3, vcc_lo
	s_and_saveexec_b32 s3, s9
	s_cbranch_execz .LBB80_23
; %bb.22:
	v_ashrrev_i32_e32 v89, 31, v88
	v_lshlrev_b64 v[89:90], 2, v[88:89]
	v_add_co_u32 v89, vcc_lo, v4, v89
	v_add_co_ci_u32_e64 v90, null, v5, v90, vcc_lo
	s_clause 0x1
	global_load_dword v91, v[89:90], off
	global_load_dword v96, v[4:5], off offset:4
	s_waitcnt vmcnt(1)
	global_store_dword v[4:5], v91, off offset:4
	s_waitcnt vmcnt(0)
	global_store_dword v[89:90], v96, off
.LBB80_23:
	s_or_b32 exec_lo, exec_lo, s3
	v_mov_b32_e32 v96, v88
	v_mov_b32_e32 v97, v88
.LBB80_24:
	s_or_b32 exec_lo, exec_lo, s2
.LBB80_25:
	s_andn2_saveexec_b32 s1, s1
	s_cbranch_execz .LBB80_27
; %bb.26:
	v_mov_b32_e32 v88, v80
	v_mov_b32_e32 v89, v81
	v_mov_b32_e32 v90, v78
	v_mov_b32_e32 v91, v79
	v_mov_b32_e32 v97, v76
	v_mov_b32_e32 v98, v77
	v_mov_b32_e32 v99, v74
	v_mov_b32_e32 v100, v75
	v_mov_b32_e32 v101, v72
	v_mov_b32_e32 v102, v73
	v_mov_b32_e32 v103, v68
	v_mov_b32_e32 v104, v69
	v_mov_b32_e32 v105, v70
	v_mov_b32_e32 v106, v71
	v_mov_b32_e32 v107, v64
	v_mov_b32_e32 v108, v65
	v_mov_b32_e32 v109, v66
	v_mov_b32_e32 v110, v67
	v_mov_b32_e32 v111, v62
	v_mov_b32_e32 v112, v63
	ds_write2_b64 v94, v[88:89], v[90:91] offset0:2 offset1:3
	ds_write2_b64 v94, v[97:98], v[99:100] offset0:4 offset1:5
	ds_write2_b64 v94, v[101:102], v[103:104] offset0:6 offset1:7
	ds_write2_b64 v94, v[105:106], v[107:108] offset0:8 offset1:9
	ds_write2_b64 v94, v[109:110], v[111:112] offset0:10 offset1:11
	v_mov_b32_e32 v88, v60
	v_mov_b32_e32 v89, v61
	v_mov_b32_e32 v90, v58
	v_mov_b32_e32 v91, v59
	v_mov_b32_e32 v97, v56
	v_mov_b32_e32 v98, v57
	v_mov_b32_e32 v99, v54
	v_mov_b32_e32 v100, v55
	v_mov_b32_e32 v101, v52
	v_mov_b32_e32 v102, v53
	v_mov_b32_e32 v103, v48
	v_mov_b32_e32 v104, v49
	v_mov_b32_e32 v105, v50
	v_mov_b32_e32 v106, v51
	v_mov_b32_e32 v107, v44
	v_mov_b32_e32 v108, v45
	v_mov_b32_e32 v109, v46
	v_mov_b32_e32 v110, v47
	v_mov_b32_e32 v111, v42
	v_mov_b32_e32 v112, v43
	ds_write2_b64 v94, v[88:89], v[90:91] offset0:12 offset1:13
	ds_write2_b64 v94, v[97:98], v[99:100] offset0:14 offset1:15
	ds_write2_b64 v94, v[101:102], v[103:104] offset0:16 offset1:17
	ds_write2_b64 v94, v[105:106], v[107:108] offset0:18 offset1:19
	ds_write2_b64 v94, v[109:110], v[111:112] offset0:20 offset1:21
	;; [unrolled: 25-line block ×3, first 2 shown]
	v_mov_b32_e32 v88, v20
	v_mov_b32_e32 v89, v21
	;; [unrolled: 1-line block ×17, first 2 shown]
	ds_write2_b64 v94, v[88:89], v[90:91] offset0:32 offset1:33
	ds_write2_b64 v94, v[98:99], v[100:101] offset0:34 offset1:35
	;; [unrolled: 1-line block ×4, first 2 shown]
	ds_write_b64 v94, v[86:87] offset:320
.LBB80_27:
	s_or_b32 exec_lo, exec_lo, s1
	s_waitcnt lgkmcnt(0)
	v_cmp_neq_f64_e64 s1, 0, v[0:1]
	s_mov_b32 s2, exec_lo
	s_waitcnt_vscnt null, 0x0
	s_barrier
	buffer_gl0_inv
	v_cmpx_lt_i32_e32 1, v97
	s_cbranch_execz .LBB80_29
; %bb.28:
	v_div_scale_f64 v[88:89], null, v[0:1], v[0:1], 1.0
	v_div_scale_f64 v[100:101], vcc_lo, 1.0, v[0:1], 1.0
	v_rcp_f64_e32 v[90:91], v[88:89]
	v_fma_f64 v[98:99], -v[88:89], v[90:91], 1.0
	v_fma_f64 v[90:91], v[90:91], v[98:99], v[90:91]
	v_fma_f64 v[98:99], -v[88:89], v[90:91], 1.0
	v_fma_f64 v[90:91], v[90:91], v[98:99], v[90:91]
	v_mul_f64 v[98:99], v[100:101], v[90:91]
	v_fma_f64 v[88:89], -v[88:89], v[98:99], v[100:101]
	v_div_fmas_f64 v[88:89], v[88:89], v[90:91], v[98:99]
	v_div_fixup_f64 v[88:89], v[88:89], v[0:1], 1.0
	v_cndmask_b32_e64 v1, v1, v89, s1
	v_cndmask_b32_e64 v0, v0, v88, s1
	v_mul_f64 v[82:83], v[0:1], v[82:83]
	ds_read2_b64 v[88:91], v94 offset0:2 offset1:3
	ds_read2_b64 v[98:101], v94 offset0:4 offset1:5
	;; [unrolled: 1-line block ×19, first 2 shown]
	ds_read_b64 v[0:1], v94 offset:320
	s_waitcnt lgkmcnt(19)
	v_fma_f64 v[80:81], -v[82:83], v[88:89], v[80:81]
	v_fma_f64 v[78:79], -v[82:83], v[90:91], v[78:79]
	s_waitcnt lgkmcnt(18)
	v_fma_f64 v[76:77], -v[82:83], v[98:99], v[76:77]
	v_fma_f64 v[74:75], -v[82:83], v[100:101], v[74:75]
	;; [unrolled: 3-line block ×19, first 2 shown]
	s_waitcnt lgkmcnt(0)
	v_fma_f64 v[86:87], -v[82:83], v[0:1], v[86:87]
.LBB80_29:
	s_or_b32 exec_lo, exec_lo, s2
	v_lshl_add_u32 v0, v97, 3, v94
	s_barrier
	buffer_gl0_inv
	v_mov_b32_e32 v88, 2
	ds_write_b64 v0, v[80:81]
	s_waitcnt lgkmcnt(0)
	s_barrier
	buffer_gl0_inv
	ds_read_b64 v[0:1], v94 offset:16
	s_cmp_lt_i32 s7, 4
	s_mov_b32 s2, 3
	s_cbranch_scc1 .LBB80_32
; %bb.30:
	v_add3_u32 v89, v95, 0, 24
	v_mov_b32_e32 v88, 2
.LBB80_31:                              ; =>This Inner Loop Header: Depth=1
	ds_read_b64 v[90:91], v89
	v_add_nc_u32_e32 v89, 8, v89
	s_waitcnt lgkmcnt(0)
	v_cmp_lt_f64_e64 vcc_lo, |v[0:1]|, |v[90:91]|
	v_cndmask_b32_e32 v1, v1, v91, vcc_lo
	v_cndmask_b32_e32 v0, v0, v90, vcc_lo
	v_cndmask_b32_e64 v88, v88, s2, vcc_lo
	s_add_i32 s2, s2, 1
	s_cmp_lg_u32 s7, s2
	s_cbranch_scc1 .LBB80_31
.LBB80_32:
	v_cndmask_b32_e64 v89, 2, 1, s0
	v_cndmask_b32_e64 v90, 0, 1, s0
	s_mov_b32 s0, exec_lo
	v_cndmask_b32_e64 v91, v89, v90, s1
	s_waitcnt lgkmcnt(0)
	v_cmpx_eq_f64_e32 0, v[0:1]
	s_xor_b32 s0, exec_lo, s0
; %bb.33:
	v_cmp_ne_u32_e32 vcc_lo, 0, v91
	v_cndmask_b32_e32 v91, 3, v91, vcc_lo
; %bb.34:
	s_andn2_saveexec_b32 s0, s0
	s_cbranch_execz .LBB80_36
; %bb.35:
	v_div_scale_f64 v[89:90], null, v[0:1], v[0:1], 1.0
	v_rcp_f64_e32 v[98:99], v[89:90]
	v_fma_f64 v[100:101], -v[89:90], v[98:99], 1.0
	v_fma_f64 v[98:99], v[98:99], v[100:101], v[98:99]
	v_fma_f64 v[100:101], -v[89:90], v[98:99], 1.0
	v_fma_f64 v[98:99], v[98:99], v[100:101], v[98:99]
	v_div_scale_f64 v[100:101], vcc_lo, 1.0, v[0:1], 1.0
	v_mul_f64 v[102:103], v[100:101], v[98:99]
	v_fma_f64 v[89:90], -v[89:90], v[102:103], v[100:101]
	v_div_fmas_f64 v[89:90], v[89:90], v[98:99], v[102:103]
	v_div_fixup_f64 v[0:1], v[89:90], v[0:1], 1.0
.LBB80_36:
	s_or_b32 exec_lo, exec_lo, s0
	s_mov_b32 s0, exec_lo
	v_cmpx_ne_u32_e64 v97, v88
	s_xor_b32 s0, exec_lo, s0
	s_cbranch_execz .LBB80_42
; %bb.37:
	s_mov_b32 s1, exec_lo
	v_cmpx_eq_u32_e32 2, v97
	s_cbranch_execz .LBB80_41
; %bb.38:
	v_cmp_ne_u32_e32 vcc_lo, 2, v88
	s_xor_b32 s2, s6, -1
	s_and_b32 s3, s2, vcc_lo
	s_and_saveexec_b32 s2, s3
	s_cbranch_execz .LBB80_40
; %bb.39:
	v_ashrrev_i32_e32 v89, 31, v88
	v_lshlrev_b64 v[89:90], 2, v[88:89]
	v_add_co_u32 v89, vcc_lo, v4, v89
	v_add_co_ci_u32_e64 v90, null, v5, v90, vcc_lo
	s_clause 0x1
	global_load_dword v96, v[89:90], off
	global_load_dword v97, v[4:5], off offset:8
	s_waitcnt vmcnt(1)
	global_store_dword v[4:5], v96, off offset:8
	s_waitcnt vmcnt(0)
	global_store_dword v[89:90], v97, off
.LBB80_40:
	s_or_b32 exec_lo, exec_lo, s2
	v_mov_b32_e32 v96, v88
	v_mov_b32_e32 v97, v88
.LBB80_41:
	s_or_b32 exec_lo, exec_lo, s1
.LBB80_42:
	s_andn2_saveexec_b32 s0, s0
	s_cbranch_execz .LBB80_44
; %bb.43:
	v_mov_b32_e32 v97, 2
	ds_write2_b64 v94, v[78:79], v[76:77] offset0:3 offset1:4
	ds_write2_b64 v94, v[74:75], v[72:73] offset0:5 offset1:6
	;; [unrolled: 1-line block ×19, first 2 shown]
.LBB80_44:
	s_or_b32 exec_lo, exec_lo, s0
	s_mov_b32 s0, exec_lo
	s_waitcnt lgkmcnt(0)
	s_waitcnt_vscnt null, 0x0
	s_barrier
	buffer_gl0_inv
	v_cmpx_lt_i32_e32 2, v97
	s_cbranch_execz .LBB80_46
; %bb.45:
	v_mul_f64 v[80:81], v[0:1], v[80:81]
	ds_read2_b64 v[98:101], v94 offset0:3 offset1:4
	ds_read2_b64 v[102:105], v94 offset0:5 offset1:6
	;; [unrolled: 1-line block ×12, first 2 shown]
	s_waitcnt lgkmcnt(11)
	v_fma_f64 v[78:79], -v[80:81], v[98:99], v[78:79]
	v_fma_f64 v[76:77], -v[80:81], v[100:101], v[76:77]
	s_waitcnt lgkmcnt(10)
	v_fma_f64 v[74:75], -v[80:81], v[102:103], v[74:75]
	v_fma_f64 v[72:73], -v[80:81], v[104:105], v[72:73]
	;; [unrolled: 3-line block ×5, first 2 shown]
	s_waitcnt lgkmcnt(6)
	v_fma_f64 v[58:59], -v[80:81], v[118:119], v[58:59]
	ds_read2_b64 v[98:101], v94 offset0:27 offset1:28
	ds_read2_b64 v[102:105], v94 offset0:29 offset1:30
	v_fma_f64 v[56:57], -v[80:81], v[120:121], v[56:57]
	s_waitcnt lgkmcnt(7)
	v_fma_f64 v[54:55], -v[80:81], v[122:123], v[54:55]
	ds_read2_b64 v[106:109], v94 offset0:31 offset1:32
	ds_read2_b64 v[110:113], v94 offset0:33 offset1:34
	v_fma_f64 v[52:53], -v[80:81], v[124:125], v[52:53]
	ds_read2_b64 v[114:117], v94 offset0:35 offset1:36
	ds_read2_b64 v[118:121], v94 offset0:37 offset1:38
	;; [unrolled: 1-line block ×3, first 2 shown]
	s_waitcnt lgkmcnt(11)
	v_fma_f64 v[48:49], -v[80:81], v[126:127], v[48:49]
	v_fma_f64 v[50:51], -v[80:81], v[128:129], v[50:51]
	s_waitcnt lgkmcnt(10)
	v_fma_f64 v[44:45], -v[80:81], v[130:131], v[44:45]
	v_fma_f64 v[46:47], -v[80:81], v[132:133], v[46:47]
	;; [unrolled: 3-line block ×12, first 2 shown]
.LBB80_46:
	s_or_b32 exec_lo, exec_lo, s0
	v_lshl_add_u32 v0, v97, 3, v94
	s_barrier
	buffer_gl0_inv
	v_mov_b32_e32 v88, 3
	ds_write_b64 v0, v[78:79]
	s_waitcnt lgkmcnt(0)
	s_barrier
	buffer_gl0_inv
	ds_read_b64 v[0:1], v94 offset:24
	s_cmp_lt_i32 s7, 5
	s_cbranch_scc1 .LBB80_49
; %bb.47:
	v_mov_b32_e32 v88, 3
	v_add3_u32 v89, v95, 0, 32
	s_mov_b32 s0, 4
.LBB80_48:                              ; =>This Inner Loop Header: Depth=1
	ds_read_b64 v[98:99], v89
	v_add_nc_u32_e32 v89, 8, v89
	s_waitcnt lgkmcnt(0)
	v_cmp_lt_f64_e64 vcc_lo, |v[0:1]|, |v[98:99]|
	v_cndmask_b32_e32 v1, v1, v99, vcc_lo
	v_cndmask_b32_e32 v0, v0, v98, vcc_lo
	v_cndmask_b32_e64 v88, v88, s0, vcc_lo
	s_add_i32 s0, s0, 1
	s_cmp_lg_u32 s7, s0
	s_cbranch_scc1 .LBB80_48
.LBB80_49:
	s_mov_b32 s0, exec_lo
	s_waitcnt lgkmcnt(0)
	v_cmpx_eq_f64_e32 0, v[0:1]
	s_xor_b32 s0, exec_lo, s0
; %bb.50:
	v_cmp_ne_u32_e32 vcc_lo, 0, v91
	v_cndmask_b32_e32 v91, 4, v91, vcc_lo
; %bb.51:
	s_andn2_saveexec_b32 s0, s0
	s_cbranch_execz .LBB80_53
; %bb.52:
	v_div_scale_f64 v[89:90], null, v[0:1], v[0:1], 1.0
	v_rcp_f64_e32 v[98:99], v[89:90]
	v_fma_f64 v[100:101], -v[89:90], v[98:99], 1.0
	v_fma_f64 v[98:99], v[98:99], v[100:101], v[98:99]
	v_fma_f64 v[100:101], -v[89:90], v[98:99], 1.0
	v_fma_f64 v[98:99], v[98:99], v[100:101], v[98:99]
	v_div_scale_f64 v[100:101], vcc_lo, 1.0, v[0:1], 1.0
	v_mul_f64 v[102:103], v[100:101], v[98:99]
	v_fma_f64 v[89:90], -v[89:90], v[102:103], v[100:101]
	v_div_fmas_f64 v[89:90], v[89:90], v[98:99], v[102:103]
	v_div_fixup_f64 v[0:1], v[89:90], v[0:1], 1.0
.LBB80_53:
	s_or_b32 exec_lo, exec_lo, s0
	s_mov_b32 s0, exec_lo
	v_cmpx_ne_u32_e64 v97, v88
	s_xor_b32 s0, exec_lo, s0
	s_cbranch_execz .LBB80_59
; %bb.54:
	s_mov_b32 s1, exec_lo
	v_cmpx_eq_u32_e32 3, v97
	s_cbranch_execz .LBB80_58
; %bb.55:
	v_cmp_ne_u32_e32 vcc_lo, 3, v88
	s_xor_b32 s2, s6, -1
	s_and_b32 s3, s2, vcc_lo
	s_and_saveexec_b32 s2, s3
	s_cbranch_execz .LBB80_57
; %bb.56:
	v_ashrrev_i32_e32 v89, 31, v88
	v_lshlrev_b64 v[89:90], 2, v[88:89]
	v_add_co_u32 v89, vcc_lo, v4, v89
	v_add_co_ci_u32_e64 v90, null, v5, v90, vcc_lo
	s_clause 0x1
	global_load_dword v96, v[89:90], off
	global_load_dword v97, v[4:5], off offset:12
	s_waitcnt vmcnt(1)
	global_store_dword v[4:5], v96, off offset:12
	s_waitcnt vmcnt(0)
	global_store_dword v[89:90], v97, off
.LBB80_57:
	s_or_b32 exec_lo, exec_lo, s2
	v_mov_b32_e32 v96, v88
	v_mov_b32_e32 v97, v88
.LBB80_58:
	s_or_b32 exec_lo, exec_lo, s1
.LBB80_59:
	s_andn2_saveexec_b32 s0, s0
	s_cbranch_execz .LBB80_61
; %bb.60:
	v_mov_b32_e32 v88, v76
	v_mov_b32_e32 v89, v77
	;; [unrolled: 1-line block ×16, first 2 shown]
	ds_write2_b64 v94, v[88:89], v[97:98] offset0:4 offset1:5
	ds_write2_b64 v94, v[99:100], v[101:102] offset0:6 offset1:7
	;; [unrolled: 1-line block ×4, first 2 shown]
	v_mov_b32_e32 v88, v60
	v_mov_b32_e32 v89, v61
	;; [unrolled: 1-line block ×20, first 2 shown]
	ds_write2_b64 v94, v[88:89], v[97:98] offset0:12 offset1:13
	ds_write2_b64 v94, v[99:100], v[101:102] offset0:14 offset1:15
	;; [unrolled: 1-line block ×5, first 2 shown]
	v_mov_b32_e32 v88, v40
	v_mov_b32_e32 v89, v41
	;; [unrolled: 1-line block ×20, first 2 shown]
	ds_write2_b64 v94, v[88:89], v[97:98] offset0:22 offset1:23
	ds_write2_b64 v94, v[99:100], v[101:102] offset0:24 offset1:25
	;; [unrolled: 1-line block ×5, first 2 shown]
	v_mov_b32_e32 v88, v20
	v_mov_b32_e32 v89, v21
	;; [unrolled: 1-line block ×8, first 2 shown]
	ds_write2_b64 v94, v[88:89], v[97:98] offset0:32 offset1:33
	v_mov_b32_e32 v97, 3
	v_mov_b32_e32 v103, v12
	;; [unrolled: 1-line block ×9, first 2 shown]
	ds_write2_b64 v94, v[99:100], v[101:102] offset0:34 offset1:35
	ds_write2_b64 v94, v[103:104], v[105:106] offset0:36 offset1:37
	;; [unrolled: 1-line block ×3, first 2 shown]
	ds_write_b64 v94, v[86:87] offset:320
.LBB80_61:
	s_or_b32 exec_lo, exec_lo, s0
	s_mov_b32 s0, exec_lo
	s_waitcnt lgkmcnt(0)
	s_waitcnt_vscnt null, 0x0
	s_barrier
	buffer_gl0_inv
	v_cmpx_lt_i32_e32 3, v97
	s_cbranch_execz .LBB80_63
; %bb.62:
	v_mul_f64 v[78:79], v[0:1], v[78:79]
	ds_read2_b64 v[98:101], v94 offset0:4 offset1:5
	ds_read2_b64 v[102:105], v94 offset0:6 offset1:7
	;; [unrolled: 1-line block ×12, first 2 shown]
	ds_read_b64 v[0:1], v94 offset:320
	s_waitcnt lgkmcnt(12)
	v_fma_f64 v[76:77], -v[78:79], v[98:99], v[76:77]
	v_fma_f64 v[74:75], -v[78:79], v[100:101], v[74:75]
	s_waitcnt lgkmcnt(11)
	v_fma_f64 v[72:73], -v[78:79], v[102:103], v[72:73]
	v_fma_f64 v[68:69], -v[78:79], v[104:105], v[68:69]
	;; [unrolled: 3-line block ×5, first 2 shown]
	s_waitcnt lgkmcnt(7)
	v_fma_f64 v[56:57], -v[78:79], v[118:119], v[56:57]
	ds_read2_b64 v[98:101], v94 offset0:28 offset1:29
	ds_read2_b64 v[102:105], v94 offset0:30 offset1:31
	v_fma_f64 v[54:55], -v[78:79], v[120:121], v[54:55]
	ds_read2_b64 v[106:109], v94 offset0:32 offset1:33
	ds_read2_b64 v[110:113], v94 offset0:34 offset1:35
	;; [unrolled: 1-line block ×4, first 2 shown]
	s_waitcnt lgkmcnt(12)
	v_fma_f64 v[52:53], -v[78:79], v[122:123], v[52:53]
	v_fma_f64 v[48:49], -v[78:79], v[124:125], v[48:49]
	s_waitcnt lgkmcnt(11)
	v_fma_f64 v[50:51], -v[78:79], v[126:127], v[50:51]
	v_fma_f64 v[44:45], -v[78:79], v[128:129], v[44:45]
	;; [unrolled: 3-line block ×6, first 2 shown]
	s_waitcnt lgkmcnt(6)
	v_fma_f64 v[86:87], -v[78:79], v[0:1], v[86:87]
	s_waitcnt lgkmcnt(5)
	v_fma_f64 v[30:31], -v[78:79], v[98:99], v[30:31]
	v_fma_f64 v[24:25], -v[78:79], v[100:101], v[24:25]
	s_waitcnt lgkmcnt(4)
	v_fma_f64 v[26:27], -v[78:79], v[102:103], v[26:27]
	;; [unrolled: 3-line block ×6, first 2 shown]
	v_fma_f64 v[6:7], -v[78:79], v[120:121], v[6:7]
.LBB80_63:
	s_or_b32 exec_lo, exec_lo, s0
	v_lshl_add_u32 v0, v97, 3, v94
	s_barrier
	buffer_gl0_inv
	v_mov_b32_e32 v88, 4
	ds_write_b64 v0, v[76:77]
	s_waitcnt lgkmcnt(0)
	s_barrier
	buffer_gl0_inv
	ds_read_b64 v[0:1], v94 offset:32
	s_cmp_lt_i32 s7, 6
	s_cbranch_scc1 .LBB80_66
; %bb.64:
	v_add3_u32 v89, v95, 0, 40
	v_mov_b32_e32 v88, 4
	s_mov_b32 s0, 5
.LBB80_65:                              ; =>This Inner Loop Header: Depth=1
	ds_read_b64 v[98:99], v89
	v_add_nc_u32_e32 v89, 8, v89
	s_waitcnt lgkmcnt(0)
	v_cmp_lt_f64_e64 vcc_lo, |v[0:1]|, |v[98:99]|
	v_cndmask_b32_e32 v1, v1, v99, vcc_lo
	v_cndmask_b32_e32 v0, v0, v98, vcc_lo
	v_cndmask_b32_e64 v88, v88, s0, vcc_lo
	s_add_i32 s0, s0, 1
	s_cmp_lg_u32 s7, s0
	s_cbranch_scc1 .LBB80_65
.LBB80_66:
	s_mov_b32 s0, exec_lo
	s_waitcnt lgkmcnt(0)
	v_cmpx_eq_f64_e32 0, v[0:1]
	s_xor_b32 s0, exec_lo, s0
; %bb.67:
	v_cmp_ne_u32_e32 vcc_lo, 0, v91
	v_cndmask_b32_e32 v91, 5, v91, vcc_lo
; %bb.68:
	s_andn2_saveexec_b32 s0, s0
	s_cbranch_execz .LBB80_70
; %bb.69:
	v_div_scale_f64 v[89:90], null, v[0:1], v[0:1], 1.0
	v_rcp_f64_e32 v[98:99], v[89:90]
	v_fma_f64 v[100:101], -v[89:90], v[98:99], 1.0
	v_fma_f64 v[98:99], v[98:99], v[100:101], v[98:99]
	v_fma_f64 v[100:101], -v[89:90], v[98:99], 1.0
	v_fma_f64 v[98:99], v[98:99], v[100:101], v[98:99]
	v_div_scale_f64 v[100:101], vcc_lo, 1.0, v[0:1], 1.0
	v_mul_f64 v[102:103], v[100:101], v[98:99]
	v_fma_f64 v[89:90], -v[89:90], v[102:103], v[100:101]
	v_div_fmas_f64 v[89:90], v[89:90], v[98:99], v[102:103]
	v_div_fixup_f64 v[0:1], v[89:90], v[0:1], 1.0
.LBB80_70:
	s_or_b32 exec_lo, exec_lo, s0
	s_mov_b32 s0, exec_lo
	v_cmpx_ne_u32_e64 v97, v88
	s_xor_b32 s0, exec_lo, s0
	s_cbranch_execz .LBB80_76
; %bb.71:
	s_mov_b32 s1, exec_lo
	v_cmpx_eq_u32_e32 4, v97
	s_cbranch_execz .LBB80_75
; %bb.72:
	v_cmp_ne_u32_e32 vcc_lo, 4, v88
	s_xor_b32 s2, s6, -1
	s_and_b32 s3, s2, vcc_lo
	s_and_saveexec_b32 s2, s3
	s_cbranch_execz .LBB80_74
; %bb.73:
	v_ashrrev_i32_e32 v89, 31, v88
	v_lshlrev_b64 v[89:90], 2, v[88:89]
	v_add_co_u32 v89, vcc_lo, v4, v89
	v_add_co_ci_u32_e64 v90, null, v5, v90, vcc_lo
	s_clause 0x1
	global_load_dword v96, v[89:90], off
	global_load_dword v97, v[4:5], off offset:16
	s_waitcnt vmcnt(1)
	global_store_dword v[4:5], v96, off offset:16
	s_waitcnt vmcnt(0)
	global_store_dword v[89:90], v97, off
.LBB80_74:
	s_or_b32 exec_lo, exec_lo, s2
	v_mov_b32_e32 v96, v88
	v_mov_b32_e32 v97, v88
.LBB80_75:
	s_or_b32 exec_lo, exec_lo, s1
.LBB80_76:
	s_andn2_saveexec_b32 s0, s0
	s_cbranch_execz .LBB80_78
; %bb.77:
	v_mov_b32_e32 v97, 4
	ds_write2_b64 v94, v[74:75], v[72:73] offset0:5 offset1:6
	ds_write2_b64 v94, v[68:69], v[70:71] offset0:7 offset1:8
	;; [unrolled: 1-line block ×18, first 2 shown]
.LBB80_78:
	s_or_b32 exec_lo, exec_lo, s0
	s_mov_b32 s0, exec_lo
	s_waitcnt lgkmcnt(0)
	s_waitcnt_vscnt null, 0x0
	s_barrier
	buffer_gl0_inv
	v_cmpx_lt_i32_e32 4, v97
	s_cbranch_execz .LBB80_80
; %bb.79:
	v_mul_f64 v[76:77], v[0:1], v[76:77]
	ds_read2_b64 v[98:101], v94 offset0:5 offset1:6
	ds_read2_b64 v[102:105], v94 offset0:7 offset1:8
	;; [unrolled: 1-line block ×12, first 2 shown]
	s_waitcnt lgkmcnt(11)
	v_fma_f64 v[74:75], -v[76:77], v[98:99], v[74:75]
	v_fma_f64 v[72:73], -v[76:77], v[100:101], v[72:73]
	s_waitcnt lgkmcnt(10)
	v_fma_f64 v[68:69], -v[76:77], v[102:103], v[68:69]
	v_fma_f64 v[70:71], -v[76:77], v[104:105], v[70:71]
	;; [unrolled: 3-line block ×5, first 2 shown]
	ds_read2_b64 v[98:101], v94 offset0:29 offset1:30
	ds_read2_b64 v[102:105], v94 offset0:31 offset1:32
	s_waitcnt lgkmcnt(8)
	v_fma_f64 v[54:55], -v[76:77], v[118:119], v[54:55]
	v_fma_f64 v[52:53], -v[76:77], v[120:121], v[52:53]
	ds_read2_b64 v[106:109], v94 offset0:33 offset1:34
	ds_read2_b64 v[110:113], v94 offset0:35 offset1:36
	ds_read2_b64 v[114:117], v94 offset0:37 offset1:38
	ds_read2_b64 v[118:121], v94 offset0:39 offset1:40
	s_waitcnt lgkmcnt(11)
	v_fma_f64 v[48:49], -v[76:77], v[122:123], v[48:49]
	v_fma_f64 v[50:51], -v[76:77], v[124:125], v[50:51]
	s_waitcnt lgkmcnt(10)
	v_fma_f64 v[44:45], -v[76:77], v[126:127], v[44:45]
	v_fma_f64 v[46:47], -v[76:77], v[128:129], v[46:47]
	;; [unrolled: 3-line block ×12, first 2 shown]
.LBB80_80:
	s_or_b32 exec_lo, exec_lo, s0
	v_lshl_add_u32 v0, v97, 3, v94
	s_barrier
	buffer_gl0_inv
	v_mov_b32_e32 v88, 5
	ds_write_b64 v0, v[74:75]
	s_waitcnt lgkmcnt(0)
	s_barrier
	buffer_gl0_inv
	ds_read_b64 v[0:1], v94 offset:40
	s_cmp_lt_i32 s7, 7
	s_cbranch_scc1 .LBB80_83
; %bb.81:
	v_add3_u32 v89, v95, 0, 48
	v_mov_b32_e32 v88, 5
	s_mov_b32 s0, 6
.LBB80_82:                              ; =>This Inner Loop Header: Depth=1
	ds_read_b64 v[98:99], v89
	v_add_nc_u32_e32 v89, 8, v89
	s_waitcnt lgkmcnt(0)
	v_cmp_lt_f64_e64 vcc_lo, |v[0:1]|, |v[98:99]|
	v_cndmask_b32_e32 v1, v1, v99, vcc_lo
	v_cndmask_b32_e32 v0, v0, v98, vcc_lo
	v_cndmask_b32_e64 v88, v88, s0, vcc_lo
	s_add_i32 s0, s0, 1
	s_cmp_lg_u32 s7, s0
	s_cbranch_scc1 .LBB80_82
.LBB80_83:
	s_mov_b32 s0, exec_lo
	s_waitcnt lgkmcnt(0)
	v_cmpx_eq_f64_e32 0, v[0:1]
	s_xor_b32 s0, exec_lo, s0
; %bb.84:
	v_cmp_ne_u32_e32 vcc_lo, 0, v91
	v_cndmask_b32_e32 v91, 6, v91, vcc_lo
; %bb.85:
	s_andn2_saveexec_b32 s0, s0
	s_cbranch_execz .LBB80_87
; %bb.86:
	v_div_scale_f64 v[89:90], null, v[0:1], v[0:1], 1.0
	v_rcp_f64_e32 v[98:99], v[89:90]
	v_fma_f64 v[100:101], -v[89:90], v[98:99], 1.0
	v_fma_f64 v[98:99], v[98:99], v[100:101], v[98:99]
	v_fma_f64 v[100:101], -v[89:90], v[98:99], 1.0
	v_fma_f64 v[98:99], v[98:99], v[100:101], v[98:99]
	v_div_scale_f64 v[100:101], vcc_lo, 1.0, v[0:1], 1.0
	v_mul_f64 v[102:103], v[100:101], v[98:99]
	v_fma_f64 v[89:90], -v[89:90], v[102:103], v[100:101]
	v_div_fmas_f64 v[89:90], v[89:90], v[98:99], v[102:103]
	v_div_fixup_f64 v[0:1], v[89:90], v[0:1], 1.0
.LBB80_87:
	s_or_b32 exec_lo, exec_lo, s0
	s_mov_b32 s0, exec_lo
	v_cmpx_ne_u32_e64 v97, v88
	s_xor_b32 s0, exec_lo, s0
	s_cbranch_execz .LBB80_93
; %bb.88:
	s_mov_b32 s1, exec_lo
	v_cmpx_eq_u32_e32 5, v97
	s_cbranch_execz .LBB80_92
; %bb.89:
	v_cmp_ne_u32_e32 vcc_lo, 5, v88
	s_xor_b32 s2, s6, -1
	s_and_b32 s3, s2, vcc_lo
	s_and_saveexec_b32 s2, s3
	s_cbranch_execz .LBB80_91
; %bb.90:
	v_ashrrev_i32_e32 v89, 31, v88
	v_lshlrev_b64 v[89:90], 2, v[88:89]
	v_add_co_u32 v89, vcc_lo, v4, v89
	v_add_co_ci_u32_e64 v90, null, v5, v90, vcc_lo
	s_clause 0x1
	global_load_dword v96, v[89:90], off
	global_load_dword v97, v[4:5], off offset:20
	s_waitcnt vmcnt(1)
	global_store_dword v[4:5], v96, off offset:20
	s_waitcnt vmcnt(0)
	global_store_dword v[89:90], v97, off
.LBB80_91:
	s_or_b32 exec_lo, exec_lo, s2
	v_mov_b32_e32 v96, v88
	v_mov_b32_e32 v97, v88
.LBB80_92:
	s_or_b32 exec_lo, exec_lo, s1
.LBB80_93:
	s_andn2_saveexec_b32 s0, s0
	s_cbranch_execz .LBB80_95
; %bb.94:
	v_mov_b32_e32 v88, v72
	v_mov_b32_e32 v89, v73
	;; [unrolled: 1-line block ×12, first 2 shown]
	ds_write2_b64 v94, v[88:89], v[97:98] offset0:6 offset1:7
	ds_write2_b64 v94, v[99:100], v[101:102] offset0:8 offset1:9
	;; [unrolled: 1-line block ×3, first 2 shown]
	v_mov_b32_e32 v88, v60
	v_mov_b32_e32 v89, v61
	;; [unrolled: 1-line block ×20, first 2 shown]
	ds_write2_b64 v94, v[88:89], v[97:98] offset0:12 offset1:13
	ds_write2_b64 v94, v[99:100], v[101:102] offset0:14 offset1:15
	;; [unrolled: 1-line block ×5, first 2 shown]
	v_mov_b32_e32 v88, v40
	v_mov_b32_e32 v89, v41
	;; [unrolled: 1-line block ×20, first 2 shown]
	ds_write2_b64 v94, v[88:89], v[97:98] offset0:22 offset1:23
	ds_write2_b64 v94, v[99:100], v[101:102] offset0:24 offset1:25
	;; [unrolled: 1-line block ×5, first 2 shown]
	v_mov_b32_e32 v88, v20
	v_mov_b32_e32 v89, v21
	;; [unrolled: 1-line block ×8, first 2 shown]
	ds_write2_b64 v94, v[88:89], v[97:98] offset0:32 offset1:33
	v_mov_b32_e32 v97, 5
	v_mov_b32_e32 v103, v12
	;; [unrolled: 1-line block ×9, first 2 shown]
	ds_write2_b64 v94, v[99:100], v[101:102] offset0:34 offset1:35
	ds_write2_b64 v94, v[103:104], v[105:106] offset0:36 offset1:37
	;; [unrolled: 1-line block ×3, first 2 shown]
	ds_write_b64 v94, v[86:87] offset:320
.LBB80_95:
	s_or_b32 exec_lo, exec_lo, s0
	s_mov_b32 s0, exec_lo
	s_waitcnt lgkmcnt(0)
	s_waitcnt_vscnt null, 0x0
	s_barrier
	buffer_gl0_inv
	v_cmpx_lt_i32_e32 5, v97
	s_cbranch_execz .LBB80_97
; %bb.96:
	v_mul_f64 v[74:75], v[0:1], v[74:75]
	ds_read2_b64 v[98:101], v94 offset0:6 offset1:7
	ds_read2_b64 v[102:105], v94 offset0:8 offset1:9
	ds_read2_b64 v[106:109], v94 offset0:10 offset1:11
	ds_read2_b64 v[110:113], v94 offset0:12 offset1:13
	ds_read2_b64 v[114:117], v94 offset0:14 offset1:15
	ds_read2_b64 v[118:121], v94 offset0:16 offset1:17
	ds_read2_b64 v[122:125], v94 offset0:18 offset1:19
	ds_read2_b64 v[126:129], v94 offset0:20 offset1:21
	ds_read2_b64 v[130:133], v94 offset0:22 offset1:23
	ds_read2_b64 v[134:137], v94 offset0:24 offset1:25
	ds_read2_b64 v[138:141], v94 offset0:26 offset1:27
	ds_read2_b64 v[142:145], v94 offset0:28 offset1:29
	ds_read_b64 v[0:1], v94 offset:320
	s_waitcnt lgkmcnt(12)
	v_fma_f64 v[72:73], -v[74:75], v[98:99], v[72:73]
	v_fma_f64 v[68:69], -v[74:75], v[100:101], v[68:69]
	s_waitcnt lgkmcnt(11)
	v_fma_f64 v[70:71], -v[74:75], v[102:103], v[70:71]
	v_fma_f64 v[64:65], -v[74:75], v[104:105], v[64:65]
	;; [unrolled: 3-line block ×5, first 2 shown]
	ds_read2_b64 v[98:101], v94 offset0:30 offset1:31
	ds_read2_b64 v[102:105], v94 offset0:32 offset1:33
	ds_read2_b64 v[106:109], v94 offset0:34 offset1:35
	ds_read2_b64 v[110:113], v94 offset0:36 offset1:37
	ds_read2_b64 v[114:117], v94 offset0:38 offset1:39
	s_waitcnt lgkmcnt(12)
	v_fma_f64 v[52:53], -v[74:75], v[118:119], v[52:53]
	v_fma_f64 v[48:49], -v[74:75], v[120:121], v[48:49]
	s_waitcnt lgkmcnt(11)
	v_fma_f64 v[50:51], -v[74:75], v[122:123], v[50:51]
	v_fma_f64 v[44:45], -v[74:75], v[124:125], v[44:45]
	;; [unrolled: 3-line block ×7, first 2 shown]
	s_waitcnt lgkmcnt(5)
	v_fma_f64 v[86:87], -v[74:75], v[0:1], v[86:87]
	s_waitcnt lgkmcnt(4)
	v_fma_f64 v[26:27], -v[74:75], v[98:99], v[26:27]
	v_fma_f64 v[22:23], -v[74:75], v[100:101], v[22:23]
	s_waitcnt lgkmcnt(3)
	v_fma_f64 v[20:21], -v[74:75], v[102:103], v[20:21]
	;; [unrolled: 3-line block ×5, first 2 shown]
	v_fma_f64 v[6:7], -v[74:75], v[116:117], v[6:7]
.LBB80_97:
	s_or_b32 exec_lo, exec_lo, s0
	v_lshl_add_u32 v0, v97, 3, v94
	s_barrier
	buffer_gl0_inv
	v_mov_b32_e32 v88, 6
	ds_write_b64 v0, v[72:73]
	s_waitcnt lgkmcnt(0)
	s_barrier
	buffer_gl0_inv
	ds_read_b64 v[0:1], v94 offset:48
	s_cmp_lt_i32 s7, 8
	s_cbranch_scc1 .LBB80_100
; %bb.98:
	v_add3_u32 v89, v95, 0, 56
	v_mov_b32_e32 v88, 6
	s_mov_b32 s0, 7
.LBB80_99:                              ; =>This Inner Loop Header: Depth=1
	ds_read_b64 v[98:99], v89
	v_add_nc_u32_e32 v89, 8, v89
	s_waitcnt lgkmcnt(0)
	v_cmp_lt_f64_e64 vcc_lo, |v[0:1]|, |v[98:99]|
	v_cndmask_b32_e32 v1, v1, v99, vcc_lo
	v_cndmask_b32_e32 v0, v0, v98, vcc_lo
	v_cndmask_b32_e64 v88, v88, s0, vcc_lo
	s_add_i32 s0, s0, 1
	s_cmp_lg_u32 s7, s0
	s_cbranch_scc1 .LBB80_99
.LBB80_100:
	s_mov_b32 s0, exec_lo
	s_waitcnt lgkmcnt(0)
	v_cmpx_eq_f64_e32 0, v[0:1]
	s_xor_b32 s0, exec_lo, s0
; %bb.101:
	v_cmp_ne_u32_e32 vcc_lo, 0, v91
	v_cndmask_b32_e32 v91, 7, v91, vcc_lo
; %bb.102:
	s_andn2_saveexec_b32 s0, s0
	s_cbranch_execz .LBB80_104
; %bb.103:
	v_div_scale_f64 v[89:90], null, v[0:1], v[0:1], 1.0
	v_rcp_f64_e32 v[98:99], v[89:90]
	v_fma_f64 v[100:101], -v[89:90], v[98:99], 1.0
	v_fma_f64 v[98:99], v[98:99], v[100:101], v[98:99]
	v_fma_f64 v[100:101], -v[89:90], v[98:99], 1.0
	v_fma_f64 v[98:99], v[98:99], v[100:101], v[98:99]
	v_div_scale_f64 v[100:101], vcc_lo, 1.0, v[0:1], 1.0
	v_mul_f64 v[102:103], v[100:101], v[98:99]
	v_fma_f64 v[89:90], -v[89:90], v[102:103], v[100:101]
	v_div_fmas_f64 v[89:90], v[89:90], v[98:99], v[102:103]
	v_div_fixup_f64 v[0:1], v[89:90], v[0:1], 1.0
.LBB80_104:
	s_or_b32 exec_lo, exec_lo, s0
	s_mov_b32 s0, exec_lo
	v_cmpx_ne_u32_e64 v97, v88
	s_xor_b32 s0, exec_lo, s0
	s_cbranch_execz .LBB80_110
; %bb.105:
	s_mov_b32 s1, exec_lo
	v_cmpx_eq_u32_e32 6, v97
	s_cbranch_execz .LBB80_109
; %bb.106:
	v_cmp_ne_u32_e32 vcc_lo, 6, v88
	s_xor_b32 s2, s6, -1
	s_and_b32 s3, s2, vcc_lo
	s_and_saveexec_b32 s2, s3
	s_cbranch_execz .LBB80_108
; %bb.107:
	v_ashrrev_i32_e32 v89, 31, v88
	v_lshlrev_b64 v[89:90], 2, v[88:89]
	v_add_co_u32 v89, vcc_lo, v4, v89
	v_add_co_ci_u32_e64 v90, null, v5, v90, vcc_lo
	s_clause 0x1
	global_load_dword v96, v[89:90], off
	global_load_dword v97, v[4:5], off offset:24
	s_waitcnt vmcnt(1)
	global_store_dword v[4:5], v96, off offset:24
	s_waitcnt vmcnt(0)
	global_store_dword v[89:90], v97, off
.LBB80_108:
	s_or_b32 exec_lo, exec_lo, s2
	v_mov_b32_e32 v96, v88
	v_mov_b32_e32 v97, v88
.LBB80_109:
	s_or_b32 exec_lo, exec_lo, s1
.LBB80_110:
	s_andn2_saveexec_b32 s0, s0
	s_cbranch_execz .LBB80_112
; %bb.111:
	v_mov_b32_e32 v97, 6
	ds_write2_b64 v94, v[68:69], v[70:71] offset0:7 offset1:8
	ds_write2_b64 v94, v[64:65], v[66:67] offset0:9 offset1:10
	;; [unrolled: 1-line block ×17, first 2 shown]
.LBB80_112:
	s_or_b32 exec_lo, exec_lo, s0
	s_mov_b32 s0, exec_lo
	s_waitcnt lgkmcnt(0)
	s_waitcnt_vscnt null, 0x0
	s_barrier
	buffer_gl0_inv
	v_cmpx_lt_i32_e32 6, v97
	s_cbranch_execz .LBB80_114
; %bb.113:
	v_mul_f64 v[72:73], v[0:1], v[72:73]
	ds_read2_b64 v[98:101], v94 offset0:7 offset1:8
	ds_read2_b64 v[102:105], v94 offset0:9 offset1:10
	;; [unrolled: 1-line block ×13, first 2 shown]
	s_waitcnt lgkmcnt(12)
	v_fma_f64 v[68:69], -v[72:73], v[98:99], v[68:69]
	v_fma_f64 v[70:71], -v[72:73], v[100:101], v[70:71]
	s_waitcnt lgkmcnt(11)
	v_fma_f64 v[64:65], -v[72:73], v[102:103], v[64:65]
	v_fma_f64 v[66:67], -v[72:73], v[104:105], v[66:67]
	;; [unrolled: 3-line block ×4, first 2 shown]
	ds_read2_b64 v[98:101], v94 offset0:33 offset1:34
	ds_read2_b64 v[102:105], v94 offset0:35 offset1:36
	;; [unrolled: 1-line block ×4, first 2 shown]
	s_waitcnt lgkmcnt(12)
	v_fma_f64 v[54:55], -v[72:73], v[114:115], v[54:55]
	v_fma_f64 v[52:53], -v[72:73], v[116:117], v[52:53]
	s_waitcnt lgkmcnt(11)
	v_fma_f64 v[48:49], -v[72:73], v[118:119], v[48:49]
	v_fma_f64 v[50:51], -v[72:73], v[120:121], v[50:51]
	;; [unrolled: 3-line block ×13, first 2 shown]
.LBB80_114:
	s_or_b32 exec_lo, exec_lo, s0
	v_lshl_add_u32 v0, v97, 3, v94
	s_barrier
	buffer_gl0_inv
	v_mov_b32_e32 v88, 7
	ds_write_b64 v0, v[68:69]
	s_waitcnt lgkmcnt(0)
	s_barrier
	buffer_gl0_inv
	ds_read_b64 v[0:1], v94 offset:56
	s_cmp_lt_i32 s7, 9
	s_cbranch_scc1 .LBB80_117
; %bb.115:
	v_add3_u32 v89, v95, 0, 64
	v_mov_b32_e32 v88, 7
	s_mov_b32 s0, 8
.LBB80_116:                             ; =>This Inner Loop Header: Depth=1
	ds_read_b64 v[98:99], v89
	v_add_nc_u32_e32 v89, 8, v89
	s_waitcnt lgkmcnt(0)
	v_cmp_lt_f64_e64 vcc_lo, |v[0:1]|, |v[98:99]|
	v_cndmask_b32_e32 v1, v1, v99, vcc_lo
	v_cndmask_b32_e32 v0, v0, v98, vcc_lo
	v_cndmask_b32_e64 v88, v88, s0, vcc_lo
	s_add_i32 s0, s0, 1
	s_cmp_lg_u32 s7, s0
	s_cbranch_scc1 .LBB80_116
.LBB80_117:
	s_mov_b32 s0, exec_lo
	s_waitcnt lgkmcnt(0)
	v_cmpx_eq_f64_e32 0, v[0:1]
	s_xor_b32 s0, exec_lo, s0
; %bb.118:
	v_cmp_ne_u32_e32 vcc_lo, 0, v91
	v_cndmask_b32_e32 v91, 8, v91, vcc_lo
; %bb.119:
	s_andn2_saveexec_b32 s0, s0
	s_cbranch_execz .LBB80_121
; %bb.120:
	v_div_scale_f64 v[89:90], null, v[0:1], v[0:1], 1.0
	v_rcp_f64_e32 v[98:99], v[89:90]
	v_fma_f64 v[100:101], -v[89:90], v[98:99], 1.0
	v_fma_f64 v[98:99], v[98:99], v[100:101], v[98:99]
	v_fma_f64 v[100:101], -v[89:90], v[98:99], 1.0
	v_fma_f64 v[98:99], v[98:99], v[100:101], v[98:99]
	v_div_scale_f64 v[100:101], vcc_lo, 1.0, v[0:1], 1.0
	v_mul_f64 v[102:103], v[100:101], v[98:99]
	v_fma_f64 v[89:90], -v[89:90], v[102:103], v[100:101]
	v_div_fmas_f64 v[89:90], v[89:90], v[98:99], v[102:103]
	v_div_fixup_f64 v[0:1], v[89:90], v[0:1], 1.0
.LBB80_121:
	s_or_b32 exec_lo, exec_lo, s0
	s_mov_b32 s0, exec_lo
	v_cmpx_ne_u32_e64 v97, v88
	s_xor_b32 s0, exec_lo, s0
	s_cbranch_execz .LBB80_127
; %bb.122:
	s_mov_b32 s1, exec_lo
	v_cmpx_eq_u32_e32 7, v97
	s_cbranch_execz .LBB80_126
; %bb.123:
	v_cmp_ne_u32_e32 vcc_lo, 7, v88
	s_xor_b32 s2, s6, -1
	s_and_b32 s3, s2, vcc_lo
	s_and_saveexec_b32 s2, s3
	s_cbranch_execz .LBB80_125
; %bb.124:
	v_ashrrev_i32_e32 v89, 31, v88
	v_lshlrev_b64 v[89:90], 2, v[88:89]
	v_add_co_u32 v89, vcc_lo, v4, v89
	v_add_co_ci_u32_e64 v90, null, v5, v90, vcc_lo
	s_clause 0x1
	global_load_dword v96, v[89:90], off
	global_load_dword v97, v[4:5], off offset:28
	s_waitcnt vmcnt(1)
	global_store_dword v[4:5], v96, off offset:28
	s_waitcnt vmcnt(0)
	global_store_dword v[89:90], v97, off
.LBB80_125:
	s_or_b32 exec_lo, exec_lo, s2
	v_mov_b32_e32 v96, v88
	v_mov_b32_e32 v97, v88
.LBB80_126:
	s_or_b32 exec_lo, exec_lo, s1
.LBB80_127:
	s_andn2_saveexec_b32 s0, s0
	s_cbranch_execz .LBB80_129
; %bb.128:
	v_mov_b32_e32 v88, v70
	v_mov_b32_e32 v89, v71
	;; [unrolled: 1-line block ×8, first 2 shown]
	ds_write2_b64 v94, v[88:89], v[97:98] offset0:8 offset1:9
	ds_write2_b64 v94, v[99:100], v[101:102] offset0:10 offset1:11
	v_mov_b32_e32 v88, v60
	v_mov_b32_e32 v89, v61
	;; [unrolled: 1-line block ×20, first 2 shown]
	ds_write2_b64 v94, v[88:89], v[97:98] offset0:12 offset1:13
	ds_write2_b64 v94, v[99:100], v[101:102] offset0:14 offset1:15
	;; [unrolled: 1-line block ×5, first 2 shown]
	v_mov_b32_e32 v88, v40
	v_mov_b32_e32 v89, v41
	;; [unrolled: 1-line block ×20, first 2 shown]
	ds_write2_b64 v94, v[88:89], v[97:98] offset0:22 offset1:23
	ds_write2_b64 v94, v[99:100], v[101:102] offset0:24 offset1:25
	;; [unrolled: 1-line block ×5, first 2 shown]
	v_mov_b32_e32 v88, v20
	v_mov_b32_e32 v89, v21
	;; [unrolled: 1-line block ×8, first 2 shown]
	ds_write2_b64 v94, v[88:89], v[97:98] offset0:32 offset1:33
	v_mov_b32_e32 v97, 7
	v_mov_b32_e32 v103, v12
	;; [unrolled: 1-line block ×9, first 2 shown]
	ds_write2_b64 v94, v[99:100], v[101:102] offset0:34 offset1:35
	ds_write2_b64 v94, v[103:104], v[105:106] offset0:36 offset1:37
	;; [unrolled: 1-line block ×3, first 2 shown]
	ds_write_b64 v94, v[86:87] offset:320
.LBB80_129:
	s_or_b32 exec_lo, exec_lo, s0
	s_mov_b32 s0, exec_lo
	s_waitcnt lgkmcnt(0)
	s_waitcnt_vscnt null, 0x0
	s_barrier
	buffer_gl0_inv
	v_cmpx_lt_i32_e32 7, v97
	s_cbranch_execz .LBB80_131
; %bb.130:
	v_mul_f64 v[68:69], v[0:1], v[68:69]
	ds_read2_b64 v[98:101], v94 offset0:8 offset1:9
	ds_read2_b64 v[102:105], v94 offset0:10 offset1:11
	;; [unrolled: 1-line block ×13, first 2 shown]
	ds_read_b64 v[0:1], v94 offset:320
	s_waitcnt lgkmcnt(13)
	v_fma_f64 v[70:71], -v[68:69], v[98:99], v[70:71]
	v_fma_f64 v[64:65], -v[68:69], v[100:101], v[64:65]
	s_waitcnt lgkmcnt(12)
	v_fma_f64 v[66:67], -v[68:69], v[102:103], v[66:67]
	v_fma_f64 v[62:63], -v[68:69], v[104:105], v[62:63]
	;; [unrolled: 3-line block ×3, first 2 shown]
	ds_read2_b64 v[98:101], v94 offset0:34 offset1:35
	ds_read2_b64 v[102:105], v94 offset0:36 offset1:37
	;; [unrolled: 1-line block ×3, first 2 shown]
	s_waitcnt lgkmcnt(13)
	v_fma_f64 v[56:57], -v[68:69], v[110:111], v[56:57]
	v_fma_f64 v[54:55], -v[68:69], v[112:113], v[54:55]
	s_waitcnt lgkmcnt(12)
	v_fma_f64 v[52:53], -v[68:69], v[114:115], v[52:53]
	v_fma_f64 v[48:49], -v[68:69], v[116:117], v[48:49]
	;; [unrolled: 3-line block ×13, first 2 shown]
	v_fma_f64 v[86:87], -v[68:69], v[0:1], v[86:87]
.LBB80_131:
	s_or_b32 exec_lo, exec_lo, s0
	v_lshl_add_u32 v0, v97, 3, v94
	s_barrier
	buffer_gl0_inv
	v_mov_b32_e32 v88, 8
	ds_write_b64 v0, v[70:71]
	s_waitcnt lgkmcnt(0)
	s_barrier
	buffer_gl0_inv
	ds_read_b64 v[0:1], v94 offset:64
	s_cmp_lt_i32 s7, 10
	s_cbranch_scc1 .LBB80_134
; %bb.132:
	v_add3_u32 v89, v95, 0, 0x48
	v_mov_b32_e32 v88, 8
	s_mov_b32 s0, 9
.LBB80_133:                             ; =>This Inner Loop Header: Depth=1
	ds_read_b64 v[98:99], v89
	v_add_nc_u32_e32 v89, 8, v89
	s_waitcnt lgkmcnt(0)
	v_cmp_lt_f64_e64 vcc_lo, |v[0:1]|, |v[98:99]|
	v_cndmask_b32_e32 v1, v1, v99, vcc_lo
	v_cndmask_b32_e32 v0, v0, v98, vcc_lo
	v_cndmask_b32_e64 v88, v88, s0, vcc_lo
	s_add_i32 s0, s0, 1
	s_cmp_lg_u32 s7, s0
	s_cbranch_scc1 .LBB80_133
.LBB80_134:
	s_mov_b32 s0, exec_lo
	s_waitcnt lgkmcnt(0)
	v_cmpx_eq_f64_e32 0, v[0:1]
	s_xor_b32 s0, exec_lo, s0
; %bb.135:
	v_cmp_ne_u32_e32 vcc_lo, 0, v91
	v_cndmask_b32_e32 v91, 9, v91, vcc_lo
; %bb.136:
	s_andn2_saveexec_b32 s0, s0
	s_cbranch_execz .LBB80_138
; %bb.137:
	v_div_scale_f64 v[89:90], null, v[0:1], v[0:1], 1.0
	v_rcp_f64_e32 v[98:99], v[89:90]
	v_fma_f64 v[100:101], -v[89:90], v[98:99], 1.0
	v_fma_f64 v[98:99], v[98:99], v[100:101], v[98:99]
	v_fma_f64 v[100:101], -v[89:90], v[98:99], 1.0
	v_fma_f64 v[98:99], v[98:99], v[100:101], v[98:99]
	v_div_scale_f64 v[100:101], vcc_lo, 1.0, v[0:1], 1.0
	v_mul_f64 v[102:103], v[100:101], v[98:99]
	v_fma_f64 v[89:90], -v[89:90], v[102:103], v[100:101]
	v_div_fmas_f64 v[89:90], v[89:90], v[98:99], v[102:103]
	v_div_fixup_f64 v[0:1], v[89:90], v[0:1], 1.0
.LBB80_138:
	s_or_b32 exec_lo, exec_lo, s0
	s_mov_b32 s0, exec_lo
	v_cmpx_ne_u32_e64 v97, v88
	s_xor_b32 s0, exec_lo, s0
	s_cbranch_execz .LBB80_144
; %bb.139:
	s_mov_b32 s1, exec_lo
	v_cmpx_eq_u32_e32 8, v97
	s_cbranch_execz .LBB80_143
; %bb.140:
	v_cmp_ne_u32_e32 vcc_lo, 8, v88
	s_xor_b32 s2, s6, -1
	s_and_b32 s3, s2, vcc_lo
	s_and_saveexec_b32 s2, s3
	s_cbranch_execz .LBB80_142
; %bb.141:
	v_ashrrev_i32_e32 v89, 31, v88
	v_lshlrev_b64 v[89:90], 2, v[88:89]
	v_add_co_u32 v89, vcc_lo, v4, v89
	v_add_co_ci_u32_e64 v90, null, v5, v90, vcc_lo
	s_clause 0x1
	global_load_dword v96, v[89:90], off
	global_load_dword v97, v[4:5], off offset:32
	s_waitcnt vmcnt(1)
	global_store_dword v[4:5], v96, off offset:32
	s_waitcnt vmcnt(0)
	global_store_dword v[89:90], v97, off
.LBB80_142:
	s_or_b32 exec_lo, exec_lo, s2
	v_mov_b32_e32 v96, v88
	v_mov_b32_e32 v97, v88
.LBB80_143:
	s_or_b32 exec_lo, exec_lo, s1
.LBB80_144:
	s_andn2_saveexec_b32 s0, s0
	s_cbranch_execz .LBB80_146
; %bb.145:
	v_mov_b32_e32 v97, 8
	ds_write2_b64 v94, v[64:65], v[66:67] offset0:9 offset1:10
	ds_write2_b64 v94, v[62:63], v[60:61] offset0:11 offset1:12
	ds_write2_b64 v94, v[58:59], v[56:57] offset0:13 offset1:14
	ds_write2_b64 v94, v[54:55], v[52:53] offset0:15 offset1:16
	ds_write2_b64 v94, v[48:49], v[50:51] offset0:17 offset1:18
	ds_write2_b64 v94, v[44:45], v[46:47] offset0:19 offset1:20
	ds_write2_b64 v94, v[42:43], v[40:41] offset0:21 offset1:22
	ds_write2_b64 v94, v[38:39], v[36:37] offset0:23 offset1:24
	ds_write2_b64 v94, v[34:35], v[32:33] offset0:25 offset1:26
	ds_write2_b64 v94, v[28:29], v[30:31] offset0:27 offset1:28
	ds_write2_b64 v94, v[24:25], v[26:27] offset0:29 offset1:30
	ds_write2_b64 v94, v[22:23], v[20:21] offset0:31 offset1:32
	ds_write2_b64 v94, v[18:19], v[16:17] offset0:33 offset1:34
	ds_write2_b64 v94, v[14:15], v[12:13] offset0:35 offset1:36
	ds_write2_b64 v94, v[8:9], v[10:11] offset0:37 offset1:38
	ds_write2_b64 v94, v[6:7], v[86:87] offset0:39 offset1:40
.LBB80_146:
	s_or_b32 exec_lo, exec_lo, s0
	s_mov_b32 s0, exec_lo
	s_waitcnt lgkmcnt(0)
	s_waitcnt_vscnt null, 0x0
	s_barrier
	buffer_gl0_inv
	v_cmpx_lt_i32_e32 8, v97
	s_cbranch_execz .LBB80_148
; %bb.147:
	v_mul_f64 v[70:71], v[0:1], v[70:71]
	ds_read2_b64 v[98:101], v94 offset0:9 offset1:10
	ds_read2_b64 v[102:105], v94 offset0:11 offset1:12
	;; [unrolled: 1-line block ×13, first 2 shown]
	s_waitcnt lgkmcnt(12)
	v_fma_f64 v[64:65], -v[70:71], v[98:99], v[64:65]
	v_fma_f64 v[66:67], -v[70:71], v[100:101], v[66:67]
	s_waitcnt lgkmcnt(11)
	v_fma_f64 v[62:63], -v[70:71], v[102:103], v[62:63]
	v_fma_f64 v[60:61], -v[70:71], v[104:105], v[60:61]
	;; [unrolled: 3-line block ×3, first 2 shown]
	ds_read2_b64 v[98:101], v94 offset0:35 offset1:36
	ds_read2_b64 v[102:105], v94 offset0:37 offset1:38
	;; [unrolled: 1-line block ×3, first 2 shown]
	s_waitcnt lgkmcnt(12)
	v_fma_f64 v[54:55], -v[70:71], v[110:111], v[54:55]
	v_fma_f64 v[52:53], -v[70:71], v[112:113], v[52:53]
	s_waitcnt lgkmcnt(11)
	v_fma_f64 v[48:49], -v[70:71], v[114:115], v[48:49]
	v_fma_f64 v[50:51], -v[70:71], v[116:117], v[50:51]
	;; [unrolled: 3-line block ×13, first 2 shown]
.LBB80_148:
	s_or_b32 exec_lo, exec_lo, s0
	v_lshl_add_u32 v0, v97, 3, v94
	s_barrier
	buffer_gl0_inv
	v_mov_b32_e32 v88, 9
	ds_write_b64 v0, v[64:65]
	s_waitcnt lgkmcnt(0)
	s_barrier
	buffer_gl0_inv
	ds_read_b64 v[0:1], v94 offset:72
	s_cmp_lt_i32 s7, 11
	s_cbranch_scc1 .LBB80_151
; %bb.149:
	v_add3_u32 v89, v95, 0, 0x50
	v_mov_b32_e32 v88, 9
	s_mov_b32 s0, 10
.LBB80_150:                             ; =>This Inner Loop Header: Depth=1
	ds_read_b64 v[98:99], v89
	v_add_nc_u32_e32 v89, 8, v89
	s_waitcnt lgkmcnt(0)
	v_cmp_lt_f64_e64 vcc_lo, |v[0:1]|, |v[98:99]|
	v_cndmask_b32_e32 v1, v1, v99, vcc_lo
	v_cndmask_b32_e32 v0, v0, v98, vcc_lo
	v_cndmask_b32_e64 v88, v88, s0, vcc_lo
	s_add_i32 s0, s0, 1
	s_cmp_lg_u32 s7, s0
	s_cbranch_scc1 .LBB80_150
.LBB80_151:
	s_mov_b32 s0, exec_lo
	s_waitcnt lgkmcnt(0)
	v_cmpx_eq_f64_e32 0, v[0:1]
	s_xor_b32 s0, exec_lo, s0
; %bb.152:
	v_cmp_ne_u32_e32 vcc_lo, 0, v91
	v_cndmask_b32_e32 v91, 10, v91, vcc_lo
; %bb.153:
	s_andn2_saveexec_b32 s0, s0
	s_cbranch_execz .LBB80_155
; %bb.154:
	v_div_scale_f64 v[89:90], null, v[0:1], v[0:1], 1.0
	v_rcp_f64_e32 v[98:99], v[89:90]
	v_fma_f64 v[100:101], -v[89:90], v[98:99], 1.0
	v_fma_f64 v[98:99], v[98:99], v[100:101], v[98:99]
	v_fma_f64 v[100:101], -v[89:90], v[98:99], 1.0
	v_fma_f64 v[98:99], v[98:99], v[100:101], v[98:99]
	v_div_scale_f64 v[100:101], vcc_lo, 1.0, v[0:1], 1.0
	v_mul_f64 v[102:103], v[100:101], v[98:99]
	v_fma_f64 v[89:90], -v[89:90], v[102:103], v[100:101]
	v_div_fmas_f64 v[89:90], v[89:90], v[98:99], v[102:103]
	v_div_fixup_f64 v[0:1], v[89:90], v[0:1], 1.0
.LBB80_155:
	s_or_b32 exec_lo, exec_lo, s0
	s_mov_b32 s0, exec_lo
	v_cmpx_ne_u32_e64 v97, v88
	s_xor_b32 s0, exec_lo, s0
	s_cbranch_execz .LBB80_161
; %bb.156:
	s_mov_b32 s1, exec_lo
	v_cmpx_eq_u32_e32 9, v97
	s_cbranch_execz .LBB80_160
; %bb.157:
	v_cmp_ne_u32_e32 vcc_lo, 9, v88
	s_xor_b32 s2, s6, -1
	s_and_b32 s3, s2, vcc_lo
	s_and_saveexec_b32 s2, s3
	s_cbranch_execz .LBB80_159
; %bb.158:
	v_ashrrev_i32_e32 v89, 31, v88
	v_lshlrev_b64 v[89:90], 2, v[88:89]
	v_add_co_u32 v89, vcc_lo, v4, v89
	v_add_co_ci_u32_e64 v90, null, v5, v90, vcc_lo
	s_clause 0x1
	global_load_dword v96, v[89:90], off
	global_load_dword v97, v[4:5], off offset:36
	s_waitcnt vmcnt(1)
	global_store_dword v[4:5], v96, off offset:36
	s_waitcnt vmcnt(0)
	global_store_dword v[89:90], v97, off
.LBB80_159:
	s_or_b32 exec_lo, exec_lo, s2
	v_mov_b32_e32 v96, v88
	v_mov_b32_e32 v97, v88
.LBB80_160:
	s_or_b32 exec_lo, exec_lo, s1
.LBB80_161:
	s_andn2_saveexec_b32 s0, s0
	s_cbranch_execz .LBB80_163
; %bb.162:
	v_mov_b32_e32 v88, v66
	v_mov_b32_e32 v89, v67
	;; [unrolled: 1-line block ×8, first 2 shown]
	ds_write2_b64 v94, v[88:89], v[97:98] offset0:10 offset1:11
	v_mov_b32_e32 v88, v58
	v_mov_b32_e32 v89, v59
	;; [unrolled: 1-line block ×16, first 2 shown]
	ds_write2_b64 v94, v[99:100], v[88:89] offset0:12 offset1:13
	ds_write2_b64 v94, v[97:98], v[101:102] offset0:14 offset1:15
	;; [unrolled: 1-line block ×5, first 2 shown]
	v_mov_b32_e32 v88, v40
	v_mov_b32_e32 v89, v41
	;; [unrolled: 1-line block ×20, first 2 shown]
	ds_write2_b64 v94, v[88:89], v[97:98] offset0:22 offset1:23
	ds_write2_b64 v94, v[99:100], v[101:102] offset0:24 offset1:25
	;; [unrolled: 1-line block ×5, first 2 shown]
	v_mov_b32_e32 v88, v20
	v_mov_b32_e32 v89, v21
	;; [unrolled: 1-line block ×8, first 2 shown]
	ds_write2_b64 v94, v[88:89], v[97:98] offset0:32 offset1:33
	v_mov_b32_e32 v97, 9
	v_mov_b32_e32 v103, v12
	;; [unrolled: 1-line block ×9, first 2 shown]
	ds_write2_b64 v94, v[99:100], v[101:102] offset0:34 offset1:35
	ds_write2_b64 v94, v[103:104], v[105:106] offset0:36 offset1:37
	;; [unrolled: 1-line block ×3, first 2 shown]
	ds_write_b64 v94, v[86:87] offset:320
.LBB80_163:
	s_or_b32 exec_lo, exec_lo, s0
	s_mov_b32 s0, exec_lo
	s_waitcnt lgkmcnt(0)
	s_waitcnt_vscnt null, 0x0
	s_barrier
	buffer_gl0_inv
	v_cmpx_lt_i32_e32 9, v97
	s_cbranch_execz .LBB80_165
; %bb.164:
	v_mul_f64 v[64:65], v[0:1], v[64:65]
	ds_read2_b64 v[98:101], v94 offset0:10 offset1:11
	ds_read2_b64 v[102:105], v94 offset0:12 offset1:13
	;; [unrolled: 1-line block ×13, first 2 shown]
	ds_read_b64 v[0:1], v94 offset:320
	s_waitcnt lgkmcnt(13)
	v_fma_f64 v[66:67], -v[64:65], v[98:99], v[66:67]
	v_fma_f64 v[62:63], -v[64:65], v[100:101], v[62:63]
	s_waitcnt lgkmcnt(12)
	v_fma_f64 v[60:61], -v[64:65], v[102:103], v[60:61]
	v_fma_f64 v[58:59], -v[64:65], v[104:105], v[58:59]
	ds_read2_b64 v[98:101], v94 offset0:36 offset1:37
	ds_read2_b64 v[102:105], v94 offset0:38 offset1:39
	s_waitcnt lgkmcnt(13)
	v_fma_f64 v[56:57], -v[64:65], v[106:107], v[56:57]
	v_fma_f64 v[54:55], -v[64:65], v[108:109], v[54:55]
	s_waitcnt lgkmcnt(12)
	v_fma_f64 v[52:53], -v[64:65], v[110:111], v[52:53]
	v_fma_f64 v[48:49], -v[64:65], v[112:113], v[48:49]
	;; [unrolled: 3-line block ×13, first 2 shown]
	v_fma_f64 v[86:87], -v[64:65], v[0:1], v[86:87]
.LBB80_165:
	s_or_b32 exec_lo, exec_lo, s0
	v_lshl_add_u32 v0, v97, 3, v94
	s_barrier
	buffer_gl0_inv
	v_mov_b32_e32 v88, 10
	ds_write_b64 v0, v[66:67]
	s_waitcnt lgkmcnt(0)
	s_barrier
	buffer_gl0_inv
	ds_read_b64 v[0:1], v94 offset:80
	s_cmp_lt_i32 s7, 12
	s_cbranch_scc1 .LBB80_168
; %bb.166:
	v_add3_u32 v89, v95, 0, 0x58
	v_mov_b32_e32 v88, 10
	s_mov_b32 s0, 11
.LBB80_167:                             ; =>This Inner Loop Header: Depth=1
	ds_read_b64 v[98:99], v89
	v_add_nc_u32_e32 v89, 8, v89
	s_waitcnt lgkmcnt(0)
	v_cmp_lt_f64_e64 vcc_lo, |v[0:1]|, |v[98:99]|
	v_cndmask_b32_e32 v1, v1, v99, vcc_lo
	v_cndmask_b32_e32 v0, v0, v98, vcc_lo
	v_cndmask_b32_e64 v88, v88, s0, vcc_lo
	s_add_i32 s0, s0, 1
	s_cmp_lg_u32 s7, s0
	s_cbranch_scc1 .LBB80_167
.LBB80_168:
	s_mov_b32 s0, exec_lo
	s_waitcnt lgkmcnt(0)
	v_cmpx_eq_f64_e32 0, v[0:1]
	s_xor_b32 s0, exec_lo, s0
; %bb.169:
	v_cmp_ne_u32_e32 vcc_lo, 0, v91
	v_cndmask_b32_e32 v91, 11, v91, vcc_lo
; %bb.170:
	s_andn2_saveexec_b32 s0, s0
	s_cbranch_execz .LBB80_172
; %bb.171:
	v_div_scale_f64 v[89:90], null, v[0:1], v[0:1], 1.0
	v_rcp_f64_e32 v[98:99], v[89:90]
	v_fma_f64 v[100:101], -v[89:90], v[98:99], 1.0
	v_fma_f64 v[98:99], v[98:99], v[100:101], v[98:99]
	v_fma_f64 v[100:101], -v[89:90], v[98:99], 1.0
	v_fma_f64 v[98:99], v[98:99], v[100:101], v[98:99]
	v_div_scale_f64 v[100:101], vcc_lo, 1.0, v[0:1], 1.0
	v_mul_f64 v[102:103], v[100:101], v[98:99]
	v_fma_f64 v[89:90], -v[89:90], v[102:103], v[100:101]
	v_div_fmas_f64 v[89:90], v[89:90], v[98:99], v[102:103]
	v_div_fixup_f64 v[0:1], v[89:90], v[0:1], 1.0
.LBB80_172:
	s_or_b32 exec_lo, exec_lo, s0
	s_mov_b32 s0, exec_lo
	v_cmpx_ne_u32_e64 v97, v88
	s_xor_b32 s0, exec_lo, s0
	s_cbranch_execz .LBB80_178
; %bb.173:
	s_mov_b32 s1, exec_lo
	v_cmpx_eq_u32_e32 10, v97
	s_cbranch_execz .LBB80_177
; %bb.174:
	v_cmp_ne_u32_e32 vcc_lo, 10, v88
	s_xor_b32 s2, s6, -1
	s_and_b32 s3, s2, vcc_lo
	s_and_saveexec_b32 s2, s3
	s_cbranch_execz .LBB80_176
; %bb.175:
	v_ashrrev_i32_e32 v89, 31, v88
	v_lshlrev_b64 v[89:90], 2, v[88:89]
	v_add_co_u32 v89, vcc_lo, v4, v89
	v_add_co_ci_u32_e64 v90, null, v5, v90, vcc_lo
	s_clause 0x1
	global_load_dword v96, v[89:90], off
	global_load_dword v97, v[4:5], off offset:40
	s_waitcnt vmcnt(1)
	global_store_dword v[4:5], v96, off offset:40
	s_waitcnt vmcnt(0)
	global_store_dword v[89:90], v97, off
.LBB80_176:
	s_or_b32 exec_lo, exec_lo, s2
	v_mov_b32_e32 v96, v88
	v_mov_b32_e32 v97, v88
.LBB80_177:
	s_or_b32 exec_lo, exec_lo, s1
.LBB80_178:
	s_andn2_saveexec_b32 s0, s0
	s_cbranch_execz .LBB80_180
; %bb.179:
	v_mov_b32_e32 v97, 10
	ds_write2_b64 v94, v[62:63], v[60:61] offset0:11 offset1:12
	ds_write2_b64 v94, v[58:59], v[56:57] offset0:13 offset1:14
	;; [unrolled: 1-line block ×15, first 2 shown]
.LBB80_180:
	s_or_b32 exec_lo, exec_lo, s0
	s_mov_b32 s0, exec_lo
	s_waitcnt lgkmcnt(0)
	s_waitcnt_vscnt null, 0x0
	s_barrier
	buffer_gl0_inv
	v_cmpx_lt_i32_e32 10, v97
	s_cbranch_execz .LBB80_182
; %bb.181:
	v_mul_f64 v[66:67], v[0:1], v[66:67]
	ds_read2_b64 v[98:101], v94 offset0:11 offset1:12
	ds_read2_b64 v[102:105], v94 offset0:13 offset1:14
	;; [unrolled: 1-line block ×14, first 2 shown]
	s_waitcnt lgkmcnt(13)
	v_fma_f64 v[62:63], -v[66:67], v[98:99], v[62:63]
	v_fma_f64 v[60:61], -v[66:67], v[100:101], v[60:61]
	ds_read2_b64 v[98:101], v94 offset0:39 offset1:40
	s_waitcnt lgkmcnt(13)
	v_fma_f64 v[58:59], -v[66:67], v[102:103], v[58:59]
	v_fma_f64 v[56:57], -v[66:67], v[104:105], v[56:57]
	s_waitcnt lgkmcnt(12)
	v_fma_f64 v[54:55], -v[66:67], v[106:107], v[54:55]
	v_fma_f64 v[52:53], -v[66:67], v[108:109], v[52:53]
	;; [unrolled: 3-line block ×14, first 2 shown]
.LBB80_182:
	s_or_b32 exec_lo, exec_lo, s0
	v_lshl_add_u32 v0, v97, 3, v94
	s_barrier
	buffer_gl0_inv
	v_mov_b32_e32 v88, 11
	ds_write_b64 v0, v[62:63]
	s_waitcnt lgkmcnt(0)
	s_barrier
	buffer_gl0_inv
	ds_read_b64 v[0:1], v94 offset:88
	s_cmp_lt_i32 s7, 13
	s_cbranch_scc1 .LBB80_185
; %bb.183:
	v_add3_u32 v89, v95, 0, 0x60
	v_mov_b32_e32 v88, 11
	s_mov_b32 s0, 12
.LBB80_184:                             ; =>This Inner Loop Header: Depth=1
	ds_read_b64 v[98:99], v89
	v_add_nc_u32_e32 v89, 8, v89
	s_waitcnt lgkmcnt(0)
	v_cmp_lt_f64_e64 vcc_lo, |v[0:1]|, |v[98:99]|
	v_cndmask_b32_e32 v1, v1, v99, vcc_lo
	v_cndmask_b32_e32 v0, v0, v98, vcc_lo
	v_cndmask_b32_e64 v88, v88, s0, vcc_lo
	s_add_i32 s0, s0, 1
	s_cmp_lg_u32 s7, s0
	s_cbranch_scc1 .LBB80_184
.LBB80_185:
	s_mov_b32 s0, exec_lo
	s_waitcnt lgkmcnt(0)
	v_cmpx_eq_f64_e32 0, v[0:1]
	s_xor_b32 s0, exec_lo, s0
; %bb.186:
	v_cmp_ne_u32_e32 vcc_lo, 0, v91
	v_cndmask_b32_e32 v91, 12, v91, vcc_lo
; %bb.187:
	s_andn2_saveexec_b32 s0, s0
	s_cbranch_execz .LBB80_189
; %bb.188:
	v_div_scale_f64 v[89:90], null, v[0:1], v[0:1], 1.0
	v_rcp_f64_e32 v[98:99], v[89:90]
	v_fma_f64 v[100:101], -v[89:90], v[98:99], 1.0
	v_fma_f64 v[98:99], v[98:99], v[100:101], v[98:99]
	v_fma_f64 v[100:101], -v[89:90], v[98:99], 1.0
	v_fma_f64 v[98:99], v[98:99], v[100:101], v[98:99]
	v_div_scale_f64 v[100:101], vcc_lo, 1.0, v[0:1], 1.0
	v_mul_f64 v[102:103], v[100:101], v[98:99]
	v_fma_f64 v[89:90], -v[89:90], v[102:103], v[100:101]
	v_div_fmas_f64 v[89:90], v[89:90], v[98:99], v[102:103]
	v_div_fixup_f64 v[0:1], v[89:90], v[0:1], 1.0
.LBB80_189:
	s_or_b32 exec_lo, exec_lo, s0
	s_mov_b32 s0, exec_lo
	v_cmpx_ne_u32_e64 v97, v88
	s_xor_b32 s0, exec_lo, s0
	s_cbranch_execz .LBB80_195
; %bb.190:
	s_mov_b32 s1, exec_lo
	v_cmpx_eq_u32_e32 11, v97
	s_cbranch_execz .LBB80_194
; %bb.191:
	v_cmp_ne_u32_e32 vcc_lo, 11, v88
	s_xor_b32 s2, s6, -1
	s_and_b32 s3, s2, vcc_lo
	s_and_saveexec_b32 s2, s3
	s_cbranch_execz .LBB80_193
; %bb.192:
	v_ashrrev_i32_e32 v89, 31, v88
	v_lshlrev_b64 v[89:90], 2, v[88:89]
	v_add_co_u32 v89, vcc_lo, v4, v89
	v_add_co_ci_u32_e64 v90, null, v5, v90, vcc_lo
	s_clause 0x1
	global_load_dword v96, v[89:90], off
	global_load_dword v97, v[4:5], off offset:44
	s_waitcnt vmcnt(1)
	global_store_dword v[4:5], v96, off offset:44
	s_waitcnt vmcnt(0)
	global_store_dword v[89:90], v97, off
.LBB80_193:
	s_or_b32 exec_lo, exec_lo, s2
	v_mov_b32_e32 v96, v88
	v_mov_b32_e32 v97, v88
.LBB80_194:
	s_or_b32 exec_lo, exec_lo, s1
.LBB80_195:
	s_andn2_saveexec_b32 s0, s0
	s_cbranch_execz .LBB80_197
; %bb.196:
	v_mov_b32_e32 v88, v60
	v_mov_b32_e32 v89, v61
	;; [unrolled: 1-line block ×20, first 2 shown]
	ds_write2_b64 v94, v[88:89], v[97:98] offset0:12 offset1:13
	ds_write2_b64 v94, v[99:100], v[101:102] offset0:14 offset1:15
	;; [unrolled: 1-line block ×5, first 2 shown]
	v_mov_b32_e32 v88, v40
	v_mov_b32_e32 v89, v41
	;; [unrolled: 1-line block ×20, first 2 shown]
	ds_write2_b64 v94, v[88:89], v[97:98] offset0:22 offset1:23
	ds_write2_b64 v94, v[99:100], v[101:102] offset0:24 offset1:25
	ds_write2_b64 v94, v[103:104], v[105:106] offset0:26 offset1:27
	ds_write2_b64 v94, v[107:108], v[109:110] offset0:28 offset1:29
	ds_write2_b64 v94, v[111:112], v[113:114] offset0:30 offset1:31
	v_mov_b32_e32 v88, v20
	v_mov_b32_e32 v89, v21
	;; [unrolled: 1-line block ×8, first 2 shown]
	ds_write2_b64 v94, v[88:89], v[97:98] offset0:32 offset1:33
	v_mov_b32_e32 v97, 11
	v_mov_b32_e32 v103, v12
	;; [unrolled: 1-line block ×9, first 2 shown]
	ds_write2_b64 v94, v[99:100], v[101:102] offset0:34 offset1:35
	ds_write2_b64 v94, v[103:104], v[105:106] offset0:36 offset1:37
	;; [unrolled: 1-line block ×3, first 2 shown]
	ds_write_b64 v94, v[86:87] offset:320
.LBB80_197:
	s_or_b32 exec_lo, exec_lo, s0
	s_mov_b32 s0, exec_lo
	s_waitcnt lgkmcnt(0)
	s_waitcnt_vscnt null, 0x0
	s_barrier
	buffer_gl0_inv
	v_cmpx_lt_i32_e32 11, v97
	s_cbranch_execz .LBB80_199
; %bb.198:
	v_mul_f64 v[62:63], v[0:1], v[62:63]
	ds_read2_b64 v[98:101], v94 offset0:12 offset1:13
	ds_read2_b64 v[102:105], v94 offset0:14 offset1:15
	;; [unrolled: 1-line block ×14, first 2 shown]
	ds_read_b64 v[0:1], v94 offset:320
	s_waitcnt lgkmcnt(14)
	v_fma_f64 v[60:61], -v[62:63], v[98:99], v[60:61]
	v_fma_f64 v[58:59], -v[62:63], v[100:101], v[58:59]
	s_waitcnt lgkmcnt(13)
	v_fma_f64 v[56:57], -v[62:63], v[102:103], v[56:57]
	v_fma_f64 v[54:55], -v[62:63], v[104:105], v[54:55]
	;; [unrolled: 3-line block ×14, first 2 shown]
	s_waitcnt lgkmcnt(0)
	v_fma_f64 v[86:87], -v[62:63], v[0:1], v[86:87]
.LBB80_199:
	s_or_b32 exec_lo, exec_lo, s0
	v_lshl_add_u32 v0, v97, 3, v94
	s_barrier
	buffer_gl0_inv
	v_mov_b32_e32 v88, 12
	ds_write_b64 v0, v[60:61]
	s_waitcnt lgkmcnt(0)
	s_barrier
	buffer_gl0_inv
	ds_read_b64 v[0:1], v94 offset:96
	s_cmp_lt_i32 s7, 14
	s_cbranch_scc1 .LBB80_202
; %bb.200:
	v_add3_u32 v89, v95, 0, 0x68
	v_mov_b32_e32 v88, 12
	s_mov_b32 s0, 13
.LBB80_201:                             ; =>This Inner Loop Header: Depth=1
	ds_read_b64 v[98:99], v89
	v_add_nc_u32_e32 v89, 8, v89
	s_waitcnt lgkmcnt(0)
	v_cmp_lt_f64_e64 vcc_lo, |v[0:1]|, |v[98:99]|
	v_cndmask_b32_e32 v1, v1, v99, vcc_lo
	v_cndmask_b32_e32 v0, v0, v98, vcc_lo
	v_cndmask_b32_e64 v88, v88, s0, vcc_lo
	s_add_i32 s0, s0, 1
	s_cmp_lg_u32 s7, s0
	s_cbranch_scc1 .LBB80_201
.LBB80_202:
	s_mov_b32 s0, exec_lo
	s_waitcnt lgkmcnt(0)
	v_cmpx_eq_f64_e32 0, v[0:1]
	s_xor_b32 s0, exec_lo, s0
; %bb.203:
	v_cmp_ne_u32_e32 vcc_lo, 0, v91
	v_cndmask_b32_e32 v91, 13, v91, vcc_lo
; %bb.204:
	s_andn2_saveexec_b32 s0, s0
	s_cbranch_execz .LBB80_206
; %bb.205:
	v_div_scale_f64 v[89:90], null, v[0:1], v[0:1], 1.0
	v_rcp_f64_e32 v[98:99], v[89:90]
	v_fma_f64 v[100:101], -v[89:90], v[98:99], 1.0
	v_fma_f64 v[98:99], v[98:99], v[100:101], v[98:99]
	v_fma_f64 v[100:101], -v[89:90], v[98:99], 1.0
	v_fma_f64 v[98:99], v[98:99], v[100:101], v[98:99]
	v_div_scale_f64 v[100:101], vcc_lo, 1.0, v[0:1], 1.0
	v_mul_f64 v[102:103], v[100:101], v[98:99]
	v_fma_f64 v[89:90], -v[89:90], v[102:103], v[100:101]
	v_div_fmas_f64 v[89:90], v[89:90], v[98:99], v[102:103]
	v_div_fixup_f64 v[0:1], v[89:90], v[0:1], 1.0
.LBB80_206:
	s_or_b32 exec_lo, exec_lo, s0
	s_mov_b32 s0, exec_lo
	v_cmpx_ne_u32_e64 v97, v88
	s_xor_b32 s0, exec_lo, s0
	s_cbranch_execz .LBB80_212
; %bb.207:
	s_mov_b32 s1, exec_lo
	v_cmpx_eq_u32_e32 12, v97
	s_cbranch_execz .LBB80_211
; %bb.208:
	v_cmp_ne_u32_e32 vcc_lo, 12, v88
	s_xor_b32 s2, s6, -1
	s_and_b32 s3, s2, vcc_lo
	s_and_saveexec_b32 s2, s3
	s_cbranch_execz .LBB80_210
; %bb.209:
	v_ashrrev_i32_e32 v89, 31, v88
	v_lshlrev_b64 v[89:90], 2, v[88:89]
	v_add_co_u32 v89, vcc_lo, v4, v89
	v_add_co_ci_u32_e64 v90, null, v5, v90, vcc_lo
	s_clause 0x1
	global_load_dword v96, v[89:90], off
	global_load_dword v97, v[4:5], off offset:48
	s_waitcnt vmcnt(1)
	global_store_dword v[4:5], v96, off offset:48
	s_waitcnt vmcnt(0)
	global_store_dword v[89:90], v97, off
.LBB80_210:
	s_or_b32 exec_lo, exec_lo, s2
	v_mov_b32_e32 v96, v88
	v_mov_b32_e32 v97, v88
.LBB80_211:
	s_or_b32 exec_lo, exec_lo, s1
.LBB80_212:
	s_andn2_saveexec_b32 s0, s0
	s_cbranch_execz .LBB80_214
; %bb.213:
	v_mov_b32_e32 v97, 12
	ds_write2_b64 v94, v[58:59], v[56:57] offset0:13 offset1:14
	ds_write2_b64 v94, v[54:55], v[52:53] offset0:15 offset1:16
	;; [unrolled: 1-line block ×14, first 2 shown]
.LBB80_214:
	s_or_b32 exec_lo, exec_lo, s0
	s_mov_b32 s0, exec_lo
	s_waitcnt lgkmcnt(0)
	s_waitcnt_vscnt null, 0x0
	s_barrier
	buffer_gl0_inv
	v_cmpx_lt_i32_e32 12, v97
	s_cbranch_execz .LBB80_216
; %bb.215:
	v_mul_f64 v[60:61], v[0:1], v[60:61]
	ds_read2_b64 v[98:101], v94 offset0:13 offset1:14
	ds_read2_b64 v[102:105], v94 offset0:15 offset1:16
	;; [unrolled: 1-line block ×14, first 2 shown]
	s_waitcnt lgkmcnt(13)
	v_fma_f64 v[58:59], -v[60:61], v[98:99], v[58:59]
	v_fma_f64 v[56:57], -v[60:61], v[100:101], v[56:57]
	s_waitcnt lgkmcnt(12)
	v_fma_f64 v[54:55], -v[60:61], v[102:103], v[54:55]
	v_fma_f64 v[52:53], -v[60:61], v[104:105], v[52:53]
	;; [unrolled: 3-line block ×14, first 2 shown]
.LBB80_216:
	s_or_b32 exec_lo, exec_lo, s0
	v_lshl_add_u32 v0, v97, 3, v94
	s_barrier
	buffer_gl0_inv
	v_mov_b32_e32 v88, 13
	ds_write_b64 v0, v[58:59]
	s_waitcnt lgkmcnt(0)
	s_barrier
	buffer_gl0_inv
	ds_read_b64 v[0:1], v94 offset:104
	s_cmp_lt_i32 s7, 15
	s_cbranch_scc1 .LBB80_219
; %bb.217:
	v_add3_u32 v89, v95, 0, 0x70
	v_mov_b32_e32 v88, 13
	s_mov_b32 s0, 14
.LBB80_218:                             ; =>This Inner Loop Header: Depth=1
	ds_read_b64 v[98:99], v89
	v_add_nc_u32_e32 v89, 8, v89
	s_waitcnt lgkmcnt(0)
	v_cmp_lt_f64_e64 vcc_lo, |v[0:1]|, |v[98:99]|
	v_cndmask_b32_e32 v1, v1, v99, vcc_lo
	v_cndmask_b32_e32 v0, v0, v98, vcc_lo
	v_cndmask_b32_e64 v88, v88, s0, vcc_lo
	s_add_i32 s0, s0, 1
	s_cmp_lg_u32 s7, s0
	s_cbranch_scc1 .LBB80_218
.LBB80_219:
	s_mov_b32 s0, exec_lo
	s_waitcnt lgkmcnt(0)
	v_cmpx_eq_f64_e32 0, v[0:1]
	s_xor_b32 s0, exec_lo, s0
; %bb.220:
	v_cmp_ne_u32_e32 vcc_lo, 0, v91
	v_cndmask_b32_e32 v91, 14, v91, vcc_lo
; %bb.221:
	s_andn2_saveexec_b32 s0, s0
	s_cbranch_execz .LBB80_223
; %bb.222:
	v_div_scale_f64 v[89:90], null, v[0:1], v[0:1], 1.0
	v_rcp_f64_e32 v[98:99], v[89:90]
	v_fma_f64 v[100:101], -v[89:90], v[98:99], 1.0
	v_fma_f64 v[98:99], v[98:99], v[100:101], v[98:99]
	v_fma_f64 v[100:101], -v[89:90], v[98:99], 1.0
	v_fma_f64 v[98:99], v[98:99], v[100:101], v[98:99]
	v_div_scale_f64 v[100:101], vcc_lo, 1.0, v[0:1], 1.0
	v_mul_f64 v[102:103], v[100:101], v[98:99]
	v_fma_f64 v[89:90], -v[89:90], v[102:103], v[100:101]
	v_div_fmas_f64 v[89:90], v[89:90], v[98:99], v[102:103]
	v_div_fixup_f64 v[0:1], v[89:90], v[0:1], 1.0
.LBB80_223:
	s_or_b32 exec_lo, exec_lo, s0
	s_mov_b32 s0, exec_lo
	v_cmpx_ne_u32_e64 v97, v88
	s_xor_b32 s0, exec_lo, s0
	s_cbranch_execz .LBB80_229
; %bb.224:
	s_mov_b32 s1, exec_lo
	v_cmpx_eq_u32_e32 13, v97
	s_cbranch_execz .LBB80_228
; %bb.225:
	v_cmp_ne_u32_e32 vcc_lo, 13, v88
	s_xor_b32 s2, s6, -1
	s_and_b32 s3, s2, vcc_lo
	s_and_saveexec_b32 s2, s3
	s_cbranch_execz .LBB80_227
; %bb.226:
	v_ashrrev_i32_e32 v89, 31, v88
	v_lshlrev_b64 v[89:90], 2, v[88:89]
	v_add_co_u32 v89, vcc_lo, v4, v89
	v_add_co_ci_u32_e64 v90, null, v5, v90, vcc_lo
	s_clause 0x1
	global_load_dword v96, v[89:90], off
	global_load_dword v97, v[4:5], off offset:52
	s_waitcnt vmcnt(1)
	global_store_dword v[4:5], v96, off offset:52
	s_waitcnt vmcnt(0)
	global_store_dword v[89:90], v97, off
.LBB80_227:
	s_or_b32 exec_lo, exec_lo, s2
	v_mov_b32_e32 v96, v88
	v_mov_b32_e32 v97, v88
.LBB80_228:
	s_or_b32 exec_lo, exec_lo, s1
.LBB80_229:
	s_andn2_saveexec_b32 s0, s0
	s_cbranch_execz .LBB80_231
; %bb.230:
	v_mov_b32_e32 v88, v56
	v_mov_b32_e32 v89, v57
	;; [unrolled: 1-line block ×16, first 2 shown]
	ds_write2_b64 v94, v[88:89], v[97:98] offset0:14 offset1:15
	ds_write2_b64 v94, v[99:100], v[101:102] offset0:16 offset1:17
	;; [unrolled: 1-line block ×4, first 2 shown]
	v_mov_b32_e32 v88, v40
	v_mov_b32_e32 v89, v41
	;; [unrolled: 1-line block ×20, first 2 shown]
	ds_write2_b64 v94, v[88:89], v[97:98] offset0:22 offset1:23
	ds_write2_b64 v94, v[99:100], v[101:102] offset0:24 offset1:25
	;; [unrolled: 1-line block ×5, first 2 shown]
	v_mov_b32_e32 v88, v20
	v_mov_b32_e32 v89, v21
	;; [unrolled: 1-line block ×8, first 2 shown]
	ds_write2_b64 v94, v[88:89], v[97:98] offset0:32 offset1:33
	v_mov_b32_e32 v97, 13
	v_mov_b32_e32 v103, v12
	v_mov_b32_e32 v104, v13
	v_mov_b32_e32 v105, v8
	v_mov_b32_e32 v106, v9
	v_mov_b32_e32 v107, v10
	v_mov_b32_e32 v108, v11
	v_mov_b32_e32 v109, v6
	v_mov_b32_e32 v110, v7
	ds_write2_b64 v94, v[99:100], v[101:102] offset0:34 offset1:35
	ds_write2_b64 v94, v[103:104], v[105:106] offset0:36 offset1:37
	;; [unrolled: 1-line block ×3, first 2 shown]
	ds_write_b64 v94, v[86:87] offset:320
.LBB80_231:
	s_or_b32 exec_lo, exec_lo, s0
	s_mov_b32 s0, exec_lo
	s_waitcnt lgkmcnt(0)
	s_waitcnt_vscnt null, 0x0
	s_barrier
	buffer_gl0_inv
	v_cmpx_lt_i32_e32 13, v97
	s_cbranch_execz .LBB80_233
; %bb.232:
	v_mul_f64 v[58:59], v[0:1], v[58:59]
	ds_read2_b64 v[98:101], v94 offset0:14 offset1:15
	ds_read2_b64 v[102:105], v94 offset0:16 offset1:17
	;; [unrolled: 1-line block ×13, first 2 shown]
	ds_read_b64 v[0:1], v94 offset:320
	s_waitcnt lgkmcnt(13)
	v_fma_f64 v[56:57], -v[58:59], v[98:99], v[56:57]
	v_fma_f64 v[54:55], -v[58:59], v[100:101], v[54:55]
	s_waitcnt lgkmcnt(12)
	v_fma_f64 v[52:53], -v[58:59], v[102:103], v[52:53]
	v_fma_f64 v[48:49], -v[58:59], v[104:105], v[48:49]
	;; [unrolled: 3-line block ×13, first 2 shown]
	s_waitcnt lgkmcnt(0)
	v_fma_f64 v[86:87], -v[58:59], v[0:1], v[86:87]
.LBB80_233:
	s_or_b32 exec_lo, exec_lo, s0
	v_lshl_add_u32 v0, v97, 3, v94
	s_barrier
	buffer_gl0_inv
	v_mov_b32_e32 v88, 14
	ds_write_b64 v0, v[56:57]
	s_waitcnt lgkmcnt(0)
	s_barrier
	buffer_gl0_inv
	ds_read_b64 v[0:1], v94 offset:112
	s_cmp_lt_i32 s7, 16
	s_cbranch_scc1 .LBB80_236
; %bb.234:
	v_add3_u32 v89, v95, 0, 0x78
	v_mov_b32_e32 v88, 14
	s_mov_b32 s0, 15
.LBB80_235:                             ; =>This Inner Loop Header: Depth=1
	ds_read_b64 v[98:99], v89
	v_add_nc_u32_e32 v89, 8, v89
	s_waitcnt lgkmcnt(0)
	v_cmp_lt_f64_e64 vcc_lo, |v[0:1]|, |v[98:99]|
	v_cndmask_b32_e32 v1, v1, v99, vcc_lo
	v_cndmask_b32_e32 v0, v0, v98, vcc_lo
	v_cndmask_b32_e64 v88, v88, s0, vcc_lo
	s_add_i32 s0, s0, 1
	s_cmp_lg_u32 s7, s0
	s_cbranch_scc1 .LBB80_235
.LBB80_236:
	s_mov_b32 s0, exec_lo
	s_waitcnt lgkmcnt(0)
	v_cmpx_eq_f64_e32 0, v[0:1]
	s_xor_b32 s0, exec_lo, s0
; %bb.237:
	v_cmp_ne_u32_e32 vcc_lo, 0, v91
	v_cndmask_b32_e32 v91, 15, v91, vcc_lo
; %bb.238:
	s_andn2_saveexec_b32 s0, s0
	s_cbranch_execz .LBB80_240
; %bb.239:
	v_div_scale_f64 v[89:90], null, v[0:1], v[0:1], 1.0
	v_rcp_f64_e32 v[98:99], v[89:90]
	v_fma_f64 v[100:101], -v[89:90], v[98:99], 1.0
	v_fma_f64 v[98:99], v[98:99], v[100:101], v[98:99]
	v_fma_f64 v[100:101], -v[89:90], v[98:99], 1.0
	v_fma_f64 v[98:99], v[98:99], v[100:101], v[98:99]
	v_div_scale_f64 v[100:101], vcc_lo, 1.0, v[0:1], 1.0
	v_mul_f64 v[102:103], v[100:101], v[98:99]
	v_fma_f64 v[89:90], -v[89:90], v[102:103], v[100:101]
	v_div_fmas_f64 v[89:90], v[89:90], v[98:99], v[102:103]
	v_div_fixup_f64 v[0:1], v[89:90], v[0:1], 1.0
.LBB80_240:
	s_or_b32 exec_lo, exec_lo, s0
	s_mov_b32 s0, exec_lo
	v_cmpx_ne_u32_e64 v97, v88
	s_xor_b32 s0, exec_lo, s0
	s_cbranch_execz .LBB80_246
; %bb.241:
	s_mov_b32 s1, exec_lo
	v_cmpx_eq_u32_e32 14, v97
	s_cbranch_execz .LBB80_245
; %bb.242:
	v_cmp_ne_u32_e32 vcc_lo, 14, v88
	s_xor_b32 s2, s6, -1
	s_and_b32 s3, s2, vcc_lo
	s_and_saveexec_b32 s2, s3
	s_cbranch_execz .LBB80_244
; %bb.243:
	v_ashrrev_i32_e32 v89, 31, v88
	v_lshlrev_b64 v[89:90], 2, v[88:89]
	v_add_co_u32 v89, vcc_lo, v4, v89
	v_add_co_ci_u32_e64 v90, null, v5, v90, vcc_lo
	s_clause 0x1
	global_load_dword v96, v[89:90], off
	global_load_dword v97, v[4:5], off offset:56
	s_waitcnt vmcnt(1)
	global_store_dword v[4:5], v96, off offset:56
	s_waitcnt vmcnt(0)
	global_store_dword v[89:90], v97, off
.LBB80_244:
	s_or_b32 exec_lo, exec_lo, s2
	v_mov_b32_e32 v96, v88
	v_mov_b32_e32 v97, v88
.LBB80_245:
	s_or_b32 exec_lo, exec_lo, s1
.LBB80_246:
	s_andn2_saveexec_b32 s0, s0
	s_cbranch_execz .LBB80_248
; %bb.247:
	v_mov_b32_e32 v97, 14
	ds_write2_b64 v94, v[54:55], v[52:53] offset0:15 offset1:16
	ds_write2_b64 v94, v[48:49], v[50:51] offset0:17 offset1:18
	;; [unrolled: 1-line block ×13, first 2 shown]
.LBB80_248:
	s_or_b32 exec_lo, exec_lo, s0
	s_mov_b32 s0, exec_lo
	s_waitcnt lgkmcnt(0)
	s_waitcnt_vscnt null, 0x0
	s_barrier
	buffer_gl0_inv
	v_cmpx_lt_i32_e32 14, v97
	s_cbranch_execz .LBB80_250
; %bb.249:
	v_mul_f64 v[56:57], v[0:1], v[56:57]
	ds_read2_b64 v[98:101], v94 offset0:15 offset1:16
	ds_read2_b64 v[102:105], v94 offset0:17 offset1:18
	;; [unrolled: 1-line block ×13, first 2 shown]
	s_waitcnt lgkmcnt(12)
	v_fma_f64 v[54:55], -v[56:57], v[98:99], v[54:55]
	v_fma_f64 v[52:53], -v[56:57], v[100:101], v[52:53]
	s_waitcnt lgkmcnt(11)
	v_fma_f64 v[48:49], -v[56:57], v[102:103], v[48:49]
	v_fma_f64 v[50:51], -v[56:57], v[104:105], v[50:51]
	;; [unrolled: 3-line block ×13, first 2 shown]
.LBB80_250:
	s_or_b32 exec_lo, exec_lo, s0
	v_lshl_add_u32 v0, v97, 3, v94
	s_barrier
	buffer_gl0_inv
	v_mov_b32_e32 v88, 15
	ds_write_b64 v0, v[54:55]
	s_waitcnt lgkmcnt(0)
	s_barrier
	buffer_gl0_inv
	ds_read_b64 v[0:1], v94 offset:120
	s_cmp_lt_i32 s7, 17
	s_cbranch_scc1 .LBB80_253
; %bb.251:
	v_add3_u32 v89, v95, 0, 0x80
	v_mov_b32_e32 v88, 15
	s_mov_b32 s0, 16
.LBB80_252:                             ; =>This Inner Loop Header: Depth=1
	ds_read_b64 v[98:99], v89
	v_add_nc_u32_e32 v89, 8, v89
	s_waitcnt lgkmcnt(0)
	v_cmp_lt_f64_e64 vcc_lo, |v[0:1]|, |v[98:99]|
	v_cndmask_b32_e32 v1, v1, v99, vcc_lo
	v_cndmask_b32_e32 v0, v0, v98, vcc_lo
	v_cndmask_b32_e64 v88, v88, s0, vcc_lo
	s_add_i32 s0, s0, 1
	s_cmp_lg_u32 s7, s0
	s_cbranch_scc1 .LBB80_252
.LBB80_253:
	s_mov_b32 s0, exec_lo
	s_waitcnt lgkmcnt(0)
	v_cmpx_eq_f64_e32 0, v[0:1]
	s_xor_b32 s0, exec_lo, s0
; %bb.254:
	v_cmp_ne_u32_e32 vcc_lo, 0, v91
	v_cndmask_b32_e32 v91, 16, v91, vcc_lo
; %bb.255:
	s_andn2_saveexec_b32 s0, s0
	s_cbranch_execz .LBB80_257
; %bb.256:
	v_div_scale_f64 v[89:90], null, v[0:1], v[0:1], 1.0
	v_rcp_f64_e32 v[98:99], v[89:90]
	v_fma_f64 v[100:101], -v[89:90], v[98:99], 1.0
	v_fma_f64 v[98:99], v[98:99], v[100:101], v[98:99]
	v_fma_f64 v[100:101], -v[89:90], v[98:99], 1.0
	v_fma_f64 v[98:99], v[98:99], v[100:101], v[98:99]
	v_div_scale_f64 v[100:101], vcc_lo, 1.0, v[0:1], 1.0
	v_mul_f64 v[102:103], v[100:101], v[98:99]
	v_fma_f64 v[89:90], -v[89:90], v[102:103], v[100:101]
	v_div_fmas_f64 v[89:90], v[89:90], v[98:99], v[102:103]
	v_div_fixup_f64 v[0:1], v[89:90], v[0:1], 1.0
.LBB80_257:
	s_or_b32 exec_lo, exec_lo, s0
	s_mov_b32 s0, exec_lo
	v_cmpx_ne_u32_e64 v97, v88
	s_xor_b32 s0, exec_lo, s0
	s_cbranch_execz .LBB80_263
; %bb.258:
	s_mov_b32 s1, exec_lo
	v_cmpx_eq_u32_e32 15, v97
	s_cbranch_execz .LBB80_262
; %bb.259:
	v_cmp_ne_u32_e32 vcc_lo, 15, v88
	s_xor_b32 s2, s6, -1
	s_and_b32 s3, s2, vcc_lo
	s_and_saveexec_b32 s2, s3
	s_cbranch_execz .LBB80_261
; %bb.260:
	v_ashrrev_i32_e32 v89, 31, v88
	v_lshlrev_b64 v[89:90], 2, v[88:89]
	v_add_co_u32 v89, vcc_lo, v4, v89
	v_add_co_ci_u32_e64 v90, null, v5, v90, vcc_lo
	s_clause 0x1
	global_load_dword v96, v[89:90], off
	global_load_dword v97, v[4:5], off offset:60
	s_waitcnt vmcnt(1)
	global_store_dword v[4:5], v96, off offset:60
	s_waitcnt vmcnt(0)
	global_store_dword v[89:90], v97, off
.LBB80_261:
	s_or_b32 exec_lo, exec_lo, s2
	v_mov_b32_e32 v96, v88
	v_mov_b32_e32 v97, v88
.LBB80_262:
	s_or_b32 exec_lo, exec_lo, s1
.LBB80_263:
	s_andn2_saveexec_b32 s0, s0
	s_cbranch_execz .LBB80_265
; %bb.264:
	v_mov_b32_e32 v88, v52
	v_mov_b32_e32 v89, v53
	;; [unrolled: 1-line block ×12, first 2 shown]
	ds_write2_b64 v94, v[88:89], v[97:98] offset0:16 offset1:17
	ds_write2_b64 v94, v[99:100], v[101:102] offset0:18 offset1:19
	ds_write2_b64 v94, v[103:104], v[105:106] offset0:20 offset1:21
	v_mov_b32_e32 v88, v40
	v_mov_b32_e32 v89, v41
	;; [unrolled: 1-line block ×20, first 2 shown]
	ds_write2_b64 v94, v[88:89], v[97:98] offset0:22 offset1:23
	ds_write2_b64 v94, v[99:100], v[101:102] offset0:24 offset1:25
	;; [unrolled: 1-line block ×5, first 2 shown]
	v_mov_b32_e32 v88, v20
	v_mov_b32_e32 v89, v21
	;; [unrolled: 1-line block ×8, first 2 shown]
	ds_write2_b64 v94, v[88:89], v[97:98] offset0:32 offset1:33
	v_mov_b32_e32 v97, 15
	v_mov_b32_e32 v103, v12
	;; [unrolled: 1-line block ×9, first 2 shown]
	ds_write2_b64 v94, v[99:100], v[101:102] offset0:34 offset1:35
	ds_write2_b64 v94, v[103:104], v[105:106] offset0:36 offset1:37
	;; [unrolled: 1-line block ×3, first 2 shown]
	ds_write_b64 v94, v[86:87] offset:320
.LBB80_265:
	s_or_b32 exec_lo, exec_lo, s0
	s_mov_b32 s0, exec_lo
	s_waitcnt lgkmcnt(0)
	s_waitcnt_vscnt null, 0x0
	s_barrier
	buffer_gl0_inv
	v_cmpx_lt_i32_e32 15, v97
	s_cbranch_execz .LBB80_267
; %bb.266:
	v_mul_f64 v[54:55], v[0:1], v[54:55]
	ds_read2_b64 v[98:101], v94 offset0:16 offset1:17
	ds_read2_b64 v[102:105], v94 offset0:18 offset1:19
	;; [unrolled: 1-line block ×12, first 2 shown]
	ds_read_b64 v[0:1], v94 offset:320
	s_waitcnt lgkmcnt(12)
	v_fma_f64 v[52:53], -v[54:55], v[98:99], v[52:53]
	v_fma_f64 v[48:49], -v[54:55], v[100:101], v[48:49]
	s_waitcnt lgkmcnt(11)
	v_fma_f64 v[50:51], -v[54:55], v[102:103], v[50:51]
	v_fma_f64 v[44:45], -v[54:55], v[104:105], v[44:45]
	;; [unrolled: 3-line block ×12, first 2 shown]
	s_waitcnt lgkmcnt(0)
	v_fma_f64 v[86:87], -v[54:55], v[0:1], v[86:87]
.LBB80_267:
	s_or_b32 exec_lo, exec_lo, s0
	v_lshl_add_u32 v0, v97, 3, v94
	s_barrier
	buffer_gl0_inv
	v_mov_b32_e32 v88, 16
	ds_write_b64 v0, v[52:53]
	s_waitcnt lgkmcnt(0)
	s_barrier
	buffer_gl0_inv
	ds_read_b64 v[0:1], v94 offset:128
	s_cmp_lt_i32 s7, 18
	s_cbranch_scc1 .LBB80_270
; %bb.268:
	v_add3_u32 v89, v95, 0, 0x88
	v_mov_b32_e32 v88, 16
	s_mov_b32 s0, 17
.LBB80_269:                             ; =>This Inner Loop Header: Depth=1
	ds_read_b64 v[98:99], v89
	v_add_nc_u32_e32 v89, 8, v89
	s_waitcnt lgkmcnt(0)
	v_cmp_lt_f64_e64 vcc_lo, |v[0:1]|, |v[98:99]|
	v_cndmask_b32_e32 v1, v1, v99, vcc_lo
	v_cndmask_b32_e32 v0, v0, v98, vcc_lo
	v_cndmask_b32_e64 v88, v88, s0, vcc_lo
	s_add_i32 s0, s0, 1
	s_cmp_lg_u32 s7, s0
	s_cbranch_scc1 .LBB80_269
.LBB80_270:
	s_mov_b32 s0, exec_lo
	s_waitcnt lgkmcnt(0)
	v_cmpx_eq_f64_e32 0, v[0:1]
	s_xor_b32 s0, exec_lo, s0
; %bb.271:
	v_cmp_ne_u32_e32 vcc_lo, 0, v91
	v_cndmask_b32_e32 v91, 17, v91, vcc_lo
; %bb.272:
	s_andn2_saveexec_b32 s0, s0
	s_cbranch_execz .LBB80_274
; %bb.273:
	v_div_scale_f64 v[89:90], null, v[0:1], v[0:1], 1.0
	v_rcp_f64_e32 v[98:99], v[89:90]
	v_fma_f64 v[100:101], -v[89:90], v[98:99], 1.0
	v_fma_f64 v[98:99], v[98:99], v[100:101], v[98:99]
	v_fma_f64 v[100:101], -v[89:90], v[98:99], 1.0
	v_fma_f64 v[98:99], v[98:99], v[100:101], v[98:99]
	v_div_scale_f64 v[100:101], vcc_lo, 1.0, v[0:1], 1.0
	v_mul_f64 v[102:103], v[100:101], v[98:99]
	v_fma_f64 v[89:90], -v[89:90], v[102:103], v[100:101]
	v_div_fmas_f64 v[89:90], v[89:90], v[98:99], v[102:103]
	v_div_fixup_f64 v[0:1], v[89:90], v[0:1], 1.0
.LBB80_274:
	s_or_b32 exec_lo, exec_lo, s0
	s_mov_b32 s0, exec_lo
	v_cmpx_ne_u32_e64 v97, v88
	s_xor_b32 s0, exec_lo, s0
	s_cbranch_execz .LBB80_280
; %bb.275:
	s_mov_b32 s1, exec_lo
	v_cmpx_eq_u32_e32 16, v97
	s_cbranch_execz .LBB80_279
; %bb.276:
	v_cmp_ne_u32_e32 vcc_lo, 16, v88
	s_xor_b32 s2, s6, -1
	s_and_b32 s3, s2, vcc_lo
	s_and_saveexec_b32 s2, s3
	s_cbranch_execz .LBB80_278
; %bb.277:
	v_ashrrev_i32_e32 v89, 31, v88
	v_lshlrev_b64 v[89:90], 2, v[88:89]
	v_add_co_u32 v89, vcc_lo, v4, v89
	v_add_co_ci_u32_e64 v90, null, v5, v90, vcc_lo
	s_clause 0x1
	global_load_dword v96, v[89:90], off
	global_load_dword v97, v[4:5], off offset:64
	s_waitcnt vmcnt(1)
	global_store_dword v[4:5], v96, off offset:64
	s_waitcnt vmcnt(0)
	global_store_dword v[89:90], v97, off
.LBB80_278:
	s_or_b32 exec_lo, exec_lo, s2
	v_mov_b32_e32 v96, v88
	v_mov_b32_e32 v97, v88
.LBB80_279:
	s_or_b32 exec_lo, exec_lo, s1
.LBB80_280:
	s_andn2_saveexec_b32 s0, s0
	s_cbranch_execz .LBB80_282
; %bb.281:
	v_mov_b32_e32 v97, 16
	ds_write2_b64 v94, v[48:49], v[50:51] offset0:17 offset1:18
	ds_write2_b64 v94, v[44:45], v[46:47] offset0:19 offset1:20
	;; [unrolled: 1-line block ×12, first 2 shown]
.LBB80_282:
	s_or_b32 exec_lo, exec_lo, s0
	s_mov_b32 s0, exec_lo
	s_waitcnt lgkmcnt(0)
	s_waitcnt_vscnt null, 0x0
	s_barrier
	buffer_gl0_inv
	v_cmpx_lt_i32_e32 16, v97
	s_cbranch_execz .LBB80_284
; %bb.283:
	v_mul_f64 v[52:53], v[0:1], v[52:53]
	ds_read2_b64 v[98:101], v94 offset0:17 offset1:18
	ds_read2_b64 v[102:105], v94 offset0:19 offset1:20
	;; [unrolled: 1-line block ×12, first 2 shown]
	s_waitcnt lgkmcnt(11)
	v_fma_f64 v[48:49], -v[52:53], v[98:99], v[48:49]
	v_fma_f64 v[50:51], -v[52:53], v[100:101], v[50:51]
	s_waitcnt lgkmcnt(10)
	v_fma_f64 v[44:45], -v[52:53], v[102:103], v[44:45]
	v_fma_f64 v[46:47], -v[52:53], v[104:105], v[46:47]
	;; [unrolled: 3-line block ×12, first 2 shown]
.LBB80_284:
	s_or_b32 exec_lo, exec_lo, s0
	v_lshl_add_u32 v0, v97, 3, v94
	s_barrier
	buffer_gl0_inv
	v_mov_b32_e32 v88, 17
	ds_write_b64 v0, v[48:49]
	s_waitcnt lgkmcnt(0)
	s_barrier
	buffer_gl0_inv
	ds_read_b64 v[0:1], v94 offset:136
	s_cmp_lt_i32 s7, 19
	s_cbranch_scc1 .LBB80_287
; %bb.285:
	v_add3_u32 v89, v95, 0, 0x90
	v_mov_b32_e32 v88, 17
	s_mov_b32 s0, 18
.LBB80_286:                             ; =>This Inner Loop Header: Depth=1
	ds_read_b64 v[98:99], v89
	v_add_nc_u32_e32 v89, 8, v89
	s_waitcnt lgkmcnt(0)
	v_cmp_lt_f64_e64 vcc_lo, |v[0:1]|, |v[98:99]|
	v_cndmask_b32_e32 v1, v1, v99, vcc_lo
	v_cndmask_b32_e32 v0, v0, v98, vcc_lo
	v_cndmask_b32_e64 v88, v88, s0, vcc_lo
	s_add_i32 s0, s0, 1
	s_cmp_lg_u32 s7, s0
	s_cbranch_scc1 .LBB80_286
.LBB80_287:
	s_mov_b32 s0, exec_lo
	s_waitcnt lgkmcnt(0)
	v_cmpx_eq_f64_e32 0, v[0:1]
	s_xor_b32 s0, exec_lo, s0
; %bb.288:
	v_cmp_ne_u32_e32 vcc_lo, 0, v91
	v_cndmask_b32_e32 v91, 18, v91, vcc_lo
; %bb.289:
	s_andn2_saveexec_b32 s0, s0
	s_cbranch_execz .LBB80_291
; %bb.290:
	v_div_scale_f64 v[89:90], null, v[0:1], v[0:1], 1.0
	v_rcp_f64_e32 v[98:99], v[89:90]
	v_fma_f64 v[100:101], -v[89:90], v[98:99], 1.0
	v_fma_f64 v[98:99], v[98:99], v[100:101], v[98:99]
	v_fma_f64 v[100:101], -v[89:90], v[98:99], 1.0
	v_fma_f64 v[98:99], v[98:99], v[100:101], v[98:99]
	v_div_scale_f64 v[100:101], vcc_lo, 1.0, v[0:1], 1.0
	v_mul_f64 v[102:103], v[100:101], v[98:99]
	v_fma_f64 v[89:90], -v[89:90], v[102:103], v[100:101]
	v_div_fmas_f64 v[89:90], v[89:90], v[98:99], v[102:103]
	v_div_fixup_f64 v[0:1], v[89:90], v[0:1], 1.0
.LBB80_291:
	s_or_b32 exec_lo, exec_lo, s0
	s_mov_b32 s0, exec_lo
	v_cmpx_ne_u32_e64 v97, v88
	s_xor_b32 s0, exec_lo, s0
	s_cbranch_execz .LBB80_297
; %bb.292:
	s_mov_b32 s1, exec_lo
	v_cmpx_eq_u32_e32 17, v97
	s_cbranch_execz .LBB80_296
; %bb.293:
	v_cmp_ne_u32_e32 vcc_lo, 17, v88
	s_xor_b32 s2, s6, -1
	s_and_b32 s3, s2, vcc_lo
	s_and_saveexec_b32 s2, s3
	s_cbranch_execz .LBB80_295
; %bb.294:
	v_ashrrev_i32_e32 v89, 31, v88
	v_lshlrev_b64 v[89:90], 2, v[88:89]
	v_add_co_u32 v89, vcc_lo, v4, v89
	v_add_co_ci_u32_e64 v90, null, v5, v90, vcc_lo
	s_clause 0x1
	global_load_dword v96, v[89:90], off
	global_load_dword v97, v[4:5], off offset:68
	s_waitcnt vmcnt(1)
	global_store_dword v[4:5], v96, off offset:68
	s_waitcnt vmcnt(0)
	global_store_dword v[89:90], v97, off
.LBB80_295:
	s_or_b32 exec_lo, exec_lo, s2
	v_mov_b32_e32 v96, v88
	v_mov_b32_e32 v97, v88
.LBB80_296:
	s_or_b32 exec_lo, exec_lo, s1
.LBB80_297:
	s_andn2_saveexec_b32 s0, s0
	s_cbranch_execz .LBB80_299
; %bb.298:
	v_mov_b32_e32 v88, v50
	v_mov_b32_e32 v89, v51
	;; [unrolled: 1-line block ×8, first 2 shown]
	ds_write2_b64 v94, v[88:89], v[97:98] offset0:18 offset1:19
	ds_write2_b64 v94, v[99:100], v[101:102] offset0:20 offset1:21
	v_mov_b32_e32 v88, v40
	v_mov_b32_e32 v89, v41
	;; [unrolled: 1-line block ×20, first 2 shown]
	ds_write2_b64 v94, v[88:89], v[97:98] offset0:22 offset1:23
	ds_write2_b64 v94, v[99:100], v[101:102] offset0:24 offset1:25
	;; [unrolled: 1-line block ×5, first 2 shown]
	v_mov_b32_e32 v88, v20
	v_mov_b32_e32 v89, v21
	;; [unrolled: 1-line block ×8, first 2 shown]
	ds_write2_b64 v94, v[88:89], v[97:98] offset0:32 offset1:33
	v_mov_b32_e32 v97, 17
	v_mov_b32_e32 v103, v12
	;; [unrolled: 1-line block ×9, first 2 shown]
	ds_write2_b64 v94, v[99:100], v[101:102] offset0:34 offset1:35
	ds_write2_b64 v94, v[103:104], v[105:106] offset0:36 offset1:37
	;; [unrolled: 1-line block ×3, first 2 shown]
	ds_write_b64 v94, v[86:87] offset:320
.LBB80_299:
	s_or_b32 exec_lo, exec_lo, s0
	s_mov_b32 s0, exec_lo
	s_waitcnt lgkmcnt(0)
	s_waitcnt_vscnt null, 0x0
	s_barrier
	buffer_gl0_inv
	v_cmpx_lt_i32_e32 17, v97
	s_cbranch_execz .LBB80_301
; %bb.300:
	v_mul_f64 v[48:49], v[0:1], v[48:49]
	ds_read2_b64 v[98:101], v94 offset0:18 offset1:19
	ds_read2_b64 v[102:105], v94 offset0:20 offset1:21
	;; [unrolled: 1-line block ×11, first 2 shown]
	ds_read_b64 v[0:1], v94 offset:320
	s_waitcnt lgkmcnt(11)
	v_fma_f64 v[50:51], -v[48:49], v[98:99], v[50:51]
	v_fma_f64 v[44:45], -v[48:49], v[100:101], v[44:45]
	s_waitcnt lgkmcnt(10)
	v_fma_f64 v[46:47], -v[48:49], v[102:103], v[46:47]
	v_fma_f64 v[42:43], -v[48:49], v[104:105], v[42:43]
	;; [unrolled: 3-line block ×11, first 2 shown]
	s_waitcnt lgkmcnt(0)
	v_fma_f64 v[86:87], -v[48:49], v[0:1], v[86:87]
.LBB80_301:
	s_or_b32 exec_lo, exec_lo, s0
	v_lshl_add_u32 v0, v97, 3, v94
	s_barrier
	buffer_gl0_inv
	v_mov_b32_e32 v88, 18
	ds_write_b64 v0, v[50:51]
	s_waitcnt lgkmcnt(0)
	s_barrier
	buffer_gl0_inv
	ds_read_b64 v[0:1], v94 offset:144
	s_cmp_lt_i32 s7, 20
	s_cbranch_scc1 .LBB80_304
; %bb.302:
	v_add3_u32 v89, v95, 0, 0x98
	v_mov_b32_e32 v88, 18
	s_mov_b32 s0, 19
.LBB80_303:                             ; =>This Inner Loop Header: Depth=1
	ds_read_b64 v[98:99], v89
	v_add_nc_u32_e32 v89, 8, v89
	s_waitcnt lgkmcnt(0)
	v_cmp_lt_f64_e64 vcc_lo, |v[0:1]|, |v[98:99]|
	v_cndmask_b32_e32 v1, v1, v99, vcc_lo
	v_cndmask_b32_e32 v0, v0, v98, vcc_lo
	v_cndmask_b32_e64 v88, v88, s0, vcc_lo
	s_add_i32 s0, s0, 1
	s_cmp_lg_u32 s7, s0
	s_cbranch_scc1 .LBB80_303
.LBB80_304:
	s_mov_b32 s0, exec_lo
	s_waitcnt lgkmcnt(0)
	v_cmpx_eq_f64_e32 0, v[0:1]
	s_xor_b32 s0, exec_lo, s0
; %bb.305:
	v_cmp_ne_u32_e32 vcc_lo, 0, v91
	v_cndmask_b32_e32 v91, 19, v91, vcc_lo
; %bb.306:
	s_andn2_saveexec_b32 s0, s0
	s_cbranch_execz .LBB80_308
; %bb.307:
	v_div_scale_f64 v[89:90], null, v[0:1], v[0:1], 1.0
	v_rcp_f64_e32 v[98:99], v[89:90]
	v_fma_f64 v[100:101], -v[89:90], v[98:99], 1.0
	v_fma_f64 v[98:99], v[98:99], v[100:101], v[98:99]
	v_fma_f64 v[100:101], -v[89:90], v[98:99], 1.0
	v_fma_f64 v[98:99], v[98:99], v[100:101], v[98:99]
	v_div_scale_f64 v[100:101], vcc_lo, 1.0, v[0:1], 1.0
	v_mul_f64 v[102:103], v[100:101], v[98:99]
	v_fma_f64 v[89:90], -v[89:90], v[102:103], v[100:101]
	v_div_fmas_f64 v[89:90], v[89:90], v[98:99], v[102:103]
	v_div_fixup_f64 v[0:1], v[89:90], v[0:1], 1.0
.LBB80_308:
	s_or_b32 exec_lo, exec_lo, s0
	s_mov_b32 s0, exec_lo
	v_cmpx_ne_u32_e64 v97, v88
	s_xor_b32 s0, exec_lo, s0
	s_cbranch_execz .LBB80_314
; %bb.309:
	s_mov_b32 s1, exec_lo
	v_cmpx_eq_u32_e32 18, v97
	s_cbranch_execz .LBB80_313
; %bb.310:
	v_cmp_ne_u32_e32 vcc_lo, 18, v88
	s_xor_b32 s2, s6, -1
	s_and_b32 s3, s2, vcc_lo
	s_and_saveexec_b32 s2, s3
	s_cbranch_execz .LBB80_312
; %bb.311:
	v_ashrrev_i32_e32 v89, 31, v88
	v_lshlrev_b64 v[89:90], 2, v[88:89]
	v_add_co_u32 v89, vcc_lo, v4, v89
	v_add_co_ci_u32_e64 v90, null, v5, v90, vcc_lo
	s_clause 0x1
	global_load_dword v96, v[89:90], off
	global_load_dword v97, v[4:5], off offset:72
	s_waitcnt vmcnt(1)
	global_store_dword v[4:5], v96, off offset:72
	s_waitcnt vmcnt(0)
	global_store_dword v[89:90], v97, off
.LBB80_312:
	s_or_b32 exec_lo, exec_lo, s2
	v_mov_b32_e32 v96, v88
	v_mov_b32_e32 v97, v88
.LBB80_313:
	s_or_b32 exec_lo, exec_lo, s1
.LBB80_314:
	s_andn2_saveexec_b32 s0, s0
	s_cbranch_execz .LBB80_316
; %bb.315:
	v_mov_b32_e32 v97, 18
	ds_write2_b64 v94, v[44:45], v[46:47] offset0:19 offset1:20
	ds_write2_b64 v94, v[42:43], v[40:41] offset0:21 offset1:22
	;; [unrolled: 1-line block ×11, first 2 shown]
.LBB80_316:
	s_or_b32 exec_lo, exec_lo, s0
	s_mov_b32 s0, exec_lo
	s_waitcnt lgkmcnt(0)
	s_waitcnt_vscnt null, 0x0
	s_barrier
	buffer_gl0_inv
	v_cmpx_lt_i32_e32 18, v97
	s_cbranch_execz .LBB80_318
; %bb.317:
	v_mul_f64 v[50:51], v[0:1], v[50:51]
	ds_read2_b64 v[98:101], v94 offset0:19 offset1:20
	ds_read2_b64 v[102:105], v94 offset0:21 offset1:22
	;; [unrolled: 1-line block ×11, first 2 shown]
	s_waitcnt lgkmcnt(10)
	v_fma_f64 v[44:45], -v[50:51], v[98:99], v[44:45]
	v_fma_f64 v[46:47], -v[50:51], v[100:101], v[46:47]
	s_waitcnt lgkmcnt(9)
	v_fma_f64 v[42:43], -v[50:51], v[102:103], v[42:43]
	v_fma_f64 v[40:41], -v[50:51], v[104:105], v[40:41]
	;; [unrolled: 3-line block ×11, first 2 shown]
.LBB80_318:
	s_or_b32 exec_lo, exec_lo, s0
	v_lshl_add_u32 v0, v97, 3, v94
	s_barrier
	buffer_gl0_inv
	v_mov_b32_e32 v88, 19
	ds_write_b64 v0, v[44:45]
	s_waitcnt lgkmcnt(0)
	s_barrier
	buffer_gl0_inv
	ds_read_b64 v[0:1], v94 offset:152
	s_cmp_lt_i32 s7, 21
	s_cbranch_scc1 .LBB80_321
; %bb.319:
	v_add3_u32 v89, v95, 0, 0xa0
	v_mov_b32_e32 v88, 19
	s_mov_b32 s0, 20
.LBB80_320:                             ; =>This Inner Loop Header: Depth=1
	ds_read_b64 v[98:99], v89
	v_add_nc_u32_e32 v89, 8, v89
	s_waitcnt lgkmcnt(0)
	v_cmp_lt_f64_e64 vcc_lo, |v[0:1]|, |v[98:99]|
	v_cndmask_b32_e32 v1, v1, v99, vcc_lo
	v_cndmask_b32_e32 v0, v0, v98, vcc_lo
	v_cndmask_b32_e64 v88, v88, s0, vcc_lo
	s_add_i32 s0, s0, 1
	s_cmp_lg_u32 s7, s0
	s_cbranch_scc1 .LBB80_320
.LBB80_321:
	s_mov_b32 s0, exec_lo
	s_waitcnt lgkmcnt(0)
	v_cmpx_eq_f64_e32 0, v[0:1]
	s_xor_b32 s0, exec_lo, s0
; %bb.322:
	v_cmp_ne_u32_e32 vcc_lo, 0, v91
	v_cndmask_b32_e32 v91, 20, v91, vcc_lo
; %bb.323:
	s_andn2_saveexec_b32 s0, s0
	s_cbranch_execz .LBB80_325
; %bb.324:
	v_div_scale_f64 v[89:90], null, v[0:1], v[0:1], 1.0
	v_rcp_f64_e32 v[98:99], v[89:90]
	v_fma_f64 v[100:101], -v[89:90], v[98:99], 1.0
	v_fma_f64 v[98:99], v[98:99], v[100:101], v[98:99]
	v_fma_f64 v[100:101], -v[89:90], v[98:99], 1.0
	v_fma_f64 v[98:99], v[98:99], v[100:101], v[98:99]
	v_div_scale_f64 v[100:101], vcc_lo, 1.0, v[0:1], 1.0
	v_mul_f64 v[102:103], v[100:101], v[98:99]
	v_fma_f64 v[89:90], -v[89:90], v[102:103], v[100:101]
	v_div_fmas_f64 v[89:90], v[89:90], v[98:99], v[102:103]
	v_div_fixup_f64 v[0:1], v[89:90], v[0:1], 1.0
.LBB80_325:
	s_or_b32 exec_lo, exec_lo, s0
	s_mov_b32 s0, exec_lo
	v_cmpx_ne_u32_e64 v97, v88
	s_xor_b32 s0, exec_lo, s0
	s_cbranch_execz .LBB80_331
; %bb.326:
	s_mov_b32 s1, exec_lo
	v_cmpx_eq_u32_e32 19, v97
	s_cbranch_execz .LBB80_330
; %bb.327:
	v_cmp_ne_u32_e32 vcc_lo, 19, v88
	s_xor_b32 s2, s6, -1
	s_and_b32 s3, s2, vcc_lo
	s_and_saveexec_b32 s2, s3
	s_cbranch_execz .LBB80_329
; %bb.328:
	v_ashrrev_i32_e32 v89, 31, v88
	v_lshlrev_b64 v[89:90], 2, v[88:89]
	v_add_co_u32 v89, vcc_lo, v4, v89
	v_add_co_ci_u32_e64 v90, null, v5, v90, vcc_lo
	s_clause 0x1
	global_load_dword v96, v[89:90], off
	global_load_dword v97, v[4:5], off offset:76
	s_waitcnt vmcnt(1)
	global_store_dword v[4:5], v96, off offset:76
	s_waitcnt vmcnt(0)
	global_store_dword v[89:90], v97, off
.LBB80_329:
	s_or_b32 exec_lo, exec_lo, s2
	v_mov_b32_e32 v96, v88
	v_mov_b32_e32 v97, v88
.LBB80_330:
	s_or_b32 exec_lo, exec_lo, s1
.LBB80_331:
	s_andn2_saveexec_b32 s0, s0
	s_cbranch_execz .LBB80_333
; %bb.332:
	v_mov_b32_e32 v88, v46
	v_mov_b32_e32 v89, v47
	;; [unrolled: 1-line block ×8, first 2 shown]
	ds_write2_b64 v94, v[88:89], v[97:98] offset0:20 offset1:21
	v_mov_b32_e32 v88, v38
	v_mov_b32_e32 v89, v39
	;; [unrolled: 1-line block ×16, first 2 shown]
	ds_write2_b64 v94, v[99:100], v[88:89] offset0:22 offset1:23
	ds_write2_b64 v94, v[97:98], v[101:102] offset0:24 offset1:25
	;; [unrolled: 1-line block ×5, first 2 shown]
	v_mov_b32_e32 v88, v20
	v_mov_b32_e32 v89, v21
	;; [unrolled: 1-line block ×8, first 2 shown]
	ds_write2_b64 v94, v[88:89], v[97:98] offset0:32 offset1:33
	v_mov_b32_e32 v97, 19
	v_mov_b32_e32 v103, v12
	;; [unrolled: 1-line block ×9, first 2 shown]
	ds_write2_b64 v94, v[99:100], v[101:102] offset0:34 offset1:35
	ds_write2_b64 v94, v[103:104], v[105:106] offset0:36 offset1:37
	;; [unrolled: 1-line block ×3, first 2 shown]
	ds_write_b64 v94, v[86:87] offset:320
.LBB80_333:
	s_or_b32 exec_lo, exec_lo, s0
	s_mov_b32 s0, exec_lo
	s_waitcnt lgkmcnt(0)
	s_waitcnt_vscnt null, 0x0
	s_barrier
	buffer_gl0_inv
	v_cmpx_lt_i32_e32 19, v97
	s_cbranch_execz .LBB80_335
; %bb.334:
	v_mul_f64 v[44:45], v[0:1], v[44:45]
	ds_read2_b64 v[98:101], v94 offset0:20 offset1:21
	ds_read2_b64 v[102:105], v94 offset0:22 offset1:23
	;; [unrolled: 1-line block ×10, first 2 shown]
	ds_read_b64 v[0:1], v94 offset:320
	s_waitcnt lgkmcnt(10)
	v_fma_f64 v[46:47], -v[44:45], v[98:99], v[46:47]
	v_fma_f64 v[42:43], -v[44:45], v[100:101], v[42:43]
	s_waitcnt lgkmcnt(9)
	v_fma_f64 v[40:41], -v[44:45], v[102:103], v[40:41]
	v_fma_f64 v[38:39], -v[44:45], v[104:105], v[38:39]
	;; [unrolled: 3-line block ×10, first 2 shown]
	s_waitcnt lgkmcnt(0)
	v_fma_f64 v[86:87], -v[44:45], v[0:1], v[86:87]
.LBB80_335:
	s_or_b32 exec_lo, exec_lo, s0
	v_lshl_add_u32 v0, v97, 3, v94
	s_barrier
	buffer_gl0_inv
	v_mov_b32_e32 v88, 20
	ds_write_b64 v0, v[46:47]
	s_waitcnt lgkmcnt(0)
	s_barrier
	buffer_gl0_inv
	ds_read_b64 v[0:1], v94 offset:160
	s_cmp_lt_i32 s7, 22
	s_cbranch_scc1 .LBB80_338
; %bb.336:
	v_add3_u32 v89, v95, 0, 0xa8
	v_mov_b32_e32 v88, 20
	s_mov_b32 s0, 21
.LBB80_337:                             ; =>This Inner Loop Header: Depth=1
	ds_read_b64 v[98:99], v89
	v_add_nc_u32_e32 v89, 8, v89
	s_waitcnt lgkmcnt(0)
	v_cmp_lt_f64_e64 vcc_lo, |v[0:1]|, |v[98:99]|
	v_cndmask_b32_e32 v1, v1, v99, vcc_lo
	v_cndmask_b32_e32 v0, v0, v98, vcc_lo
	v_cndmask_b32_e64 v88, v88, s0, vcc_lo
	s_add_i32 s0, s0, 1
	s_cmp_lg_u32 s7, s0
	s_cbranch_scc1 .LBB80_337
.LBB80_338:
	s_mov_b32 s0, exec_lo
	s_waitcnt lgkmcnt(0)
	v_cmpx_eq_f64_e32 0, v[0:1]
	s_xor_b32 s0, exec_lo, s0
; %bb.339:
	v_cmp_ne_u32_e32 vcc_lo, 0, v91
	v_cndmask_b32_e32 v91, 21, v91, vcc_lo
; %bb.340:
	s_andn2_saveexec_b32 s0, s0
	s_cbranch_execz .LBB80_342
; %bb.341:
	v_div_scale_f64 v[89:90], null, v[0:1], v[0:1], 1.0
	v_rcp_f64_e32 v[98:99], v[89:90]
	v_fma_f64 v[100:101], -v[89:90], v[98:99], 1.0
	v_fma_f64 v[98:99], v[98:99], v[100:101], v[98:99]
	v_fma_f64 v[100:101], -v[89:90], v[98:99], 1.0
	v_fma_f64 v[98:99], v[98:99], v[100:101], v[98:99]
	v_div_scale_f64 v[100:101], vcc_lo, 1.0, v[0:1], 1.0
	v_mul_f64 v[102:103], v[100:101], v[98:99]
	v_fma_f64 v[89:90], -v[89:90], v[102:103], v[100:101]
	v_div_fmas_f64 v[89:90], v[89:90], v[98:99], v[102:103]
	v_div_fixup_f64 v[0:1], v[89:90], v[0:1], 1.0
.LBB80_342:
	s_or_b32 exec_lo, exec_lo, s0
	s_mov_b32 s0, exec_lo
	v_cmpx_ne_u32_e64 v97, v88
	s_xor_b32 s0, exec_lo, s0
	s_cbranch_execz .LBB80_348
; %bb.343:
	s_mov_b32 s1, exec_lo
	v_cmpx_eq_u32_e32 20, v97
	s_cbranch_execz .LBB80_347
; %bb.344:
	v_cmp_ne_u32_e32 vcc_lo, 20, v88
	s_xor_b32 s2, s6, -1
	s_and_b32 s3, s2, vcc_lo
	s_and_saveexec_b32 s2, s3
	s_cbranch_execz .LBB80_346
; %bb.345:
	v_ashrrev_i32_e32 v89, 31, v88
	v_lshlrev_b64 v[89:90], 2, v[88:89]
	v_add_co_u32 v89, vcc_lo, v4, v89
	v_add_co_ci_u32_e64 v90, null, v5, v90, vcc_lo
	s_clause 0x1
	global_load_dword v96, v[89:90], off
	global_load_dword v97, v[4:5], off offset:80
	s_waitcnt vmcnt(1)
	global_store_dword v[4:5], v96, off offset:80
	s_waitcnt vmcnt(0)
	global_store_dword v[89:90], v97, off
.LBB80_346:
	s_or_b32 exec_lo, exec_lo, s2
	v_mov_b32_e32 v96, v88
	v_mov_b32_e32 v97, v88
.LBB80_347:
	s_or_b32 exec_lo, exec_lo, s1
.LBB80_348:
	s_andn2_saveexec_b32 s0, s0
	s_cbranch_execz .LBB80_350
; %bb.349:
	v_mov_b32_e32 v97, 20
	ds_write2_b64 v94, v[42:43], v[40:41] offset0:21 offset1:22
	ds_write2_b64 v94, v[38:39], v[36:37] offset0:23 offset1:24
	;; [unrolled: 1-line block ×10, first 2 shown]
.LBB80_350:
	s_or_b32 exec_lo, exec_lo, s0
	s_mov_b32 s0, exec_lo
	s_waitcnt lgkmcnt(0)
	s_waitcnt_vscnt null, 0x0
	s_barrier
	buffer_gl0_inv
	v_cmpx_lt_i32_e32 20, v97
	s_cbranch_execz .LBB80_352
; %bb.351:
	v_mul_f64 v[46:47], v[0:1], v[46:47]
	ds_read2_b64 v[98:101], v94 offset0:21 offset1:22
	ds_read2_b64 v[102:105], v94 offset0:23 offset1:24
	;; [unrolled: 1-line block ×10, first 2 shown]
	s_waitcnt lgkmcnt(9)
	v_fma_f64 v[42:43], -v[46:47], v[98:99], v[42:43]
	v_fma_f64 v[40:41], -v[46:47], v[100:101], v[40:41]
	s_waitcnt lgkmcnt(8)
	v_fma_f64 v[38:39], -v[46:47], v[102:103], v[38:39]
	v_fma_f64 v[36:37], -v[46:47], v[104:105], v[36:37]
	;; [unrolled: 3-line block ×10, first 2 shown]
.LBB80_352:
	s_or_b32 exec_lo, exec_lo, s0
	v_lshl_add_u32 v0, v97, 3, v94
	s_barrier
	buffer_gl0_inv
	v_mov_b32_e32 v88, 21
	ds_write_b64 v0, v[42:43]
	s_waitcnt lgkmcnt(0)
	s_barrier
	buffer_gl0_inv
	ds_read_b64 v[0:1], v94 offset:168
	s_cmp_lt_i32 s7, 23
	s_cbranch_scc1 .LBB80_355
; %bb.353:
	v_add3_u32 v89, v95, 0, 0xb0
	v_mov_b32_e32 v88, 21
	s_mov_b32 s0, 22
.LBB80_354:                             ; =>This Inner Loop Header: Depth=1
	ds_read_b64 v[98:99], v89
	v_add_nc_u32_e32 v89, 8, v89
	s_waitcnt lgkmcnt(0)
	v_cmp_lt_f64_e64 vcc_lo, |v[0:1]|, |v[98:99]|
	v_cndmask_b32_e32 v1, v1, v99, vcc_lo
	v_cndmask_b32_e32 v0, v0, v98, vcc_lo
	v_cndmask_b32_e64 v88, v88, s0, vcc_lo
	s_add_i32 s0, s0, 1
	s_cmp_lg_u32 s7, s0
	s_cbranch_scc1 .LBB80_354
.LBB80_355:
	s_mov_b32 s0, exec_lo
	s_waitcnt lgkmcnt(0)
	v_cmpx_eq_f64_e32 0, v[0:1]
	s_xor_b32 s0, exec_lo, s0
; %bb.356:
	v_cmp_ne_u32_e32 vcc_lo, 0, v91
	v_cndmask_b32_e32 v91, 22, v91, vcc_lo
; %bb.357:
	s_andn2_saveexec_b32 s0, s0
	s_cbranch_execz .LBB80_359
; %bb.358:
	v_div_scale_f64 v[89:90], null, v[0:1], v[0:1], 1.0
	v_rcp_f64_e32 v[98:99], v[89:90]
	v_fma_f64 v[100:101], -v[89:90], v[98:99], 1.0
	v_fma_f64 v[98:99], v[98:99], v[100:101], v[98:99]
	v_fma_f64 v[100:101], -v[89:90], v[98:99], 1.0
	v_fma_f64 v[98:99], v[98:99], v[100:101], v[98:99]
	v_div_scale_f64 v[100:101], vcc_lo, 1.0, v[0:1], 1.0
	v_mul_f64 v[102:103], v[100:101], v[98:99]
	v_fma_f64 v[89:90], -v[89:90], v[102:103], v[100:101]
	v_div_fmas_f64 v[89:90], v[89:90], v[98:99], v[102:103]
	v_div_fixup_f64 v[0:1], v[89:90], v[0:1], 1.0
.LBB80_359:
	s_or_b32 exec_lo, exec_lo, s0
	s_mov_b32 s0, exec_lo
	v_cmpx_ne_u32_e64 v97, v88
	s_xor_b32 s0, exec_lo, s0
	s_cbranch_execz .LBB80_365
; %bb.360:
	s_mov_b32 s1, exec_lo
	v_cmpx_eq_u32_e32 21, v97
	s_cbranch_execz .LBB80_364
; %bb.361:
	v_cmp_ne_u32_e32 vcc_lo, 21, v88
	s_xor_b32 s2, s6, -1
	s_and_b32 s3, s2, vcc_lo
	s_and_saveexec_b32 s2, s3
	s_cbranch_execz .LBB80_363
; %bb.362:
	v_ashrrev_i32_e32 v89, 31, v88
	v_lshlrev_b64 v[89:90], 2, v[88:89]
	v_add_co_u32 v89, vcc_lo, v4, v89
	v_add_co_ci_u32_e64 v90, null, v5, v90, vcc_lo
	s_clause 0x1
	global_load_dword v96, v[89:90], off
	global_load_dword v97, v[4:5], off offset:84
	s_waitcnt vmcnt(1)
	global_store_dword v[4:5], v96, off offset:84
	s_waitcnt vmcnt(0)
	global_store_dword v[89:90], v97, off
.LBB80_363:
	s_or_b32 exec_lo, exec_lo, s2
	v_mov_b32_e32 v96, v88
	v_mov_b32_e32 v97, v88
.LBB80_364:
	s_or_b32 exec_lo, exec_lo, s1
.LBB80_365:
	s_andn2_saveexec_b32 s0, s0
	s_cbranch_execz .LBB80_367
; %bb.366:
	v_mov_b32_e32 v88, v40
	v_mov_b32_e32 v89, v41
	v_mov_b32_e32 v97, v38
	v_mov_b32_e32 v98, v39
	v_mov_b32_e32 v99, v36
	v_mov_b32_e32 v100, v37
	v_mov_b32_e32 v101, v34
	v_mov_b32_e32 v102, v35
	v_mov_b32_e32 v103, v32
	v_mov_b32_e32 v104, v33
	v_mov_b32_e32 v105, v28
	v_mov_b32_e32 v106, v29
	v_mov_b32_e32 v107, v30
	v_mov_b32_e32 v108, v31
	v_mov_b32_e32 v109, v24
	v_mov_b32_e32 v110, v25
	v_mov_b32_e32 v111, v26
	v_mov_b32_e32 v112, v27
	v_mov_b32_e32 v113, v22
	v_mov_b32_e32 v114, v23
	ds_write2_b64 v94, v[88:89], v[97:98] offset0:22 offset1:23
	ds_write2_b64 v94, v[99:100], v[101:102] offset0:24 offset1:25
	;; [unrolled: 1-line block ×5, first 2 shown]
	v_mov_b32_e32 v88, v20
	v_mov_b32_e32 v89, v21
	;; [unrolled: 1-line block ×8, first 2 shown]
	ds_write2_b64 v94, v[88:89], v[97:98] offset0:32 offset1:33
	v_mov_b32_e32 v97, 21
	v_mov_b32_e32 v103, v12
	;; [unrolled: 1-line block ×9, first 2 shown]
	ds_write2_b64 v94, v[99:100], v[101:102] offset0:34 offset1:35
	ds_write2_b64 v94, v[103:104], v[105:106] offset0:36 offset1:37
	;; [unrolled: 1-line block ×3, first 2 shown]
	ds_write_b64 v94, v[86:87] offset:320
.LBB80_367:
	s_or_b32 exec_lo, exec_lo, s0
	s_mov_b32 s0, exec_lo
	s_waitcnt lgkmcnt(0)
	s_waitcnt_vscnt null, 0x0
	s_barrier
	buffer_gl0_inv
	v_cmpx_lt_i32_e32 21, v97
	s_cbranch_execz .LBB80_369
; %bb.368:
	v_mul_f64 v[42:43], v[0:1], v[42:43]
	ds_read2_b64 v[98:101], v94 offset0:22 offset1:23
	ds_read2_b64 v[102:105], v94 offset0:24 offset1:25
	;; [unrolled: 1-line block ×9, first 2 shown]
	ds_read_b64 v[0:1], v94 offset:320
	s_waitcnt lgkmcnt(9)
	v_fma_f64 v[40:41], -v[42:43], v[98:99], v[40:41]
	v_fma_f64 v[38:39], -v[42:43], v[100:101], v[38:39]
	s_waitcnt lgkmcnt(8)
	v_fma_f64 v[36:37], -v[42:43], v[102:103], v[36:37]
	v_fma_f64 v[34:35], -v[42:43], v[104:105], v[34:35]
	;; [unrolled: 3-line block ×9, first 2 shown]
	s_waitcnt lgkmcnt(0)
	v_fma_f64 v[86:87], -v[42:43], v[0:1], v[86:87]
.LBB80_369:
	s_or_b32 exec_lo, exec_lo, s0
	v_lshl_add_u32 v0, v97, 3, v94
	s_barrier
	buffer_gl0_inv
	v_mov_b32_e32 v88, 22
	ds_write_b64 v0, v[40:41]
	s_waitcnt lgkmcnt(0)
	s_barrier
	buffer_gl0_inv
	ds_read_b64 v[0:1], v94 offset:176
	s_cmp_lt_i32 s7, 24
	s_cbranch_scc1 .LBB80_372
; %bb.370:
	v_add3_u32 v89, v95, 0, 0xb8
	v_mov_b32_e32 v88, 22
	s_mov_b32 s0, 23
.LBB80_371:                             ; =>This Inner Loop Header: Depth=1
	ds_read_b64 v[98:99], v89
	v_add_nc_u32_e32 v89, 8, v89
	s_waitcnt lgkmcnt(0)
	v_cmp_lt_f64_e64 vcc_lo, |v[0:1]|, |v[98:99]|
	v_cndmask_b32_e32 v1, v1, v99, vcc_lo
	v_cndmask_b32_e32 v0, v0, v98, vcc_lo
	v_cndmask_b32_e64 v88, v88, s0, vcc_lo
	s_add_i32 s0, s0, 1
	s_cmp_lg_u32 s7, s0
	s_cbranch_scc1 .LBB80_371
.LBB80_372:
	s_mov_b32 s0, exec_lo
	s_waitcnt lgkmcnt(0)
	v_cmpx_eq_f64_e32 0, v[0:1]
	s_xor_b32 s0, exec_lo, s0
; %bb.373:
	v_cmp_ne_u32_e32 vcc_lo, 0, v91
	v_cndmask_b32_e32 v91, 23, v91, vcc_lo
; %bb.374:
	s_andn2_saveexec_b32 s0, s0
	s_cbranch_execz .LBB80_376
; %bb.375:
	v_div_scale_f64 v[89:90], null, v[0:1], v[0:1], 1.0
	v_rcp_f64_e32 v[98:99], v[89:90]
	v_fma_f64 v[100:101], -v[89:90], v[98:99], 1.0
	v_fma_f64 v[98:99], v[98:99], v[100:101], v[98:99]
	v_fma_f64 v[100:101], -v[89:90], v[98:99], 1.0
	v_fma_f64 v[98:99], v[98:99], v[100:101], v[98:99]
	v_div_scale_f64 v[100:101], vcc_lo, 1.0, v[0:1], 1.0
	v_mul_f64 v[102:103], v[100:101], v[98:99]
	v_fma_f64 v[89:90], -v[89:90], v[102:103], v[100:101]
	v_div_fmas_f64 v[89:90], v[89:90], v[98:99], v[102:103]
	v_div_fixup_f64 v[0:1], v[89:90], v[0:1], 1.0
.LBB80_376:
	s_or_b32 exec_lo, exec_lo, s0
	s_mov_b32 s0, exec_lo
	v_cmpx_ne_u32_e64 v97, v88
	s_xor_b32 s0, exec_lo, s0
	s_cbranch_execz .LBB80_382
; %bb.377:
	s_mov_b32 s1, exec_lo
	v_cmpx_eq_u32_e32 22, v97
	s_cbranch_execz .LBB80_381
; %bb.378:
	v_cmp_ne_u32_e32 vcc_lo, 22, v88
	s_xor_b32 s2, s6, -1
	s_and_b32 s3, s2, vcc_lo
	s_and_saveexec_b32 s2, s3
	s_cbranch_execz .LBB80_380
; %bb.379:
	v_ashrrev_i32_e32 v89, 31, v88
	v_lshlrev_b64 v[89:90], 2, v[88:89]
	v_add_co_u32 v89, vcc_lo, v4, v89
	v_add_co_ci_u32_e64 v90, null, v5, v90, vcc_lo
	s_clause 0x1
	global_load_dword v96, v[89:90], off
	global_load_dword v97, v[4:5], off offset:88
	s_waitcnt vmcnt(1)
	global_store_dword v[4:5], v96, off offset:88
	s_waitcnt vmcnt(0)
	global_store_dword v[89:90], v97, off
.LBB80_380:
	s_or_b32 exec_lo, exec_lo, s2
	v_mov_b32_e32 v96, v88
	v_mov_b32_e32 v97, v88
.LBB80_381:
	s_or_b32 exec_lo, exec_lo, s1
.LBB80_382:
	s_andn2_saveexec_b32 s0, s0
	s_cbranch_execz .LBB80_384
; %bb.383:
	v_mov_b32_e32 v97, 22
	ds_write2_b64 v94, v[38:39], v[36:37] offset0:23 offset1:24
	ds_write2_b64 v94, v[34:35], v[32:33] offset0:25 offset1:26
	;; [unrolled: 1-line block ×9, first 2 shown]
.LBB80_384:
	s_or_b32 exec_lo, exec_lo, s0
	s_mov_b32 s0, exec_lo
	s_waitcnt lgkmcnt(0)
	s_waitcnt_vscnt null, 0x0
	s_barrier
	buffer_gl0_inv
	v_cmpx_lt_i32_e32 22, v97
	s_cbranch_execz .LBB80_386
; %bb.385:
	v_mul_f64 v[40:41], v[0:1], v[40:41]
	ds_read2_b64 v[98:101], v94 offset0:23 offset1:24
	ds_read2_b64 v[102:105], v94 offset0:25 offset1:26
	;; [unrolled: 1-line block ×9, first 2 shown]
	s_waitcnt lgkmcnt(8)
	v_fma_f64 v[38:39], -v[40:41], v[98:99], v[38:39]
	v_fma_f64 v[36:37], -v[40:41], v[100:101], v[36:37]
	s_waitcnt lgkmcnt(7)
	v_fma_f64 v[34:35], -v[40:41], v[102:103], v[34:35]
	v_fma_f64 v[32:33], -v[40:41], v[104:105], v[32:33]
	;; [unrolled: 3-line block ×9, first 2 shown]
.LBB80_386:
	s_or_b32 exec_lo, exec_lo, s0
	v_lshl_add_u32 v0, v97, 3, v94
	s_barrier
	buffer_gl0_inv
	v_mov_b32_e32 v88, 23
	ds_write_b64 v0, v[38:39]
	s_waitcnt lgkmcnt(0)
	s_barrier
	buffer_gl0_inv
	ds_read_b64 v[0:1], v94 offset:184
	s_cmp_lt_i32 s7, 25
	s_cbranch_scc1 .LBB80_389
; %bb.387:
	v_add3_u32 v89, v95, 0, 0xc0
	v_mov_b32_e32 v88, 23
	s_mov_b32 s0, 24
.LBB80_388:                             ; =>This Inner Loop Header: Depth=1
	ds_read_b64 v[98:99], v89
	v_add_nc_u32_e32 v89, 8, v89
	s_waitcnt lgkmcnt(0)
	v_cmp_lt_f64_e64 vcc_lo, |v[0:1]|, |v[98:99]|
	v_cndmask_b32_e32 v1, v1, v99, vcc_lo
	v_cndmask_b32_e32 v0, v0, v98, vcc_lo
	v_cndmask_b32_e64 v88, v88, s0, vcc_lo
	s_add_i32 s0, s0, 1
	s_cmp_lg_u32 s7, s0
	s_cbranch_scc1 .LBB80_388
.LBB80_389:
	s_mov_b32 s0, exec_lo
	s_waitcnt lgkmcnt(0)
	v_cmpx_eq_f64_e32 0, v[0:1]
	s_xor_b32 s0, exec_lo, s0
; %bb.390:
	v_cmp_ne_u32_e32 vcc_lo, 0, v91
	v_cndmask_b32_e32 v91, 24, v91, vcc_lo
; %bb.391:
	s_andn2_saveexec_b32 s0, s0
	s_cbranch_execz .LBB80_393
; %bb.392:
	v_div_scale_f64 v[89:90], null, v[0:1], v[0:1], 1.0
	v_rcp_f64_e32 v[98:99], v[89:90]
	v_fma_f64 v[100:101], -v[89:90], v[98:99], 1.0
	v_fma_f64 v[98:99], v[98:99], v[100:101], v[98:99]
	v_fma_f64 v[100:101], -v[89:90], v[98:99], 1.0
	v_fma_f64 v[98:99], v[98:99], v[100:101], v[98:99]
	v_div_scale_f64 v[100:101], vcc_lo, 1.0, v[0:1], 1.0
	v_mul_f64 v[102:103], v[100:101], v[98:99]
	v_fma_f64 v[89:90], -v[89:90], v[102:103], v[100:101]
	v_div_fmas_f64 v[89:90], v[89:90], v[98:99], v[102:103]
	v_div_fixup_f64 v[0:1], v[89:90], v[0:1], 1.0
.LBB80_393:
	s_or_b32 exec_lo, exec_lo, s0
	s_mov_b32 s0, exec_lo
	v_cmpx_ne_u32_e64 v97, v88
	s_xor_b32 s0, exec_lo, s0
	s_cbranch_execz .LBB80_399
; %bb.394:
	s_mov_b32 s1, exec_lo
	v_cmpx_eq_u32_e32 23, v97
	s_cbranch_execz .LBB80_398
; %bb.395:
	v_cmp_ne_u32_e32 vcc_lo, 23, v88
	s_xor_b32 s2, s6, -1
	s_and_b32 s3, s2, vcc_lo
	s_and_saveexec_b32 s2, s3
	s_cbranch_execz .LBB80_397
; %bb.396:
	v_ashrrev_i32_e32 v89, 31, v88
	v_lshlrev_b64 v[89:90], 2, v[88:89]
	v_add_co_u32 v89, vcc_lo, v4, v89
	v_add_co_ci_u32_e64 v90, null, v5, v90, vcc_lo
	s_clause 0x1
	global_load_dword v96, v[89:90], off
	global_load_dword v97, v[4:5], off offset:92
	s_waitcnt vmcnt(1)
	global_store_dword v[4:5], v96, off offset:92
	s_waitcnt vmcnt(0)
	global_store_dword v[89:90], v97, off
.LBB80_397:
	s_or_b32 exec_lo, exec_lo, s2
	v_mov_b32_e32 v96, v88
	v_mov_b32_e32 v97, v88
.LBB80_398:
	s_or_b32 exec_lo, exec_lo, s1
.LBB80_399:
	s_andn2_saveexec_b32 s0, s0
	s_cbranch_execz .LBB80_401
; %bb.400:
	v_mov_b32_e32 v88, v36
	v_mov_b32_e32 v89, v37
	;; [unrolled: 1-line block ×16, first 2 shown]
	ds_write2_b64 v94, v[88:89], v[97:98] offset0:24 offset1:25
	ds_write2_b64 v94, v[99:100], v[101:102] offset0:26 offset1:27
	;; [unrolled: 1-line block ×4, first 2 shown]
	v_mov_b32_e32 v88, v20
	v_mov_b32_e32 v89, v21
	;; [unrolled: 1-line block ×8, first 2 shown]
	ds_write2_b64 v94, v[88:89], v[97:98] offset0:32 offset1:33
	v_mov_b32_e32 v97, 23
	v_mov_b32_e32 v103, v12
	;; [unrolled: 1-line block ×9, first 2 shown]
	ds_write2_b64 v94, v[99:100], v[101:102] offset0:34 offset1:35
	ds_write2_b64 v94, v[103:104], v[105:106] offset0:36 offset1:37
	;; [unrolled: 1-line block ×3, first 2 shown]
	ds_write_b64 v94, v[86:87] offset:320
.LBB80_401:
	s_or_b32 exec_lo, exec_lo, s0
	s_mov_b32 s0, exec_lo
	s_waitcnt lgkmcnt(0)
	s_waitcnt_vscnt null, 0x0
	s_barrier
	buffer_gl0_inv
	v_cmpx_lt_i32_e32 23, v97
	s_cbranch_execz .LBB80_403
; %bb.402:
	v_mul_f64 v[38:39], v[0:1], v[38:39]
	ds_read2_b64 v[98:101], v94 offset0:24 offset1:25
	ds_read2_b64 v[102:105], v94 offset0:26 offset1:27
	;; [unrolled: 1-line block ×8, first 2 shown]
	ds_read_b64 v[0:1], v94 offset:320
	s_waitcnt lgkmcnt(8)
	v_fma_f64 v[36:37], -v[38:39], v[98:99], v[36:37]
	v_fma_f64 v[34:35], -v[38:39], v[100:101], v[34:35]
	s_waitcnt lgkmcnt(7)
	v_fma_f64 v[32:33], -v[38:39], v[102:103], v[32:33]
	v_fma_f64 v[28:29], -v[38:39], v[104:105], v[28:29]
	;; [unrolled: 3-line block ×8, first 2 shown]
	s_waitcnt lgkmcnt(0)
	v_fma_f64 v[86:87], -v[38:39], v[0:1], v[86:87]
.LBB80_403:
	s_or_b32 exec_lo, exec_lo, s0
	v_lshl_add_u32 v0, v97, 3, v94
	s_barrier
	buffer_gl0_inv
	v_mov_b32_e32 v88, 24
	ds_write_b64 v0, v[36:37]
	s_waitcnt lgkmcnt(0)
	s_barrier
	buffer_gl0_inv
	ds_read_b64 v[0:1], v94 offset:192
	s_cmp_lt_i32 s7, 26
	s_cbranch_scc1 .LBB80_406
; %bb.404:
	v_add3_u32 v89, v95, 0, 0xc8
	v_mov_b32_e32 v88, 24
	s_mov_b32 s0, 25
.LBB80_405:                             ; =>This Inner Loop Header: Depth=1
	ds_read_b64 v[98:99], v89
	v_add_nc_u32_e32 v89, 8, v89
	s_waitcnt lgkmcnt(0)
	v_cmp_lt_f64_e64 vcc_lo, |v[0:1]|, |v[98:99]|
	v_cndmask_b32_e32 v1, v1, v99, vcc_lo
	v_cndmask_b32_e32 v0, v0, v98, vcc_lo
	v_cndmask_b32_e64 v88, v88, s0, vcc_lo
	s_add_i32 s0, s0, 1
	s_cmp_lg_u32 s7, s0
	s_cbranch_scc1 .LBB80_405
.LBB80_406:
	s_mov_b32 s0, exec_lo
	s_waitcnt lgkmcnt(0)
	v_cmpx_eq_f64_e32 0, v[0:1]
	s_xor_b32 s0, exec_lo, s0
; %bb.407:
	v_cmp_ne_u32_e32 vcc_lo, 0, v91
	v_cndmask_b32_e32 v91, 25, v91, vcc_lo
; %bb.408:
	s_andn2_saveexec_b32 s0, s0
	s_cbranch_execz .LBB80_410
; %bb.409:
	v_div_scale_f64 v[89:90], null, v[0:1], v[0:1], 1.0
	v_rcp_f64_e32 v[98:99], v[89:90]
	v_fma_f64 v[100:101], -v[89:90], v[98:99], 1.0
	v_fma_f64 v[98:99], v[98:99], v[100:101], v[98:99]
	v_fma_f64 v[100:101], -v[89:90], v[98:99], 1.0
	v_fma_f64 v[98:99], v[98:99], v[100:101], v[98:99]
	v_div_scale_f64 v[100:101], vcc_lo, 1.0, v[0:1], 1.0
	v_mul_f64 v[102:103], v[100:101], v[98:99]
	v_fma_f64 v[89:90], -v[89:90], v[102:103], v[100:101]
	v_div_fmas_f64 v[89:90], v[89:90], v[98:99], v[102:103]
	v_div_fixup_f64 v[0:1], v[89:90], v[0:1], 1.0
.LBB80_410:
	s_or_b32 exec_lo, exec_lo, s0
	s_mov_b32 s0, exec_lo
	v_cmpx_ne_u32_e64 v97, v88
	s_xor_b32 s0, exec_lo, s0
	s_cbranch_execz .LBB80_416
; %bb.411:
	s_mov_b32 s1, exec_lo
	v_cmpx_eq_u32_e32 24, v97
	s_cbranch_execz .LBB80_415
; %bb.412:
	v_cmp_ne_u32_e32 vcc_lo, 24, v88
	s_xor_b32 s2, s6, -1
	s_and_b32 s3, s2, vcc_lo
	s_and_saveexec_b32 s2, s3
	s_cbranch_execz .LBB80_414
; %bb.413:
	v_ashrrev_i32_e32 v89, 31, v88
	v_lshlrev_b64 v[89:90], 2, v[88:89]
	v_add_co_u32 v89, vcc_lo, v4, v89
	v_add_co_ci_u32_e64 v90, null, v5, v90, vcc_lo
	s_clause 0x1
	global_load_dword v96, v[89:90], off
	global_load_dword v97, v[4:5], off offset:96
	s_waitcnt vmcnt(1)
	global_store_dword v[4:5], v96, off offset:96
	s_waitcnt vmcnt(0)
	global_store_dword v[89:90], v97, off
.LBB80_414:
	s_or_b32 exec_lo, exec_lo, s2
	v_mov_b32_e32 v96, v88
	v_mov_b32_e32 v97, v88
.LBB80_415:
	s_or_b32 exec_lo, exec_lo, s1
.LBB80_416:
	s_andn2_saveexec_b32 s0, s0
	s_cbranch_execz .LBB80_418
; %bb.417:
	v_mov_b32_e32 v97, 24
	ds_write2_b64 v94, v[34:35], v[32:33] offset0:25 offset1:26
	ds_write2_b64 v94, v[28:29], v[30:31] offset0:27 offset1:28
	;; [unrolled: 1-line block ×8, first 2 shown]
.LBB80_418:
	s_or_b32 exec_lo, exec_lo, s0
	s_mov_b32 s0, exec_lo
	s_waitcnt lgkmcnt(0)
	s_waitcnt_vscnt null, 0x0
	s_barrier
	buffer_gl0_inv
	v_cmpx_lt_i32_e32 24, v97
	s_cbranch_execz .LBB80_420
; %bb.419:
	v_mul_f64 v[36:37], v[0:1], v[36:37]
	ds_read2_b64 v[98:101], v94 offset0:25 offset1:26
	ds_read2_b64 v[102:105], v94 offset0:27 offset1:28
	;; [unrolled: 1-line block ×8, first 2 shown]
	s_waitcnt lgkmcnt(7)
	v_fma_f64 v[34:35], -v[36:37], v[98:99], v[34:35]
	v_fma_f64 v[32:33], -v[36:37], v[100:101], v[32:33]
	s_waitcnt lgkmcnt(6)
	v_fma_f64 v[28:29], -v[36:37], v[102:103], v[28:29]
	v_fma_f64 v[30:31], -v[36:37], v[104:105], v[30:31]
	;; [unrolled: 3-line block ×8, first 2 shown]
.LBB80_420:
	s_or_b32 exec_lo, exec_lo, s0
	v_lshl_add_u32 v0, v97, 3, v94
	s_barrier
	buffer_gl0_inv
	v_mov_b32_e32 v88, 25
	ds_write_b64 v0, v[34:35]
	s_waitcnt lgkmcnt(0)
	s_barrier
	buffer_gl0_inv
	ds_read_b64 v[0:1], v94 offset:200
	s_cmp_lt_i32 s7, 27
	s_cbranch_scc1 .LBB80_423
; %bb.421:
	v_add3_u32 v89, v95, 0, 0xd0
	v_mov_b32_e32 v88, 25
	s_mov_b32 s0, 26
.LBB80_422:                             ; =>This Inner Loop Header: Depth=1
	ds_read_b64 v[98:99], v89
	v_add_nc_u32_e32 v89, 8, v89
	s_waitcnt lgkmcnt(0)
	v_cmp_lt_f64_e64 vcc_lo, |v[0:1]|, |v[98:99]|
	v_cndmask_b32_e32 v1, v1, v99, vcc_lo
	v_cndmask_b32_e32 v0, v0, v98, vcc_lo
	v_cndmask_b32_e64 v88, v88, s0, vcc_lo
	s_add_i32 s0, s0, 1
	s_cmp_lg_u32 s7, s0
	s_cbranch_scc1 .LBB80_422
.LBB80_423:
	s_mov_b32 s0, exec_lo
	s_waitcnt lgkmcnt(0)
	v_cmpx_eq_f64_e32 0, v[0:1]
	s_xor_b32 s0, exec_lo, s0
; %bb.424:
	v_cmp_ne_u32_e32 vcc_lo, 0, v91
	v_cndmask_b32_e32 v91, 26, v91, vcc_lo
; %bb.425:
	s_andn2_saveexec_b32 s0, s0
	s_cbranch_execz .LBB80_427
; %bb.426:
	v_div_scale_f64 v[89:90], null, v[0:1], v[0:1], 1.0
	v_rcp_f64_e32 v[98:99], v[89:90]
	v_fma_f64 v[100:101], -v[89:90], v[98:99], 1.0
	v_fma_f64 v[98:99], v[98:99], v[100:101], v[98:99]
	v_fma_f64 v[100:101], -v[89:90], v[98:99], 1.0
	v_fma_f64 v[98:99], v[98:99], v[100:101], v[98:99]
	v_div_scale_f64 v[100:101], vcc_lo, 1.0, v[0:1], 1.0
	v_mul_f64 v[102:103], v[100:101], v[98:99]
	v_fma_f64 v[89:90], -v[89:90], v[102:103], v[100:101]
	v_div_fmas_f64 v[89:90], v[89:90], v[98:99], v[102:103]
	v_div_fixup_f64 v[0:1], v[89:90], v[0:1], 1.0
.LBB80_427:
	s_or_b32 exec_lo, exec_lo, s0
	s_mov_b32 s0, exec_lo
	v_cmpx_ne_u32_e64 v97, v88
	s_xor_b32 s0, exec_lo, s0
	s_cbranch_execz .LBB80_433
; %bb.428:
	s_mov_b32 s1, exec_lo
	v_cmpx_eq_u32_e32 25, v97
	s_cbranch_execz .LBB80_432
; %bb.429:
	v_cmp_ne_u32_e32 vcc_lo, 25, v88
	s_xor_b32 s2, s6, -1
	s_and_b32 s3, s2, vcc_lo
	s_and_saveexec_b32 s2, s3
	s_cbranch_execz .LBB80_431
; %bb.430:
	v_ashrrev_i32_e32 v89, 31, v88
	v_lshlrev_b64 v[89:90], 2, v[88:89]
	v_add_co_u32 v89, vcc_lo, v4, v89
	v_add_co_ci_u32_e64 v90, null, v5, v90, vcc_lo
	s_clause 0x1
	global_load_dword v96, v[89:90], off
	global_load_dword v97, v[4:5], off offset:100
	s_waitcnt vmcnt(1)
	global_store_dword v[4:5], v96, off offset:100
	s_waitcnt vmcnt(0)
	global_store_dword v[89:90], v97, off
.LBB80_431:
	s_or_b32 exec_lo, exec_lo, s2
	v_mov_b32_e32 v96, v88
	v_mov_b32_e32 v97, v88
.LBB80_432:
	s_or_b32 exec_lo, exec_lo, s1
.LBB80_433:
	s_andn2_saveexec_b32 s0, s0
	s_cbranch_execz .LBB80_435
; %bb.434:
	v_mov_b32_e32 v88, v32
	v_mov_b32_e32 v89, v33
	;; [unrolled: 1-line block ×12, first 2 shown]
	ds_write2_b64 v94, v[88:89], v[97:98] offset0:26 offset1:27
	ds_write2_b64 v94, v[99:100], v[101:102] offset0:28 offset1:29
	;; [unrolled: 1-line block ×3, first 2 shown]
	v_mov_b32_e32 v88, v20
	v_mov_b32_e32 v89, v21
	;; [unrolled: 1-line block ×8, first 2 shown]
	ds_write2_b64 v94, v[88:89], v[97:98] offset0:32 offset1:33
	v_mov_b32_e32 v97, 25
	v_mov_b32_e32 v103, v12
	;; [unrolled: 1-line block ×9, first 2 shown]
	ds_write2_b64 v94, v[99:100], v[101:102] offset0:34 offset1:35
	ds_write2_b64 v94, v[103:104], v[105:106] offset0:36 offset1:37
	ds_write2_b64 v94, v[107:108], v[109:110] offset0:38 offset1:39
	ds_write_b64 v94, v[86:87] offset:320
.LBB80_435:
	s_or_b32 exec_lo, exec_lo, s0
	s_mov_b32 s0, exec_lo
	s_waitcnt lgkmcnt(0)
	s_waitcnt_vscnt null, 0x0
	s_barrier
	buffer_gl0_inv
	v_cmpx_lt_i32_e32 25, v97
	s_cbranch_execz .LBB80_437
; %bb.436:
	v_mul_f64 v[34:35], v[0:1], v[34:35]
	ds_read2_b64 v[98:101], v94 offset0:26 offset1:27
	ds_read2_b64 v[102:105], v94 offset0:28 offset1:29
	;; [unrolled: 1-line block ×7, first 2 shown]
	ds_read_b64 v[0:1], v94 offset:320
	s_waitcnt lgkmcnt(7)
	v_fma_f64 v[32:33], -v[34:35], v[98:99], v[32:33]
	v_fma_f64 v[28:29], -v[34:35], v[100:101], v[28:29]
	s_waitcnt lgkmcnt(6)
	v_fma_f64 v[30:31], -v[34:35], v[102:103], v[30:31]
	v_fma_f64 v[24:25], -v[34:35], v[104:105], v[24:25]
	;; [unrolled: 3-line block ×7, first 2 shown]
	s_waitcnt lgkmcnt(0)
	v_fma_f64 v[86:87], -v[34:35], v[0:1], v[86:87]
.LBB80_437:
	s_or_b32 exec_lo, exec_lo, s0
	v_lshl_add_u32 v0, v97, 3, v94
	s_barrier
	buffer_gl0_inv
	v_mov_b32_e32 v88, 26
	ds_write_b64 v0, v[32:33]
	s_waitcnt lgkmcnt(0)
	s_barrier
	buffer_gl0_inv
	ds_read_b64 v[0:1], v94 offset:208
	s_cmp_lt_i32 s7, 28
	s_cbranch_scc1 .LBB80_440
; %bb.438:
	v_add3_u32 v89, v95, 0, 0xd8
	v_mov_b32_e32 v88, 26
	s_mov_b32 s0, 27
.LBB80_439:                             ; =>This Inner Loop Header: Depth=1
	ds_read_b64 v[98:99], v89
	v_add_nc_u32_e32 v89, 8, v89
	s_waitcnt lgkmcnt(0)
	v_cmp_lt_f64_e64 vcc_lo, |v[0:1]|, |v[98:99]|
	v_cndmask_b32_e32 v1, v1, v99, vcc_lo
	v_cndmask_b32_e32 v0, v0, v98, vcc_lo
	v_cndmask_b32_e64 v88, v88, s0, vcc_lo
	s_add_i32 s0, s0, 1
	s_cmp_lg_u32 s7, s0
	s_cbranch_scc1 .LBB80_439
.LBB80_440:
	s_mov_b32 s0, exec_lo
	s_waitcnt lgkmcnt(0)
	v_cmpx_eq_f64_e32 0, v[0:1]
	s_xor_b32 s0, exec_lo, s0
; %bb.441:
	v_cmp_ne_u32_e32 vcc_lo, 0, v91
	v_cndmask_b32_e32 v91, 27, v91, vcc_lo
; %bb.442:
	s_andn2_saveexec_b32 s0, s0
	s_cbranch_execz .LBB80_444
; %bb.443:
	v_div_scale_f64 v[89:90], null, v[0:1], v[0:1], 1.0
	v_rcp_f64_e32 v[98:99], v[89:90]
	v_fma_f64 v[100:101], -v[89:90], v[98:99], 1.0
	v_fma_f64 v[98:99], v[98:99], v[100:101], v[98:99]
	v_fma_f64 v[100:101], -v[89:90], v[98:99], 1.0
	v_fma_f64 v[98:99], v[98:99], v[100:101], v[98:99]
	v_div_scale_f64 v[100:101], vcc_lo, 1.0, v[0:1], 1.0
	v_mul_f64 v[102:103], v[100:101], v[98:99]
	v_fma_f64 v[89:90], -v[89:90], v[102:103], v[100:101]
	v_div_fmas_f64 v[89:90], v[89:90], v[98:99], v[102:103]
	v_div_fixup_f64 v[0:1], v[89:90], v[0:1], 1.0
.LBB80_444:
	s_or_b32 exec_lo, exec_lo, s0
	s_mov_b32 s0, exec_lo
	v_cmpx_ne_u32_e64 v97, v88
	s_xor_b32 s0, exec_lo, s0
	s_cbranch_execz .LBB80_450
; %bb.445:
	s_mov_b32 s1, exec_lo
	v_cmpx_eq_u32_e32 26, v97
	s_cbranch_execz .LBB80_449
; %bb.446:
	v_cmp_ne_u32_e32 vcc_lo, 26, v88
	s_xor_b32 s2, s6, -1
	s_and_b32 s3, s2, vcc_lo
	s_and_saveexec_b32 s2, s3
	s_cbranch_execz .LBB80_448
; %bb.447:
	v_ashrrev_i32_e32 v89, 31, v88
	v_lshlrev_b64 v[89:90], 2, v[88:89]
	v_add_co_u32 v89, vcc_lo, v4, v89
	v_add_co_ci_u32_e64 v90, null, v5, v90, vcc_lo
	s_clause 0x1
	global_load_dword v96, v[89:90], off
	global_load_dword v97, v[4:5], off offset:104
	s_waitcnt vmcnt(1)
	global_store_dword v[4:5], v96, off offset:104
	s_waitcnt vmcnt(0)
	global_store_dword v[89:90], v97, off
.LBB80_448:
	s_or_b32 exec_lo, exec_lo, s2
	v_mov_b32_e32 v96, v88
	v_mov_b32_e32 v97, v88
.LBB80_449:
	s_or_b32 exec_lo, exec_lo, s1
.LBB80_450:
	s_andn2_saveexec_b32 s0, s0
	s_cbranch_execz .LBB80_452
; %bb.451:
	v_mov_b32_e32 v97, 26
	ds_write2_b64 v94, v[28:29], v[30:31] offset0:27 offset1:28
	ds_write2_b64 v94, v[24:25], v[26:27] offset0:29 offset1:30
	;; [unrolled: 1-line block ×7, first 2 shown]
.LBB80_452:
	s_or_b32 exec_lo, exec_lo, s0
	s_mov_b32 s0, exec_lo
	s_waitcnt lgkmcnt(0)
	s_waitcnt_vscnt null, 0x0
	s_barrier
	buffer_gl0_inv
	v_cmpx_lt_i32_e32 26, v97
	s_cbranch_execz .LBB80_454
; %bb.453:
	v_mul_f64 v[32:33], v[0:1], v[32:33]
	ds_read2_b64 v[98:101], v94 offset0:27 offset1:28
	ds_read2_b64 v[102:105], v94 offset0:29 offset1:30
	;; [unrolled: 1-line block ×7, first 2 shown]
	s_waitcnt lgkmcnt(6)
	v_fma_f64 v[28:29], -v[32:33], v[98:99], v[28:29]
	v_fma_f64 v[30:31], -v[32:33], v[100:101], v[30:31]
	s_waitcnt lgkmcnt(5)
	v_fma_f64 v[24:25], -v[32:33], v[102:103], v[24:25]
	v_fma_f64 v[26:27], -v[32:33], v[104:105], v[26:27]
	;; [unrolled: 3-line block ×7, first 2 shown]
.LBB80_454:
	s_or_b32 exec_lo, exec_lo, s0
	v_lshl_add_u32 v0, v97, 3, v94
	s_barrier
	buffer_gl0_inv
	v_mov_b32_e32 v88, 27
	ds_write_b64 v0, v[28:29]
	s_waitcnt lgkmcnt(0)
	s_barrier
	buffer_gl0_inv
	ds_read_b64 v[0:1], v94 offset:216
	s_cmp_lt_i32 s7, 29
	s_cbranch_scc1 .LBB80_457
; %bb.455:
	v_add3_u32 v89, v95, 0, 0xe0
	v_mov_b32_e32 v88, 27
	s_mov_b32 s0, 28
.LBB80_456:                             ; =>This Inner Loop Header: Depth=1
	ds_read_b64 v[98:99], v89
	v_add_nc_u32_e32 v89, 8, v89
	s_waitcnt lgkmcnt(0)
	v_cmp_lt_f64_e64 vcc_lo, |v[0:1]|, |v[98:99]|
	v_cndmask_b32_e32 v1, v1, v99, vcc_lo
	v_cndmask_b32_e32 v0, v0, v98, vcc_lo
	v_cndmask_b32_e64 v88, v88, s0, vcc_lo
	s_add_i32 s0, s0, 1
	s_cmp_lg_u32 s7, s0
	s_cbranch_scc1 .LBB80_456
.LBB80_457:
	s_mov_b32 s0, exec_lo
	s_waitcnt lgkmcnt(0)
	v_cmpx_eq_f64_e32 0, v[0:1]
	s_xor_b32 s0, exec_lo, s0
; %bb.458:
	v_cmp_ne_u32_e32 vcc_lo, 0, v91
	v_cndmask_b32_e32 v91, 28, v91, vcc_lo
; %bb.459:
	s_andn2_saveexec_b32 s0, s0
	s_cbranch_execz .LBB80_461
; %bb.460:
	v_div_scale_f64 v[89:90], null, v[0:1], v[0:1], 1.0
	v_rcp_f64_e32 v[98:99], v[89:90]
	v_fma_f64 v[100:101], -v[89:90], v[98:99], 1.0
	v_fma_f64 v[98:99], v[98:99], v[100:101], v[98:99]
	v_fma_f64 v[100:101], -v[89:90], v[98:99], 1.0
	v_fma_f64 v[98:99], v[98:99], v[100:101], v[98:99]
	v_div_scale_f64 v[100:101], vcc_lo, 1.0, v[0:1], 1.0
	v_mul_f64 v[102:103], v[100:101], v[98:99]
	v_fma_f64 v[89:90], -v[89:90], v[102:103], v[100:101]
	v_div_fmas_f64 v[89:90], v[89:90], v[98:99], v[102:103]
	v_div_fixup_f64 v[0:1], v[89:90], v[0:1], 1.0
.LBB80_461:
	s_or_b32 exec_lo, exec_lo, s0
	s_mov_b32 s0, exec_lo
	v_cmpx_ne_u32_e64 v97, v88
	s_xor_b32 s0, exec_lo, s0
	s_cbranch_execz .LBB80_467
; %bb.462:
	s_mov_b32 s1, exec_lo
	v_cmpx_eq_u32_e32 27, v97
	s_cbranch_execz .LBB80_466
; %bb.463:
	v_cmp_ne_u32_e32 vcc_lo, 27, v88
	s_xor_b32 s2, s6, -1
	s_and_b32 s3, s2, vcc_lo
	s_and_saveexec_b32 s2, s3
	s_cbranch_execz .LBB80_465
; %bb.464:
	v_ashrrev_i32_e32 v89, 31, v88
	v_lshlrev_b64 v[89:90], 2, v[88:89]
	v_add_co_u32 v89, vcc_lo, v4, v89
	v_add_co_ci_u32_e64 v90, null, v5, v90, vcc_lo
	s_clause 0x1
	global_load_dword v96, v[89:90], off
	global_load_dword v97, v[4:5], off offset:108
	s_waitcnt vmcnt(1)
	global_store_dword v[4:5], v96, off offset:108
	s_waitcnt vmcnt(0)
	global_store_dword v[89:90], v97, off
.LBB80_465:
	s_or_b32 exec_lo, exec_lo, s2
	v_mov_b32_e32 v96, v88
	v_mov_b32_e32 v97, v88
.LBB80_466:
	s_or_b32 exec_lo, exec_lo, s1
.LBB80_467:
	s_andn2_saveexec_b32 s0, s0
	s_cbranch_execz .LBB80_469
; %bb.468:
	v_mov_b32_e32 v88, v30
	v_mov_b32_e32 v89, v31
	;; [unrolled: 1-line block ×8, first 2 shown]
	ds_write2_b64 v94, v[88:89], v[97:98] offset0:28 offset1:29
	ds_write2_b64 v94, v[99:100], v[101:102] offset0:30 offset1:31
	v_mov_b32_e32 v88, v20
	v_mov_b32_e32 v89, v21
	;; [unrolled: 1-line block ×8, first 2 shown]
	ds_write2_b64 v94, v[88:89], v[97:98] offset0:32 offset1:33
	v_mov_b32_e32 v97, 27
	v_mov_b32_e32 v103, v12
	;; [unrolled: 1-line block ×9, first 2 shown]
	ds_write2_b64 v94, v[99:100], v[101:102] offset0:34 offset1:35
	ds_write2_b64 v94, v[103:104], v[105:106] offset0:36 offset1:37
	ds_write2_b64 v94, v[107:108], v[109:110] offset0:38 offset1:39
	ds_write_b64 v94, v[86:87] offset:320
.LBB80_469:
	s_or_b32 exec_lo, exec_lo, s0
	s_mov_b32 s0, exec_lo
	s_waitcnt lgkmcnt(0)
	s_waitcnt_vscnt null, 0x0
	s_barrier
	buffer_gl0_inv
	v_cmpx_lt_i32_e32 27, v97
	s_cbranch_execz .LBB80_471
; %bb.470:
	v_mul_f64 v[28:29], v[0:1], v[28:29]
	ds_read2_b64 v[98:101], v94 offset0:28 offset1:29
	ds_read2_b64 v[102:105], v94 offset0:30 offset1:31
	;; [unrolled: 1-line block ×6, first 2 shown]
	ds_read_b64 v[0:1], v94 offset:320
	s_waitcnt lgkmcnt(6)
	v_fma_f64 v[30:31], -v[28:29], v[98:99], v[30:31]
	v_fma_f64 v[24:25], -v[28:29], v[100:101], v[24:25]
	s_waitcnt lgkmcnt(5)
	v_fma_f64 v[26:27], -v[28:29], v[102:103], v[26:27]
	v_fma_f64 v[22:23], -v[28:29], v[104:105], v[22:23]
	;; [unrolled: 3-line block ×6, first 2 shown]
	s_waitcnt lgkmcnt(0)
	v_fma_f64 v[86:87], -v[28:29], v[0:1], v[86:87]
.LBB80_471:
	s_or_b32 exec_lo, exec_lo, s0
	v_lshl_add_u32 v0, v97, 3, v94
	s_barrier
	buffer_gl0_inv
	v_mov_b32_e32 v88, 28
	ds_write_b64 v0, v[30:31]
	s_waitcnt lgkmcnt(0)
	s_barrier
	buffer_gl0_inv
	ds_read_b64 v[0:1], v94 offset:224
	s_cmp_lt_i32 s7, 30
	s_cbranch_scc1 .LBB80_474
; %bb.472:
	v_add3_u32 v89, v95, 0, 0xe8
	v_mov_b32_e32 v88, 28
	s_mov_b32 s0, 29
.LBB80_473:                             ; =>This Inner Loop Header: Depth=1
	ds_read_b64 v[98:99], v89
	v_add_nc_u32_e32 v89, 8, v89
	s_waitcnt lgkmcnt(0)
	v_cmp_lt_f64_e64 vcc_lo, |v[0:1]|, |v[98:99]|
	v_cndmask_b32_e32 v1, v1, v99, vcc_lo
	v_cndmask_b32_e32 v0, v0, v98, vcc_lo
	v_cndmask_b32_e64 v88, v88, s0, vcc_lo
	s_add_i32 s0, s0, 1
	s_cmp_lg_u32 s7, s0
	s_cbranch_scc1 .LBB80_473
.LBB80_474:
	s_mov_b32 s0, exec_lo
	s_waitcnt lgkmcnt(0)
	v_cmpx_eq_f64_e32 0, v[0:1]
	s_xor_b32 s0, exec_lo, s0
; %bb.475:
	v_cmp_ne_u32_e32 vcc_lo, 0, v91
	v_cndmask_b32_e32 v91, 29, v91, vcc_lo
; %bb.476:
	s_andn2_saveexec_b32 s0, s0
	s_cbranch_execz .LBB80_478
; %bb.477:
	v_div_scale_f64 v[89:90], null, v[0:1], v[0:1], 1.0
	v_rcp_f64_e32 v[98:99], v[89:90]
	v_fma_f64 v[100:101], -v[89:90], v[98:99], 1.0
	v_fma_f64 v[98:99], v[98:99], v[100:101], v[98:99]
	v_fma_f64 v[100:101], -v[89:90], v[98:99], 1.0
	v_fma_f64 v[98:99], v[98:99], v[100:101], v[98:99]
	v_div_scale_f64 v[100:101], vcc_lo, 1.0, v[0:1], 1.0
	v_mul_f64 v[102:103], v[100:101], v[98:99]
	v_fma_f64 v[89:90], -v[89:90], v[102:103], v[100:101]
	v_div_fmas_f64 v[89:90], v[89:90], v[98:99], v[102:103]
	v_div_fixup_f64 v[0:1], v[89:90], v[0:1], 1.0
.LBB80_478:
	s_or_b32 exec_lo, exec_lo, s0
	s_mov_b32 s0, exec_lo
	v_cmpx_ne_u32_e64 v97, v88
	s_xor_b32 s0, exec_lo, s0
	s_cbranch_execz .LBB80_484
; %bb.479:
	s_mov_b32 s1, exec_lo
	v_cmpx_eq_u32_e32 28, v97
	s_cbranch_execz .LBB80_483
; %bb.480:
	v_cmp_ne_u32_e32 vcc_lo, 28, v88
	s_xor_b32 s2, s6, -1
	s_and_b32 s3, s2, vcc_lo
	s_and_saveexec_b32 s2, s3
	s_cbranch_execz .LBB80_482
; %bb.481:
	v_ashrrev_i32_e32 v89, 31, v88
	v_lshlrev_b64 v[89:90], 2, v[88:89]
	v_add_co_u32 v89, vcc_lo, v4, v89
	v_add_co_ci_u32_e64 v90, null, v5, v90, vcc_lo
	s_clause 0x1
	global_load_dword v96, v[89:90], off
	global_load_dword v97, v[4:5], off offset:112
	s_waitcnt vmcnt(1)
	global_store_dword v[4:5], v96, off offset:112
	s_waitcnt vmcnt(0)
	global_store_dword v[89:90], v97, off
.LBB80_482:
	s_or_b32 exec_lo, exec_lo, s2
	v_mov_b32_e32 v96, v88
	v_mov_b32_e32 v97, v88
.LBB80_483:
	s_or_b32 exec_lo, exec_lo, s1
.LBB80_484:
	s_andn2_saveexec_b32 s0, s0
	s_cbranch_execz .LBB80_486
; %bb.485:
	v_mov_b32_e32 v97, 28
	ds_write2_b64 v94, v[24:25], v[26:27] offset0:29 offset1:30
	ds_write2_b64 v94, v[22:23], v[20:21] offset0:31 offset1:32
	;; [unrolled: 1-line block ×6, first 2 shown]
.LBB80_486:
	s_or_b32 exec_lo, exec_lo, s0
	s_mov_b32 s0, exec_lo
	s_waitcnt lgkmcnt(0)
	s_waitcnt_vscnt null, 0x0
	s_barrier
	buffer_gl0_inv
	v_cmpx_lt_i32_e32 28, v97
	s_cbranch_execz .LBB80_488
; %bb.487:
	v_mul_f64 v[30:31], v[0:1], v[30:31]
	ds_read2_b64 v[98:101], v94 offset0:29 offset1:30
	ds_read2_b64 v[102:105], v94 offset0:31 offset1:32
	;; [unrolled: 1-line block ×6, first 2 shown]
	s_waitcnt lgkmcnt(5)
	v_fma_f64 v[24:25], -v[30:31], v[98:99], v[24:25]
	v_fma_f64 v[26:27], -v[30:31], v[100:101], v[26:27]
	s_waitcnt lgkmcnt(4)
	v_fma_f64 v[22:23], -v[30:31], v[102:103], v[22:23]
	v_fma_f64 v[20:21], -v[30:31], v[104:105], v[20:21]
	;; [unrolled: 3-line block ×6, first 2 shown]
.LBB80_488:
	s_or_b32 exec_lo, exec_lo, s0
	v_lshl_add_u32 v0, v97, 3, v94
	s_barrier
	buffer_gl0_inv
	v_mov_b32_e32 v88, 29
	ds_write_b64 v0, v[24:25]
	s_waitcnt lgkmcnt(0)
	s_barrier
	buffer_gl0_inv
	ds_read_b64 v[0:1], v94 offset:232
	s_cmp_lt_i32 s7, 31
	s_cbranch_scc1 .LBB80_491
; %bb.489:
	v_add3_u32 v89, v95, 0, 0xf0
	v_mov_b32_e32 v88, 29
	s_mov_b32 s0, 30
.LBB80_490:                             ; =>This Inner Loop Header: Depth=1
	ds_read_b64 v[98:99], v89
	v_add_nc_u32_e32 v89, 8, v89
	s_waitcnt lgkmcnt(0)
	v_cmp_lt_f64_e64 vcc_lo, |v[0:1]|, |v[98:99]|
	v_cndmask_b32_e32 v1, v1, v99, vcc_lo
	v_cndmask_b32_e32 v0, v0, v98, vcc_lo
	v_cndmask_b32_e64 v88, v88, s0, vcc_lo
	s_add_i32 s0, s0, 1
	s_cmp_lg_u32 s7, s0
	s_cbranch_scc1 .LBB80_490
.LBB80_491:
	s_mov_b32 s0, exec_lo
	s_waitcnt lgkmcnt(0)
	v_cmpx_eq_f64_e32 0, v[0:1]
	s_xor_b32 s0, exec_lo, s0
; %bb.492:
	v_cmp_ne_u32_e32 vcc_lo, 0, v91
	v_cndmask_b32_e32 v91, 30, v91, vcc_lo
; %bb.493:
	s_andn2_saveexec_b32 s0, s0
	s_cbranch_execz .LBB80_495
; %bb.494:
	v_div_scale_f64 v[89:90], null, v[0:1], v[0:1], 1.0
	v_rcp_f64_e32 v[98:99], v[89:90]
	v_fma_f64 v[100:101], -v[89:90], v[98:99], 1.0
	v_fma_f64 v[98:99], v[98:99], v[100:101], v[98:99]
	v_fma_f64 v[100:101], -v[89:90], v[98:99], 1.0
	v_fma_f64 v[98:99], v[98:99], v[100:101], v[98:99]
	v_div_scale_f64 v[100:101], vcc_lo, 1.0, v[0:1], 1.0
	v_mul_f64 v[102:103], v[100:101], v[98:99]
	v_fma_f64 v[89:90], -v[89:90], v[102:103], v[100:101]
	v_div_fmas_f64 v[89:90], v[89:90], v[98:99], v[102:103]
	v_div_fixup_f64 v[0:1], v[89:90], v[0:1], 1.0
.LBB80_495:
	s_or_b32 exec_lo, exec_lo, s0
	s_mov_b32 s0, exec_lo
	v_cmpx_ne_u32_e64 v97, v88
	s_xor_b32 s0, exec_lo, s0
	s_cbranch_execz .LBB80_501
; %bb.496:
	s_mov_b32 s1, exec_lo
	v_cmpx_eq_u32_e32 29, v97
	s_cbranch_execz .LBB80_500
; %bb.497:
	v_cmp_ne_u32_e32 vcc_lo, 29, v88
	s_xor_b32 s2, s6, -1
	s_and_b32 s3, s2, vcc_lo
	s_and_saveexec_b32 s2, s3
	s_cbranch_execz .LBB80_499
; %bb.498:
	v_ashrrev_i32_e32 v89, 31, v88
	v_lshlrev_b64 v[89:90], 2, v[88:89]
	v_add_co_u32 v89, vcc_lo, v4, v89
	v_add_co_ci_u32_e64 v90, null, v5, v90, vcc_lo
	s_clause 0x1
	global_load_dword v96, v[89:90], off
	global_load_dword v97, v[4:5], off offset:116
	s_waitcnt vmcnt(1)
	global_store_dword v[4:5], v96, off offset:116
	s_waitcnt vmcnt(0)
	global_store_dword v[89:90], v97, off
.LBB80_499:
	s_or_b32 exec_lo, exec_lo, s2
	v_mov_b32_e32 v96, v88
	v_mov_b32_e32 v97, v88
.LBB80_500:
	s_or_b32 exec_lo, exec_lo, s1
.LBB80_501:
	s_andn2_saveexec_b32 s0, s0
	s_cbranch_execz .LBB80_503
; %bb.502:
	v_mov_b32_e32 v88, v26
	v_mov_b32_e32 v89, v27
	;; [unrolled: 1-line block ×8, first 2 shown]
	ds_write2_b64 v94, v[88:89], v[97:98] offset0:30 offset1:31
	v_mov_b32_e32 v88, v18
	v_mov_b32_e32 v89, v19
	;; [unrolled: 1-line block ×13, first 2 shown]
	ds_write2_b64 v94, v[99:100], v[88:89] offset0:32 offset1:33
	ds_write2_b64 v94, v[101:102], v[103:104] offset0:34 offset1:35
	;; [unrolled: 1-line block ×4, first 2 shown]
	ds_write_b64 v94, v[86:87] offset:320
.LBB80_503:
	s_or_b32 exec_lo, exec_lo, s0
	s_mov_b32 s0, exec_lo
	s_waitcnt lgkmcnt(0)
	s_waitcnt_vscnt null, 0x0
	s_barrier
	buffer_gl0_inv
	v_cmpx_lt_i32_e32 29, v97
	s_cbranch_execz .LBB80_505
; %bb.504:
	v_mul_f64 v[24:25], v[0:1], v[24:25]
	ds_read2_b64 v[98:101], v94 offset0:30 offset1:31
	ds_read2_b64 v[102:105], v94 offset0:32 offset1:33
	;; [unrolled: 1-line block ×5, first 2 shown]
	ds_read_b64 v[0:1], v94 offset:320
	s_waitcnt lgkmcnt(5)
	v_fma_f64 v[26:27], -v[24:25], v[98:99], v[26:27]
	v_fma_f64 v[22:23], -v[24:25], v[100:101], v[22:23]
	s_waitcnt lgkmcnt(4)
	v_fma_f64 v[20:21], -v[24:25], v[102:103], v[20:21]
	v_fma_f64 v[18:19], -v[24:25], v[104:105], v[18:19]
	;; [unrolled: 3-line block ×5, first 2 shown]
	s_waitcnt lgkmcnt(0)
	v_fma_f64 v[86:87], -v[24:25], v[0:1], v[86:87]
.LBB80_505:
	s_or_b32 exec_lo, exec_lo, s0
	v_lshl_add_u32 v0, v97, 3, v94
	s_barrier
	buffer_gl0_inv
	v_mov_b32_e32 v88, 30
	ds_write_b64 v0, v[26:27]
	s_waitcnt lgkmcnt(0)
	s_barrier
	buffer_gl0_inv
	ds_read_b64 v[0:1], v94 offset:240
	s_cmp_lt_i32 s7, 32
	s_cbranch_scc1 .LBB80_508
; %bb.506:
	v_add3_u32 v89, v95, 0, 0xf8
	v_mov_b32_e32 v88, 30
	s_mov_b32 s0, 31
.LBB80_507:                             ; =>This Inner Loop Header: Depth=1
	ds_read_b64 v[98:99], v89
	v_add_nc_u32_e32 v89, 8, v89
	s_waitcnt lgkmcnt(0)
	v_cmp_lt_f64_e64 vcc_lo, |v[0:1]|, |v[98:99]|
	v_cndmask_b32_e32 v1, v1, v99, vcc_lo
	v_cndmask_b32_e32 v0, v0, v98, vcc_lo
	v_cndmask_b32_e64 v88, v88, s0, vcc_lo
	s_add_i32 s0, s0, 1
	s_cmp_lg_u32 s7, s0
	s_cbranch_scc1 .LBB80_507
.LBB80_508:
	s_mov_b32 s0, exec_lo
	s_waitcnt lgkmcnt(0)
	v_cmpx_eq_f64_e32 0, v[0:1]
	s_xor_b32 s0, exec_lo, s0
; %bb.509:
	v_cmp_ne_u32_e32 vcc_lo, 0, v91
	v_cndmask_b32_e32 v91, 31, v91, vcc_lo
; %bb.510:
	s_andn2_saveexec_b32 s0, s0
	s_cbranch_execz .LBB80_512
; %bb.511:
	v_div_scale_f64 v[89:90], null, v[0:1], v[0:1], 1.0
	v_rcp_f64_e32 v[98:99], v[89:90]
	v_fma_f64 v[100:101], -v[89:90], v[98:99], 1.0
	v_fma_f64 v[98:99], v[98:99], v[100:101], v[98:99]
	v_fma_f64 v[100:101], -v[89:90], v[98:99], 1.0
	v_fma_f64 v[98:99], v[98:99], v[100:101], v[98:99]
	v_div_scale_f64 v[100:101], vcc_lo, 1.0, v[0:1], 1.0
	v_mul_f64 v[102:103], v[100:101], v[98:99]
	v_fma_f64 v[89:90], -v[89:90], v[102:103], v[100:101]
	v_div_fmas_f64 v[89:90], v[89:90], v[98:99], v[102:103]
	v_div_fixup_f64 v[0:1], v[89:90], v[0:1], 1.0
.LBB80_512:
	s_or_b32 exec_lo, exec_lo, s0
	s_mov_b32 s0, exec_lo
	v_cmpx_ne_u32_e64 v97, v88
	s_xor_b32 s0, exec_lo, s0
	s_cbranch_execz .LBB80_518
; %bb.513:
	s_mov_b32 s1, exec_lo
	v_cmpx_eq_u32_e32 30, v97
	s_cbranch_execz .LBB80_517
; %bb.514:
	v_cmp_ne_u32_e32 vcc_lo, 30, v88
	s_xor_b32 s2, s6, -1
	s_and_b32 s3, s2, vcc_lo
	s_and_saveexec_b32 s2, s3
	s_cbranch_execz .LBB80_516
; %bb.515:
	v_ashrrev_i32_e32 v89, 31, v88
	v_lshlrev_b64 v[89:90], 2, v[88:89]
	v_add_co_u32 v89, vcc_lo, v4, v89
	v_add_co_ci_u32_e64 v90, null, v5, v90, vcc_lo
	s_clause 0x1
	global_load_dword v96, v[89:90], off
	global_load_dword v97, v[4:5], off offset:120
	s_waitcnt vmcnt(1)
	global_store_dword v[4:5], v96, off offset:120
	s_waitcnt vmcnt(0)
	global_store_dword v[89:90], v97, off
.LBB80_516:
	s_or_b32 exec_lo, exec_lo, s2
	v_mov_b32_e32 v96, v88
	v_mov_b32_e32 v97, v88
.LBB80_517:
	s_or_b32 exec_lo, exec_lo, s1
.LBB80_518:
	s_andn2_saveexec_b32 s0, s0
	s_cbranch_execz .LBB80_520
; %bb.519:
	v_mov_b32_e32 v97, 30
	ds_write2_b64 v94, v[22:23], v[20:21] offset0:31 offset1:32
	ds_write2_b64 v94, v[18:19], v[16:17] offset0:33 offset1:34
	ds_write2_b64 v94, v[14:15], v[12:13] offset0:35 offset1:36
	ds_write2_b64 v94, v[8:9], v[10:11] offset0:37 offset1:38
	ds_write2_b64 v94, v[6:7], v[86:87] offset0:39 offset1:40
.LBB80_520:
	s_or_b32 exec_lo, exec_lo, s0
	s_mov_b32 s0, exec_lo
	s_waitcnt lgkmcnt(0)
	s_waitcnt_vscnt null, 0x0
	s_barrier
	buffer_gl0_inv
	v_cmpx_lt_i32_e32 30, v97
	s_cbranch_execz .LBB80_522
; %bb.521:
	v_mul_f64 v[26:27], v[0:1], v[26:27]
	ds_read2_b64 v[98:101], v94 offset0:31 offset1:32
	ds_read2_b64 v[102:105], v94 offset0:33 offset1:34
	;; [unrolled: 1-line block ×5, first 2 shown]
	s_waitcnt lgkmcnt(4)
	v_fma_f64 v[22:23], -v[26:27], v[98:99], v[22:23]
	v_fma_f64 v[20:21], -v[26:27], v[100:101], v[20:21]
	s_waitcnt lgkmcnt(3)
	v_fma_f64 v[18:19], -v[26:27], v[102:103], v[18:19]
	v_fma_f64 v[16:17], -v[26:27], v[104:105], v[16:17]
	;; [unrolled: 3-line block ×5, first 2 shown]
.LBB80_522:
	s_or_b32 exec_lo, exec_lo, s0
	v_lshl_add_u32 v0, v97, 3, v94
	s_barrier
	buffer_gl0_inv
	v_mov_b32_e32 v88, 31
	ds_write_b64 v0, v[22:23]
	s_waitcnt lgkmcnt(0)
	s_barrier
	buffer_gl0_inv
	ds_read_b64 v[0:1], v94 offset:248
	s_cmp_lt_i32 s7, 33
	s_cbranch_scc1 .LBB80_525
; %bb.523:
	v_add3_u32 v89, v95, 0, 0x100
	v_mov_b32_e32 v88, 31
	s_mov_b32 s0, 32
.LBB80_524:                             ; =>This Inner Loop Header: Depth=1
	ds_read_b64 v[98:99], v89
	v_add_nc_u32_e32 v89, 8, v89
	s_waitcnt lgkmcnt(0)
	v_cmp_lt_f64_e64 vcc_lo, |v[0:1]|, |v[98:99]|
	v_cndmask_b32_e32 v1, v1, v99, vcc_lo
	v_cndmask_b32_e32 v0, v0, v98, vcc_lo
	v_cndmask_b32_e64 v88, v88, s0, vcc_lo
	s_add_i32 s0, s0, 1
	s_cmp_lg_u32 s7, s0
	s_cbranch_scc1 .LBB80_524
.LBB80_525:
	s_mov_b32 s0, exec_lo
	s_waitcnt lgkmcnt(0)
	v_cmpx_eq_f64_e32 0, v[0:1]
	s_xor_b32 s0, exec_lo, s0
; %bb.526:
	v_cmp_ne_u32_e32 vcc_lo, 0, v91
	v_cndmask_b32_e32 v91, 32, v91, vcc_lo
; %bb.527:
	s_andn2_saveexec_b32 s0, s0
	s_cbranch_execz .LBB80_529
; %bb.528:
	v_div_scale_f64 v[89:90], null, v[0:1], v[0:1], 1.0
	v_rcp_f64_e32 v[98:99], v[89:90]
	v_fma_f64 v[100:101], -v[89:90], v[98:99], 1.0
	v_fma_f64 v[98:99], v[98:99], v[100:101], v[98:99]
	v_fma_f64 v[100:101], -v[89:90], v[98:99], 1.0
	v_fma_f64 v[98:99], v[98:99], v[100:101], v[98:99]
	v_div_scale_f64 v[100:101], vcc_lo, 1.0, v[0:1], 1.0
	v_mul_f64 v[102:103], v[100:101], v[98:99]
	v_fma_f64 v[89:90], -v[89:90], v[102:103], v[100:101]
	v_div_fmas_f64 v[89:90], v[89:90], v[98:99], v[102:103]
	v_div_fixup_f64 v[0:1], v[89:90], v[0:1], 1.0
.LBB80_529:
	s_or_b32 exec_lo, exec_lo, s0
	s_mov_b32 s0, exec_lo
	v_cmpx_ne_u32_e64 v97, v88
	s_xor_b32 s0, exec_lo, s0
	s_cbranch_execz .LBB80_535
; %bb.530:
	s_mov_b32 s1, exec_lo
	v_cmpx_eq_u32_e32 31, v97
	s_cbranch_execz .LBB80_534
; %bb.531:
	v_cmp_ne_u32_e32 vcc_lo, 31, v88
	s_xor_b32 s2, s6, -1
	s_and_b32 s3, s2, vcc_lo
	s_and_saveexec_b32 s2, s3
	s_cbranch_execz .LBB80_533
; %bb.532:
	v_ashrrev_i32_e32 v89, 31, v88
	v_lshlrev_b64 v[89:90], 2, v[88:89]
	v_add_co_u32 v89, vcc_lo, v4, v89
	v_add_co_ci_u32_e64 v90, null, v5, v90, vcc_lo
	s_clause 0x1
	global_load_dword v96, v[89:90], off
	global_load_dword v97, v[4:5], off offset:124
	s_waitcnt vmcnt(1)
	global_store_dword v[4:5], v96, off offset:124
	s_waitcnt vmcnt(0)
	global_store_dword v[89:90], v97, off
.LBB80_533:
	s_or_b32 exec_lo, exec_lo, s2
	v_mov_b32_e32 v96, v88
	v_mov_b32_e32 v97, v88
.LBB80_534:
	s_or_b32 exec_lo, exec_lo, s1
.LBB80_535:
	s_andn2_saveexec_b32 s0, s0
	s_cbranch_execz .LBB80_537
; %bb.536:
	v_mov_b32_e32 v88, v20
	v_mov_b32_e32 v89, v21
	;; [unrolled: 1-line block ×8, first 2 shown]
	ds_write2_b64 v94, v[88:89], v[97:98] offset0:32 offset1:33
	v_mov_b32_e32 v97, 31
	v_mov_b32_e32 v103, v12
	;; [unrolled: 1-line block ×9, first 2 shown]
	ds_write2_b64 v94, v[99:100], v[101:102] offset0:34 offset1:35
	ds_write2_b64 v94, v[103:104], v[105:106] offset0:36 offset1:37
	ds_write2_b64 v94, v[107:108], v[109:110] offset0:38 offset1:39
	ds_write_b64 v94, v[86:87] offset:320
.LBB80_537:
	s_or_b32 exec_lo, exec_lo, s0
	s_mov_b32 s0, exec_lo
	s_waitcnt lgkmcnt(0)
	s_waitcnt_vscnt null, 0x0
	s_barrier
	buffer_gl0_inv
	v_cmpx_lt_i32_e32 31, v97
	s_cbranch_execz .LBB80_539
; %bb.538:
	v_mul_f64 v[22:23], v[0:1], v[22:23]
	ds_read2_b64 v[98:101], v94 offset0:32 offset1:33
	ds_read2_b64 v[102:105], v94 offset0:34 offset1:35
	;; [unrolled: 1-line block ×4, first 2 shown]
	ds_read_b64 v[0:1], v94 offset:320
	s_waitcnt lgkmcnt(4)
	v_fma_f64 v[20:21], -v[22:23], v[98:99], v[20:21]
	v_fma_f64 v[18:19], -v[22:23], v[100:101], v[18:19]
	s_waitcnt lgkmcnt(3)
	v_fma_f64 v[16:17], -v[22:23], v[102:103], v[16:17]
	v_fma_f64 v[14:15], -v[22:23], v[104:105], v[14:15]
	;; [unrolled: 3-line block ×4, first 2 shown]
	s_waitcnt lgkmcnt(0)
	v_fma_f64 v[86:87], -v[22:23], v[0:1], v[86:87]
.LBB80_539:
	s_or_b32 exec_lo, exec_lo, s0
	v_lshl_add_u32 v0, v97, 3, v94
	s_barrier
	buffer_gl0_inv
	v_mov_b32_e32 v88, 32
	ds_write_b64 v0, v[20:21]
	s_waitcnt lgkmcnt(0)
	s_barrier
	buffer_gl0_inv
	ds_read_b64 v[0:1], v94 offset:256
	s_cmp_lt_i32 s7, 34
	s_cbranch_scc1 .LBB80_542
; %bb.540:
	v_add3_u32 v89, v95, 0, 0x108
	v_mov_b32_e32 v88, 32
	s_mov_b32 s0, 33
.LBB80_541:                             ; =>This Inner Loop Header: Depth=1
	ds_read_b64 v[98:99], v89
	v_add_nc_u32_e32 v89, 8, v89
	s_waitcnt lgkmcnt(0)
	v_cmp_lt_f64_e64 vcc_lo, |v[0:1]|, |v[98:99]|
	v_cndmask_b32_e32 v1, v1, v99, vcc_lo
	v_cndmask_b32_e32 v0, v0, v98, vcc_lo
	v_cndmask_b32_e64 v88, v88, s0, vcc_lo
	s_add_i32 s0, s0, 1
	s_cmp_lg_u32 s7, s0
	s_cbranch_scc1 .LBB80_541
.LBB80_542:
	s_mov_b32 s0, exec_lo
	s_waitcnt lgkmcnt(0)
	v_cmpx_eq_f64_e32 0, v[0:1]
	s_xor_b32 s0, exec_lo, s0
; %bb.543:
	v_cmp_ne_u32_e32 vcc_lo, 0, v91
	v_cndmask_b32_e32 v91, 33, v91, vcc_lo
; %bb.544:
	s_andn2_saveexec_b32 s0, s0
	s_cbranch_execz .LBB80_546
; %bb.545:
	v_div_scale_f64 v[89:90], null, v[0:1], v[0:1], 1.0
	v_rcp_f64_e32 v[98:99], v[89:90]
	v_fma_f64 v[100:101], -v[89:90], v[98:99], 1.0
	v_fma_f64 v[98:99], v[98:99], v[100:101], v[98:99]
	v_fma_f64 v[100:101], -v[89:90], v[98:99], 1.0
	v_fma_f64 v[98:99], v[98:99], v[100:101], v[98:99]
	v_div_scale_f64 v[100:101], vcc_lo, 1.0, v[0:1], 1.0
	v_mul_f64 v[102:103], v[100:101], v[98:99]
	v_fma_f64 v[89:90], -v[89:90], v[102:103], v[100:101]
	v_div_fmas_f64 v[89:90], v[89:90], v[98:99], v[102:103]
	v_div_fixup_f64 v[0:1], v[89:90], v[0:1], 1.0
.LBB80_546:
	s_or_b32 exec_lo, exec_lo, s0
	s_mov_b32 s0, exec_lo
	v_cmpx_ne_u32_e64 v97, v88
	s_xor_b32 s0, exec_lo, s0
	s_cbranch_execz .LBB80_552
; %bb.547:
	s_mov_b32 s1, exec_lo
	v_cmpx_eq_u32_e32 32, v97
	s_cbranch_execz .LBB80_551
; %bb.548:
	v_cmp_ne_u32_e32 vcc_lo, 32, v88
	s_xor_b32 s2, s6, -1
	s_and_b32 s3, s2, vcc_lo
	s_and_saveexec_b32 s2, s3
	s_cbranch_execz .LBB80_550
; %bb.549:
	v_ashrrev_i32_e32 v89, 31, v88
	v_lshlrev_b64 v[89:90], 2, v[88:89]
	v_add_co_u32 v89, vcc_lo, v4, v89
	v_add_co_ci_u32_e64 v90, null, v5, v90, vcc_lo
	s_clause 0x1
	global_load_dword v96, v[89:90], off
	global_load_dword v97, v[4:5], off offset:128
	s_waitcnt vmcnt(1)
	global_store_dword v[4:5], v96, off offset:128
	s_waitcnt vmcnt(0)
	global_store_dword v[89:90], v97, off
.LBB80_550:
	s_or_b32 exec_lo, exec_lo, s2
	v_mov_b32_e32 v96, v88
	v_mov_b32_e32 v97, v88
.LBB80_551:
	s_or_b32 exec_lo, exec_lo, s1
.LBB80_552:
	s_andn2_saveexec_b32 s0, s0
	s_cbranch_execz .LBB80_554
; %bb.553:
	v_mov_b32_e32 v97, 32
	ds_write2_b64 v94, v[18:19], v[16:17] offset0:33 offset1:34
	ds_write2_b64 v94, v[14:15], v[12:13] offset0:35 offset1:36
	;; [unrolled: 1-line block ×4, first 2 shown]
.LBB80_554:
	s_or_b32 exec_lo, exec_lo, s0
	s_mov_b32 s0, exec_lo
	s_waitcnt lgkmcnt(0)
	s_waitcnt_vscnt null, 0x0
	s_barrier
	buffer_gl0_inv
	v_cmpx_lt_i32_e32 32, v97
	s_cbranch_execz .LBB80_556
; %bb.555:
	v_mul_f64 v[20:21], v[0:1], v[20:21]
	ds_read2_b64 v[98:101], v94 offset0:33 offset1:34
	ds_read2_b64 v[102:105], v94 offset0:35 offset1:36
	;; [unrolled: 1-line block ×4, first 2 shown]
	s_waitcnt lgkmcnt(3)
	v_fma_f64 v[18:19], -v[20:21], v[98:99], v[18:19]
	v_fma_f64 v[16:17], -v[20:21], v[100:101], v[16:17]
	s_waitcnt lgkmcnt(2)
	v_fma_f64 v[14:15], -v[20:21], v[102:103], v[14:15]
	v_fma_f64 v[12:13], -v[20:21], v[104:105], v[12:13]
	;; [unrolled: 3-line block ×4, first 2 shown]
.LBB80_556:
	s_or_b32 exec_lo, exec_lo, s0
	v_lshl_add_u32 v0, v97, 3, v94
	s_barrier
	buffer_gl0_inv
	v_mov_b32_e32 v88, 33
	ds_write_b64 v0, v[18:19]
	s_waitcnt lgkmcnt(0)
	s_barrier
	buffer_gl0_inv
	ds_read_b64 v[0:1], v94 offset:264
	s_cmp_lt_i32 s7, 35
	s_cbranch_scc1 .LBB80_559
; %bb.557:
	v_add3_u32 v89, v95, 0, 0x110
	v_mov_b32_e32 v88, 33
	s_mov_b32 s0, 34
.LBB80_558:                             ; =>This Inner Loop Header: Depth=1
	ds_read_b64 v[98:99], v89
	v_add_nc_u32_e32 v89, 8, v89
	s_waitcnt lgkmcnt(0)
	v_cmp_lt_f64_e64 vcc_lo, |v[0:1]|, |v[98:99]|
	v_cndmask_b32_e32 v1, v1, v99, vcc_lo
	v_cndmask_b32_e32 v0, v0, v98, vcc_lo
	v_cndmask_b32_e64 v88, v88, s0, vcc_lo
	s_add_i32 s0, s0, 1
	s_cmp_lg_u32 s7, s0
	s_cbranch_scc1 .LBB80_558
.LBB80_559:
	s_mov_b32 s0, exec_lo
	s_waitcnt lgkmcnt(0)
	v_cmpx_eq_f64_e32 0, v[0:1]
	s_xor_b32 s0, exec_lo, s0
; %bb.560:
	v_cmp_ne_u32_e32 vcc_lo, 0, v91
	v_cndmask_b32_e32 v91, 34, v91, vcc_lo
; %bb.561:
	s_andn2_saveexec_b32 s0, s0
	s_cbranch_execz .LBB80_563
; %bb.562:
	v_div_scale_f64 v[89:90], null, v[0:1], v[0:1], 1.0
	v_rcp_f64_e32 v[98:99], v[89:90]
	v_fma_f64 v[100:101], -v[89:90], v[98:99], 1.0
	v_fma_f64 v[98:99], v[98:99], v[100:101], v[98:99]
	v_fma_f64 v[100:101], -v[89:90], v[98:99], 1.0
	v_fma_f64 v[98:99], v[98:99], v[100:101], v[98:99]
	v_div_scale_f64 v[100:101], vcc_lo, 1.0, v[0:1], 1.0
	v_mul_f64 v[102:103], v[100:101], v[98:99]
	v_fma_f64 v[89:90], -v[89:90], v[102:103], v[100:101]
	v_div_fmas_f64 v[89:90], v[89:90], v[98:99], v[102:103]
	v_div_fixup_f64 v[0:1], v[89:90], v[0:1], 1.0
.LBB80_563:
	s_or_b32 exec_lo, exec_lo, s0
	s_mov_b32 s0, exec_lo
	v_cmpx_ne_u32_e64 v97, v88
	s_xor_b32 s0, exec_lo, s0
	s_cbranch_execz .LBB80_569
; %bb.564:
	s_mov_b32 s1, exec_lo
	v_cmpx_eq_u32_e32 33, v97
	s_cbranch_execz .LBB80_568
; %bb.565:
	v_cmp_ne_u32_e32 vcc_lo, 33, v88
	s_xor_b32 s2, s6, -1
	s_and_b32 s3, s2, vcc_lo
	s_and_saveexec_b32 s2, s3
	s_cbranch_execz .LBB80_567
; %bb.566:
	v_ashrrev_i32_e32 v89, 31, v88
	v_lshlrev_b64 v[89:90], 2, v[88:89]
	v_add_co_u32 v89, vcc_lo, v4, v89
	v_add_co_ci_u32_e64 v90, null, v5, v90, vcc_lo
	s_clause 0x1
	global_load_dword v96, v[89:90], off
	global_load_dword v97, v[4:5], off offset:132
	s_waitcnt vmcnt(1)
	global_store_dword v[4:5], v96, off offset:132
	s_waitcnt vmcnt(0)
	global_store_dword v[89:90], v97, off
.LBB80_567:
	s_or_b32 exec_lo, exec_lo, s2
	v_mov_b32_e32 v96, v88
	v_mov_b32_e32 v97, v88
.LBB80_568:
	s_or_b32 exec_lo, exec_lo, s1
.LBB80_569:
	s_andn2_saveexec_b32 s0, s0
	s_cbranch_execz .LBB80_571
; %bb.570:
	v_mov_b32_e32 v88, v16
	v_mov_b32_e32 v89, v17
	v_mov_b32_e32 v98, v14
	v_mov_b32_e32 v99, v15
	v_mov_b32_e32 v97, 33
	v_mov_b32_e32 v100, v12
	v_mov_b32_e32 v101, v13
	v_mov_b32_e32 v102, v8
	v_mov_b32_e32 v103, v9
	v_mov_b32_e32 v104, v10
	v_mov_b32_e32 v105, v11
	v_mov_b32_e32 v106, v6
	v_mov_b32_e32 v107, v7
	ds_write2_b64 v94, v[88:89], v[98:99] offset0:34 offset1:35
	ds_write2_b64 v94, v[100:101], v[102:103] offset0:36 offset1:37
	;; [unrolled: 1-line block ×3, first 2 shown]
	ds_write_b64 v94, v[86:87] offset:320
.LBB80_571:
	s_or_b32 exec_lo, exec_lo, s0
	s_mov_b32 s0, exec_lo
	s_waitcnt lgkmcnt(0)
	s_waitcnt_vscnt null, 0x0
	s_barrier
	buffer_gl0_inv
	v_cmpx_lt_i32_e32 33, v97
	s_cbranch_execz .LBB80_573
; %bb.572:
	v_mul_f64 v[18:19], v[0:1], v[18:19]
	ds_read2_b64 v[98:101], v94 offset0:34 offset1:35
	ds_read2_b64 v[102:105], v94 offset0:36 offset1:37
	;; [unrolled: 1-line block ×3, first 2 shown]
	ds_read_b64 v[0:1], v94 offset:320
	s_waitcnt lgkmcnt(3)
	v_fma_f64 v[16:17], -v[18:19], v[98:99], v[16:17]
	v_fma_f64 v[14:15], -v[18:19], v[100:101], v[14:15]
	s_waitcnt lgkmcnt(2)
	v_fma_f64 v[12:13], -v[18:19], v[102:103], v[12:13]
	v_fma_f64 v[8:9], -v[18:19], v[104:105], v[8:9]
	;; [unrolled: 3-line block ×3, first 2 shown]
	s_waitcnt lgkmcnt(0)
	v_fma_f64 v[86:87], -v[18:19], v[0:1], v[86:87]
.LBB80_573:
	s_or_b32 exec_lo, exec_lo, s0
	v_lshl_add_u32 v0, v97, 3, v94
	s_barrier
	buffer_gl0_inv
	v_mov_b32_e32 v88, 34
	ds_write_b64 v0, v[16:17]
	s_waitcnt lgkmcnt(0)
	s_barrier
	buffer_gl0_inv
	ds_read_b64 v[0:1], v94 offset:272
	s_cmp_lt_i32 s7, 36
	s_cbranch_scc1 .LBB80_576
; %bb.574:
	v_add3_u32 v89, v95, 0, 0x118
	v_mov_b32_e32 v88, 34
	s_mov_b32 s0, 35
.LBB80_575:                             ; =>This Inner Loop Header: Depth=1
	ds_read_b64 v[98:99], v89
	v_add_nc_u32_e32 v89, 8, v89
	s_waitcnt lgkmcnt(0)
	v_cmp_lt_f64_e64 vcc_lo, |v[0:1]|, |v[98:99]|
	v_cndmask_b32_e32 v1, v1, v99, vcc_lo
	v_cndmask_b32_e32 v0, v0, v98, vcc_lo
	v_cndmask_b32_e64 v88, v88, s0, vcc_lo
	s_add_i32 s0, s0, 1
	s_cmp_lg_u32 s7, s0
	s_cbranch_scc1 .LBB80_575
.LBB80_576:
	s_mov_b32 s0, exec_lo
	s_waitcnt lgkmcnt(0)
	v_cmpx_eq_f64_e32 0, v[0:1]
	s_xor_b32 s0, exec_lo, s0
; %bb.577:
	v_cmp_ne_u32_e32 vcc_lo, 0, v91
	v_cndmask_b32_e32 v91, 35, v91, vcc_lo
; %bb.578:
	s_andn2_saveexec_b32 s0, s0
	s_cbranch_execz .LBB80_580
; %bb.579:
	v_div_scale_f64 v[89:90], null, v[0:1], v[0:1], 1.0
	v_rcp_f64_e32 v[98:99], v[89:90]
	v_fma_f64 v[100:101], -v[89:90], v[98:99], 1.0
	v_fma_f64 v[98:99], v[98:99], v[100:101], v[98:99]
	v_fma_f64 v[100:101], -v[89:90], v[98:99], 1.0
	v_fma_f64 v[98:99], v[98:99], v[100:101], v[98:99]
	v_div_scale_f64 v[100:101], vcc_lo, 1.0, v[0:1], 1.0
	v_mul_f64 v[102:103], v[100:101], v[98:99]
	v_fma_f64 v[89:90], -v[89:90], v[102:103], v[100:101]
	v_div_fmas_f64 v[89:90], v[89:90], v[98:99], v[102:103]
	v_div_fixup_f64 v[0:1], v[89:90], v[0:1], 1.0
.LBB80_580:
	s_or_b32 exec_lo, exec_lo, s0
	s_mov_b32 s0, exec_lo
	v_cmpx_ne_u32_e64 v97, v88
	s_xor_b32 s0, exec_lo, s0
	s_cbranch_execz .LBB80_586
; %bb.581:
	s_mov_b32 s1, exec_lo
	v_cmpx_eq_u32_e32 34, v97
	s_cbranch_execz .LBB80_585
; %bb.582:
	v_cmp_ne_u32_e32 vcc_lo, 34, v88
	s_xor_b32 s2, s6, -1
	s_and_b32 s3, s2, vcc_lo
	s_and_saveexec_b32 s2, s3
	s_cbranch_execz .LBB80_584
; %bb.583:
	v_ashrrev_i32_e32 v89, 31, v88
	v_lshlrev_b64 v[89:90], 2, v[88:89]
	v_add_co_u32 v89, vcc_lo, v4, v89
	v_add_co_ci_u32_e64 v90, null, v5, v90, vcc_lo
	s_clause 0x1
	global_load_dword v96, v[89:90], off
	global_load_dword v97, v[4:5], off offset:136
	s_waitcnt vmcnt(1)
	global_store_dword v[4:5], v96, off offset:136
	s_waitcnt vmcnt(0)
	global_store_dword v[89:90], v97, off
.LBB80_584:
	s_or_b32 exec_lo, exec_lo, s2
	v_mov_b32_e32 v96, v88
	v_mov_b32_e32 v97, v88
.LBB80_585:
	s_or_b32 exec_lo, exec_lo, s1
.LBB80_586:
	s_andn2_saveexec_b32 s0, s0
	s_cbranch_execz .LBB80_588
; %bb.587:
	v_mov_b32_e32 v97, 34
	ds_write2_b64 v94, v[14:15], v[12:13] offset0:35 offset1:36
	ds_write2_b64 v94, v[8:9], v[10:11] offset0:37 offset1:38
	ds_write2_b64 v94, v[6:7], v[86:87] offset0:39 offset1:40
.LBB80_588:
	s_or_b32 exec_lo, exec_lo, s0
	s_mov_b32 s0, exec_lo
	s_waitcnt lgkmcnt(0)
	s_waitcnt_vscnt null, 0x0
	s_barrier
	buffer_gl0_inv
	v_cmpx_lt_i32_e32 34, v97
	s_cbranch_execz .LBB80_590
; %bb.589:
	v_mul_f64 v[16:17], v[0:1], v[16:17]
	ds_read2_b64 v[98:101], v94 offset0:35 offset1:36
	ds_read2_b64 v[102:105], v94 offset0:37 offset1:38
	;; [unrolled: 1-line block ×3, first 2 shown]
	s_waitcnt lgkmcnt(2)
	v_fma_f64 v[14:15], -v[16:17], v[98:99], v[14:15]
	v_fma_f64 v[12:13], -v[16:17], v[100:101], v[12:13]
	s_waitcnt lgkmcnt(1)
	v_fma_f64 v[8:9], -v[16:17], v[102:103], v[8:9]
	v_fma_f64 v[10:11], -v[16:17], v[104:105], v[10:11]
	;; [unrolled: 3-line block ×3, first 2 shown]
.LBB80_590:
	s_or_b32 exec_lo, exec_lo, s0
	v_lshl_add_u32 v0, v97, 3, v94
	s_barrier
	buffer_gl0_inv
	v_mov_b32_e32 v88, 35
	ds_write_b64 v0, v[14:15]
	s_waitcnt lgkmcnt(0)
	s_barrier
	buffer_gl0_inv
	ds_read_b64 v[0:1], v94 offset:280
	s_cmp_lt_i32 s7, 37
	s_cbranch_scc1 .LBB80_593
; %bb.591:
	v_add3_u32 v89, v95, 0, 0x120
	v_mov_b32_e32 v88, 35
	s_mov_b32 s0, 36
.LBB80_592:                             ; =>This Inner Loop Header: Depth=1
	ds_read_b64 v[98:99], v89
	v_add_nc_u32_e32 v89, 8, v89
	s_waitcnt lgkmcnt(0)
	v_cmp_lt_f64_e64 vcc_lo, |v[0:1]|, |v[98:99]|
	v_cndmask_b32_e32 v1, v1, v99, vcc_lo
	v_cndmask_b32_e32 v0, v0, v98, vcc_lo
	v_cndmask_b32_e64 v88, v88, s0, vcc_lo
	s_add_i32 s0, s0, 1
	s_cmp_lg_u32 s7, s0
	s_cbranch_scc1 .LBB80_592
.LBB80_593:
	s_mov_b32 s0, exec_lo
	s_waitcnt lgkmcnt(0)
	v_cmpx_eq_f64_e32 0, v[0:1]
	s_xor_b32 s0, exec_lo, s0
; %bb.594:
	v_cmp_ne_u32_e32 vcc_lo, 0, v91
	v_cndmask_b32_e32 v91, 36, v91, vcc_lo
; %bb.595:
	s_andn2_saveexec_b32 s0, s0
	s_cbranch_execz .LBB80_597
; %bb.596:
	v_div_scale_f64 v[89:90], null, v[0:1], v[0:1], 1.0
	v_rcp_f64_e32 v[98:99], v[89:90]
	v_fma_f64 v[100:101], -v[89:90], v[98:99], 1.0
	v_fma_f64 v[98:99], v[98:99], v[100:101], v[98:99]
	v_fma_f64 v[100:101], -v[89:90], v[98:99], 1.0
	v_fma_f64 v[98:99], v[98:99], v[100:101], v[98:99]
	v_div_scale_f64 v[100:101], vcc_lo, 1.0, v[0:1], 1.0
	v_mul_f64 v[102:103], v[100:101], v[98:99]
	v_fma_f64 v[89:90], -v[89:90], v[102:103], v[100:101]
	v_div_fmas_f64 v[89:90], v[89:90], v[98:99], v[102:103]
	v_div_fixup_f64 v[0:1], v[89:90], v[0:1], 1.0
.LBB80_597:
	s_or_b32 exec_lo, exec_lo, s0
	s_mov_b32 s0, exec_lo
	v_cmpx_ne_u32_e64 v97, v88
	s_xor_b32 s0, exec_lo, s0
	s_cbranch_execz .LBB80_603
; %bb.598:
	s_mov_b32 s1, exec_lo
	v_cmpx_eq_u32_e32 35, v97
	s_cbranch_execz .LBB80_602
; %bb.599:
	v_cmp_ne_u32_e32 vcc_lo, 35, v88
	s_xor_b32 s2, s6, -1
	s_and_b32 s3, s2, vcc_lo
	s_and_saveexec_b32 s2, s3
	s_cbranch_execz .LBB80_601
; %bb.600:
	v_ashrrev_i32_e32 v89, 31, v88
	v_lshlrev_b64 v[89:90], 2, v[88:89]
	v_add_co_u32 v89, vcc_lo, v4, v89
	v_add_co_ci_u32_e64 v90, null, v5, v90, vcc_lo
	s_clause 0x1
	global_load_dword v96, v[89:90], off
	global_load_dword v97, v[4:5], off offset:140
	s_waitcnt vmcnt(1)
	global_store_dword v[4:5], v96, off offset:140
	s_waitcnt vmcnt(0)
	global_store_dword v[89:90], v97, off
.LBB80_601:
	s_or_b32 exec_lo, exec_lo, s2
	v_mov_b32_e32 v96, v88
	v_mov_b32_e32 v97, v88
.LBB80_602:
	s_or_b32 exec_lo, exec_lo, s1
.LBB80_603:
	s_andn2_saveexec_b32 s0, s0
	s_cbranch_execz .LBB80_605
; %bb.604:
	v_mov_b32_e32 v88, v12
	v_mov_b32_e32 v89, v13
	;; [unrolled: 1-line block ×9, first 2 shown]
	ds_write2_b64 v94, v[88:89], v[98:99] offset0:36 offset1:37
	ds_write2_b64 v94, v[100:101], v[102:103] offset0:38 offset1:39
	ds_write_b64 v94, v[86:87] offset:320
.LBB80_605:
	s_or_b32 exec_lo, exec_lo, s0
	s_mov_b32 s0, exec_lo
	s_waitcnt lgkmcnt(0)
	s_waitcnt_vscnt null, 0x0
	s_barrier
	buffer_gl0_inv
	v_cmpx_lt_i32_e32 35, v97
	s_cbranch_execz .LBB80_607
; %bb.606:
	v_mul_f64 v[14:15], v[0:1], v[14:15]
	ds_read2_b64 v[98:101], v94 offset0:36 offset1:37
	ds_read2_b64 v[102:105], v94 offset0:38 offset1:39
	ds_read_b64 v[0:1], v94 offset:320
	s_waitcnt lgkmcnt(2)
	v_fma_f64 v[12:13], -v[14:15], v[98:99], v[12:13]
	v_fma_f64 v[8:9], -v[14:15], v[100:101], v[8:9]
	s_waitcnt lgkmcnt(1)
	v_fma_f64 v[10:11], -v[14:15], v[102:103], v[10:11]
	v_fma_f64 v[6:7], -v[14:15], v[104:105], v[6:7]
	s_waitcnt lgkmcnt(0)
	v_fma_f64 v[86:87], -v[14:15], v[0:1], v[86:87]
.LBB80_607:
	s_or_b32 exec_lo, exec_lo, s0
	v_lshl_add_u32 v0, v97, 3, v94
	s_barrier
	buffer_gl0_inv
	v_mov_b32_e32 v88, 36
	ds_write_b64 v0, v[12:13]
	s_waitcnt lgkmcnt(0)
	s_barrier
	buffer_gl0_inv
	ds_read_b64 v[0:1], v94 offset:288
	s_cmp_lt_i32 s7, 38
	s_cbranch_scc1 .LBB80_610
; %bb.608:
	v_add3_u32 v89, v95, 0, 0x128
	v_mov_b32_e32 v88, 36
	s_mov_b32 s0, 37
.LBB80_609:                             ; =>This Inner Loop Header: Depth=1
	ds_read_b64 v[98:99], v89
	v_add_nc_u32_e32 v89, 8, v89
	s_waitcnt lgkmcnt(0)
	v_cmp_lt_f64_e64 vcc_lo, |v[0:1]|, |v[98:99]|
	v_cndmask_b32_e32 v1, v1, v99, vcc_lo
	v_cndmask_b32_e32 v0, v0, v98, vcc_lo
	v_cndmask_b32_e64 v88, v88, s0, vcc_lo
	s_add_i32 s0, s0, 1
	s_cmp_lg_u32 s7, s0
	s_cbranch_scc1 .LBB80_609
.LBB80_610:
	s_mov_b32 s0, exec_lo
	s_waitcnt lgkmcnt(0)
	v_cmpx_eq_f64_e32 0, v[0:1]
	s_xor_b32 s0, exec_lo, s0
; %bb.611:
	v_cmp_ne_u32_e32 vcc_lo, 0, v91
	v_cndmask_b32_e32 v91, 37, v91, vcc_lo
; %bb.612:
	s_andn2_saveexec_b32 s0, s0
	s_cbranch_execz .LBB80_614
; %bb.613:
	v_div_scale_f64 v[89:90], null, v[0:1], v[0:1], 1.0
	v_rcp_f64_e32 v[98:99], v[89:90]
	v_fma_f64 v[100:101], -v[89:90], v[98:99], 1.0
	v_fma_f64 v[98:99], v[98:99], v[100:101], v[98:99]
	v_fma_f64 v[100:101], -v[89:90], v[98:99], 1.0
	v_fma_f64 v[98:99], v[98:99], v[100:101], v[98:99]
	v_div_scale_f64 v[100:101], vcc_lo, 1.0, v[0:1], 1.0
	v_mul_f64 v[102:103], v[100:101], v[98:99]
	v_fma_f64 v[89:90], -v[89:90], v[102:103], v[100:101]
	v_div_fmas_f64 v[89:90], v[89:90], v[98:99], v[102:103]
	v_div_fixup_f64 v[0:1], v[89:90], v[0:1], 1.0
.LBB80_614:
	s_or_b32 exec_lo, exec_lo, s0
	s_mov_b32 s0, exec_lo
	v_cmpx_ne_u32_e64 v97, v88
	s_xor_b32 s0, exec_lo, s0
	s_cbranch_execz .LBB80_620
; %bb.615:
	s_mov_b32 s1, exec_lo
	v_cmpx_eq_u32_e32 36, v97
	s_cbranch_execz .LBB80_619
; %bb.616:
	v_cmp_ne_u32_e32 vcc_lo, 36, v88
	s_xor_b32 s2, s6, -1
	s_and_b32 s3, s2, vcc_lo
	s_and_saveexec_b32 s2, s3
	s_cbranch_execz .LBB80_618
; %bb.617:
	v_ashrrev_i32_e32 v89, 31, v88
	v_lshlrev_b64 v[89:90], 2, v[88:89]
	v_add_co_u32 v89, vcc_lo, v4, v89
	v_add_co_ci_u32_e64 v90, null, v5, v90, vcc_lo
	s_clause 0x1
	global_load_dword v96, v[89:90], off
	global_load_dword v97, v[4:5], off offset:144
	s_waitcnt vmcnt(1)
	global_store_dword v[4:5], v96, off offset:144
	s_waitcnt vmcnt(0)
	global_store_dword v[89:90], v97, off
.LBB80_618:
	s_or_b32 exec_lo, exec_lo, s2
	v_mov_b32_e32 v96, v88
	v_mov_b32_e32 v97, v88
.LBB80_619:
	s_or_b32 exec_lo, exec_lo, s1
.LBB80_620:
	s_andn2_saveexec_b32 s0, s0
	s_cbranch_execz .LBB80_622
; %bb.621:
	v_mov_b32_e32 v97, 36
	ds_write2_b64 v94, v[8:9], v[10:11] offset0:37 offset1:38
	ds_write2_b64 v94, v[6:7], v[86:87] offset0:39 offset1:40
.LBB80_622:
	s_or_b32 exec_lo, exec_lo, s0
	s_mov_b32 s0, exec_lo
	s_waitcnt lgkmcnt(0)
	s_waitcnt_vscnt null, 0x0
	s_barrier
	buffer_gl0_inv
	v_cmpx_lt_i32_e32 36, v97
	s_cbranch_execz .LBB80_624
; %bb.623:
	v_mul_f64 v[12:13], v[0:1], v[12:13]
	ds_read2_b64 v[98:101], v94 offset0:37 offset1:38
	ds_read2_b64 v[102:105], v94 offset0:39 offset1:40
	s_waitcnt lgkmcnt(1)
	v_fma_f64 v[8:9], -v[12:13], v[98:99], v[8:9]
	v_fma_f64 v[10:11], -v[12:13], v[100:101], v[10:11]
	s_waitcnt lgkmcnt(0)
	v_fma_f64 v[6:7], -v[12:13], v[102:103], v[6:7]
	v_fma_f64 v[86:87], -v[12:13], v[104:105], v[86:87]
.LBB80_624:
	s_or_b32 exec_lo, exec_lo, s0
	v_lshl_add_u32 v0, v97, 3, v94
	s_barrier
	buffer_gl0_inv
	v_mov_b32_e32 v88, 37
	ds_write_b64 v0, v[8:9]
	s_waitcnt lgkmcnt(0)
	s_barrier
	buffer_gl0_inv
	ds_read_b64 v[0:1], v94 offset:296
	s_cmp_lt_i32 s7, 39
	s_cbranch_scc1 .LBB80_627
; %bb.625:
	v_add3_u32 v89, v95, 0, 0x130
	v_mov_b32_e32 v88, 37
	s_mov_b32 s0, 38
.LBB80_626:                             ; =>This Inner Loop Header: Depth=1
	ds_read_b64 v[98:99], v89
	v_add_nc_u32_e32 v89, 8, v89
	s_waitcnt lgkmcnt(0)
	v_cmp_lt_f64_e64 vcc_lo, |v[0:1]|, |v[98:99]|
	v_cndmask_b32_e32 v1, v1, v99, vcc_lo
	v_cndmask_b32_e32 v0, v0, v98, vcc_lo
	v_cndmask_b32_e64 v88, v88, s0, vcc_lo
	s_add_i32 s0, s0, 1
	s_cmp_lg_u32 s7, s0
	s_cbranch_scc1 .LBB80_626
.LBB80_627:
	s_mov_b32 s0, exec_lo
	s_waitcnt lgkmcnt(0)
	v_cmpx_eq_f64_e32 0, v[0:1]
	s_xor_b32 s0, exec_lo, s0
; %bb.628:
	v_cmp_ne_u32_e32 vcc_lo, 0, v91
	v_cndmask_b32_e32 v91, 38, v91, vcc_lo
; %bb.629:
	s_andn2_saveexec_b32 s0, s0
	s_cbranch_execz .LBB80_631
; %bb.630:
	v_div_scale_f64 v[89:90], null, v[0:1], v[0:1], 1.0
	v_rcp_f64_e32 v[98:99], v[89:90]
	v_fma_f64 v[100:101], -v[89:90], v[98:99], 1.0
	v_fma_f64 v[98:99], v[98:99], v[100:101], v[98:99]
	v_fma_f64 v[100:101], -v[89:90], v[98:99], 1.0
	v_fma_f64 v[98:99], v[98:99], v[100:101], v[98:99]
	v_div_scale_f64 v[100:101], vcc_lo, 1.0, v[0:1], 1.0
	v_mul_f64 v[102:103], v[100:101], v[98:99]
	v_fma_f64 v[89:90], -v[89:90], v[102:103], v[100:101]
	v_div_fmas_f64 v[89:90], v[89:90], v[98:99], v[102:103]
	v_div_fixup_f64 v[0:1], v[89:90], v[0:1], 1.0
.LBB80_631:
	s_or_b32 exec_lo, exec_lo, s0
	s_mov_b32 s0, exec_lo
	v_cmpx_ne_u32_e64 v97, v88
	s_xor_b32 s0, exec_lo, s0
	s_cbranch_execz .LBB80_637
; %bb.632:
	s_mov_b32 s1, exec_lo
	v_cmpx_eq_u32_e32 37, v97
	s_cbranch_execz .LBB80_636
; %bb.633:
	v_cmp_ne_u32_e32 vcc_lo, 37, v88
	s_xor_b32 s2, s6, -1
	s_and_b32 s3, s2, vcc_lo
	s_and_saveexec_b32 s2, s3
	s_cbranch_execz .LBB80_635
; %bb.634:
	v_ashrrev_i32_e32 v89, 31, v88
	v_lshlrev_b64 v[89:90], 2, v[88:89]
	v_add_co_u32 v89, vcc_lo, v4, v89
	v_add_co_ci_u32_e64 v90, null, v5, v90, vcc_lo
	s_clause 0x1
	global_load_dword v96, v[89:90], off
	global_load_dword v97, v[4:5], off offset:148
	s_waitcnt vmcnt(1)
	global_store_dword v[4:5], v96, off offset:148
	s_waitcnt vmcnt(0)
	global_store_dword v[89:90], v97, off
.LBB80_635:
	s_or_b32 exec_lo, exec_lo, s2
	v_mov_b32_e32 v96, v88
	v_mov_b32_e32 v97, v88
.LBB80_636:
	s_or_b32 exec_lo, exec_lo, s1
.LBB80_637:
	s_andn2_saveexec_b32 s0, s0
	s_cbranch_execz .LBB80_639
; %bb.638:
	v_mov_b32_e32 v88, v10
	v_mov_b32_e32 v89, v11
	;; [unrolled: 1-line block ×5, first 2 shown]
	ds_write2_b64 v94, v[88:89], v[98:99] offset0:38 offset1:39
	ds_write_b64 v94, v[86:87] offset:320
.LBB80_639:
	s_or_b32 exec_lo, exec_lo, s0
	s_mov_b32 s0, exec_lo
	s_waitcnt lgkmcnt(0)
	s_waitcnt_vscnt null, 0x0
	s_barrier
	buffer_gl0_inv
	v_cmpx_lt_i32_e32 37, v97
	s_cbranch_execz .LBB80_641
; %bb.640:
	v_mul_f64 v[8:9], v[0:1], v[8:9]
	ds_read2_b64 v[98:101], v94 offset0:38 offset1:39
	ds_read_b64 v[0:1], v94 offset:320
	s_waitcnt lgkmcnt(1)
	v_fma_f64 v[10:11], -v[8:9], v[98:99], v[10:11]
	v_fma_f64 v[6:7], -v[8:9], v[100:101], v[6:7]
	s_waitcnt lgkmcnt(0)
	v_fma_f64 v[86:87], -v[8:9], v[0:1], v[86:87]
.LBB80_641:
	s_or_b32 exec_lo, exec_lo, s0
	v_lshl_add_u32 v0, v97, 3, v94
	s_barrier
	buffer_gl0_inv
	v_mov_b32_e32 v88, 38
	ds_write_b64 v0, v[10:11]
	s_waitcnt lgkmcnt(0)
	s_barrier
	buffer_gl0_inv
	ds_read_b64 v[0:1], v94 offset:304
	s_cmp_lt_i32 s7, 40
	s_cbranch_scc1 .LBB80_644
; %bb.642:
	v_add3_u32 v89, v95, 0, 0x138
	v_mov_b32_e32 v88, 38
	s_mov_b32 s0, 39
.LBB80_643:                             ; =>This Inner Loop Header: Depth=1
	ds_read_b64 v[98:99], v89
	v_add_nc_u32_e32 v89, 8, v89
	s_waitcnt lgkmcnt(0)
	v_cmp_lt_f64_e64 vcc_lo, |v[0:1]|, |v[98:99]|
	v_cndmask_b32_e32 v1, v1, v99, vcc_lo
	v_cndmask_b32_e32 v0, v0, v98, vcc_lo
	v_cndmask_b32_e64 v88, v88, s0, vcc_lo
	s_add_i32 s0, s0, 1
	s_cmp_lg_u32 s7, s0
	s_cbranch_scc1 .LBB80_643
.LBB80_644:
	s_mov_b32 s0, exec_lo
	s_waitcnt lgkmcnt(0)
	v_cmpx_eq_f64_e32 0, v[0:1]
	s_xor_b32 s0, exec_lo, s0
; %bb.645:
	v_cmp_ne_u32_e32 vcc_lo, 0, v91
	v_cndmask_b32_e32 v91, 39, v91, vcc_lo
; %bb.646:
	s_andn2_saveexec_b32 s0, s0
	s_cbranch_execz .LBB80_648
; %bb.647:
	v_div_scale_f64 v[89:90], null, v[0:1], v[0:1], 1.0
	v_rcp_f64_e32 v[98:99], v[89:90]
	v_fma_f64 v[100:101], -v[89:90], v[98:99], 1.0
	v_fma_f64 v[98:99], v[98:99], v[100:101], v[98:99]
	v_fma_f64 v[100:101], -v[89:90], v[98:99], 1.0
	v_fma_f64 v[98:99], v[98:99], v[100:101], v[98:99]
	v_div_scale_f64 v[100:101], vcc_lo, 1.0, v[0:1], 1.0
	v_mul_f64 v[102:103], v[100:101], v[98:99]
	v_fma_f64 v[89:90], -v[89:90], v[102:103], v[100:101]
	v_div_fmas_f64 v[89:90], v[89:90], v[98:99], v[102:103]
	v_div_fixup_f64 v[0:1], v[89:90], v[0:1], 1.0
.LBB80_648:
	s_or_b32 exec_lo, exec_lo, s0
	s_mov_b32 s0, exec_lo
	v_cmpx_ne_u32_e64 v97, v88
	s_xor_b32 s0, exec_lo, s0
	s_cbranch_execz .LBB80_654
; %bb.649:
	s_mov_b32 s1, exec_lo
	v_cmpx_eq_u32_e32 38, v97
	s_cbranch_execz .LBB80_653
; %bb.650:
	v_cmp_ne_u32_e32 vcc_lo, 38, v88
	s_xor_b32 s2, s6, -1
	s_and_b32 s3, s2, vcc_lo
	s_and_saveexec_b32 s2, s3
	s_cbranch_execz .LBB80_652
; %bb.651:
	v_ashrrev_i32_e32 v89, 31, v88
	v_lshlrev_b64 v[89:90], 2, v[88:89]
	v_add_co_u32 v89, vcc_lo, v4, v89
	v_add_co_ci_u32_e64 v90, null, v5, v90, vcc_lo
	s_clause 0x1
	global_load_dword v96, v[89:90], off
	global_load_dword v97, v[4:5], off offset:152
	s_waitcnt vmcnt(1)
	global_store_dword v[4:5], v96, off offset:152
	s_waitcnt vmcnt(0)
	global_store_dword v[89:90], v97, off
.LBB80_652:
	s_or_b32 exec_lo, exec_lo, s2
	v_mov_b32_e32 v96, v88
	v_mov_b32_e32 v97, v88
.LBB80_653:
	s_or_b32 exec_lo, exec_lo, s1
.LBB80_654:
	s_andn2_saveexec_b32 s0, s0
; %bb.655:
	v_mov_b32_e32 v97, 38
	ds_write2_b64 v94, v[6:7], v[86:87] offset0:39 offset1:40
; %bb.656:
	s_or_b32 exec_lo, exec_lo, s0
	s_mov_b32 s0, exec_lo
	s_waitcnt lgkmcnt(0)
	s_waitcnt_vscnt null, 0x0
	s_barrier
	buffer_gl0_inv
	v_cmpx_lt_i32_e32 38, v97
	s_cbranch_execz .LBB80_658
; %bb.657:
	v_mul_f64 v[10:11], v[0:1], v[10:11]
	ds_read2_b64 v[98:101], v94 offset0:39 offset1:40
	s_waitcnt lgkmcnt(0)
	v_fma_f64 v[6:7], -v[10:11], v[98:99], v[6:7]
	v_fma_f64 v[86:87], -v[10:11], v[100:101], v[86:87]
.LBB80_658:
	s_or_b32 exec_lo, exec_lo, s0
	v_lshl_add_u32 v0, v97, 3, v94
	s_barrier
	buffer_gl0_inv
	v_mov_b32_e32 v88, 39
	ds_write_b64 v0, v[6:7]
	s_waitcnt lgkmcnt(0)
	s_barrier
	buffer_gl0_inv
	ds_read_b64 v[0:1], v94 offset:312
	s_cmp_lt_i32 s7, 41
	s_cbranch_scc1 .LBB80_661
; %bb.659:
	v_add3_u32 v89, v95, 0, 0x140
	v_mov_b32_e32 v88, 39
	s_mov_b32 s0, 40
.LBB80_660:                             ; =>This Inner Loop Header: Depth=1
	ds_read_b64 v[98:99], v89
	v_add_nc_u32_e32 v89, 8, v89
	s_waitcnt lgkmcnt(0)
	v_cmp_lt_f64_e64 vcc_lo, |v[0:1]|, |v[98:99]|
	v_cndmask_b32_e32 v1, v1, v99, vcc_lo
	v_cndmask_b32_e32 v0, v0, v98, vcc_lo
	v_cndmask_b32_e64 v88, v88, s0, vcc_lo
	s_add_i32 s0, s0, 1
	s_cmp_lg_u32 s7, s0
	s_cbranch_scc1 .LBB80_660
.LBB80_661:
	s_mov_b32 s0, exec_lo
	s_waitcnt lgkmcnt(0)
	v_cmpx_eq_f64_e32 0, v[0:1]
	s_xor_b32 s0, exec_lo, s0
; %bb.662:
	v_cmp_ne_u32_e32 vcc_lo, 0, v91
	v_cndmask_b32_e32 v91, 40, v91, vcc_lo
; %bb.663:
	s_andn2_saveexec_b32 s0, s0
	s_cbranch_execz .LBB80_665
; %bb.664:
	v_div_scale_f64 v[89:90], null, v[0:1], v[0:1], 1.0
	v_rcp_f64_e32 v[98:99], v[89:90]
	v_fma_f64 v[100:101], -v[89:90], v[98:99], 1.0
	v_fma_f64 v[98:99], v[98:99], v[100:101], v[98:99]
	v_fma_f64 v[100:101], -v[89:90], v[98:99], 1.0
	v_fma_f64 v[98:99], v[98:99], v[100:101], v[98:99]
	v_div_scale_f64 v[100:101], vcc_lo, 1.0, v[0:1], 1.0
	v_mul_f64 v[102:103], v[100:101], v[98:99]
	v_fma_f64 v[89:90], -v[89:90], v[102:103], v[100:101]
	v_div_fmas_f64 v[89:90], v[89:90], v[98:99], v[102:103]
	v_div_fixup_f64 v[0:1], v[89:90], v[0:1], 1.0
.LBB80_665:
	s_or_b32 exec_lo, exec_lo, s0
	s_mov_b32 s0, exec_lo
	v_cmpx_ne_u32_e64 v97, v88
	s_xor_b32 s0, exec_lo, s0
	s_cbranch_execz .LBB80_671
; %bb.666:
	s_mov_b32 s1, exec_lo
	v_cmpx_eq_u32_e32 39, v97
	s_cbranch_execz .LBB80_670
; %bb.667:
	v_cmp_ne_u32_e32 vcc_lo, 39, v88
	s_xor_b32 s2, s6, -1
	s_and_b32 s3, s2, vcc_lo
	s_and_saveexec_b32 s2, s3
	s_cbranch_execz .LBB80_669
; %bb.668:
	v_ashrrev_i32_e32 v89, 31, v88
	v_lshlrev_b64 v[89:90], 2, v[88:89]
	v_add_co_u32 v89, vcc_lo, v4, v89
	v_add_co_ci_u32_e64 v90, null, v5, v90, vcc_lo
	s_clause 0x1
	global_load_dword v96, v[89:90], off
	global_load_dword v97, v[4:5], off offset:156
	s_waitcnt vmcnt(1)
	global_store_dword v[4:5], v96, off offset:156
	s_waitcnt vmcnt(0)
	global_store_dword v[89:90], v97, off
.LBB80_669:
	s_or_b32 exec_lo, exec_lo, s2
	v_mov_b32_e32 v96, v88
	v_mov_b32_e32 v97, v88
.LBB80_670:
	s_or_b32 exec_lo, exec_lo, s1
.LBB80_671:
	s_andn2_saveexec_b32 s0, s0
; %bb.672:
	v_mov_b32_e32 v97, 39
	ds_write_b64 v94, v[86:87] offset:320
; %bb.673:
	s_or_b32 exec_lo, exec_lo, s0
	s_mov_b32 s0, exec_lo
	s_waitcnt lgkmcnt(0)
	s_waitcnt_vscnt null, 0x0
	s_barrier
	buffer_gl0_inv
	v_cmpx_lt_i32_e32 39, v97
	s_cbranch_execz .LBB80_675
; %bb.674:
	v_mul_f64 v[6:7], v[0:1], v[6:7]
	ds_read_b64 v[0:1], v94 offset:320
	s_waitcnt lgkmcnt(0)
	v_fma_f64 v[86:87], -v[6:7], v[0:1], v[86:87]
.LBB80_675:
	s_or_b32 exec_lo, exec_lo, s0
	v_lshl_add_u32 v0, v97, 3, v94
	s_barrier
	buffer_gl0_inv
	v_mov_b32_e32 v88, 40
	ds_write_b64 v0, v[86:87]
	s_waitcnt lgkmcnt(0)
	s_barrier
	buffer_gl0_inv
	ds_read_b64 v[0:1], v94 offset:320
	s_cmp_lt_i32 s7, 42
	s_cbranch_scc1 .LBB80_678
; %bb.676:
	v_add3_u32 v89, v95, 0, 0x148
	v_mov_b32_e32 v88, 40
	s_mov_b32 s0, 41
.LBB80_677:                             ; =>This Inner Loop Header: Depth=1
	ds_read_b64 v[94:95], v89
	v_add_nc_u32_e32 v89, 8, v89
	s_waitcnt lgkmcnt(0)
	v_cmp_lt_f64_e64 vcc_lo, |v[0:1]|, |v[94:95]|
	v_cndmask_b32_e32 v1, v1, v95, vcc_lo
	v_cndmask_b32_e32 v0, v0, v94, vcc_lo
	v_cndmask_b32_e64 v88, v88, s0, vcc_lo
	s_add_i32 s0, s0, 1
	s_cmp_lg_u32 s7, s0
	s_cbranch_scc1 .LBB80_677
.LBB80_678:
	s_mov_b32 s0, exec_lo
	s_waitcnt lgkmcnt(0)
	v_cmpx_eq_f64_e32 0, v[0:1]
	s_xor_b32 s0, exec_lo, s0
; %bb.679:
	v_cmp_ne_u32_e32 vcc_lo, 0, v91
	v_cndmask_b32_e32 v91, 41, v91, vcc_lo
; %bb.680:
	s_andn2_saveexec_b32 s0, s0
	s_cbranch_execz .LBB80_682
; %bb.681:
	v_div_scale_f64 v[89:90], null, v[0:1], v[0:1], 1.0
	v_rcp_f64_e32 v[94:95], v[89:90]
	v_fma_f64 v[98:99], -v[89:90], v[94:95], 1.0
	v_fma_f64 v[94:95], v[94:95], v[98:99], v[94:95]
	v_fma_f64 v[98:99], -v[89:90], v[94:95], 1.0
	v_fma_f64 v[94:95], v[94:95], v[98:99], v[94:95]
	v_div_scale_f64 v[98:99], vcc_lo, 1.0, v[0:1], 1.0
	v_mul_f64 v[100:101], v[98:99], v[94:95]
	v_fma_f64 v[89:90], -v[89:90], v[100:101], v[98:99]
	v_div_fmas_f64 v[89:90], v[89:90], v[94:95], v[100:101]
	v_div_fixup_f64 v[0:1], v[89:90], v[0:1], 1.0
.LBB80_682:
	s_or_b32 exec_lo, exec_lo, s0
	v_mov_b32_e32 v89, 40
	s_mov_b32 s0, exec_lo
	v_cmpx_ne_u32_e64 v97, v88
	s_cbranch_execz .LBB80_688
; %bb.683:
	s_mov_b32 s1, exec_lo
	v_cmpx_eq_u32_e32 40, v97
	s_cbranch_execz .LBB80_687
; %bb.684:
	v_cmp_ne_u32_e32 vcc_lo, 40, v88
	s_xor_b32 s2, s6, -1
	s_and_b32 s3, s2, vcc_lo
	s_and_saveexec_b32 s2, s3
	s_cbranch_execz .LBB80_686
; %bb.685:
	v_ashrrev_i32_e32 v89, 31, v88
	v_lshlrev_b64 v[89:90], 2, v[88:89]
	v_add_co_u32 v89, vcc_lo, v4, v89
	v_add_co_ci_u32_e64 v90, null, v5, v90, vcc_lo
	s_clause 0x1
	global_load_dword v94, v[89:90], off
	global_load_dword v95, v[4:5], off offset:160
	s_waitcnt vmcnt(1)
	global_store_dword v[4:5], v94, off offset:160
	s_waitcnt vmcnt(0)
	global_store_dword v[89:90], v95, off
.LBB80_686:
	s_or_b32 exec_lo, exec_lo, s2
	v_mov_b32_e32 v96, v88
	v_mov_b32_e32 v97, v88
.LBB80_687:
	s_or_b32 exec_lo, exec_lo, s1
	v_mov_b32_e32 v89, v97
.LBB80_688:
	s_or_b32 exec_lo, exec_lo, s0
	s_load_dwordx8 s[0:7], s[4:5], 0x28
	v_ashrrev_i32_e32 v90, 31, v89
	s_mov_b32 s9, exec_lo
	s_waitcnt lgkmcnt(0)
	s_waitcnt_vscnt null, 0x0
	s_barrier
	buffer_gl0_inv
	s_barrier
	buffer_gl0_inv
	v_cmpx_gt_i32_e32 41, v89
	s_cbranch_execz .LBB80_690
; %bb.689:
	v_mul_lo_u32 v88, s5, v2
	v_mul_lo_u32 v94, s4, v3
	v_mad_u64_u32 v[4:5], null, s4, v2, 0
	s_lshl_b64 s[2:3], s[2:3], 2
	v_add3_u32 v5, v5, v94, v88
	v_lshlrev_b64 v[4:5], 2, v[4:5]
	v_add_co_u32 v88, vcc_lo, s0, v4
	v_add_co_ci_u32_e64 v94, null, s1, v5, vcc_lo
	v_lshlrev_b64 v[4:5], 2, v[89:90]
	v_add_co_u32 v88, vcc_lo, v88, s2
	v_add_co_ci_u32_e64 v94, null, s3, v94, vcc_lo
	v_add_co_u32 v4, vcc_lo, v88, v4
	v_add_co_ci_u32_e64 v5, null, v94, v5, vcc_lo
	v_add3_u32 v88, v96, s13, 1
	global_store_dword v[4:5], v88, off
.LBB80_690:
	s_or_b32 exec_lo, exec_lo, s9
	s_mov_b32 s1, exec_lo
	v_cmpx_eq_u32_e32 0, v89
	s_cbranch_execz .LBB80_693
; %bb.691:
	v_lshlrev_b64 v[2:3], 2, v[2:3]
	v_cmp_ne_u32_e64 s0, 0, v91
	v_add_co_u32 v2, vcc_lo, s6, v2
	v_add_co_ci_u32_e64 v3, null, s7, v3, vcc_lo
	global_load_dword v4, v[2:3], off
	s_waitcnt vmcnt(0)
	v_cmp_eq_u32_e32 vcc_lo, 0, v4
	s_and_b32 s0, vcc_lo, s0
	s_and_b32 exec_lo, exec_lo, s0
	s_cbranch_execz .LBB80_693
; %bb.692:
	v_add_nc_u32_e32 v4, s13, v91
	global_store_dword v[2:3], v4, off
.LBB80_693:
	s_or_b32 exec_lo, exec_lo, s1
	v_mul_f64 v[0:1], v[0:1], v[86:87]
	v_add3_u32 v2, s8, s8, v89
	v_lshlrev_b64 v[4:5], 3, v[89:90]
	v_add_nc_u32_e32 v88, s8, v2
	v_ashrrev_i32_e32 v3, 31, v2
	v_add_co_u32 v4, vcc_lo, v92, v4
	v_add_co_ci_u32_e64 v5, null, v93, v5, vcc_lo
	v_cmp_lt_i32_e32 vcc_lo, 40, v89
	v_ashrrev_i32_e32 v89, 31, v88
	v_lshlrev_b64 v[2:3], 3, v[2:3]
	flat_store_dwordx2 v[4:5], v[84:85]
	v_add_nc_u32_e32 v90, s8, v88
	v_add_co_u32 v4, s0, v4, s10
	v_lshlrev_b64 v[84:85], 3, v[88:89]
	v_add_co_ci_u32_e64 v5, null, s11, v5, s0
	v_cndmask_b32_e32 v1, v87, v1, vcc_lo
	v_cndmask_b32_e32 v0, v86, v0, vcc_lo
	v_add_co_u32 v2, vcc_lo, v92, v2
	v_add_co_ci_u32_e64 v3, null, v93, v3, vcc_lo
	v_add_co_u32 v84, vcc_lo, v92, v84
	v_add_nc_u32_e32 v86, s8, v90
	v_add_co_ci_u32_e64 v85, null, v93, v85, vcc_lo
	v_ashrrev_i32_e32 v91, 31, v90
	flat_store_dwordx2 v[4:5], v[82:83]
	flat_store_dwordx2 v[2:3], v[80:81]
	flat_store_dwordx2 v[84:85], v[78:79]
	v_add_nc_u32_e32 v78, s8, v86
	v_ashrrev_i32_e32 v87, 31, v86
	v_lshlrev_b64 v[4:5], 3, v[90:91]
	v_add_nc_u32_e32 v80, s8, v78
	v_lshlrev_b64 v[2:3], 3, v[86:87]
	v_ashrrev_i32_e32 v79, 31, v78
	v_add_co_u32 v4, vcc_lo, v92, v4
	v_add_nc_u32_e32 v82, s8, v80
	v_add_co_ci_u32_e64 v5, null, v93, v5, vcc_lo
	v_add_co_u32 v2, vcc_lo, v92, v2
	v_ashrrev_i32_e32 v81, 31, v80
	v_add_co_ci_u32_e64 v3, null, v93, v3, vcc_lo
	v_ashrrev_i32_e32 v83, 31, v82
	v_lshlrev_b64 v[78:79], 3, v[78:79]
	flat_store_dwordx2 v[4:5], v[76:77]
	flat_store_dwordx2 v[2:3], v[74:75]
	v_lshlrev_b64 v[2:3], 3, v[80:81]
	v_add_nc_u32_e32 v76, s8, v82
	v_lshlrev_b64 v[74:75], 3, v[82:83]
	v_add_co_u32 v4, vcc_lo, v92, v78
	v_add_co_ci_u32_e64 v5, null, v93, v79, vcc_lo
	v_add_co_u32 v2, vcc_lo, v92, v2
	v_add_co_ci_u32_e64 v3, null, v93, v3, vcc_lo
	v_add_co_u32 v74, vcc_lo, v92, v74
	v_add_nc_u32_e32 v78, s8, v76
	v_add_co_ci_u32_e64 v75, null, v93, v75, vcc_lo
	v_ashrrev_i32_e32 v77, 31, v76
	flat_store_dwordx2 v[4:5], v[72:73]
	flat_store_dwordx2 v[2:3], v[68:69]
	flat_store_dwordx2 v[74:75], v[70:71]
	v_add_nc_u32_e32 v68, s8, v78
	v_ashrrev_i32_e32 v79, 31, v78
	v_lshlrev_b64 v[4:5], 3, v[76:77]
	v_add_nc_u32_e32 v70, s8, v68
	v_lshlrev_b64 v[2:3], 3, v[78:79]
	v_ashrrev_i32_e32 v69, 31, v68
	v_add_co_u32 v4, vcc_lo, v92, v4
	v_add_nc_u32_e32 v72, s8, v70
	v_add_co_ci_u32_e64 v5, null, v93, v5, vcc_lo
	v_add_co_u32 v2, vcc_lo, v92, v2
	v_ashrrev_i32_e32 v71, 31, v70
	v_add_co_ci_u32_e64 v3, null, v93, v3, vcc_lo
	v_ashrrev_i32_e32 v73, 31, v72
	v_lshlrev_b64 v[68:69], 3, v[68:69]
	flat_store_dwordx2 v[4:5], v[64:65]
	flat_store_dwordx2 v[2:3], v[66:67]
	v_lshlrev_b64 v[2:3], 3, v[70:71]
	v_add_nc_u32_e32 v66, s8, v72
	v_lshlrev_b64 v[64:65], 3, v[72:73]
	v_add_co_u32 v4, vcc_lo, v92, v68
	v_add_co_ci_u32_e64 v5, null, v93, v69, vcc_lo
	;; [unrolled: 30-line block ×6, first 2 shown]
	v_add_co_u32 v2, vcc_lo, v92, v2
	v_add_nc_u32_e32 v28, s8, v26
	v_add_co_ci_u32_e64 v3, null, v93, v3, vcc_lo
	v_add_co_u32 v24, vcc_lo, v92, v24
	v_ashrrev_i32_e32 v27, 31, v26
	v_add_co_ci_u32_e64 v25, null, v93, v25, vcc_lo
	v_ashrrev_i32_e32 v29, 31, v28
	flat_store_dwordx2 v[4:5], v[22:23]
	v_lshlrev_b64 v[4:5], 3, v[26:27]
	flat_store_dwordx2 v[2:3], v[20:21]
	flat_store_dwordx2 v[24:25], v[18:19]
	v_add_nc_u32_e32 v18, s8, v28
	v_lshlrev_b64 v[2:3], 3, v[28:29]
	v_add_co_u32 v4, vcc_lo, v92, v4
	v_add_nc_u32_e32 v20, s8, v18
	v_add_co_ci_u32_e64 v5, null, v93, v5, vcc_lo
	v_add_co_u32 v2, vcc_lo, v92, v2
	v_add_co_ci_u32_e64 v3, null, v93, v3, vcc_lo
	v_add_nc_u32_e32 v22, s8, v20
	v_ashrrev_i32_e32 v19, 31, v18
	flat_store_dwordx2 v[4:5], v[16:17]
	flat_store_dwordx2 v[2:3], v[14:15]
	v_ashrrev_i32_e32 v21, 31, v20
	v_add_nc_u32_e32 v14, s8, v22
	v_lshlrev_b64 v[4:5], 3, v[18:19]
	v_ashrrev_i32_e32 v23, 31, v22
	v_lshlrev_b64 v[2:3], 3, v[20:21]
	v_add_nc_u32_e32 v18, s8, v14
	v_ashrrev_i32_e32 v15, 31, v14
	v_lshlrev_b64 v[16:17], 3, v[22:23]
	v_add_co_u32 v4, vcc_lo, v92, v4
	v_ashrrev_i32_e32 v19, 31, v18
	v_lshlrev_b64 v[14:15], 3, v[14:15]
	v_add_co_ci_u32_e64 v5, null, v93, v5, vcc_lo
	v_add_co_u32 v2, vcc_lo, v92, v2
	v_lshlrev_b64 v[18:19], 3, v[18:19]
	v_add_co_ci_u32_e64 v3, null, v93, v3, vcc_lo
	v_add_co_u32 v16, vcc_lo, v92, v16
	v_add_co_ci_u32_e64 v17, null, v93, v17, vcc_lo
	v_add_co_u32 v14, vcc_lo, v92, v14
	;; [unrolled: 2-line block ×3, first 2 shown]
	v_add_co_ci_u32_e64 v19, null, v93, v19, vcc_lo
	flat_store_dwordx2 v[4:5], v[12:13]
	flat_store_dwordx2 v[2:3], v[8:9]
	;; [unrolled: 1-line block ×5, first 2 shown]
.LBB80_694:
	s_endpgm
	.section	.rodata,"a",@progbits
	.p2align	6, 0x0
	.amdhsa_kernel _ZN9rocsolver6v33100L18getf2_small_kernelILi41EdiiPKPdEEvT1_T3_lS5_lPS5_llPT2_S5_S5_S7_l
		.amdhsa_group_segment_fixed_size 0
		.amdhsa_private_segment_fixed_size 0
		.amdhsa_kernarg_size 352
		.amdhsa_user_sgpr_count 6
		.amdhsa_user_sgpr_private_segment_buffer 1
		.amdhsa_user_sgpr_dispatch_ptr 0
		.amdhsa_user_sgpr_queue_ptr 0
		.amdhsa_user_sgpr_kernarg_segment_ptr 1
		.amdhsa_user_sgpr_dispatch_id 0
		.amdhsa_user_sgpr_flat_scratch_init 0
		.amdhsa_user_sgpr_private_segment_size 0
		.amdhsa_wavefront_size32 1
		.amdhsa_uses_dynamic_stack 0
		.amdhsa_system_sgpr_private_segment_wavefront_offset 0
		.amdhsa_system_sgpr_workgroup_id_x 1
		.amdhsa_system_sgpr_workgroup_id_y 1
		.amdhsa_system_sgpr_workgroup_id_z 0
		.amdhsa_system_sgpr_workgroup_info 0
		.amdhsa_system_vgpr_workitem_id 1
		.amdhsa_next_free_vgpr 170
		.amdhsa_next_free_sgpr 14
		.amdhsa_reserve_vcc 1
		.amdhsa_reserve_flat_scratch 1
		.amdhsa_float_round_mode_32 0
		.amdhsa_float_round_mode_16_64 0
		.amdhsa_float_denorm_mode_32 3
		.amdhsa_float_denorm_mode_16_64 3
		.amdhsa_dx10_clamp 1
		.amdhsa_ieee_mode 1
		.amdhsa_fp16_overflow 0
		.amdhsa_workgroup_processor_mode 1
		.amdhsa_memory_ordered 1
		.amdhsa_forward_progress 1
		.amdhsa_shared_vgpr_count 0
		.amdhsa_exception_fp_ieee_invalid_op 0
		.amdhsa_exception_fp_denorm_src 0
		.amdhsa_exception_fp_ieee_div_zero 0
		.amdhsa_exception_fp_ieee_overflow 0
		.amdhsa_exception_fp_ieee_underflow 0
		.amdhsa_exception_fp_ieee_inexact 0
		.amdhsa_exception_int_div_zero 0
	.end_amdhsa_kernel
	.section	.text._ZN9rocsolver6v33100L18getf2_small_kernelILi41EdiiPKPdEEvT1_T3_lS5_lPS5_llPT2_S5_S5_S7_l,"axG",@progbits,_ZN9rocsolver6v33100L18getf2_small_kernelILi41EdiiPKPdEEvT1_T3_lS5_lPS5_llPT2_S5_S5_S7_l,comdat
.Lfunc_end80:
	.size	_ZN9rocsolver6v33100L18getf2_small_kernelILi41EdiiPKPdEEvT1_T3_lS5_lPS5_llPT2_S5_S5_S7_l, .Lfunc_end80-_ZN9rocsolver6v33100L18getf2_small_kernelILi41EdiiPKPdEEvT1_T3_lS5_lPS5_llPT2_S5_S5_S7_l
                                        ; -- End function
	.set _ZN9rocsolver6v33100L18getf2_small_kernelILi41EdiiPKPdEEvT1_T3_lS5_lPS5_llPT2_S5_S5_S7_l.num_vgpr, 170
	.set _ZN9rocsolver6v33100L18getf2_small_kernelILi41EdiiPKPdEEvT1_T3_lS5_lPS5_llPT2_S5_S5_S7_l.num_agpr, 0
	.set _ZN9rocsolver6v33100L18getf2_small_kernelILi41EdiiPKPdEEvT1_T3_lS5_lPS5_llPT2_S5_S5_S7_l.numbered_sgpr, 14
	.set _ZN9rocsolver6v33100L18getf2_small_kernelILi41EdiiPKPdEEvT1_T3_lS5_lPS5_llPT2_S5_S5_S7_l.num_named_barrier, 0
	.set _ZN9rocsolver6v33100L18getf2_small_kernelILi41EdiiPKPdEEvT1_T3_lS5_lPS5_llPT2_S5_S5_S7_l.private_seg_size, 0
	.set _ZN9rocsolver6v33100L18getf2_small_kernelILi41EdiiPKPdEEvT1_T3_lS5_lPS5_llPT2_S5_S5_S7_l.uses_vcc, 1
	.set _ZN9rocsolver6v33100L18getf2_small_kernelILi41EdiiPKPdEEvT1_T3_lS5_lPS5_llPT2_S5_S5_S7_l.uses_flat_scratch, 1
	.set _ZN9rocsolver6v33100L18getf2_small_kernelILi41EdiiPKPdEEvT1_T3_lS5_lPS5_llPT2_S5_S5_S7_l.has_dyn_sized_stack, 0
	.set _ZN9rocsolver6v33100L18getf2_small_kernelILi41EdiiPKPdEEvT1_T3_lS5_lPS5_llPT2_S5_S5_S7_l.has_recursion, 0
	.set _ZN9rocsolver6v33100L18getf2_small_kernelILi41EdiiPKPdEEvT1_T3_lS5_lPS5_llPT2_S5_S5_S7_l.has_indirect_call, 0
	.section	.AMDGPU.csdata,"",@progbits
; Kernel info:
; codeLenInByte = 40396
; TotalNumSgprs: 16
; NumVgprs: 170
; ScratchSize: 0
; MemoryBound: 0
; FloatMode: 240
; IeeeMode: 1
; LDSByteSize: 0 bytes/workgroup (compile time only)
; SGPRBlocks: 0
; VGPRBlocks: 21
; NumSGPRsForWavesPerEU: 16
; NumVGPRsForWavesPerEU: 170
; Occupancy: 5
; WaveLimiterHint : 1
; COMPUTE_PGM_RSRC2:SCRATCH_EN: 0
; COMPUTE_PGM_RSRC2:USER_SGPR: 6
; COMPUTE_PGM_RSRC2:TRAP_HANDLER: 0
; COMPUTE_PGM_RSRC2:TGID_X_EN: 1
; COMPUTE_PGM_RSRC2:TGID_Y_EN: 1
; COMPUTE_PGM_RSRC2:TGID_Z_EN: 0
; COMPUTE_PGM_RSRC2:TIDIG_COMP_CNT: 1
	.section	.text._ZN9rocsolver6v33100L23getf2_npvt_small_kernelILi41EdiiPKPdEEvT1_T3_lS5_lPT2_S5_S5_,"axG",@progbits,_ZN9rocsolver6v33100L23getf2_npvt_small_kernelILi41EdiiPKPdEEvT1_T3_lS5_lPT2_S5_S5_,comdat
	.globl	_ZN9rocsolver6v33100L23getf2_npvt_small_kernelILi41EdiiPKPdEEvT1_T3_lS5_lPT2_S5_S5_ ; -- Begin function _ZN9rocsolver6v33100L23getf2_npvt_small_kernelILi41EdiiPKPdEEvT1_T3_lS5_lPT2_S5_S5_
	.p2align	8
	.type	_ZN9rocsolver6v33100L23getf2_npvt_small_kernelILi41EdiiPKPdEEvT1_T3_lS5_lPT2_S5_S5_,@function
_ZN9rocsolver6v33100L23getf2_npvt_small_kernelILi41EdiiPKPdEEvT1_T3_lS5_lPT2_S5_S5_: ; @_ZN9rocsolver6v33100L23getf2_npvt_small_kernelILi41EdiiPKPdEEvT1_T3_lS5_lPT2_S5_S5_
; %bb.0:
	s_mov_b64 s[14:15], s[2:3]
	s_mov_b64 s[12:13], s[0:1]
	s_add_u32 s12, s12, s8
	s_clause 0x1
	s_load_dword s0, s[4:5], 0x44
	s_load_dwordx2 s[8:9], s[4:5], 0x30
	s_addc_u32 s13, s13, 0
	s_waitcnt lgkmcnt(0)
	s_lshr_b32 s10, s0, 16
	s_mov_b32 s0, exec_lo
	v_mad_u64_u32 v[2:3], null, s7, s10, v[1:2]
	v_cmpx_gt_i32_e64 s8, v2
	s_cbranch_execz .LBB81_208
; %bb.1:
	s_clause 0x1
	s_load_dwordx4 s[0:3], s[4:5], 0x8
	s_load_dword s6, s[4:5], 0x18
	v_ashrrev_i32_e32 v3, 31, v2
	v_lshlrev_b32_e32 v86, 3, v0
	v_lshlrev_b32_e32 v168, 3, v1
	s_mulk_i32 s10, 0x148
	v_mad_u32_u24 v248, 0x148, v1, 0
	v_lshlrev_b64 v[4:5], 3, v[2:3]
	v_add3_u32 v1, 0, s10, v168
	s_waitcnt lgkmcnt(0)
	v_add_co_u32 v4, vcc_lo, s0, v4
	v_add_co_ci_u32_e64 v5, null, s1, v5, vcc_lo
	v_add3_u32 v6, s6, s6, v0
	s_lshl_b64 s[2:3], s[2:3], 3
	s_ashr_i32 s7, s6, 31
	global_load_dwordx2 v[4:5], v[4:5], off
	s_lshl_b64 s[0:1], s[6:7], 3
	v_add_nc_u32_e32 v8, s6, v6
	v_ashrrev_i32_e32 v7, 31, v6
	v_add_nc_u32_e32 v10, s6, v8
	v_ashrrev_i32_e32 v9, 31, v8
	v_lshlrev_b64 v[6:7], 3, v[6:7]
	v_add_nc_u32_e32 v12, s6, v10
	v_ashrrev_i32_e32 v11, 31, v10
	v_lshlrev_b64 v[8:9], 3, v[8:9]
	;; [unrolled: 3-line block ×36, first 2 shown]
	v_ashrrev_i32_e32 v81, 31, v80
	v_add_nc_u32_e32 v82, s6, v80
	v_lshlrev_b64 v[78:79], 3, v[78:79]
	v_lshlrev_b64 v[80:81], 3, v[80:81]
	v_ashrrev_i32_e32 v83, 31, v82
	v_lshlrev_b64 v[84:85], 3, v[82:83]
	s_waitcnt vmcnt(0)
	v_add_co_u32 v87, vcc_lo, v4, s2
	v_add_co_ci_u32_e64 v88, null, s3, v5, vcc_lo
	v_add_co_u32 v4, vcc_lo, v87, v6
	v_add_co_ci_u32_e64 v5, null, v88, v7, vcc_lo
	;; [unrolled: 2-line block ×42, first 2 shown]
	s_clause 0x28
	flat_load_dwordx2 v[154:155], v[8:9]
	flat_load_dwordx2 v[138:139], v[10:11]
	;; [unrolled: 1-line block ×41, first 2 shown]
	v_cmp_ne_u32_e64 s1, 0, v0
	v_cmp_eq_u32_e64 s0, 0, v0
	s_and_saveexec_b32 s2, s0
	s_cbranch_execz .LBB81_4
; %bb.2:
	s_waitcnt vmcnt(4) lgkmcnt(4)
	ds_write_b64 v1, v[160:161]
	s_waitcnt vmcnt(2) lgkmcnt(3)
	ds_write2_b64 v248, v[164:165], v[166:167] offset0:1 offset1:2
	s_waitcnt vmcnt(1) lgkmcnt(3)
	ds_write2_b64 v248, v[162:163], v[154:155] offset0:3 offset1:4
	ds_write2_b64 v248, v[138:139], v[152:153] offset0:5 offset1:6
	ds_write2_b64 v248, v[136:137], v[150:151] offset0:7 offset1:8
	ds_write2_b64 v248, v[134:135], v[148:149] offset0:9 offset1:10
	ds_write2_b64 v248, v[132:133], v[146:147] offset0:11 offset1:12
	ds_write2_b64 v248, v[130:131], v[144:145] offset0:13 offset1:14
	ds_write2_b64 v248, v[128:129], v[142:143] offset0:15 offset1:16
	ds_write2_b64 v248, v[126:127], v[140:141] offset0:17 offset1:18
	ds_write2_b64 v248, v[104:105], v[124:125] offset0:19 offset1:20
	ds_write2_b64 v248, v[102:103], v[122:123] offset0:21 offset1:22
	ds_write2_b64 v248, v[100:101], v[120:121] offset0:23 offset1:24
	ds_write2_b64 v248, v[98:99], v[118:119] offset0:25 offset1:26
	ds_write2_b64 v248, v[96:97], v[116:117] offset0:27 offset1:28
	ds_write2_b64 v248, v[94:95], v[114:115] offset0:29 offset1:30
	ds_write2_b64 v248, v[92:93], v[112:113] offset0:31 offset1:32
	ds_write2_b64 v248, v[90:91], v[110:111] offset0:33 offset1:34
	ds_write2_b64 v248, v[88:89], v[108:109] offset0:35 offset1:36
	ds_write2_b64 v248, v[86:87], v[106:107] offset0:37 offset1:38
	s_waitcnt vmcnt(0) lgkmcnt(20)
	ds_write2_b64 v248, v[84:85], v[158:159] offset0:39 offset1:40
	ds_read_b64 v[168:169], v1
	s_waitcnt lgkmcnt(0)
	v_cmp_neq_f64_e32 vcc_lo, 0, v[168:169]
	s_and_b32 exec_lo, exec_lo, vcc_lo
	s_cbranch_execz .LBB81_4
; %bb.3:
	v_div_scale_f64 v[170:171], null, v[168:169], v[168:169], 1.0
	v_rcp_f64_e32 v[172:173], v[170:171]
	v_fma_f64 v[174:175], -v[170:171], v[172:173], 1.0
	v_fma_f64 v[172:173], v[172:173], v[174:175], v[172:173]
	v_fma_f64 v[174:175], -v[170:171], v[172:173], 1.0
	v_fma_f64 v[172:173], v[172:173], v[174:175], v[172:173]
	v_div_scale_f64 v[174:175], vcc_lo, 1.0, v[168:169], 1.0
	v_mul_f64 v[176:177], v[174:175], v[172:173]
	v_fma_f64 v[170:171], -v[170:171], v[176:177], v[174:175]
	v_div_fmas_f64 v[170:171], v[170:171], v[172:173], v[176:177]
	v_div_fixup_f64 v[168:169], v[170:171], v[168:169], 1.0
	ds_write_b64 v1, v[168:169]
.LBB81_4:
	s_or_b32 exec_lo, exec_lo, s2
	s_waitcnt vmcnt(0) lgkmcnt(0)
	s_barrier
	buffer_gl0_inv
	ds_read_b64 v[254:255], v1
	s_and_saveexec_b32 s2, s1
	s_cbranch_execz .LBB81_6
; %bb.5:
	s_waitcnt lgkmcnt(0)
	v_mul_f64 v[160:161], v[254:255], v[160:161]
	ds_read2_b64 v[170:173], v248 offset0:1 offset1:2
	ds_read2_b64 v[174:177], v248 offset0:3 offset1:4
	;; [unrolled: 1-line block ×11, first 2 shown]
	s_waitcnt lgkmcnt(10)
	v_fma_f64 v[164:165], -v[160:161], v[170:171], v[164:165]
	v_fma_f64 v[166:167], -v[160:161], v[172:173], v[166:167]
	s_waitcnt lgkmcnt(9)
	v_fma_f64 v[162:163], -v[160:161], v[174:175], v[162:163]
	v_fma_f64 v[154:155], -v[160:161], v[176:177], v[154:155]
	s_waitcnt lgkmcnt(8)
	v_fma_f64 v[138:139], -v[160:161], v[178:179], v[138:139]
	v_fma_f64 v[152:153], -v[160:161], v[180:181], v[152:153]
	s_waitcnt lgkmcnt(7)
	v_fma_f64 v[136:137], -v[160:161], v[182:183], v[136:137]
	v_fma_f64 v[150:151], -v[160:161], v[184:185], v[150:151]
	s_waitcnt lgkmcnt(6)
	v_fma_f64 v[134:135], -v[160:161], v[186:187], v[134:135]
	v_fma_f64 v[148:149], -v[160:161], v[188:189], v[148:149]
	s_waitcnt lgkmcnt(5)
	v_fma_f64 v[132:133], -v[160:161], v[190:191], v[132:133]
	ds_read2_b64 v[170:173], v248 offset0:23 offset1:24
	ds_read2_b64 v[174:177], v248 offset0:25 offset1:26
	v_fma_f64 v[146:147], -v[160:161], v[192:193], v[146:147]
	s_waitcnt lgkmcnt(6)
	v_fma_f64 v[130:131], -v[160:161], v[194:195], v[130:131]
	ds_read2_b64 v[178:181], v248 offset0:27 offset1:28
	ds_read2_b64 v[182:185], v248 offset0:29 offset1:30
	v_fma_f64 v[144:145], -v[160:161], v[196:197], v[144:145]
	;; [unrolled: 5-line block ×4, first 2 shown]
	ds_read2_b64 v[202:205], v248 offset0:39 offset1:40
	s_waitcnt lgkmcnt(10)
	v_fma_f64 v[104:105], -v[160:161], v[206:207], v[104:105]
	v_fma_f64 v[124:125], -v[160:161], v[208:209], v[124:125]
	s_waitcnt lgkmcnt(9)
	v_fma_f64 v[102:103], -v[160:161], v[210:211], v[102:103]
	v_fma_f64 v[122:123], -v[160:161], v[212:213], v[122:123]
	;; [unrolled: 3-line block ×11, first 2 shown]
.LBB81_6:
	s_or_b32 exec_lo, exec_lo, s2
	s_mov_b32 s1, exec_lo
	s_waitcnt lgkmcnt(0)
	s_barrier
	buffer_gl0_inv
	v_cmpx_eq_u32_e32 1, v0
	s_cbranch_execz .LBB81_9
; %bb.7:
	v_mov_b32_e32 v170, v166
	v_mov_b32_e32 v171, v167
	;; [unrolled: 1-line block ×16, first 2 shown]
	ds_write_b64 v1, v[164:165]
	ds_write2_b64 v248, v[170:171], v[172:173] offset0:2 offset1:3
	ds_write2_b64 v248, v[174:175], v[176:177] offset0:4 offset1:5
	ds_write2_b64 v248, v[178:179], v[180:181] offset0:6 offset1:7
	ds_write2_b64 v248, v[182:183], v[184:185] offset0:8 offset1:9
	v_mov_b32_e32 v170, v148
	v_mov_b32_e32 v171, v149
	v_mov_b32_e32 v172, v132
	v_mov_b32_e32 v173, v133
	v_mov_b32_e32 v174, v146
	v_mov_b32_e32 v175, v147
	v_mov_b32_e32 v176, v130
	v_mov_b32_e32 v177, v131
	v_mov_b32_e32 v178, v144
	v_mov_b32_e32 v179, v145
	v_mov_b32_e32 v180, v128
	v_mov_b32_e32 v181, v129
	v_mov_b32_e32 v182, v142
	v_mov_b32_e32 v183, v143
	v_mov_b32_e32 v184, v126
	v_mov_b32_e32 v185, v127
	v_mov_b32_e32 v186, v140
	v_mov_b32_e32 v187, v141
	v_mov_b32_e32 v188, v104
	v_mov_b32_e32 v189, v105
	ds_write2_b64 v248, v[170:171], v[172:173] offset0:10 offset1:11
	ds_write2_b64 v248, v[174:175], v[176:177] offset0:12 offset1:13
	ds_write2_b64 v248, v[178:179], v[180:181] offset0:14 offset1:15
	ds_write2_b64 v248, v[182:183], v[184:185] offset0:16 offset1:17
	ds_write2_b64 v248, v[186:187], v[188:189] offset0:18 offset1:19
	v_mov_b32_e32 v170, v124
	v_mov_b32_e32 v171, v125
	v_mov_b32_e32 v172, v102
	v_mov_b32_e32 v173, v103
	v_mov_b32_e32 v174, v122
	v_mov_b32_e32 v175, v123
	v_mov_b32_e32 v176, v100
	v_mov_b32_e32 v177, v101
	v_mov_b32_e32 v178, v120
	v_mov_b32_e32 v179, v121
	v_mov_b32_e32 v180, v98
	v_mov_b32_e32 v181, v99
	v_mov_b32_e32 v182, v118
	v_mov_b32_e32 v183, v119
	v_mov_b32_e32 v184, v96
	v_mov_b32_e32 v185, v97
	v_mov_b32_e32 v186, v116
	v_mov_b32_e32 v187, v117
	v_mov_b32_e32 v188, v94
	v_mov_b32_e32 v189, v95
	ds_write2_b64 v248, v[170:171], v[172:173] offset0:20 offset1:21
	;; [unrolled: 25-line block ×3, first 2 shown]
	ds_write2_b64 v248, v[174:175], v[176:177] offset0:32 offset1:33
	ds_write2_b64 v248, v[178:179], v[180:181] offset0:34 offset1:35
	ds_write2_b64 v248, v[182:183], v[184:185] offset0:36 offset1:37
	ds_write2_b64 v248, v[186:187], v[188:189] offset0:38 offset1:39
	ds_write_b64 v248, v[158:159] offset:320
	ds_read_b64 v[170:171], v1
	s_waitcnt lgkmcnt(0)
	v_cmp_neq_f64_e32 vcc_lo, 0, v[170:171]
	s_and_b32 exec_lo, exec_lo, vcc_lo
	s_cbranch_execz .LBB81_9
; %bb.8:
	v_div_scale_f64 v[172:173], null, v[170:171], v[170:171], 1.0
	v_rcp_f64_e32 v[174:175], v[172:173]
	v_fma_f64 v[176:177], -v[172:173], v[174:175], 1.0
	v_fma_f64 v[174:175], v[174:175], v[176:177], v[174:175]
	v_fma_f64 v[176:177], -v[172:173], v[174:175], 1.0
	v_fma_f64 v[174:175], v[174:175], v[176:177], v[174:175]
	v_div_scale_f64 v[176:177], vcc_lo, 1.0, v[170:171], 1.0
	v_mul_f64 v[178:179], v[176:177], v[174:175]
	v_fma_f64 v[172:173], -v[172:173], v[178:179], v[176:177]
	v_div_fmas_f64 v[172:173], v[172:173], v[174:175], v[178:179]
	v_div_fixup_f64 v[170:171], v[172:173], v[170:171], 1.0
	ds_write_b64 v1, v[170:171]
.LBB81_9:
	s_or_b32 exec_lo, exec_lo, s1
	s_waitcnt lgkmcnt(0)
	s_barrier
	buffer_gl0_inv
	ds_read_b64 v[170:171], v1
	s_mov_b32 s1, exec_lo
	v_cmpx_lt_u32_e32 1, v0
	s_cbranch_execz .LBB81_11
; %bb.10:
	s_waitcnt lgkmcnt(0)
	v_mul_f64 v[164:165], v[170:171], v[164:165]
	ds_read2_b64 v[172:175], v248 offset0:2 offset1:3
	ds_read2_b64 v[176:179], v248 offset0:4 offset1:5
	;; [unrolled: 1-line block ×11, first 2 shown]
	s_waitcnt lgkmcnt(10)
	v_fma_f64 v[166:167], -v[164:165], v[172:173], v[166:167]
	v_fma_f64 v[162:163], -v[164:165], v[174:175], v[162:163]
	s_waitcnt lgkmcnt(9)
	v_fma_f64 v[154:155], -v[164:165], v[176:177], v[154:155]
	v_fma_f64 v[138:139], -v[164:165], v[178:179], v[138:139]
	;; [unrolled: 3-line block ×5, first 2 shown]
	s_waitcnt lgkmcnt(5)
	v_fma_f64 v[146:147], -v[164:165], v[192:193], v[146:147]
	ds_read2_b64 v[172:175], v248 offset0:24 offset1:25
	ds_read2_b64 v[176:179], v248 offset0:26 offset1:27
	v_fma_f64 v[130:131], -v[164:165], v[194:195], v[130:131]
	s_waitcnt lgkmcnt(6)
	v_fma_f64 v[144:145], -v[164:165], v[196:197], v[144:145]
	ds_read2_b64 v[180:183], v248 offset0:28 offset1:29
	ds_read2_b64 v[184:187], v248 offset0:30 offset1:31
	v_fma_f64 v[128:129], -v[164:165], v[198:199], v[128:129]
	;; [unrolled: 5-line block ×3, first 2 shown]
	s_waitcnt lgkmcnt(8)
	v_fma_f64 v[140:141], -v[164:165], v[204:205], v[140:141]
	ds_read2_b64 v[196:199], v248 offset0:36 offset1:37
	ds_read2_b64 v[200:203], v248 offset0:38 offset1:39
	ds_read_b64 v[204:205], v248 offset:320
	v_fma_f64 v[104:105], -v[164:165], v[206:207], v[104:105]
	s_waitcnt lgkmcnt(10)
	v_fma_f64 v[124:125], -v[164:165], v[208:209], v[124:125]
	v_fma_f64 v[102:103], -v[164:165], v[210:211], v[102:103]
	s_waitcnt lgkmcnt(9)
	v_fma_f64 v[122:123], -v[164:165], v[212:213], v[122:123]
	;; [unrolled: 3-line block ×11, first 2 shown]
.LBB81_11:
	s_or_b32 exec_lo, exec_lo, s1
	s_mov_b32 s1, exec_lo
	s_waitcnt lgkmcnt(0)
	s_barrier
	buffer_gl0_inv
	v_cmpx_eq_u32_e32 2, v0
	s_cbranch_execz .LBB81_14
; %bb.12:
	ds_write_b64 v1, v[166:167]
	ds_write2_b64 v248, v[162:163], v[154:155] offset0:3 offset1:4
	ds_write2_b64 v248, v[138:139], v[152:153] offset0:5 offset1:6
	;; [unrolled: 1-line block ×19, first 2 shown]
	ds_read_b64 v[172:173], v1
	s_waitcnt lgkmcnt(0)
	v_cmp_neq_f64_e32 vcc_lo, 0, v[172:173]
	s_and_b32 exec_lo, exec_lo, vcc_lo
	s_cbranch_execz .LBB81_14
; %bb.13:
	v_div_scale_f64 v[174:175], null, v[172:173], v[172:173], 1.0
	v_rcp_f64_e32 v[176:177], v[174:175]
	v_fma_f64 v[178:179], -v[174:175], v[176:177], 1.0
	v_fma_f64 v[176:177], v[176:177], v[178:179], v[176:177]
	v_fma_f64 v[178:179], -v[174:175], v[176:177], 1.0
	v_fma_f64 v[176:177], v[176:177], v[178:179], v[176:177]
	v_div_scale_f64 v[178:179], vcc_lo, 1.0, v[172:173], 1.0
	v_mul_f64 v[180:181], v[178:179], v[176:177]
	v_fma_f64 v[174:175], -v[174:175], v[180:181], v[178:179]
	v_div_fmas_f64 v[174:175], v[174:175], v[176:177], v[180:181]
	v_div_fixup_f64 v[172:173], v[174:175], v[172:173], 1.0
	ds_write_b64 v1, v[172:173]
.LBB81_14:
	s_or_b32 exec_lo, exec_lo, s1
	s_waitcnt lgkmcnt(0)
	s_barrier
	buffer_gl0_inv
	ds_read_b64 v[172:173], v1
	s_mov_b32 s1, exec_lo
	v_cmpx_lt_u32_e32 2, v0
	s_cbranch_execz .LBB81_16
; %bb.15:
	s_waitcnt lgkmcnt(0)
	v_mul_f64 v[166:167], v[172:173], v[166:167]
	ds_read2_b64 v[174:177], v248 offset0:3 offset1:4
	ds_read2_b64 v[178:181], v248 offset0:5 offset1:6
	;; [unrolled: 1-line block ×12, first 2 shown]
	s_waitcnt lgkmcnt(11)
	v_fma_f64 v[162:163], -v[166:167], v[174:175], v[162:163]
	v_fma_f64 v[154:155], -v[166:167], v[176:177], v[154:155]
	s_waitcnt lgkmcnt(10)
	v_fma_f64 v[138:139], -v[166:167], v[178:179], v[138:139]
	v_fma_f64 v[152:153], -v[166:167], v[180:181], v[152:153]
	;; [unrolled: 3-line block ×5, first 2 shown]
	s_waitcnt lgkmcnt(6)
	v_fma_f64 v[130:131], -v[166:167], v[194:195], v[130:131]
	ds_read2_b64 v[174:177], v248 offset0:27 offset1:28
	ds_read2_b64 v[178:181], v248 offset0:29 offset1:30
	v_fma_f64 v[144:145], -v[166:167], v[196:197], v[144:145]
	s_waitcnt lgkmcnt(7)
	v_fma_f64 v[128:129], -v[166:167], v[198:199], v[128:129]
	ds_read2_b64 v[182:185], v248 offset0:31 offset1:32
	ds_read2_b64 v[186:189], v248 offset0:33 offset1:34
	v_fma_f64 v[142:143], -v[166:167], v[200:201], v[142:143]
	ds_read2_b64 v[190:193], v248 offset0:35 offset1:36
	ds_read2_b64 v[194:197], v248 offset0:37 offset1:38
	;; [unrolled: 1-line block ×3, first 2 shown]
	s_waitcnt lgkmcnt(11)
	v_fma_f64 v[126:127], -v[166:167], v[202:203], v[126:127]
	v_fma_f64 v[140:141], -v[166:167], v[204:205], v[140:141]
	s_waitcnt lgkmcnt(10)
	v_fma_f64 v[104:105], -v[166:167], v[206:207], v[104:105]
	v_fma_f64 v[124:125], -v[166:167], v[208:209], v[124:125]
	;; [unrolled: 3-line block ×12, first 2 shown]
.LBB81_16:
	s_or_b32 exec_lo, exec_lo, s1
	s_mov_b32 s1, exec_lo
	s_waitcnt lgkmcnt(0)
	s_barrier
	buffer_gl0_inv
	v_cmpx_eq_u32_e32 3, v0
	s_cbranch_execz .LBB81_19
; %bb.17:
	v_mov_b32_e32 v174, v154
	v_mov_b32_e32 v175, v155
	v_mov_b32_e32 v176, v138
	v_mov_b32_e32 v177, v139
	v_mov_b32_e32 v178, v152
	v_mov_b32_e32 v179, v153
	v_mov_b32_e32 v180, v136
	v_mov_b32_e32 v181, v137
	v_mov_b32_e32 v182, v150
	v_mov_b32_e32 v183, v151
	v_mov_b32_e32 v184, v134
	v_mov_b32_e32 v185, v135
	ds_write_b64 v1, v[162:163]
	ds_write2_b64 v248, v[174:175], v[176:177] offset0:4 offset1:5
	ds_write2_b64 v248, v[178:179], v[180:181] offset0:6 offset1:7
	ds_write2_b64 v248, v[182:183], v[184:185] offset0:8 offset1:9
	v_mov_b32_e32 v174, v148
	v_mov_b32_e32 v175, v149
	v_mov_b32_e32 v176, v132
	v_mov_b32_e32 v177, v133
	v_mov_b32_e32 v178, v146
	v_mov_b32_e32 v179, v147
	v_mov_b32_e32 v180, v130
	v_mov_b32_e32 v181, v131
	v_mov_b32_e32 v182, v144
	v_mov_b32_e32 v183, v145
	v_mov_b32_e32 v184, v128
	v_mov_b32_e32 v185, v129
	v_mov_b32_e32 v186, v142
	v_mov_b32_e32 v187, v143
	v_mov_b32_e32 v188, v126
	v_mov_b32_e32 v189, v127
	v_mov_b32_e32 v190, v140
	v_mov_b32_e32 v191, v141
	v_mov_b32_e32 v192, v104
	v_mov_b32_e32 v193, v105
	ds_write2_b64 v248, v[174:175], v[176:177] offset0:10 offset1:11
	ds_write2_b64 v248, v[178:179], v[180:181] offset0:12 offset1:13
	ds_write2_b64 v248, v[182:183], v[184:185] offset0:14 offset1:15
	ds_write2_b64 v248, v[186:187], v[188:189] offset0:16 offset1:17
	ds_write2_b64 v248, v[190:191], v[192:193] offset0:18 offset1:19
	v_mov_b32_e32 v174, v124
	v_mov_b32_e32 v175, v125
	v_mov_b32_e32 v176, v102
	v_mov_b32_e32 v177, v103
	v_mov_b32_e32 v178, v122
	v_mov_b32_e32 v179, v123
	v_mov_b32_e32 v180, v100
	v_mov_b32_e32 v181, v101
	v_mov_b32_e32 v182, v120
	v_mov_b32_e32 v183, v121
	v_mov_b32_e32 v184, v98
	v_mov_b32_e32 v185, v99
	v_mov_b32_e32 v186, v118
	v_mov_b32_e32 v187, v119
	v_mov_b32_e32 v188, v96
	v_mov_b32_e32 v189, v97
	v_mov_b32_e32 v190, v116
	v_mov_b32_e32 v191, v117
	v_mov_b32_e32 v192, v94
	v_mov_b32_e32 v193, v95
	ds_write2_b64 v248, v[174:175], v[176:177] offset0:20 offset1:21
	ds_write2_b64 v248, v[178:179], v[180:181] offset0:22 offset1:23
	;; [unrolled: 25-line block ×3, first 2 shown]
	ds_write2_b64 v248, v[182:183], v[184:185] offset0:34 offset1:35
	ds_write2_b64 v248, v[186:187], v[188:189] offset0:36 offset1:37
	;; [unrolled: 1-line block ×3, first 2 shown]
	ds_write_b64 v248, v[158:159] offset:320
	ds_read_b64 v[174:175], v1
	s_waitcnt lgkmcnt(0)
	v_cmp_neq_f64_e32 vcc_lo, 0, v[174:175]
	s_and_b32 exec_lo, exec_lo, vcc_lo
	s_cbranch_execz .LBB81_19
; %bb.18:
	v_div_scale_f64 v[176:177], null, v[174:175], v[174:175], 1.0
	v_rcp_f64_e32 v[178:179], v[176:177]
	v_fma_f64 v[180:181], -v[176:177], v[178:179], 1.0
	v_fma_f64 v[178:179], v[178:179], v[180:181], v[178:179]
	v_fma_f64 v[180:181], -v[176:177], v[178:179], 1.0
	v_fma_f64 v[178:179], v[178:179], v[180:181], v[178:179]
	v_div_scale_f64 v[180:181], vcc_lo, 1.0, v[174:175], 1.0
	v_mul_f64 v[182:183], v[180:181], v[178:179]
	v_fma_f64 v[176:177], -v[176:177], v[182:183], v[180:181]
	v_div_fmas_f64 v[176:177], v[176:177], v[178:179], v[182:183]
	v_div_fixup_f64 v[174:175], v[176:177], v[174:175], 1.0
	ds_write_b64 v1, v[174:175]
.LBB81_19:
	s_or_b32 exec_lo, exec_lo, s1
	s_waitcnt lgkmcnt(0)
	s_barrier
	buffer_gl0_inv
	ds_read_b64 v[174:175], v1
	s_mov_b32 s1, exec_lo
	v_cmpx_lt_u32_e32 3, v0
	s_cbranch_execz .LBB81_21
; %bb.20:
	s_waitcnt lgkmcnt(0)
	v_mul_f64 v[162:163], v[174:175], v[162:163]
	ds_read2_b64 v[176:179], v248 offset0:4 offset1:5
	ds_read2_b64 v[180:183], v248 offset0:6 offset1:7
	;; [unrolled: 1-line block ×12, first 2 shown]
	s_waitcnt lgkmcnt(11)
	v_fma_f64 v[154:155], -v[162:163], v[176:177], v[154:155]
	v_fma_f64 v[138:139], -v[162:163], v[178:179], v[138:139]
	s_waitcnt lgkmcnt(10)
	v_fma_f64 v[152:153], -v[162:163], v[180:181], v[152:153]
	v_fma_f64 v[136:137], -v[162:163], v[182:183], v[136:137]
	;; [unrolled: 3-line block ×5, first 2 shown]
	s_waitcnt lgkmcnt(6)
	v_fma_f64 v[144:145], -v[162:163], v[196:197], v[144:145]
	ds_read2_b64 v[176:179], v248 offset0:28 offset1:29
	ds_read2_b64 v[180:183], v248 offset0:30 offset1:31
	v_fma_f64 v[128:129], -v[162:163], v[198:199], v[128:129]
	s_waitcnt lgkmcnt(7)
	v_fma_f64 v[142:143], -v[162:163], v[200:201], v[142:143]
	ds_read2_b64 v[184:187], v248 offset0:32 offset1:33
	ds_read2_b64 v[188:191], v248 offset0:34 offset1:35
	;; [unrolled: 1-line block ×4, first 2 shown]
	ds_read_b64 v[200:201], v248 offset:320
	v_fma_f64 v[126:127], -v[162:163], v[202:203], v[126:127]
	s_waitcnt lgkmcnt(11)
	v_fma_f64 v[140:141], -v[162:163], v[204:205], v[140:141]
	v_fma_f64 v[104:105], -v[162:163], v[206:207], v[104:105]
	s_waitcnt lgkmcnt(10)
	v_fma_f64 v[124:125], -v[162:163], v[208:209], v[124:125]
	;; [unrolled: 3-line block ×12, first 2 shown]
.LBB81_21:
	s_or_b32 exec_lo, exec_lo, s1
	s_mov_b32 s1, exec_lo
	s_waitcnt lgkmcnt(0)
	s_barrier
	buffer_gl0_inv
	v_cmpx_eq_u32_e32 4, v0
	s_cbranch_execz .LBB81_24
; %bb.22:
	ds_write_b64 v1, v[154:155]
	ds_write2_b64 v248, v[138:139], v[152:153] offset0:5 offset1:6
	ds_write2_b64 v248, v[136:137], v[150:151] offset0:7 offset1:8
	;; [unrolled: 1-line block ×18, first 2 shown]
	ds_read_b64 v[176:177], v1
	s_waitcnt lgkmcnt(0)
	v_cmp_neq_f64_e32 vcc_lo, 0, v[176:177]
	s_and_b32 exec_lo, exec_lo, vcc_lo
	s_cbranch_execz .LBB81_24
; %bb.23:
	v_div_scale_f64 v[178:179], null, v[176:177], v[176:177], 1.0
	v_rcp_f64_e32 v[180:181], v[178:179]
	v_fma_f64 v[182:183], -v[178:179], v[180:181], 1.0
	v_fma_f64 v[180:181], v[180:181], v[182:183], v[180:181]
	v_fma_f64 v[182:183], -v[178:179], v[180:181], 1.0
	v_fma_f64 v[180:181], v[180:181], v[182:183], v[180:181]
	v_div_scale_f64 v[182:183], vcc_lo, 1.0, v[176:177], 1.0
	v_mul_f64 v[184:185], v[182:183], v[180:181]
	v_fma_f64 v[178:179], -v[178:179], v[184:185], v[182:183]
	v_div_fmas_f64 v[178:179], v[178:179], v[180:181], v[184:185]
	v_div_fixup_f64 v[176:177], v[178:179], v[176:177], 1.0
	ds_write_b64 v1, v[176:177]
.LBB81_24:
	s_or_b32 exec_lo, exec_lo, s1
	s_waitcnt lgkmcnt(0)
	s_barrier
	buffer_gl0_inv
	ds_read_b64 v[176:177], v1
	s_mov_b32 s1, exec_lo
	v_cmpx_lt_u32_e32 4, v0
	s_cbranch_execz .LBB81_26
; %bb.25:
	s_waitcnt lgkmcnt(0)
	v_mul_f64 v[154:155], v[176:177], v[154:155]
	ds_read2_b64 v[178:181], v248 offset0:5 offset1:6
	ds_read2_b64 v[182:185], v248 offset0:7 offset1:8
	;; [unrolled: 1-line block ×12, first 2 shown]
	s_waitcnt lgkmcnt(11)
	v_fma_f64 v[138:139], -v[154:155], v[178:179], v[138:139]
	v_fma_f64 v[152:153], -v[154:155], v[180:181], v[152:153]
	s_waitcnt lgkmcnt(10)
	v_fma_f64 v[136:137], -v[154:155], v[182:183], v[136:137]
	v_fma_f64 v[150:151], -v[154:155], v[184:185], v[150:151]
	;; [unrolled: 3-line block ×5, first 2 shown]
	ds_read2_b64 v[178:181], v248 offset0:29 offset1:30
	ds_read2_b64 v[182:185], v248 offset0:31 offset1:32
	s_waitcnt lgkmcnt(8)
	v_fma_f64 v[128:129], -v[154:155], v[198:199], v[128:129]
	v_fma_f64 v[142:143], -v[154:155], v[200:201], v[142:143]
	ds_read2_b64 v[186:189], v248 offset0:33 offset1:34
	ds_read2_b64 v[190:193], v248 offset0:35 offset1:36
	;; [unrolled: 1-line block ×4, first 2 shown]
	s_waitcnt lgkmcnt(11)
	v_fma_f64 v[126:127], -v[154:155], v[202:203], v[126:127]
	v_fma_f64 v[140:141], -v[154:155], v[204:205], v[140:141]
	s_waitcnt lgkmcnt(10)
	v_fma_f64 v[104:105], -v[154:155], v[206:207], v[104:105]
	v_fma_f64 v[124:125], -v[154:155], v[208:209], v[124:125]
	;; [unrolled: 3-line block ×12, first 2 shown]
.LBB81_26:
	s_or_b32 exec_lo, exec_lo, s1
	s_mov_b32 s1, exec_lo
	s_waitcnt lgkmcnt(0)
	s_barrier
	buffer_gl0_inv
	v_cmpx_eq_u32_e32 5, v0
	s_cbranch_execz .LBB81_29
; %bb.27:
	v_mov_b32_e32 v178, v152
	v_mov_b32_e32 v179, v153
	;; [unrolled: 1-line block ×8, first 2 shown]
	ds_write_b64 v1, v[138:139]
	ds_write2_b64 v248, v[178:179], v[180:181] offset0:6 offset1:7
	ds_write2_b64 v248, v[182:183], v[184:185] offset0:8 offset1:9
	v_mov_b32_e32 v178, v148
	v_mov_b32_e32 v179, v149
	v_mov_b32_e32 v180, v132
	v_mov_b32_e32 v181, v133
	v_mov_b32_e32 v182, v146
	v_mov_b32_e32 v183, v147
	v_mov_b32_e32 v184, v130
	v_mov_b32_e32 v185, v131
	v_mov_b32_e32 v186, v144
	v_mov_b32_e32 v187, v145
	v_mov_b32_e32 v188, v128
	v_mov_b32_e32 v189, v129
	v_mov_b32_e32 v190, v142
	v_mov_b32_e32 v191, v143
	v_mov_b32_e32 v192, v126
	v_mov_b32_e32 v193, v127
	v_mov_b32_e32 v194, v140
	v_mov_b32_e32 v195, v141
	v_mov_b32_e32 v196, v104
	v_mov_b32_e32 v197, v105
	ds_write2_b64 v248, v[178:179], v[180:181] offset0:10 offset1:11
	ds_write2_b64 v248, v[182:183], v[184:185] offset0:12 offset1:13
	ds_write2_b64 v248, v[186:187], v[188:189] offset0:14 offset1:15
	ds_write2_b64 v248, v[190:191], v[192:193] offset0:16 offset1:17
	ds_write2_b64 v248, v[194:195], v[196:197] offset0:18 offset1:19
	v_mov_b32_e32 v178, v124
	v_mov_b32_e32 v179, v125
	v_mov_b32_e32 v180, v102
	v_mov_b32_e32 v181, v103
	v_mov_b32_e32 v182, v122
	v_mov_b32_e32 v183, v123
	v_mov_b32_e32 v184, v100
	v_mov_b32_e32 v185, v101
	v_mov_b32_e32 v186, v120
	v_mov_b32_e32 v187, v121
	v_mov_b32_e32 v188, v98
	v_mov_b32_e32 v189, v99
	v_mov_b32_e32 v190, v118
	v_mov_b32_e32 v191, v119
	v_mov_b32_e32 v192, v96
	v_mov_b32_e32 v193, v97
	v_mov_b32_e32 v194, v116
	v_mov_b32_e32 v195, v117
	v_mov_b32_e32 v196, v94
	v_mov_b32_e32 v197, v95
	ds_write2_b64 v248, v[178:179], v[180:181] offset0:20 offset1:21
	ds_write2_b64 v248, v[182:183], v[184:185] offset0:22 offset1:23
	ds_write2_b64 v248, v[186:187], v[188:189] offset0:24 offset1:25
	ds_write2_b64 v248, v[190:191], v[192:193] offset0:26 offset1:27
	ds_write2_b64 v248, v[194:195], v[196:197] offset0:28 offset1:29
	v_mov_b32_e32 v178, v114
	v_mov_b32_e32 v179, v115
	v_mov_b32_e32 v180, v92
	v_mov_b32_e32 v181, v93
	v_mov_b32_e32 v182, v112
	v_mov_b32_e32 v183, v113
	v_mov_b32_e32 v184, v90
	v_mov_b32_e32 v185, v91
	v_mov_b32_e32 v186, v110
	v_mov_b32_e32 v187, v111
	v_mov_b32_e32 v188, v88
	v_mov_b32_e32 v189, v89
	v_mov_b32_e32 v190, v108
	v_mov_b32_e32 v191, v109
	v_mov_b32_e32 v192, v86
	v_mov_b32_e32 v193, v87
	v_mov_b32_e32 v194, v106
	v_mov_b32_e32 v195, v107
	v_mov_b32_e32 v196, v84
	v_mov_b32_e32 v197, v85
	ds_write2_b64 v248, v[178:179], v[180:181] offset0:30 offset1:31
	ds_write2_b64 v248, v[182:183], v[184:185] offset0:32 offset1:33
	ds_write2_b64 v248, v[186:187], v[188:189] offset0:34 offset1:35
	ds_write2_b64 v248, v[190:191], v[192:193] offset0:36 offset1:37
	ds_write2_b64 v248, v[194:195], v[196:197] offset0:38 offset1:39
	ds_write_b64 v248, v[158:159] offset:320
	ds_read_b64 v[178:179], v1
	s_waitcnt lgkmcnt(0)
	v_cmp_neq_f64_e32 vcc_lo, 0, v[178:179]
	s_and_b32 exec_lo, exec_lo, vcc_lo
	s_cbranch_execz .LBB81_29
; %bb.28:
	v_div_scale_f64 v[180:181], null, v[178:179], v[178:179], 1.0
	v_rcp_f64_e32 v[182:183], v[180:181]
	v_fma_f64 v[184:185], -v[180:181], v[182:183], 1.0
	v_fma_f64 v[182:183], v[182:183], v[184:185], v[182:183]
	v_fma_f64 v[184:185], -v[180:181], v[182:183], 1.0
	v_fma_f64 v[182:183], v[182:183], v[184:185], v[182:183]
	v_div_scale_f64 v[184:185], vcc_lo, 1.0, v[178:179], 1.0
	v_mul_f64 v[186:187], v[184:185], v[182:183]
	v_fma_f64 v[180:181], -v[180:181], v[186:187], v[184:185]
	v_div_fmas_f64 v[180:181], v[180:181], v[182:183], v[186:187]
	v_div_fixup_f64 v[178:179], v[180:181], v[178:179], 1.0
	ds_write_b64 v1, v[178:179]
.LBB81_29:
	s_or_b32 exec_lo, exec_lo, s1
	s_waitcnt lgkmcnt(0)
	s_barrier
	buffer_gl0_inv
	ds_read_b64 v[178:179], v1
	s_mov_b32 s1, exec_lo
	v_cmpx_lt_u32_e32 5, v0
	s_cbranch_execz .LBB81_31
; %bb.30:
	s_waitcnt lgkmcnt(0)
	v_mul_f64 v[138:139], v[178:179], v[138:139]
	ds_read2_b64 v[180:183], v248 offset0:6 offset1:7
	ds_read2_b64 v[184:187], v248 offset0:8 offset1:9
	;; [unrolled: 1-line block ×12, first 2 shown]
	s_waitcnt lgkmcnt(11)
	v_fma_f64 v[152:153], -v[138:139], v[180:181], v[152:153]
	v_fma_f64 v[136:137], -v[138:139], v[182:183], v[136:137]
	s_waitcnt lgkmcnt(10)
	v_fma_f64 v[150:151], -v[138:139], v[184:185], v[150:151]
	v_fma_f64 v[134:135], -v[138:139], v[186:187], v[134:135]
	;; [unrolled: 3-line block ×5, first 2 shown]
	ds_read2_b64 v[180:183], v248 offset0:30 offset1:31
	ds_read2_b64 v[184:187], v248 offset0:32 offset1:33
	s_waitcnt lgkmcnt(8)
	v_fma_f64 v[142:143], -v[138:139], v[200:201], v[142:143]
	ds_read2_b64 v[188:191], v248 offset0:34 offset1:35
	ds_read2_b64 v[192:195], v248 offset0:36 offset1:37
	;; [unrolled: 1-line block ×3, first 2 shown]
	ds_read_b64 v[200:201], v248 offset:320
	v_fma_f64 v[126:127], -v[138:139], v[202:203], v[126:127]
	s_waitcnt lgkmcnt(11)
	v_fma_f64 v[140:141], -v[138:139], v[204:205], v[140:141]
	v_fma_f64 v[104:105], -v[138:139], v[206:207], v[104:105]
	s_waitcnt lgkmcnt(10)
	v_fma_f64 v[124:125], -v[138:139], v[208:209], v[124:125]
	v_fma_f64 v[102:103], -v[138:139], v[210:211], v[102:103]
	s_waitcnt lgkmcnt(9)
	v_fma_f64 v[122:123], -v[138:139], v[212:213], v[122:123]
	v_fma_f64 v[100:101], -v[138:139], v[214:215], v[100:101]
	s_waitcnt lgkmcnt(8)
	v_fma_f64 v[120:121], -v[138:139], v[216:217], v[120:121]
	v_fma_f64 v[98:99], -v[138:139], v[218:219], v[98:99]
	s_waitcnt lgkmcnt(7)
	v_fma_f64 v[118:119], -v[138:139], v[220:221], v[118:119]
	v_fma_f64 v[96:97], -v[138:139], v[222:223], v[96:97]
	s_waitcnt lgkmcnt(6)
	v_fma_f64 v[116:117], -v[138:139], v[224:225], v[116:117]
	v_fma_f64 v[94:95], -v[138:139], v[226:227], v[94:95]
	s_waitcnt lgkmcnt(5)
	v_fma_f64 v[114:115], -v[138:139], v[180:181], v[114:115]
	v_fma_f64 v[92:93], -v[138:139], v[182:183], v[92:93]
	s_waitcnt lgkmcnt(4)
	v_fma_f64 v[112:113], -v[138:139], v[184:185], v[112:113]
	v_fma_f64 v[90:91], -v[138:139], v[186:187], v[90:91]
	s_waitcnt lgkmcnt(3)
	v_fma_f64 v[110:111], -v[138:139], v[188:189], v[110:111]
	v_fma_f64 v[88:89], -v[138:139], v[190:191], v[88:89]
	s_waitcnt lgkmcnt(2)
	v_fma_f64 v[108:109], -v[138:139], v[192:193], v[108:109]
	v_fma_f64 v[86:87], -v[138:139], v[194:195], v[86:87]
	s_waitcnt lgkmcnt(1)
	v_fma_f64 v[106:107], -v[138:139], v[196:197], v[106:107]
	v_fma_f64 v[84:85], -v[138:139], v[198:199], v[84:85]
	s_waitcnt lgkmcnt(0)
	v_fma_f64 v[158:159], -v[138:139], v[200:201], v[158:159]
.LBB81_31:
	s_or_b32 exec_lo, exec_lo, s1
	s_mov_b32 s1, exec_lo
	s_waitcnt lgkmcnt(0)
	s_barrier
	buffer_gl0_inv
	v_cmpx_eq_u32_e32 6, v0
	s_cbranch_execz .LBB81_34
; %bb.32:
	ds_write_b64 v1, v[152:153]
	ds_write2_b64 v248, v[136:137], v[150:151] offset0:7 offset1:8
	ds_write2_b64 v248, v[134:135], v[148:149] offset0:9 offset1:10
	;; [unrolled: 1-line block ×17, first 2 shown]
	ds_read_b64 v[180:181], v1
	s_waitcnt lgkmcnt(0)
	v_cmp_neq_f64_e32 vcc_lo, 0, v[180:181]
	s_and_b32 exec_lo, exec_lo, vcc_lo
	s_cbranch_execz .LBB81_34
; %bb.33:
	v_div_scale_f64 v[182:183], null, v[180:181], v[180:181], 1.0
	v_rcp_f64_e32 v[184:185], v[182:183]
	v_fma_f64 v[186:187], -v[182:183], v[184:185], 1.0
	v_fma_f64 v[184:185], v[184:185], v[186:187], v[184:185]
	v_fma_f64 v[186:187], -v[182:183], v[184:185], 1.0
	v_fma_f64 v[184:185], v[184:185], v[186:187], v[184:185]
	v_div_scale_f64 v[186:187], vcc_lo, 1.0, v[180:181], 1.0
	v_mul_f64 v[188:189], v[186:187], v[184:185]
	v_fma_f64 v[182:183], -v[182:183], v[188:189], v[186:187]
	v_div_fmas_f64 v[182:183], v[182:183], v[184:185], v[188:189]
	v_div_fixup_f64 v[180:181], v[182:183], v[180:181], 1.0
	ds_write_b64 v1, v[180:181]
.LBB81_34:
	s_or_b32 exec_lo, exec_lo, s1
	s_waitcnt lgkmcnt(0)
	s_barrier
	buffer_gl0_inv
	ds_read_b64 v[180:181], v1
	s_mov_b32 s1, exec_lo
	v_cmpx_lt_u32_e32 6, v0
	s_cbranch_execz .LBB81_36
; %bb.35:
	s_waitcnt lgkmcnt(0)
	v_mul_f64 v[152:153], v[180:181], v[152:153]
	ds_read2_b64 v[182:185], v248 offset0:7 offset1:8
	ds_read2_b64 v[186:189], v248 offset0:9 offset1:10
	;; [unrolled: 1-line block ×13, first 2 shown]
	s_waitcnt lgkmcnt(12)
	v_fma_f64 v[136:137], -v[152:153], v[182:183], v[136:137]
	v_fma_f64 v[150:151], -v[152:153], v[184:185], v[150:151]
	s_waitcnt lgkmcnt(11)
	v_fma_f64 v[134:135], -v[152:153], v[186:187], v[134:135]
	v_fma_f64 v[148:149], -v[152:153], v[188:189], v[148:149]
	;; [unrolled: 3-line block ×4, first 2 shown]
	ds_read2_b64 v[182:185], v248 offset0:33 offset1:34
	ds_read2_b64 v[186:189], v248 offset0:35 offset1:36
	;; [unrolled: 1-line block ×4, first 2 shown]
	s_waitcnt lgkmcnt(12)
	v_fma_f64 v[128:129], -v[152:153], v[198:199], v[128:129]
	v_fma_f64 v[142:143], -v[152:153], v[200:201], v[142:143]
	s_waitcnt lgkmcnt(11)
	v_fma_f64 v[126:127], -v[152:153], v[202:203], v[126:127]
	v_fma_f64 v[140:141], -v[152:153], v[204:205], v[140:141]
	;; [unrolled: 3-line block ×13, first 2 shown]
.LBB81_36:
	s_or_b32 exec_lo, exec_lo, s1
	s_mov_b32 s1, exec_lo
	s_waitcnt lgkmcnt(0)
	s_barrier
	buffer_gl0_inv
	v_cmpx_eq_u32_e32 7, v0
	s_cbranch_execz .LBB81_39
; %bb.37:
	v_mov_b32_e32 v182, v150
	v_mov_b32_e32 v183, v151
	;; [unrolled: 1-line block ×4, first 2 shown]
	ds_write_b64 v1, v[136:137]
	ds_write2_b64 v248, v[182:183], v[184:185] offset0:8 offset1:9
	v_mov_b32_e32 v182, v148
	v_mov_b32_e32 v183, v149
	v_mov_b32_e32 v184, v132
	v_mov_b32_e32 v185, v133
	v_mov_b32_e32 v186, v146
	v_mov_b32_e32 v187, v147
	v_mov_b32_e32 v188, v130
	v_mov_b32_e32 v189, v131
	v_mov_b32_e32 v190, v144
	v_mov_b32_e32 v191, v145
	v_mov_b32_e32 v192, v128
	v_mov_b32_e32 v193, v129
	v_mov_b32_e32 v194, v142
	v_mov_b32_e32 v195, v143
	v_mov_b32_e32 v196, v126
	v_mov_b32_e32 v197, v127
	v_mov_b32_e32 v198, v140
	v_mov_b32_e32 v199, v141
	v_mov_b32_e32 v200, v104
	v_mov_b32_e32 v201, v105
	ds_write2_b64 v248, v[182:183], v[184:185] offset0:10 offset1:11
	ds_write2_b64 v248, v[186:187], v[188:189] offset0:12 offset1:13
	ds_write2_b64 v248, v[190:191], v[192:193] offset0:14 offset1:15
	ds_write2_b64 v248, v[194:195], v[196:197] offset0:16 offset1:17
	ds_write2_b64 v248, v[198:199], v[200:201] offset0:18 offset1:19
	v_mov_b32_e32 v182, v124
	v_mov_b32_e32 v183, v125
	v_mov_b32_e32 v184, v102
	v_mov_b32_e32 v185, v103
	v_mov_b32_e32 v186, v122
	v_mov_b32_e32 v187, v123
	v_mov_b32_e32 v188, v100
	v_mov_b32_e32 v189, v101
	v_mov_b32_e32 v190, v120
	v_mov_b32_e32 v191, v121
	v_mov_b32_e32 v192, v98
	v_mov_b32_e32 v193, v99
	v_mov_b32_e32 v194, v118
	v_mov_b32_e32 v195, v119
	v_mov_b32_e32 v196, v96
	v_mov_b32_e32 v197, v97
	v_mov_b32_e32 v198, v116
	v_mov_b32_e32 v199, v117
	v_mov_b32_e32 v200, v94
	v_mov_b32_e32 v201, v95
	ds_write2_b64 v248, v[182:183], v[184:185] offset0:20 offset1:21
	ds_write2_b64 v248, v[186:187], v[188:189] offset0:22 offset1:23
	ds_write2_b64 v248, v[190:191], v[192:193] offset0:24 offset1:25
	ds_write2_b64 v248, v[194:195], v[196:197] offset0:26 offset1:27
	;; [unrolled: 25-line block ×3, first 2 shown]
	ds_write2_b64 v248, v[198:199], v[200:201] offset0:38 offset1:39
	ds_write_b64 v248, v[158:159] offset:320
	ds_read_b64 v[182:183], v1
	s_waitcnt lgkmcnt(0)
	v_cmp_neq_f64_e32 vcc_lo, 0, v[182:183]
	s_and_b32 exec_lo, exec_lo, vcc_lo
	s_cbranch_execz .LBB81_39
; %bb.38:
	v_div_scale_f64 v[184:185], null, v[182:183], v[182:183], 1.0
	v_rcp_f64_e32 v[186:187], v[184:185]
	v_fma_f64 v[188:189], -v[184:185], v[186:187], 1.0
	v_fma_f64 v[186:187], v[186:187], v[188:189], v[186:187]
	v_fma_f64 v[188:189], -v[184:185], v[186:187], 1.0
	v_fma_f64 v[186:187], v[186:187], v[188:189], v[186:187]
	v_div_scale_f64 v[188:189], vcc_lo, 1.0, v[182:183], 1.0
	v_mul_f64 v[190:191], v[188:189], v[186:187]
	v_fma_f64 v[184:185], -v[184:185], v[190:191], v[188:189]
	v_div_fmas_f64 v[184:185], v[184:185], v[186:187], v[190:191]
	v_div_fixup_f64 v[182:183], v[184:185], v[182:183], 1.0
	ds_write_b64 v1, v[182:183]
.LBB81_39:
	s_or_b32 exec_lo, exec_lo, s1
	s_waitcnt lgkmcnt(0)
	s_barrier
	buffer_gl0_inv
	ds_read_b64 v[182:183], v1
	s_mov_b32 s1, exec_lo
	v_cmpx_lt_u32_e32 7, v0
	s_cbranch_execz .LBB81_41
; %bb.40:
	s_waitcnt lgkmcnt(0)
	v_mul_f64 v[136:137], v[182:183], v[136:137]
	ds_read2_b64 v[184:187], v248 offset0:8 offset1:9
	ds_read2_b64 v[188:191], v248 offset0:10 offset1:11
	;; [unrolled: 1-line block ×13, first 2 shown]
	s_waitcnt lgkmcnt(12)
	v_fma_f64 v[150:151], -v[136:137], v[184:185], v[150:151]
	v_fma_f64 v[134:135], -v[136:137], v[186:187], v[134:135]
	s_waitcnt lgkmcnt(11)
	v_fma_f64 v[148:149], -v[136:137], v[188:189], v[148:149]
	v_fma_f64 v[132:133], -v[136:137], v[190:191], v[132:133]
	;; [unrolled: 3-line block ×3, first 2 shown]
	s_waitcnt lgkmcnt(9)
	v_fma_f64 v[144:145], -v[136:137], v[196:197], v[144:145]
	ds_read2_b64 v[184:187], v248 offset0:34 offset1:35
	ds_read2_b64 v[188:191], v248 offset0:36 offset1:37
	;; [unrolled: 1-line block ×3, first 2 shown]
	ds_read_b64 v[196:197], v248 offset:320
	v_fma_f64 v[128:129], -v[136:137], v[198:199], v[128:129]
	s_waitcnt lgkmcnt(12)
	v_fma_f64 v[142:143], -v[136:137], v[200:201], v[142:143]
	v_fma_f64 v[126:127], -v[136:137], v[202:203], v[126:127]
	s_waitcnt lgkmcnt(11)
	v_fma_f64 v[140:141], -v[136:137], v[204:205], v[140:141]
	;; [unrolled: 3-line block ×13, first 2 shown]
.LBB81_41:
	s_or_b32 exec_lo, exec_lo, s1
	s_mov_b32 s1, exec_lo
	s_waitcnt lgkmcnt(0)
	s_barrier
	buffer_gl0_inv
	v_cmpx_eq_u32_e32 8, v0
	s_cbranch_execz .LBB81_44
; %bb.42:
	ds_write_b64 v1, v[150:151]
	ds_write2_b64 v248, v[134:135], v[148:149] offset0:9 offset1:10
	ds_write2_b64 v248, v[132:133], v[146:147] offset0:11 offset1:12
	;; [unrolled: 1-line block ×16, first 2 shown]
	ds_read_b64 v[184:185], v1
	s_waitcnt lgkmcnt(0)
	v_cmp_neq_f64_e32 vcc_lo, 0, v[184:185]
	s_and_b32 exec_lo, exec_lo, vcc_lo
	s_cbranch_execz .LBB81_44
; %bb.43:
	v_div_scale_f64 v[186:187], null, v[184:185], v[184:185], 1.0
	v_rcp_f64_e32 v[188:189], v[186:187]
	v_fma_f64 v[190:191], -v[186:187], v[188:189], 1.0
	v_fma_f64 v[188:189], v[188:189], v[190:191], v[188:189]
	v_fma_f64 v[190:191], -v[186:187], v[188:189], 1.0
	v_fma_f64 v[188:189], v[188:189], v[190:191], v[188:189]
	v_div_scale_f64 v[190:191], vcc_lo, 1.0, v[184:185], 1.0
	v_mul_f64 v[192:193], v[190:191], v[188:189]
	v_fma_f64 v[186:187], -v[186:187], v[192:193], v[190:191]
	v_div_fmas_f64 v[186:187], v[186:187], v[188:189], v[192:193]
	v_div_fixup_f64 v[184:185], v[186:187], v[184:185], 1.0
	ds_write_b64 v1, v[184:185]
.LBB81_44:
	s_or_b32 exec_lo, exec_lo, s1
	s_waitcnt lgkmcnt(0)
	s_barrier
	buffer_gl0_inv
	ds_read_b64 v[184:185], v1
	s_mov_b32 s1, exec_lo
	v_cmpx_lt_u32_e32 8, v0
	s_cbranch_execz .LBB81_46
; %bb.45:
	s_waitcnt lgkmcnt(0)
	v_mul_f64 v[150:151], v[184:185], v[150:151]
	ds_read2_b64 v[186:189], v248 offset0:9 offset1:10
	ds_read2_b64 v[190:193], v248 offset0:11 offset1:12
	;; [unrolled: 1-line block ×13, first 2 shown]
	s_waitcnt lgkmcnt(12)
	v_fma_f64 v[134:135], -v[150:151], v[186:187], v[134:135]
	v_fma_f64 v[148:149], -v[150:151], v[188:189], v[148:149]
	s_waitcnt lgkmcnt(11)
	v_fma_f64 v[132:133], -v[150:151], v[190:191], v[132:133]
	v_fma_f64 v[146:147], -v[150:151], v[192:193], v[146:147]
	;; [unrolled: 3-line block ×3, first 2 shown]
	ds_read2_b64 v[186:189], v248 offset0:35 offset1:36
	ds_read2_b64 v[190:193], v248 offset0:37 offset1:38
	;; [unrolled: 1-line block ×3, first 2 shown]
	s_waitcnt lgkmcnt(12)
	v_fma_f64 v[128:129], -v[150:151], v[198:199], v[128:129]
	v_fma_f64 v[142:143], -v[150:151], v[200:201], v[142:143]
	s_waitcnt lgkmcnt(11)
	v_fma_f64 v[126:127], -v[150:151], v[202:203], v[126:127]
	v_fma_f64 v[140:141], -v[150:151], v[204:205], v[140:141]
	s_waitcnt lgkmcnt(10)
	v_fma_f64 v[104:105], -v[150:151], v[206:207], v[104:105]
	v_fma_f64 v[124:125], -v[150:151], v[208:209], v[124:125]
	s_waitcnt lgkmcnt(9)
	v_fma_f64 v[102:103], -v[150:151], v[210:211], v[102:103]
	v_fma_f64 v[122:123], -v[150:151], v[212:213], v[122:123]
	s_waitcnt lgkmcnt(8)
	v_fma_f64 v[100:101], -v[150:151], v[214:215], v[100:101]
	v_fma_f64 v[120:121], -v[150:151], v[216:217], v[120:121]
	s_waitcnt lgkmcnt(7)
	v_fma_f64 v[98:99], -v[150:151], v[218:219], v[98:99]
	v_fma_f64 v[118:119], -v[150:151], v[220:221], v[118:119]
	s_waitcnt lgkmcnt(6)
	v_fma_f64 v[96:97], -v[150:151], v[222:223], v[96:97]
	v_fma_f64 v[116:117], -v[150:151], v[224:225], v[116:117]
	s_waitcnt lgkmcnt(5)
	v_fma_f64 v[94:95], -v[150:151], v[226:227], v[94:95]
	v_fma_f64 v[114:115], -v[150:151], v[228:229], v[114:115]
	s_waitcnt lgkmcnt(4)
	v_fma_f64 v[92:93], -v[150:151], v[230:231], v[92:93]
	v_fma_f64 v[112:113], -v[150:151], v[232:233], v[112:113]
	s_waitcnt lgkmcnt(3)
	v_fma_f64 v[90:91], -v[150:151], v[234:235], v[90:91]
	v_fma_f64 v[110:111], -v[150:151], v[236:237], v[110:111]
	s_waitcnt lgkmcnt(2)
	v_fma_f64 v[88:89], -v[150:151], v[186:187], v[88:89]
	v_fma_f64 v[108:109], -v[150:151], v[188:189], v[108:109]
	s_waitcnt lgkmcnt(1)
	v_fma_f64 v[86:87], -v[150:151], v[190:191], v[86:87]
	v_fma_f64 v[106:107], -v[150:151], v[192:193], v[106:107]
	s_waitcnt lgkmcnt(0)
	v_fma_f64 v[84:85], -v[150:151], v[194:195], v[84:85]
	v_fma_f64 v[158:159], -v[150:151], v[196:197], v[158:159]
.LBB81_46:
	s_or_b32 exec_lo, exec_lo, s1
	s_mov_b32 s1, exec_lo
	s_waitcnt lgkmcnt(0)
	s_barrier
	buffer_gl0_inv
	v_cmpx_eq_u32_e32 9, v0
	s_cbranch_execz .LBB81_49
; %bb.47:
	v_mov_b32_e32 v186, v148
	v_mov_b32_e32 v187, v149
	;; [unrolled: 1-line block ×20, first 2 shown]
	ds_write_b64 v1, v[134:135]
	ds_write2_b64 v248, v[186:187], v[188:189] offset0:10 offset1:11
	ds_write2_b64 v248, v[190:191], v[192:193] offset0:12 offset1:13
	;; [unrolled: 1-line block ×5, first 2 shown]
	v_mov_b32_e32 v186, v124
	v_mov_b32_e32 v187, v125
	;; [unrolled: 1-line block ×20, first 2 shown]
	ds_write2_b64 v248, v[186:187], v[188:189] offset0:20 offset1:21
	ds_write2_b64 v248, v[190:191], v[192:193] offset0:22 offset1:23
	;; [unrolled: 1-line block ×5, first 2 shown]
	v_mov_b32_e32 v186, v114
	v_mov_b32_e32 v187, v115
	;; [unrolled: 1-line block ×20, first 2 shown]
	ds_write2_b64 v248, v[186:187], v[188:189] offset0:30 offset1:31
	ds_write2_b64 v248, v[190:191], v[192:193] offset0:32 offset1:33
	ds_write2_b64 v248, v[194:195], v[196:197] offset0:34 offset1:35
	ds_write2_b64 v248, v[198:199], v[200:201] offset0:36 offset1:37
	ds_write2_b64 v248, v[202:203], v[204:205] offset0:38 offset1:39
	ds_write_b64 v248, v[158:159] offset:320
	ds_read_b64 v[186:187], v1
	s_waitcnt lgkmcnt(0)
	v_cmp_neq_f64_e32 vcc_lo, 0, v[186:187]
	s_and_b32 exec_lo, exec_lo, vcc_lo
	s_cbranch_execz .LBB81_49
; %bb.48:
	v_div_scale_f64 v[188:189], null, v[186:187], v[186:187], 1.0
	v_rcp_f64_e32 v[190:191], v[188:189]
	v_fma_f64 v[192:193], -v[188:189], v[190:191], 1.0
	v_fma_f64 v[190:191], v[190:191], v[192:193], v[190:191]
	v_fma_f64 v[192:193], -v[188:189], v[190:191], 1.0
	v_fma_f64 v[190:191], v[190:191], v[192:193], v[190:191]
	v_div_scale_f64 v[192:193], vcc_lo, 1.0, v[186:187], 1.0
	v_mul_f64 v[194:195], v[192:193], v[190:191]
	v_fma_f64 v[188:189], -v[188:189], v[194:195], v[192:193]
	v_div_fmas_f64 v[188:189], v[188:189], v[190:191], v[194:195]
	v_div_fixup_f64 v[186:187], v[188:189], v[186:187], 1.0
	ds_write_b64 v1, v[186:187]
.LBB81_49:
	s_or_b32 exec_lo, exec_lo, s1
	s_waitcnt lgkmcnt(0)
	s_barrier
	buffer_gl0_inv
	ds_read_b64 v[186:187], v1
	s_mov_b32 s1, exec_lo
	v_cmpx_lt_u32_e32 9, v0
	s_cbranch_execz .LBB81_51
; %bb.50:
	s_waitcnt lgkmcnt(0)
	v_mul_f64 v[134:135], v[186:187], v[134:135]
	ds_read2_b64 v[188:191], v248 offset0:10 offset1:11
	ds_read2_b64 v[192:195], v248 offset0:12 offset1:13
	;; [unrolled: 1-line block ×13, first 2 shown]
	s_waitcnt lgkmcnt(12)
	v_fma_f64 v[148:149], -v[134:135], v[188:189], v[148:149]
	v_fma_f64 v[132:133], -v[134:135], v[190:191], v[132:133]
	s_waitcnt lgkmcnt(11)
	v_fma_f64 v[146:147], -v[134:135], v[192:193], v[146:147]
	v_fma_f64 v[130:131], -v[134:135], v[194:195], v[130:131]
	s_waitcnt lgkmcnt(10)
	v_fma_f64 v[144:145], -v[134:135], v[196:197], v[144:145]
	ds_read2_b64 v[188:191], v248 offset0:36 offset1:37
	ds_read2_b64 v[192:195], v248 offset0:38 offset1:39
	ds_read_b64 v[196:197], v248 offset:320
	v_fma_f64 v[128:129], -v[134:135], v[198:199], v[128:129]
	s_waitcnt lgkmcnt(12)
	v_fma_f64 v[142:143], -v[134:135], v[200:201], v[142:143]
	v_fma_f64 v[126:127], -v[134:135], v[202:203], v[126:127]
	s_waitcnt lgkmcnt(11)
	v_fma_f64 v[140:141], -v[134:135], v[204:205], v[140:141]
	;; [unrolled: 3-line block ×13, first 2 shown]
.LBB81_51:
	s_or_b32 exec_lo, exec_lo, s1
	s_mov_b32 s1, exec_lo
	s_waitcnt lgkmcnt(0)
	s_barrier
	buffer_gl0_inv
	v_cmpx_eq_u32_e32 10, v0
	s_cbranch_execz .LBB81_54
; %bb.52:
	ds_write_b64 v1, v[148:149]
	ds_write2_b64 v248, v[132:133], v[146:147] offset0:11 offset1:12
	ds_write2_b64 v248, v[130:131], v[144:145] offset0:13 offset1:14
	;; [unrolled: 1-line block ×15, first 2 shown]
	ds_read_b64 v[188:189], v1
	s_waitcnt lgkmcnt(0)
	v_cmp_neq_f64_e32 vcc_lo, 0, v[188:189]
	s_and_b32 exec_lo, exec_lo, vcc_lo
	s_cbranch_execz .LBB81_54
; %bb.53:
	v_div_scale_f64 v[190:191], null, v[188:189], v[188:189], 1.0
	v_rcp_f64_e32 v[192:193], v[190:191]
	v_fma_f64 v[194:195], -v[190:191], v[192:193], 1.0
	v_fma_f64 v[192:193], v[192:193], v[194:195], v[192:193]
	v_fma_f64 v[194:195], -v[190:191], v[192:193], 1.0
	v_fma_f64 v[192:193], v[192:193], v[194:195], v[192:193]
	v_div_scale_f64 v[194:195], vcc_lo, 1.0, v[188:189], 1.0
	v_mul_f64 v[196:197], v[194:195], v[192:193]
	v_fma_f64 v[190:191], -v[190:191], v[196:197], v[194:195]
	v_div_fmas_f64 v[190:191], v[190:191], v[192:193], v[196:197]
	v_div_fixup_f64 v[188:189], v[190:191], v[188:189], 1.0
	ds_write_b64 v1, v[188:189]
.LBB81_54:
	s_or_b32 exec_lo, exec_lo, s1
	s_waitcnt lgkmcnt(0)
	s_barrier
	buffer_gl0_inv
	ds_read_b64 v[188:189], v1
	s_mov_b32 s1, exec_lo
	v_cmpx_lt_u32_e32 10, v0
	s_cbranch_execz .LBB81_56
; %bb.55:
	s_waitcnt lgkmcnt(0)
	v_mul_f64 v[148:149], v[188:189], v[148:149]
	ds_read2_b64 v[190:193], v248 offset0:11 offset1:12
	ds_read2_b64 v[194:197], v248 offset0:13 offset1:14
	;; [unrolled: 1-line block ×14, first 2 shown]
	s_waitcnt lgkmcnt(13)
	v_fma_f64 v[132:133], -v[148:149], v[190:191], v[132:133]
	v_fma_f64 v[146:147], -v[148:149], v[192:193], v[146:147]
	ds_read2_b64 v[190:193], v248 offset0:39 offset1:40
	s_waitcnt lgkmcnt(13)
	v_fma_f64 v[130:131], -v[148:149], v[194:195], v[130:131]
	v_fma_f64 v[144:145], -v[148:149], v[196:197], v[144:145]
	s_waitcnt lgkmcnt(12)
	v_fma_f64 v[128:129], -v[148:149], v[198:199], v[128:129]
	v_fma_f64 v[142:143], -v[148:149], v[200:201], v[142:143]
	;; [unrolled: 3-line block ×14, first 2 shown]
.LBB81_56:
	s_or_b32 exec_lo, exec_lo, s1
	s_mov_b32 s1, exec_lo
	s_waitcnt lgkmcnt(0)
	s_barrier
	buffer_gl0_inv
	v_cmpx_eq_u32_e32 11, v0
	s_cbranch_execz .LBB81_59
; %bb.57:
	v_mov_b32_e32 v190, v146
	v_mov_b32_e32 v191, v147
	;; [unrolled: 1-line block ×16, first 2 shown]
	ds_write_b64 v1, v[132:133]
	ds_write2_b64 v248, v[190:191], v[192:193] offset0:12 offset1:13
	ds_write2_b64 v248, v[194:195], v[196:197] offset0:14 offset1:15
	;; [unrolled: 1-line block ×4, first 2 shown]
	v_mov_b32_e32 v190, v124
	v_mov_b32_e32 v191, v125
	;; [unrolled: 1-line block ×20, first 2 shown]
	ds_write2_b64 v248, v[190:191], v[192:193] offset0:20 offset1:21
	ds_write2_b64 v248, v[194:195], v[196:197] offset0:22 offset1:23
	;; [unrolled: 1-line block ×5, first 2 shown]
	v_mov_b32_e32 v190, v114
	v_mov_b32_e32 v191, v115
	;; [unrolled: 1-line block ×20, first 2 shown]
	ds_write2_b64 v248, v[190:191], v[192:193] offset0:30 offset1:31
	ds_write2_b64 v248, v[194:195], v[196:197] offset0:32 offset1:33
	;; [unrolled: 1-line block ×5, first 2 shown]
	ds_write_b64 v248, v[158:159] offset:320
	ds_read_b64 v[190:191], v1
	s_waitcnt lgkmcnt(0)
	v_cmp_neq_f64_e32 vcc_lo, 0, v[190:191]
	s_and_b32 exec_lo, exec_lo, vcc_lo
	s_cbranch_execz .LBB81_59
; %bb.58:
	v_div_scale_f64 v[192:193], null, v[190:191], v[190:191], 1.0
	v_rcp_f64_e32 v[194:195], v[192:193]
	v_fma_f64 v[196:197], -v[192:193], v[194:195], 1.0
	v_fma_f64 v[194:195], v[194:195], v[196:197], v[194:195]
	v_fma_f64 v[196:197], -v[192:193], v[194:195], 1.0
	v_fma_f64 v[194:195], v[194:195], v[196:197], v[194:195]
	v_div_scale_f64 v[196:197], vcc_lo, 1.0, v[190:191], 1.0
	v_mul_f64 v[198:199], v[196:197], v[194:195]
	v_fma_f64 v[192:193], -v[192:193], v[198:199], v[196:197]
	v_div_fmas_f64 v[192:193], v[192:193], v[194:195], v[198:199]
	v_div_fixup_f64 v[190:191], v[192:193], v[190:191], 1.0
	ds_write_b64 v1, v[190:191]
.LBB81_59:
	s_or_b32 exec_lo, exec_lo, s1
	s_waitcnt lgkmcnt(0)
	s_barrier
	buffer_gl0_inv
	ds_read_b64 v[190:191], v1
	s_mov_b32 s1, exec_lo
	v_cmpx_lt_u32_e32 11, v0
	s_cbranch_execz .LBB81_61
; %bb.60:
	s_waitcnt lgkmcnt(0)
	v_mul_f64 v[132:133], v[190:191], v[132:133]
	ds_read2_b64 v[192:195], v248 offset0:12 offset1:13
	ds_read2_b64 v[196:199], v248 offset0:14 offset1:15
	;; [unrolled: 1-line block ×14, first 2 shown]
	s_waitcnt lgkmcnt(13)
	v_fma_f64 v[146:147], -v[132:133], v[192:193], v[146:147]
	ds_read_b64 v[192:193], v248 offset:320
	v_fma_f64 v[130:131], -v[132:133], v[194:195], v[130:131]
	s_waitcnt lgkmcnt(13)
	v_fma_f64 v[144:145], -v[132:133], v[196:197], v[144:145]
	v_fma_f64 v[128:129], -v[132:133], v[198:199], v[128:129]
	s_waitcnt lgkmcnt(12)
	v_fma_f64 v[142:143], -v[132:133], v[200:201], v[142:143]
	;; [unrolled: 3-line block ×14, first 2 shown]
.LBB81_61:
	s_or_b32 exec_lo, exec_lo, s1
	s_mov_b32 s1, exec_lo
	s_waitcnt lgkmcnt(0)
	s_barrier
	buffer_gl0_inv
	v_cmpx_eq_u32_e32 12, v0
	s_cbranch_execz .LBB81_64
; %bb.62:
	ds_write_b64 v1, v[146:147]
	ds_write2_b64 v248, v[130:131], v[144:145] offset0:13 offset1:14
	ds_write2_b64 v248, v[128:129], v[142:143] offset0:15 offset1:16
	;; [unrolled: 1-line block ×14, first 2 shown]
	ds_read_b64 v[192:193], v1
	s_waitcnt lgkmcnt(0)
	v_cmp_neq_f64_e32 vcc_lo, 0, v[192:193]
	s_and_b32 exec_lo, exec_lo, vcc_lo
	s_cbranch_execz .LBB81_64
; %bb.63:
	v_div_scale_f64 v[194:195], null, v[192:193], v[192:193], 1.0
	v_rcp_f64_e32 v[196:197], v[194:195]
	v_fma_f64 v[198:199], -v[194:195], v[196:197], 1.0
	v_fma_f64 v[196:197], v[196:197], v[198:199], v[196:197]
	v_fma_f64 v[198:199], -v[194:195], v[196:197], 1.0
	v_fma_f64 v[196:197], v[196:197], v[198:199], v[196:197]
	v_div_scale_f64 v[198:199], vcc_lo, 1.0, v[192:193], 1.0
	v_mul_f64 v[200:201], v[198:199], v[196:197]
	v_fma_f64 v[194:195], -v[194:195], v[200:201], v[198:199]
	v_div_fmas_f64 v[194:195], v[194:195], v[196:197], v[200:201]
	v_div_fixup_f64 v[192:193], v[194:195], v[192:193], 1.0
	ds_write_b64 v1, v[192:193]
.LBB81_64:
	s_or_b32 exec_lo, exec_lo, s1
	s_waitcnt lgkmcnt(0)
	s_barrier
	buffer_gl0_inv
	ds_read_b64 v[192:193], v1
	s_mov_b32 s1, exec_lo
	v_cmpx_lt_u32_e32 12, v0
	s_cbranch_execz .LBB81_66
; %bb.65:
	s_waitcnt lgkmcnt(0)
	v_mul_f64 v[146:147], v[192:193], v[146:147]
	ds_read2_b64 v[194:197], v248 offset0:13 offset1:14
	ds_read2_b64 v[198:201], v248 offset0:15 offset1:16
	;; [unrolled: 1-line block ×14, first 2 shown]
	s_waitcnt lgkmcnt(13)
	v_fma_f64 v[130:131], -v[146:147], v[194:195], v[130:131]
	v_fma_f64 v[144:145], -v[146:147], v[196:197], v[144:145]
	s_waitcnt lgkmcnt(12)
	v_fma_f64 v[128:129], -v[146:147], v[198:199], v[128:129]
	v_fma_f64 v[142:143], -v[146:147], v[200:201], v[142:143]
	;; [unrolled: 3-line block ×14, first 2 shown]
.LBB81_66:
	s_or_b32 exec_lo, exec_lo, s1
	s_mov_b32 s1, exec_lo
	s_waitcnt lgkmcnt(0)
	s_barrier
	buffer_gl0_inv
	v_cmpx_eq_u32_e32 13, v0
	s_cbranch_execz .LBB81_69
; %bb.67:
	v_mov_b32_e32 v194, v144
	v_mov_b32_e32 v195, v145
	;; [unrolled: 1-line block ×12, first 2 shown]
	ds_write_b64 v1, v[130:131]
	ds_write2_b64 v248, v[194:195], v[196:197] offset0:14 offset1:15
	ds_write2_b64 v248, v[198:199], v[200:201] offset0:16 offset1:17
	;; [unrolled: 1-line block ×3, first 2 shown]
	v_mov_b32_e32 v194, v124
	v_mov_b32_e32 v195, v125
	v_mov_b32_e32 v196, v102
	v_mov_b32_e32 v197, v103
	v_mov_b32_e32 v198, v122
	v_mov_b32_e32 v199, v123
	v_mov_b32_e32 v200, v100
	v_mov_b32_e32 v201, v101
	v_mov_b32_e32 v202, v120
	v_mov_b32_e32 v203, v121
	v_mov_b32_e32 v204, v98
	v_mov_b32_e32 v205, v99
	v_mov_b32_e32 v206, v118
	v_mov_b32_e32 v207, v119
	v_mov_b32_e32 v208, v96
	v_mov_b32_e32 v209, v97
	v_mov_b32_e32 v210, v116
	v_mov_b32_e32 v211, v117
	v_mov_b32_e32 v212, v94
	v_mov_b32_e32 v213, v95
	ds_write2_b64 v248, v[194:195], v[196:197] offset0:20 offset1:21
	ds_write2_b64 v248, v[198:199], v[200:201] offset0:22 offset1:23
	;; [unrolled: 1-line block ×5, first 2 shown]
	v_mov_b32_e32 v194, v114
	v_mov_b32_e32 v195, v115
	;; [unrolled: 1-line block ×20, first 2 shown]
	ds_write2_b64 v248, v[194:195], v[196:197] offset0:30 offset1:31
	ds_write2_b64 v248, v[198:199], v[200:201] offset0:32 offset1:33
	;; [unrolled: 1-line block ×5, first 2 shown]
	ds_write_b64 v248, v[158:159] offset:320
	ds_read_b64 v[194:195], v1
	s_waitcnt lgkmcnt(0)
	v_cmp_neq_f64_e32 vcc_lo, 0, v[194:195]
	s_and_b32 exec_lo, exec_lo, vcc_lo
	s_cbranch_execz .LBB81_69
; %bb.68:
	v_div_scale_f64 v[196:197], null, v[194:195], v[194:195], 1.0
	v_rcp_f64_e32 v[198:199], v[196:197]
	v_fma_f64 v[200:201], -v[196:197], v[198:199], 1.0
	v_fma_f64 v[198:199], v[198:199], v[200:201], v[198:199]
	v_fma_f64 v[200:201], -v[196:197], v[198:199], 1.0
	v_fma_f64 v[198:199], v[198:199], v[200:201], v[198:199]
	v_div_scale_f64 v[200:201], vcc_lo, 1.0, v[194:195], 1.0
	v_mul_f64 v[202:203], v[200:201], v[198:199]
	v_fma_f64 v[196:197], -v[196:197], v[202:203], v[200:201]
	v_div_fmas_f64 v[196:197], v[196:197], v[198:199], v[202:203]
	v_div_fixup_f64 v[194:195], v[196:197], v[194:195], 1.0
	ds_write_b64 v1, v[194:195]
.LBB81_69:
	s_or_b32 exec_lo, exec_lo, s1
	s_waitcnt lgkmcnt(0)
	s_barrier
	buffer_gl0_inv
	ds_read_b64 v[194:195], v1
	s_mov_b32 s1, exec_lo
	v_cmpx_lt_u32_e32 13, v0
	s_cbranch_execz .LBB81_71
; %bb.70:
	s_waitcnt lgkmcnt(0)
	v_mul_f64 v[130:131], v[194:195], v[130:131]
	ds_read2_b64 v[196:199], v248 offset0:14 offset1:15
	ds_read2_b64 v[200:203], v248 offset0:16 offset1:17
	;; [unrolled: 1-line block ×13, first 2 shown]
	ds_read_b64 v[249:250], v248 offset:320
	s_waitcnt lgkmcnt(13)
	v_fma_f64 v[144:145], -v[130:131], v[196:197], v[144:145]
	v_fma_f64 v[128:129], -v[130:131], v[198:199], v[128:129]
	s_waitcnt lgkmcnt(12)
	v_fma_f64 v[142:143], -v[130:131], v[200:201], v[142:143]
	v_fma_f64 v[126:127], -v[130:131], v[202:203], v[126:127]
	;; [unrolled: 3-line block ×13, first 2 shown]
	s_waitcnt lgkmcnt(0)
	v_fma_f64 v[158:159], -v[130:131], v[249:250], v[158:159]
.LBB81_71:
	s_or_b32 exec_lo, exec_lo, s1
	s_mov_b32 s1, exec_lo
	s_waitcnt lgkmcnt(0)
	s_barrier
	buffer_gl0_inv
	v_cmpx_eq_u32_e32 14, v0
	s_cbranch_execz .LBB81_74
; %bb.72:
	ds_write_b64 v1, v[144:145]
	ds_write2_b64 v248, v[128:129], v[142:143] offset0:15 offset1:16
	ds_write2_b64 v248, v[126:127], v[140:141] offset0:17 offset1:18
	ds_write2_b64 v248, v[104:105], v[124:125] offset0:19 offset1:20
	ds_write2_b64 v248, v[102:103], v[122:123] offset0:21 offset1:22
	ds_write2_b64 v248, v[100:101], v[120:121] offset0:23 offset1:24
	ds_write2_b64 v248, v[98:99], v[118:119] offset0:25 offset1:26
	ds_write2_b64 v248, v[96:97], v[116:117] offset0:27 offset1:28
	ds_write2_b64 v248, v[94:95], v[114:115] offset0:29 offset1:30
	ds_write2_b64 v248, v[92:93], v[112:113] offset0:31 offset1:32
	ds_write2_b64 v248, v[90:91], v[110:111] offset0:33 offset1:34
	ds_write2_b64 v248, v[88:89], v[108:109] offset0:35 offset1:36
	ds_write2_b64 v248, v[86:87], v[106:107] offset0:37 offset1:38
	ds_write2_b64 v248, v[84:85], v[158:159] offset0:39 offset1:40
	ds_read_b64 v[196:197], v1
	s_waitcnt lgkmcnt(0)
	v_cmp_neq_f64_e32 vcc_lo, 0, v[196:197]
	s_and_b32 exec_lo, exec_lo, vcc_lo
	s_cbranch_execz .LBB81_74
; %bb.73:
	v_div_scale_f64 v[198:199], null, v[196:197], v[196:197], 1.0
	v_rcp_f64_e32 v[200:201], v[198:199]
	v_fma_f64 v[202:203], -v[198:199], v[200:201], 1.0
	v_fma_f64 v[200:201], v[200:201], v[202:203], v[200:201]
	v_fma_f64 v[202:203], -v[198:199], v[200:201], 1.0
	v_fma_f64 v[200:201], v[200:201], v[202:203], v[200:201]
	v_div_scale_f64 v[202:203], vcc_lo, 1.0, v[196:197], 1.0
	v_mul_f64 v[204:205], v[202:203], v[200:201]
	v_fma_f64 v[198:199], -v[198:199], v[204:205], v[202:203]
	v_div_fmas_f64 v[198:199], v[198:199], v[200:201], v[204:205]
	v_div_fixup_f64 v[196:197], v[198:199], v[196:197], 1.0
	ds_write_b64 v1, v[196:197]
.LBB81_74:
	s_or_b32 exec_lo, exec_lo, s1
	s_waitcnt lgkmcnt(0)
	s_barrier
	buffer_gl0_inv
	ds_read_b64 v[196:197], v1
	s_mov_b32 s1, exec_lo
	v_cmpx_lt_u32_e32 14, v0
	s_cbranch_execz .LBB81_76
; %bb.75:
	s_waitcnt lgkmcnt(0)
	v_mul_f64 v[144:145], v[196:197], v[144:145]
	ds_read2_b64 v[198:201], v248 offset0:15 offset1:16
	ds_read2_b64 v[202:205], v248 offset0:17 offset1:18
	;; [unrolled: 1-line block ×13, first 2 shown]
	s_waitcnt lgkmcnt(12)
	v_fma_f64 v[128:129], -v[144:145], v[198:199], v[128:129]
	v_fma_f64 v[142:143], -v[144:145], v[200:201], v[142:143]
	s_waitcnt lgkmcnt(11)
	v_fma_f64 v[126:127], -v[144:145], v[202:203], v[126:127]
	v_fma_f64 v[140:141], -v[144:145], v[204:205], v[140:141]
	;; [unrolled: 3-line block ×13, first 2 shown]
.LBB81_76:
	s_or_b32 exec_lo, exec_lo, s1
	s_mov_b32 s1, exec_lo
	s_waitcnt lgkmcnt(0)
	s_barrier
	buffer_gl0_inv
	v_cmpx_eq_u32_e32 15, v0
	s_cbranch_execz .LBB81_79
; %bb.77:
	v_mov_b32_e32 v198, v142
	v_mov_b32_e32 v199, v143
	;; [unrolled: 1-line block ×8, first 2 shown]
	ds_write_b64 v1, v[128:129]
	ds_write2_b64 v248, v[198:199], v[200:201] offset0:16 offset1:17
	ds_write2_b64 v248, v[202:203], v[204:205] offset0:18 offset1:19
	v_mov_b32_e32 v198, v124
	v_mov_b32_e32 v199, v125
	;; [unrolled: 1-line block ×20, first 2 shown]
	ds_write2_b64 v248, v[198:199], v[200:201] offset0:20 offset1:21
	ds_write2_b64 v248, v[202:203], v[204:205] offset0:22 offset1:23
	;; [unrolled: 1-line block ×5, first 2 shown]
	v_mov_b32_e32 v198, v114
	v_mov_b32_e32 v199, v115
	;; [unrolled: 1-line block ×20, first 2 shown]
	ds_write2_b64 v248, v[198:199], v[200:201] offset0:30 offset1:31
	ds_write2_b64 v248, v[202:203], v[204:205] offset0:32 offset1:33
	;; [unrolled: 1-line block ×5, first 2 shown]
	ds_write_b64 v248, v[158:159] offset:320
	ds_read_b64 v[198:199], v1
	s_waitcnt lgkmcnt(0)
	v_cmp_neq_f64_e32 vcc_lo, 0, v[198:199]
	s_and_b32 exec_lo, exec_lo, vcc_lo
	s_cbranch_execz .LBB81_79
; %bb.78:
	v_div_scale_f64 v[200:201], null, v[198:199], v[198:199], 1.0
	v_rcp_f64_e32 v[202:203], v[200:201]
	v_fma_f64 v[204:205], -v[200:201], v[202:203], 1.0
	v_fma_f64 v[202:203], v[202:203], v[204:205], v[202:203]
	v_fma_f64 v[204:205], -v[200:201], v[202:203], 1.0
	v_fma_f64 v[202:203], v[202:203], v[204:205], v[202:203]
	v_div_scale_f64 v[204:205], vcc_lo, 1.0, v[198:199], 1.0
	v_mul_f64 v[206:207], v[204:205], v[202:203]
	v_fma_f64 v[200:201], -v[200:201], v[206:207], v[204:205]
	v_div_fmas_f64 v[200:201], v[200:201], v[202:203], v[206:207]
	v_div_fixup_f64 v[198:199], v[200:201], v[198:199], 1.0
	ds_write_b64 v1, v[198:199]
.LBB81_79:
	s_or_b32 exec_lo, exec_lo, s1
	s_waitcnt lgkmcnt(0)
	s_barrier
	buffer_gl0_inv
	ds_read_b64 v[198:199], v1
	s_mov_b32 s1, exec_lo
	v_cmpx_lt_u32_e32 15, v0
	s_cbranch_execz .LBB81_81
; %bb.80:
	s_waitcnt lgkmcnt(0)
	v_mul_f64 v[128:129], v[198:199], v[128:129]
	ds_read2_b64 v[200:203], v248 offset0:16 offset1:17
	ds_read2_b64 v[204:207], v248 offset0:18 offset1:19
	;; [unrolled: 1-line block ×12, first 2 shown]
	ds_read_b64 v[249:250], v248 offset:320
	s_waitcnt lgkmcnt(12)
	v_fma_f64 v[142:143], -v[128:129], v[200:201], v[142:143]
	v_fma_f64 v[126:127], -v[128:129], v[202:203], v[126:127]
	s_waitcnt lgkmcnt(11)
	v_fma_f64 v[140:141], -v[128:129], v[204:205], v[140:141]
	v_fma_f64 v[104:105], -v[128:129], v[206:207], v[104:105]
	;; [unrolled: 3-line block ×12, first 2 shown]
	s_waitcnt lgkmcnt(0)
	v_fma_f64 v[158:159], -v[128:129], v[249:250], v[158:159]
.LBB81_81:
	s_or_b32 exec_lo, exec_lo, s1
	s_mov_b32 s1, exec_lo
	s_waitcnt lgkmcnt(0)
	s_barrier
	buffer_gl0_inv
	v_cmpx_eq_u32_e32 16, v0
	s_cbranch_execz .LBB81_84
; %bb.82:
	ds_write_b64 v1, v[142:143]
	ds_write2_b64 v248, v[126:127], v[140:141] offset0:17 offset1:18
	ds_write2_b64 v248, v[104:105], v[124:125] offset0:19 offset1:20
	;; [unrolled: 1-line block ×12, first 2 shown]
	ds_read_b64 v[200:201], v1
	s_waitcnt lgkmcnt(0)
	v_cmp_neq_f64_e32 vcc_lo, 0, v[200:201]
	s_and_b32 exec_lo, exec_lo, vcc_lo
	s_cbranch_execz .LBB81_84
; %bb.83:
	v_div_scale_f64 v[202:203], null, v[200:201], v[200:201], 1.0
	v_rcp_f64_e32 v[204:205], v[202:203]
	v_fma_f64 v[206:207], -v[202:203], v[204:205], 1.0
	v_fma_f64 v[204:205], v[204:205], v[206:207], v[204:205]
	v_fma_f64 v[206:207], -v[202:203], v[204:205], 1.0
	v_fma_f64 v[204:205], v[204:205], v[206:207], v[204:205]
	v_div_scale_f64 v[206:207], vcc_lo, 1.0, v[200:201], 1.0
	v_mul_f64 v[208:209], v[206:207], v[204:205]
	v_fma_f64 v[202:203], -v[202:203], v[208:209], v[206:207]
	v_div_fmas_f64 v[202:203], v[202:203], v[204:205], v[208:209]
	v_div_fixup_f64 v[200:201], v[202:203], v[200:201], 1.0
	ds_write_b64 v1, v[200:201]
.LBB81_84:
	s_or_b32 exec_lo, exec_lo, s1
	s_waitcnt lgkmcnt(0)
	s_barrier
	buffer_gl0_inv
	ds_read_b64 v[200:201], v1
	s_mov_b32 s1, exec_lo
	v_cmpx_lt_u32_e32 16, v0
	s_cbranch_execz .LBB81_86
; %bb.85:
	s_waitcnt lgkmcnt(0)
	v_mul_f64 v[142:143], v[200:201], v[142:143]
	ds_read2_b64 v[202:205], v248 offset0:17 offset1:18
	ds_read2_b64 v[206:209], v248 offset0:19 offset1:20
	;; [unrolled: 1-line block ×12, first 2 shown]
	s_waitcnt lgkmcnt(11)
	v_fma_f64 v[126:127], -v[142:143], v[202:203], v[126:127]
	v_fma_f64 v[140:141], -v[142:143], v[204:205], v[140:141]
	s_waitcnt lgkmcnt(10)
	v_fma_f64 v[104:105], -v[142:143], v[206:207], v[104:105]
	v_fma_f64 v[124:125], -v[142:143], v[208:209], v[124:125]
	;; [unrolled: 3-line block ×12, first 2 shown]
.LBB81_86:
	s_or_b32 exec_lo, exec_lo, s1
	s_mov_b32 s1, exec_lo
	s_waitcnt lgkmcnt(0)
	s_barrier
	buffer_gl0_inv
	v_cmpx_eq_u32_e32 17, v0
	s_cbranch_execz .LBB81_89
; %bb.87:
	v_mov_b32_e32 v202, v140
	v_mov_b32_e32 v203, v141
	;; [unrolled: 1-line block ×4, first 2 shown]
	ds_write_b64 v1, v[126:127]
	ds_write2_b64 v248, v[202:203], v[204:205] offset0:18 offset1:19
	v_mov_b32_e32 v202, v124
	v_mov_b32_e32 v203, v125
	;; [unrolled: 1-line block ×20, first 2 shown]
	ds_write2_b64 v248, v[202:203], v[204:205] offset0:20 offset1:21
	ds_write2_b64 v248, v[206:207], v[208:209] offset0:22 offset1:23
	;; [unrolled: 1-line block ×5, first 2 shown]
	v_mov_b32_e32 v202, v114
	v_mov_b32_e32 v203, v115
	;; [unrolled: 1-line block ×20, first 2 shown]
	ds_write2_b64 v248, v[202:203], v[204:205] offset0:30 offset1:31
	ds_write2_b64 v248, v[206:207], v[208:209] offset0:32 offset1:33
	;; [unrolled: 1-line block ×5, first 2 shown]
	ds_write_b64 v248, v[158:159] offset:320
	ds_read_b64 v[202:203], v1
	s_waitcnt lgkmcnt(0)
	v_cmp_neq_f64_e32 vcc_lo, 0, v[202:203]
	s_and_b32 exec_lo, exec_lo, vcc_lo
	s_cbranch_execz .LBB81_89
; %bb.88:
	v_div_scale_f64 v[204:205], null, v[202:203], v[202:203], 1.0
	v_rcp_f64_e32 v[206:207], v[204:205]
	v_fma_f64 v[208:209], -v[204:205], v[206:207], 1.0
	v_fma_f64 v[206:207], v[206:207], v[208:209], v[206:207]
	v_fma_f64 v[208:209], -v[204:205], v[206:207], 1.0
	v_fma_f64 v[206:207], v[206:207], v[208:209], v[206:207]
	v_div_scale_f64 v[208:209], vcc_lo, 1.0, v[202:203], 1.0
	v_mul_f64 v[210:211], v[208:209], v[206:207]
	v_fma_f64 v[204:205], -v[204:205], v[210:211], v[208:209]
	v_div_fmas_f64 v[204:205], v[204:205], v[206:207], v[210:211]
	v_div_fixup_f64 v[202:203], v[204:205], v[202:203], 1.0
	ds_write_b64 v1, v[202:203]
.LBB81_89:
	s_or_b32 exec_lo, exec_lo, s1
	s_waitcnt lgkmcnt(0)
	s_barrier
	buffer_gl0_inv
	ds_read_b64 v[202:203], v1
	s_mov_b32 s1, exec_lo
	v_cmpx_lt_u32_e32 17, v0
	s_cbranch_execz .LBB81_91
; %bb.90:
	s_waitcnt lgkmcnt(0)
	v_mul_f64 v[126:127], v[202:203], v[126:127]
	ds_read2_b64 v[204:207], v248 offset0:18 offset1:19
	ds_read2_b64 v[208:211], v248 offset0:20 offset1:21
	ds_read2_b64 v[212:215], v248 offset0:22 offset1:23
	ds_read2_b64 v[216:219], v248 offset0:24 offset1:25
	ds_read2_b64 v[220:223], v248 offset0:26 offset1:27
	ds_read2_b64 v[224:227], v248 offset0:28 offset1:29
	ds_read2_b64 v[228:231], v248 offset0:30 offset1:31
	ds_read2_b64 v[232:235], v248 offset0:32 offset1:33
	ds_read2_b64 v[236:239], v248 offset0:34 offset1:35
	ds_read2_b64 v[240:243], v248 offset0:36 offset1:37
	ds_read2_b64 v[244:247], v248 offset0:38 offset1:39
	ds_read_b64 v[249:250], v248 offset:320
	s_waitcnt lgkmcnt(11)
	v_fma_f64 v[140:141], -v[126:127], v[204:205], v[140:141]
	v_fma_f64 v[104:105], -v[126:127], v[206:207], v[104:105]
	s_waitcnt lgkmcnt(10)
	v_fma_f64 v[124:125], -v[126:127], v[208:209], v[124:125]
	v_fma_f64 v[102:103], -v[126:127], v[210:211], v[102:103]
	;; [unrolled: 3-line block ×11, first 2 shown]
	s_waitcnt lgkmcnt(0)
	v_fma_f64 v[158:159], -v[126:127], v[249:250], v[158:159]
.LBB81_91:
	s_or_b32 exec_lo, exec_lo, s1
	s_mov_b32 s1, exec_lo
	s_waitcnt lgkmcnt(0)
	s_barrier
	buffer_gl0_inv
	v_cmpx_eq_u32_e32 18, v0
	s_cbranch_execz .LBB81_94
; %bb.92:
	ds_write_b64 v1, v[140:141]
	ds_write2_b64 v248, v[104:105], v[124:125] offset0:19 offset1:20
	ds_write2_b64 v248, v[102:103], v[122:123] offset0:21 offset1:22
	;; [unrolled: 1-line block ×11, first 2 shown]
	ds_read_b64 v[204:205], v1
	s_waitcnt lgkmcnt(0)
	v_cmp_neq_f64_e32 vcc_lo, 0, v[204:205]
	s_and_b32 exec_lo, exec_lo, vcc_lo
	s_cbranch_execz .LBB81_94
; %bb.93:
	v_div_scale_f64 v[206:207], null, v[204:205], v[204:205], 1.0
	v_rcp_f64_e32 v[208:209], v[206:207]
	v_fma_f64 v[210:211], -v[206:207], v[208:209], 1.0
	v_fma_f64 v[208:209], v[208:209], v[210:211], v[208:209]
	v_fma_f64 v[210:211], -v[206:207], v[208:209], 1.0
	v_fma_f64 v[208:209], v[208:209], v[210:211], v[208:209]
	v_div_scale_f64 v[210:211], vcc_lo, 1.0, v[204:205], 1.0
	v_mul_f64 v[212:213], v[210:211], v[208:209]
	v_fma_f64 v[206:207], -v[206:207], v[212:213], v[210:211]
	v_div_fmas_f64 v[206:207], v[206:207], v[208:209], v[212:213]
	v_div_fixup_f64 v[204:205], v[206:207], v[204:205], 1.0
	ds_write_b64 v1, v[204:205]
.LBB81_94:
	s_or_b32 exec_lo, exec_lo, s1
	s_waitcnt lgkmcnt(0)
	s_barrier
	buffer_gl0_inv
	ds_read_b64 v[204:205], v1
	s_mov_b32 s1, exec_lo
	v_cmpx_lt_u32_e32 18, v0
	s_cbranch_execz .LBB81_96
; %bb.95:
	s_waitcnt lgkmcnt(0)
	v_mul_f64 v[140:141], v[204:205], v[140:141]
	ds_read2_b64 v[206:209], v248 offset0:19 offset1:20
	ds_read2_b64 v[210:213], v248 offset0:21 offset1:22
	;; [unrolled: 1-line block ×11, first 2 shown]
	s_waitcnt lgkmcnt(10)
	v_fma_f64 v[104:105], -v[140:141], v[206:207], v[104:105]
	v_fma_f64 v[124:125], -v[140:141], v[208:209], v[124:125]
	s_waitcnt lgkmcnt(9)
	v_fma_f64 v[102:103], -v[140:141], v[210:211], v[102:103]
	v_fma_f64 v[122:123], -v[140:141], v[212:213], v[122:123]
	s_waitcnt lgkmcnt(8)
	v_fma_f64 v[100:101], -v[140:141], v[214:215], v[100:101]
	v_fma_f64 v[120:121], -v[140:141], v[216:217], v[120:121]
	s_waitcnt lgkmcnt(7)
	v_fma_f64 v[98:99], -v[140:141], v[218:219], v[98:99]
	v_fma_f64 v[118:119], -v[140:141], v[220:221], v[118:119]
	s_waitcnt lgkmcnt(6)
	v_fma_f64 v[96:97], -v[140:141], v[222:223], v[96:97]
	v_fma_f64 v[116:117], -v[140:141], v[224:225], v[116:117]
	s_waitcnt lgkmcnt(5)
	v_fma_f64 v[94:95], -v[140:141], v[226:227], v[94:95]
	v_fma_f64 v[114:115], -v[140:141], v[228:229], v[114:115]
	s_waitcnt lgkmcnt(4)
	v_fma_f64 v[92:93], -v[140:141], v[230:231], v[92:93]
	v_fma_f64 v[112:113], -v[140:141], v[232:233], v[112:113]
	s_waitcnt lgkmcnt(3)
	v_fma_f64 v[90:91], -v[140:141], v[234:235], v[90:91]
	v_fma_f64 v[110:111], -v[140:141], v[236:237], v[110:111]
	s_waitcnt lgkmcnt(2)
	v_fma_f64 v[88:89], -v[140:141], v[238:239], v[88:89]
	v_fma_f64 v[108:109], -v[140:141], v[240:241], v[108:109]
	s_waitcnt lgkmcnt(1)
	v_fma_f64 v[86:87], -v[140:141], v[242:243], v[86:87]
	v_fma_f64 v[106:107], -v[140:141], v[244:245], v[106:107]
	s_waitcnt lgkmcnt(0)
	v_fma_f64 v[84:85], -v[140:141], v[249:250], v[84:85]
	v_fma_f64 v[158:159], -v[140:141], v[251:252], v[158:159]
.LBB81_96:
	s_or_b32 exec_lo, exec_lo, s1
	s_mov_b32 s1, exec_lo
	s_waitcnt lgkmcnt(0)
	s_barrier
	buffer_gl0_inv
	v_cmpx_eq_u32_e32 19, v0
	s_cbranch_execz .LBB81_99
; %bb.97:
	v_mov_b32_e32 v206, v124
	v_mov_b32_e32 v207, v125
	;; [unrolled: 1-line block ×20, first 2 shown]
	ds_write_b64 v1, v[104:105]
	ds_write2_b64 v248, v[206:207], v[208:209] offset0:20 offset1:21
	ds_write2_b64 v248, v[210:211], v[212:213] offset0:22 offset1:23
	;; [unrolled: 1-line block ×5, first 2 shown]
	v_mov_b32_e32 v206, v114
	v_mov_b32_e32 v207, v115
	;; [unrolled: 1-line block ×20, first 2 shown]
	ds_write2_b64 v248, v[206:207], v[208:209] offset0:30 offset1:31
	ds_write2_b64 v248, v[210:211], v[212:213] offset0:32 offset1:33
	;; [unrolled: 1-line block ×5, first 2 shown]
	ds_write_b64 v248, v[158:159] offset:320
	ds_read_b64 v[206:207], v1
	s_waitcnt lgkmcnt(0)
	v_cmp_neq_f64_e32 vcc_lo, 0, v[206:207]
	s_and_b32 exec_lo, exec_lo, vcc_lo
	s_cbranch_execz .LBB81_99
; %bb.98:
	v_div_scale_f64 v[208:209], null, v[206:207], v[206:207], 1.0
	v_rcp_f64_e32 v[210:211], v[208:209]
	v_fma_f64 v[212:213], -v[208:209], v[210:211], 1.0
	v_fma_f64 v[210:211], v[210:211], v[212:213], v[210:211]
	v_fma_f64 v[212:213], -v[208:209], v[210:211], 1.0
	v_fma_f64 v[210:211], v[210:211], v[212:213], v[210:211]
	v_div_scale_f64 v[212:213], vcc_lo, 1.0, v[206:207], 1.0
	v_mul_f64 v[214:215], v[212:213], v[210:211]
	v_fma_f64 v[208:209], -v[208:209], v[214:215], v[212:213]
	v_div_fmas_f64 v[208:209], v[208:209], v[210:211], v[214:215]
	v_div_fixup_f64 v[206:207], v[208:209], v[206:207], 1.0
	ds_write_b64 v1, v[206:207]
.LBB81_99:
	s_or_b32 exec_lo, exec_lo, s1
	s_waitcnt lgkmcnt(0)
	s_barrier
	buffer_gl0_inv
	ds_read_b64 v[206:207], v1
	s_mov_b32 s1, exec_lo
	v_cmpx_lt_u32_e32 19, v0
	s_cbranch_execz .LBB81_101
; %bb.100:
	s_waitcnt lgkmcnt(0)
	v_mul_f64 v[104:105], v[206:207], v[104:105]
	ds_read2_b64 v[208:211], v248 offset0:20 offset1:21
	ds_read2_b64 v[212:215], v248 offset0:22 offset1:23
	;; [unrolled: 1-line block ×10, first 2 shown]
	ds_read_b64 v[249:250], v248 offset:320
	s_waitcnt lgkmcnt(10)
	v_fma_f64 v[124:125], -v[104:105], v[208:209], v[124:125]
	v_fma_f64 v[102:103], -v[104:105], v[210:211], v[102:103]
	s_waitcnt lgkmcnt(9)
	v_fma_f64 v[122:123], -v[104:105], v[212:213], v[122:123]
	v_fma_f64 v[100:101], -v[104:105], v[214:215], v[100:101]
	;; [unrolled: 3-line block ×10, first 2 shown]
	s_waitcnt lgkmcnt(0)
	v_fma_f64 v[158:159], -v[104:105], v[249:250], v[158:159]
.LBB81_101:
	s_or_b32 exec_lo, exec_lo, s1
	s_mov_b32 s1, exec_lo
	s_waitcnt lgkmcnt(0)
	s_barrier
	buffer_gl0_inv
	v_cmpx_eq_u32_e32 20, v0
	s_cbranch_execz .LBB81_104
; %bb.102:
	ds_write_b64 v1, v[124:125]
	ds_write2_b64 v248, v[102:103], v[122:123] offset0:21 offset1:22
	ds_write2_b64 v248, v[100:101], v[120:121] offset0:23 offset1:24
	;; [unrolled: 1-line block ×10, first 2 shown]
	ds_read_b64 v[208:209], v1
	s_waitcnt lgkmcnt(0)
	v_cmp_neq_f64_e32 vcc_lo, 0, v[208:209]
	s_and_b32 exec_lo, exec_lo, vcc_lo
	s_cbranch_execz .LBB81_104
; %bb.103:
	v_div_scale_f64 v[210:211], null, v[208:209], v[208:209], 1.0
	v_rcp_f64_e32 v[212:213], v[210:211]
	v_fma_f64 v[214:215], -v[210:211], v[212:213], 1.0
	v_fma_f64 v[212:213], v[212:213], v[214:215], v[212:213]
	v_fma_f64 v[214:215], -v[210:211], v[212:213], 1.0
	v_fma_f64 v[212:213], v[212:213], v[214:215], v[212:213]
	v_div_scale_f64 v[214:215], vcc_lo, 1.0, v[208:209], 1.0
	v_mul_f64 v[216:217], v[214:215], v[212:213]
	v_fma_f64 v[210:211], -v[210:211], v[216:217], v[214:215]
	v_div_fmas_f64 v[210:211], v[210:211], v[212:213], v[216:217]
	v_div_fixup_f64 v[208:209], v[210:211], v[208:209], 1.0
	ds_write_b64 v1, v[208:209]
.LBB81_104:
	s_or_b32 exec_lo, exec_lo, s1
	s_waitcnt lgkmcnt(0)
	s_barrier
	buffer_gl0_inv
	ds_read_b64 v[208:209], v1
	s_mov_b32 s1, exec_lo
	v_cmpx_lt_u32_e32 20, v0
	s_cbranch_execz .LBB81_106
; %bb.105:
	s_waitcnt lgkmcnt(0)
	v_mul_f64 v[124:125], v[208:209], v[124:125]
	ds_read2_b64 v[210:213], v248 offset0:21 offset1:22
	ds_read2_b64 v[214:217], v248 offset0:23 offset1:24
	;; [unrolled: 1-line block ×10, first 2 shown]
	s_waitcnt lgkmcnt(9)
	v_fma_f64 v[102:103], -v[124:125], v[210:211], v[102:103]
	v_fma_f64 v[122:123], -v[124:125], v[212:213], v[122:123]
	s_waitcnt lgkmcnt(8)
	v_fma_f64 v[100:101], -v[124:125], v[214:215], v[100:101]
	v_fma_f64 v[120:121], -v[124:125], v[216:217], v[120:121]
	s_waitcnt lgkmcnt(7)
	v_fma_f64 v[98:99], -v[124:125], v[218:219], v[98:99]
	v_fma_f64 v[118:119], -v[124:125], v[220:221], v[118:119]
	s_waitcnt lgkmcnt(6)
	v_fma_f64 v[96:97], -v[124:125], v[222:223], v[96:97]
	v_fma_f64 v[116:117], -v[124:125], v[224:225], v[116:117]
	s_waitcnt lgkmcnt(5)
	v_fma_f64 v[94:95], -v[124:125], v[226:227], v[94:95]
	v_fma_f64 v[114:115], -v[124:125], v[228:229], v[114:115]
	s_waitcnt lgkmcnt(4)
	v_fma_f64 v[92:93], -v[124:125], v[230:231], v[92:93]
	v_fma_f64 v[112:113], -v[124:125], v[232:233], v[112:113]
	s_waitcnt lgkmcnt(3)
	v_fma_f64 v[90:91], -v[124:125], v[234:235], v[90:91]
	v_fma_f64 v[110:111], -v[124:125], v[236:237], v[110:111]
	s_waitcnt lgkmcnt(2)
	v_fma_f64 v[88:89], -v[124:125], v[238:239], v[88:89]
	v_fma_f64 v[108:109], -v[124:125], v[240:241], v[108:109]
	s_waitcnt lgkmcnt(1)
	v_fma_f64 v[86:87], -v[124:125], v[242:243], v[86:87]
	v_fma_f64 v[106:107], -v[124:125], v[244:245], v[106:107]
	s_waitcnt lgkmcnt(0)
	v_fma_f64 v[84:85], -v[124:125], v[249:250], v[84:85]
	v_fma_f64 v[158:159], -v[124:125], v[251:252], v[158:159]
.LBB81_106:
	s_or_b32 exec_lo, exec_lo, s1
	s_mov_b32 s1, exec_lo
	s_waitcnt lgkmcnt(0)
	s_barrier
	buffer_gl0_inv
	v_cmpx_eq_u32_e32 21, v0
	s_cbranch_execz .LBB81_109
; %bb.107:
	v_mov_b32_e32 v210, v122
	v_mov_b32_e32 v211, v123
	;; [unrolled: 1-line block ×16, first 2 shown]
	ds_write_b64 v1, v[102:103]
	ds_write2_b64 v248, v[210:211], v[212:213] offset0:22 offset1:23
	ds_write2_b64 v248, v[214:215], v[216:217] offset0:24 offset1:25
	;; [unrolled: 1-line block ×4, first 2 shown]
	v_mov_b32_e32 v210, v114
	v_mov_b32_e32 v211, v115
	;; [unrolled: 1-line block ×20, first 2 shown]
	ds_write2_b64 v248, v[210:211], v[212:213] offset0:30 offset1:31
	ds_write2_b64 v248, v[214:215], v[216:217] offset0:32 offset1:33
	;; [unrolled: 1-line block ×5, first 2 shown]
	ds_write_b64 v248, v[158:159] offset:320
	ds_read_b64 v[210:211], v1
	s_waitcnt lgkmcnt(0)
	v_cmp_neq_f64_e32 vcc_lo, 0, v[210:211]
	s_and_b32 exec_lo, exec_lo, vcc_lo
	s_cbranch_execz .LBB81_109
; %bb.108:
	v_div_scale_f64 v[212:213], null, v[210:211], v[210:211], 1.0
	v_rcp_f64_e32 v[214:215], v[212:213]
	v_fma_f64 v[216:217], -v[212:213], v[214:215], 1.0
	v_fma_f64 v[214:215], v[214:215], v[216:217], v[214:215]
	v_fma_f64 v[216:217], -v[212:213], v[214:215], 1.0
	v_fma_f64 v[214:215], v[214:215], v[216:217], v[214:215]
	v_div_scale_f64 v[216:217], vcc_lo, 1.0, v[210:211], 1.0
	v_mul_f64 v[218:219], v[216:217], v[214:215]
	v_fma_f64 v[212:213], -v[212:213], v[218:219], v[216:217]
	v_div_fmas_f64 v[212:213], v[212:213], v[214:215], v[218:219]
	v_div_fixup_f64 v[210:211], v[212:213], v[210:211], 1.0
	ds_write_b64 v1, v[210:211]
.LBB81_109:
	s_or_b32 exec_lo, exec_lo, s1
	s_waitcnt lgkmcnt(0)
	s_barrier
	buffer_gl0_inv
	ds_read_b64 v[210:211], v1
	s_mov_b32 s1, exec_lo
	v_cmpx_lt_u32_e32 21, v0
	s_cbranch_execz .LBB81_111
; %bb.110:
	s_waitcnt lgkmcnt(0)
	v_mul_f64 v[102:103], v[210:211], v[102:103]
	ds_read2_b64 v[212:215], v248 offset0:22 offset1:23
	ds_read2_b64 v[216:219], v248 offset0:24 offset1:25
	;; [unrolled: 1-line block ×9, first 2 shown]
	ds_read_b64 v[249:250], v248 offset:320
	s_waitcnt lgkmcnt(9)
	v_fma_f64 v[122:123], -v[102:103], v[212:213], v[122:123]
	v_fma_f64 v[100:101], -v[102:103], v[214:215], v[100:101]
	s_waitcnt lgkmcnt(8)
	v_fma_f64 v[120:121], -v[102:103], v[216:217], v[120:121]
	v_fma_f64 v[98:99], -v[102:103], v[218:219], v[98:99]
	;; [unrolled: 3-line block ×9, first 2 shown]
	s_waitcnt lgkmcnt(0)
	v_fma_f64 v[158:159], -v[102:103], v[249:250], v[158:159]
.LBB81_111:
	s_or_b32 exec_lo, exec_lo, s1
	s_mov_b32 s1, exec_lo
	s_waitcnt lgkmcnt(0)
	s_barrier
	buffer_gl0_inv
	v_cmpx_eq_u32_e32 22, v0
	s_cbranch_execz .LBB81_114
; %bb.112:
	ds_write_b64 v1, v[122:123]
	ds_write2_b64 v248, v[100:101], v[120:121] offset0:23 offset1:24
	ds_write2_b64 v248, v[98:99], v[118:119] offset0:25 offset1:26
	;; [unrolled: 1-line block ×9, first 2 shown]
	ds_read_b64 v[212:213], v1
	s_waitcnt lgkmcnt(0)
	v_cmp_neq_f64_e32 vcc_lo, 0, v[212:213]
	s_and_b32 exec_lo, exec_lo, vcc_lo
	s_cbranch_execz .LBB81_114
; %bb.113:
	v_div_scale_f64 v[214:215], null, v[212:213], v[212:213], 1.0
	v_rcp_f64_e32 v[216:217], v[214:215]
	v_fma_f64 v[218:219], -v[214:215], v[216:217], 1.0
	v_fma_f64 v[216:217], v[216:217], v[218:219], v[216:217]
	v_fma_f64 v[218:219], -v[214:215], v[216:217], 1.0
	v_fma_f64 v[216:217], v[216:217], v[218:219], v[216:217]
	v_div_scale_f64 v[218:219], vcc_lo, 1.0, v[212:213], 1.0
	v_mul_f64 v[220:221], v[218:219], v[216:217]
	v_fma_f64 v[214:215], -v[214:215], v[220:221], v[218:219]
	v_div_fmas_f64 v[214:215], v[214:215], v[216:217], v[220:221]
	v_div_fixup_f64 v[212:213], v[214:215], v[212:213], 1.0
	ds_write_b64 v1, v[212:213]
.LBB81_114:
	s_or_b32 exec_lo, exec_lo, s1
	s_waitcnt lgkmcnt(0)
	s_barrier
	buffer_gl0_inv
	ds_read_b64 v[212:213], v1
	s_mov_b32 s1, exec_lo
	v_cmpx_lt_u32_e32 22, v0
	s_cbranch_execz .LBB81_116
; %bb.115:
	s_waitcnt lgkmcnt(0)
	v_mul_f64 v[122:123], v[212:213], v[122:123]
	ds_read2_b64 v[214:217], v248 offset0:23 offset1:24
	ds_read2_b64 v[218:221], v248 offset0:25 offset1:26
	;; [unrolled: 1-line block ×9, first 2 shown]
	s_waitcnt lgkmcnt(8)
	v_fma_f64 v[100:101], -v[122:123], v[214:215], v[100:101]
	v_fma_f64 v[120:121], -v[122:123], v[216:217], v[120:121]
	s_waitcnt lgkmcnt(7)
	v_fma_f64 v[98:99], -v[122:123], v[218:219], v[98:99]
	v_fma_f64 v[118:119], -v[122:123], v[220:221], v[118:119]
	;; [unrolled: 3-line block ×9, first 2 shown]
.LBB81_116:
	s_or_b32 exec_lo, exec_lo, s1
	s_mov_b32 s1, exec_lo
	s_waitcnt lgkmcnt(0)
	s_barrier
	buffer_gl0_inv
	v_cmpx_eq_u32_e32 23, v0
	s_cbranch_execz .LBB81_119
; %bb.117:
	v_mov_b32_e32 v214, v120
	v_mov_b32_e32 v215, v121
	;; [unrolled: 1-line block ×12, first 2 shown]
	ds_write_b64 v1, v[100:101]
	ds_write2_b64 v248, v[214:215], v[216:217] offset0:24 offset1:25
	ds_write2_b64 v248, v[218:219], v[220:221] offset0:26 offset1:27
	;; [unrolled: 1-line block ×3, first 2 shown]
	v_mov_b32_e32 v214, v114
	v_mov_b32_e32 v215, v115
	;; [unrolled: 1-line block ×20, first 2 shown]
	ds_write2_b64 v248, v[214:215], v[216:217] offset0:30 offset1:31
	ds_write2_b64 v248, v[218:219], v[220:221] offset0:32 offset1:33
	;; [unrolled: 1-line block ×5, first 2 shown]
	ds_write_b64 v248, v[158:159] offset:320
	ds_read_b64 v[214:215], v1
	s_waitcnt lgkmcnt(0)
	v_cmp_neq_f64_e32 vcc_lo, 0, v[214:215]
	s_and_b32 exec_lo, exec_lo, vcc_lo
	s_cbranch_execz .LBB81_119
; %bb.118:
	v_div_scale_f64 v[216:217], null, v[214:215], v[214:215], 1.0
	v_rcp_f64_e32 v[218:219], v[216:217]
	v_fma_f64 v[220:221], -v[216:217], v[218:219], 1.0
	v_fma_f64 v[218:219], v[218:219], v[220:221], v[218:219]
	v_fma_f64 v[220:221], -v[216:217], v[218:219], 1.0
	v_fma_f64 v[218:219], v[218:219], v[220:221], v[218:219]
	v_div_scale_f64 v[220:221], vcc_lo, 1.0, v[214:215], 1.0
	v_mul_f64 v[222:223], v[220:221], v[218:219]
	v_fma_f64 v[216:217], -v[216:217], v[222:223], v[220:221]
	v_div_fmas_f64 v[216:217], v[216:217], v[218:219], v[222:223]
	v_div_fixup_f64 v[214:215], v[216:217], v[214:215], 1.0
	ds_write_b64 v1, v[214:215]
.LBB81_119:
	s_or_b32 exec_lo, exec_lo, s1
	s_waitcnt lgkmcnt(0)
	s_barrier
	buffer_gl0_inv
	ds_read_b64 v[214:215], v1
	s_mov_b32 s1, exec_lo
	v_cmpx_lt_u32_e32 23, v0
	s_cbranch_execz .LBB81_121
; %bb.120:
	s_waitcnt lgkmcnt(0)
	v_mul_f64 v[100:101], v[214:215], v[100:101]
	ds_read2_b64 v[216:219], v248 offset0:24 offset1:25
	ds_read2_b64 v[220:223], v248 offset0:26 offset1:27
	;; [unrolled: 1-line block ×8, first 2 shown]
	ds_read_b64 v[249:250], v248 offset:320
	s_waitcnt lgkmcnt(8)
	v_fma_f64 v[120:121], -v[100:101], v[216:217], v[120:121]
	v_fma_f64 v[98:99], -v[100:101], v[218:219], v[98:99]
	s_waitcnt lgkmcnt(7)
	v_fma_f64 v[118:119], -v[100:101], v[220:221], v[118:119]
	v_fma_f64 v[96:97], -v[100:101], v[222:223], v[96:97]
	;; [unrolled: 3-line block ×8, first 2 shown]
	s_waitcnt lgkmcnt(0)
	v_fma_f64 v[158:159], -v[100:101], v[249:250], v[158:159]
.LBB81_121:
	s_or_b32 exec_lo, exec_lo, s1
	s_mov_b32 s1, exec_lo
	s_waitcnt lgkmcnt(0)
	s_barrier
	buffer_gl0_inv
	v_cmpx_eq_u32_e32 24, v0
	s_cbranch_execz .LBB81_124
; %bb.122:
	ds_write_b64 v1, v[120:121]
	ds_write2_b64 v248, v[98:99], v[118:119] offset0:25 offset1:26
	ds_write2_b64 v248, v[96:97], v[116:117] offset0:27 offset1:28
	;; [unrolled: 1-line block ×8, first 2 shown]
	ds_read_b64 v[216:217], v1
	s_waitcnt lgkmcnt(0)
	v_cmp_neq_f64_e32 vcc_lo, 0, v[216:217]
	s_and_b32 exec_lo, exec_lo, vcc_lo
	s_cbranch_execz .LBB81_124
; %bb.123:
	v_div_scale_f64 v[218:219], null, v[216:217], v[216:217], 1.0
	v_rcp_f64_e32 v[220:221], v[218:219]
	v_fma_f64 v[222:223], -v[218:219], v[220:221], 1.0
	v_fma_f64 v[220:221], v[220:221], v[222:223], v[220:221]
	v_fma_f64 v[222:223], -v[218:219], v[220:221], 1.0
	v_fma_f64 v[220:221], v[220:221], v[222:223], v[220:221]
	v_div_scale_f64 v[222:223], vcc_lo, 1.0, v[216:217], 1.0
	v_mul_f64 v[224:225], v[222:223], v[220:221]
	v_fma_f64 v[218:219], -v[218:219], v[224:225], v[222:223]
	v_div_fmas_f64 v[218:219], v[218:219], v[220:221], v[224:225]
	v_div_fixup_f64 v[216:217], v[218:219], v[216:217], 1.0
	ds_write_b64 v1, v[216:217]
.LBB81_124:
	s_or_b32 exec_lo, exec_lo, s1
	s_waitcnt lgkmcnt(0)
	s_barrier
	buffer_gl0_inv
	ds_read_b64 v[216:217], v1
	s_mov_b32 s1, exec_lo
	v_cmpx_lt_u32_e32 24, v0
	s_cbranch_execz .LBB81_126
; %bb.125:
	s_waitcnt lgkmcnt(0)
	v_mul_f64 v[120:121], v[216:217], v[120:121]
	ds_read2_b64 v[218:221], v248 offset0:25 offset1:26
	ds_read2_b64 v[222:225], v248 offset0:27 offset1:28
	;; [unrolled: 1-line block ×8, first 2 shown]
	s_waitcnt lgkmcnt(7)
	v_fma_f64 v[98:99], -v[120:121], v[218:219], v[98:99]
	v_fma_f64 v[118:119], -v[120:121], v[220:221], v[118:119]
	s_waitcnt lgkmcnt(6)
	v_fma_f64 v[96:97], -v[120:121], v[222:223], v[96:97]
	v_fma_f64 v[116:117], -v[120:121], v[224:225], v[116:117]
	;; [unrolled: 3-line block ×8, first 2 shown]
.LBB81_126:
	s_or_b32 exec_lo, exec_lo, s1
	s_mov_b32 s1, exec_lo
	s_waitcnt lgkmcnt(0)
	s_barrier
	buffer_gl0_inv
	v_cmpx_eq_u32_e32 25, v0
	s_cbranch_execz .LBB81_129
; %bb.127:
	v_mov_b32_e32 v218, v118
	v_mov_b32_e32 v219, v119
	;; [unrolled: 1-line block ×8, first 2 shown]
	ds_write_b64 v1, v[98:99]
	ds_write2_b64 v248, v[218:219], v[220:221] offset0:26 offset1:27
	ds_write2_b64 v248, v[222:223], v[224:225] offset0:28 offset1:29
	v_mov_b32_e32 v218, v114
	v_mov_b32_e32 v219, v115
	;; [unrolled: 1-line block ×20, first 2 shown]
	ds_write2_b64 v248, v[218:219], v[220:221] offset0:30 offset1:31
	ds_write2_b64 v248, v[222:223], v[224:225] offset0:32 offset1:33
	;; [unrolled: 1-line block ×5, first 2 shown]
	ds_write_b64 v248, v[158:159] offset:320
	ds_read_b64 v[218:219], v1
	s_waitcnt lgkmcnt(0)
	v_cmp_neq_f64_e32 vcc_lo, 0, v[218:219]
	s_and_b32 exec_lo, exec_lo, vcc_lo
	s_cbranch_execz .LBB81_129
; %bb.128:
	v_div_scale_f64 v[220:221], null, v[218:219], v[218:219], 1.0
	v_rcp_f64_e32 v[222:223], v[220:221]
	v_fma_f64 v[224:225], -v[220:221], v[222:223], 1.0
	v_fma_f64 v[222:223], v[222:223], v[224:225], v[222:223]
	v_fma_f64 v[224:225], -v[220:221], v[222:223], 1.0
	v_fma_f64 v[222:223], v[222:223], v[224:225], v[222:223]
	v_div_scale_f64 v[224:225], vcc_lo, 1.0, v[218:219], 1.0
	v_mul_f64 v[226:227], v[224:225], v[222:223]
	v_fma_f64 v[220:221], -v[220:221], v[226:227], v[224:225]
	v_div_fmas_f64 v[220:221], v[220:221], v[222:223], v[226:227]
	v_div_fixup_f64 v[218:219], v[220:221], v[218:219], 1.0
	ds_write_b64 v1, v[218:219]
.LBB81_129:
	s_or_b32 exec_lo, exec_lo, s1
	s_waitcnt lgkmcnt(0)
	s_barrier
	buffer_gl0_inv
	ds_read_b64 v[218:219], v1
	s_mov_b32 s1, exec_lo
	v_cmpx_lt_u32_e32 25, v0
	s_cbranch_execz .LBB81_131
; %bb.130:
	s_waitcnt lgkmcnt(0)
	v_mul_f64 v[98:99], v[218:219], v[98:99]
	ds_read2_b64 v[220:223], v248 offset0:26 offset1:27
	ds_read2_b64 v[224:227], v248 offset0:28 offset1:29
	;; [unrolled: 1-line block ×7, first 2 shown]
	ds_read_b64 v[249:250], v248 offset:320
	s_waitcnt lgkmcnt(7)
	v_fma_f64 v[118:119], -v[98:99], v[220:221], v[118:119]
	v_fma_f64 v[96:97], -v[98:99], v[222:223], v[96:97]
	s_waitcnt lgkmcnt(6)
	v_fma_f64 v[116:117], -v[98:99], v[224:225], v[116:117]
	v_fma_f64 v[94:95], -v[98:99], v[226:227], v[94:95]
	s_waitcnt lgkmcnt(5)
	v_fma_f64 v[114:115], -v[98:99], v[228:229], v[114:115]
	v_fma_f64 v[92:93], -v[98:99], v[230:231], v[92:93]
	s_waitcnt lgkmcnt(4)
	v_fma_f64 v[112:113], -v[98:99], v[232:233], v[112:113]
	v_fma_f64 v[90:91], -v[98:99], v[234:235], v[90:91]
	s_waitcnt lgkmcnt(3)
	v_fma_f64 v[110:111], -v[98:99], v[236:237], v[110:111]
	v_fma_f64 v[88:89], -v[98:99], v[238:239], v[88:89]
	s_waitcnt lgkmcnt(2)
	v_fma_f64 v[108:109], -v[98:99], v[240:241], v[108:109]
	v_fma_f64 v[86:87], -v[98:99], v[242:243], v[86:87]
	s_waitcnt lgkmcnt(1)
	v_fma_f64 v[106:107], -v[98:99], v[244:245], v[106:107]
	v_fma_f64 v[84:85], -v[98:99], v[246:247], v[84:85]
	s_waitcnt lgkmcnt(0)
	v_fma_f64 v[158:159], -v[98:99], v[249:250], v[158:159]
.LBB81_131:
	s_or_b32 exec_lo, exec_lo, s1
	s_mov_b32 s1, exec_lo
	s_waitcnt lgkmcnt(0)
	s_barrier
	buffer_gl0_inv
	v_cmpx_eq_u32_e32 26, v0
	s_cbranch_execz .LBB81_134
; %bb.132:
	ds_write_b64 v1, v[118:119]
	ds_write2_b64 v248, v[96:97], v[116:117] offset0:27 offset1:28
	ds_write2_b64 v248, v[94:95], v[114:115] offset0:29 offset1:30
	;; [unrolled: 1-line block ×7, first 2 shown]
	ds_read_b64 v[220:221], v1
	s_waitcnt lgkmcnt(0)
	v_cmp_neq_f64_e32 vcc_lo, 0, v[220:221]
	s_and_b32 exec_lo, exec_lo, vcc_lo
	s_cbranch_execz .LBB81_134
; %bb.133:
	v_div_scale_f64 v[222:223], null, v[220:221], v[220:221], 1.0
	v_rcp_f64_e32 v[224:225], v[222:223]
	v_fma_f64 v[226:227], -v[222:223], v[224:225], 1.0
	v_fma_f64 v[224:225], v[224:225], v[226:227], v[224:225]
	v_fma_f64 v[226:227], -v[222:223], v[224:225], 1.0
	v_fma_f64 v[224:225], v[224:225], v[226:227], v[224:225]
	v_div_scale_f64 v[226:227], vcc_lo, 1.0, v[220:221], 1.0
	v_mul_f64 v[228:229], v[226:227], v[224:225]
	v_fma_f64 v[222:223], -v[222:223], v[228:229], v[226:227]
	v_div_fmas_f64 v[222:223], v[222:223], v[224:225], v[228:229]
	v_div_fixup_f64 v[220:221], v[222:223], v[220:221], 1.0
	ds_write_b64 v1, v[220:221]
.LBB81_134:
	s_or_b32 exec_lo, exec_lo, s1
	s_waitcnt lgkmcnt(0)
	s_barrier
	buffer_gl0_inv
	ds_read_b64 v[220:221], v1
	s_mov_b32 s1, exec_lo
	v_cmpx_lt_u32_e32 26, v0
	s_cbranch_execz .LBB81_136
; %bb.135:
	s_waitcnt lgkmcnt(0)
	v_mul_f64 v[118:119], v[220:221], v[118:119]
	ds_read2_b64 v[222:225], v248 offset0:27 offset1:28
	ds_read2_b64 v[226:229], v248 offset0:29 offset1:30
	;; [unrolled: 1-line block ×7, first 2 shown]
	s_waitcnt lgkmcnt(6)
	v_fma_f64 v[96:97], -v[118:119], v[222:223], v[96:97]
	v_fma_f64 v[116:117], -v[118:119], v[224:225], v[116:117]
	s_waitcnt lgkmcnt(5)
	v_fma_f64 v[94:95], -v[118:119], v[226:227], v[94:95]
	v_fma_f64 v[114:115], -v[118:119], v[228:229], v[114:115]
	;; [unrolled: 3-line block ×7, first 2 shown]
.LBB81_136:
	s_or_b32 exec_lo, exec_lo, s1
	s_mov_b32 s1, exec_lo
	s_waitcnt lgkmcnt(0)
	s_barrier
	buffer_gl0_inv
	v_cmpx_eq_u32_e32 27, v0
	s_cbranch_execz .LBB81_139
; %bb.137:
	v_mov_b32_e32 v222, v116
	v_mov_b32_e32 v223, v117
	;; [unrolled: 1-line block ×4, first 2 shown]
	ds_write_b64 v1, v[96:97]
	ds_write2_b64 v248, v[222:223], v[224:225] offset0:28 offset1:29
	v_mov_b32_e32 v222, v114
	v_mov_b32_e32 v223, v115
	;; [unrolled: 1-line block ×20, first 2 shown]
	ds_write2_b64 v248, v[222:223], v[224:225] offset0:30 offset1:31
	ds_write2_b64 v248, v[226:227], v[228:229] offset0:32 offset1:33
	;; [unrolled: 1-line block ×5, first 2 shown]
	ds_write_b64 v248, v[158:159] offset:320
	ds_read_b64 v[222:223], v1
	s_waitcnt lgkmcnt(0)
	v_cmp_neq_f64_e32 vcc_lo, 0, v[222:223]
	s_and_b32 exec_lo, exec_lo, vcc_lo
	s_cbranch_execz .LBB81_139
; %bb.138:
	v_div_scale_f64 v[224:225], null, v[222:223], v[222:223], 1.0
	v_rcp_f64_e32 v[226:227], v[224:225]
	v_fma_f64 v[228:229], -v[224:225], v[226:227], 1.0
	v_fma_f64 v[226:227], v[226:227], v[228:229], v[226:227]
	v_fma_f64 v[228:229], -v[224:225], v[226:227], 1.0
	v_fma_f64 v[226:227], v[226:227], v[228:229], v[226:227]
	v_div_scale_f64 v[228:229], vcc_lo, 1.0, v[222:223], 1.0
	v_mul_f64 v[230:231], v[228:229], v[226:227]
	v_fma_f64 v[224:225], -v[224:225], v[230:231], v[228:229]
	v_div_fmas_f64 v[224:225], v[224:225], v[226:227], v[230:231]
	v_div_fixup_f64 v[222:223], v[224:225], v[222:223], 1.0
	ds_write_b64 v1, v[222:223]
.LBB81_139:
	s_or_b32 exec_lo, exec_lo, s1
	s_waitcnt lgkmcnt(0)
	s_barrier
	buffer_gl0_inv
	ds_read_b64 v[222:223], v1
	s_mov_b32 s1, exec_lo
	v_cmpx_lt_u32_e32 27, v0
	s_cbranch_execz .LBB81_141
; %bb.140:
	s_waitcnt lgkmcnt(0)
	v_mul_f64 v[96:97], v[222:223], v[96:97]
	ds_read2_b64 v[224:227], v248 offset0:28 offset1:29
	ds_read2_b64 v[228:231], v248 offset0:30 offset1:31
	;; [unrolled: 1-line block ×6, first 2 shown]
	ds_read_b64 v[249:250], v248 offset:320
	s_waitcnt lgkmcnt(6)
	v_fma_f64 v[116:117], -v[96:97], v[224:225], v[116:117]
	v_fma_f64 v[94:95], -v[96:97], v[226:227], v[94:95]
	s_waitcnt lgkmcnt(5)
	v_fma_f64 v[114:115], -v[96:97], v[228:229], v[114:115]
	v_fma_f64 v[92:93], -v[96:97], v[230:231], v[92:93]
	;; [unrolled: 3-line block ×6, first 2 shown]
	s_waitcnt lgkmcnt(0)
	v_fma_f64 v[158:159], -v[96:97], v[249:250], v[158:159]
.LBB81_141:
	s_or_b32 exec_lo, exec_lo, s1
	s_mov_b32 s1, exec_lo
	s_waitcnt lgkmcnt(0)
	s_barrier
	buffer_gl0_inv
	v_cmpx_eq_u32_e32 28, v0
	s_cbranch_execz .LBB81_144
; %bb.142:
	ds_write_b64 v1, v[116:117]
	ds_write2_b64 v248, v[94:95], v[114:115] offset0:29 offset1:30
	ds_write2_b64 v248, v[92:93], v[112:113] offset0:31 offset1:32
	;; [unrolled: 1-line block ×6, first 2 shown]
	ds_read_b64 v[224:225], v1
	s_waitcnt lgkmcnt(0)
	v_cmp_neq_f64_e32 vcc_lo, 0, v[224:225]
	s_and_b32 exec_lo, exec_lo, vcc_lo
	s_cbranch_execz .LBB81_144
; %bb.143:
	v_div_scale_f64 v[226:227], null, v[224:225], v[224:225], 1.0
	v_rcp_f64_e32 v[228:229], v[226:227]
	v_fma_f64 v[230:231], -v[226:227], v[228:229], 1.0
	v_fma_f64 v[228:229], v[228:229], v[230:231], v[228:229]
	v_fma_f64 v[230:231], -v[226:227], v[228:229], 1.0
	v_fma_f64 v[228:229], v[228:229], v[230:231], v[228:229]
	v_div_scale_f64 v[230:231], vcc_lo, 1.0, v[224:225], 1.0
	v_mul_f64 v[232:233], v[230:231], v[228:229]
	v_fma_f64 v[226:227], -v[226:227], v[232:233], v[230:231]
	v_div_fmas_f64 v[226:227], v[226:227], v[228:229], v[232:233]
	v_div_fixup_f64 v[224:225], v[226:227], v[224:225], 1.0
	ds_write_b64 v1, v[224:225]
.LBB81_144:
	s_or_b32 exec_lo, exec_lo, s1
	s_waitcnt lgkmcnt(0)
	s_barrier
	buffer_gl0_inv
	ds_read_b64 v[224:225], v1
	s_mov_b32 s1, exec_lo
	v_cmpx_lt_u32_e32 28, v0
	s_cbranch_execz .LBB81_146
; %bb.145:
	s_waitcnt lgkmcnt(0)
	v_mul_f64 v[116:117], v[224:225], v[116:117]
	ds_read2_b64 v[226:229], v248 offset0:29 offset1:30
	ds_read2_b64 v[230:233], v248 offset0:31 offset1:32
	;; [unrolled: 1-line block ×6, first 2 shown]
	s_waitcnt lgkmcnt(5)
	v_fma_f64 v[94:95], -v[116:117], v[226:227], v[94:95]
	v_fma_f64 v[114:115], -v[116:117], v[228:229], v[114:115]
	s_waitcnt lgkmcnt(4)
	v_fma_f64 v[92:93], -v[116:117], v[230:231], v[92:93]
	v_fma_f64 v[112:113], -v[116:117], v[232:233], v[112:113]
	s_waitcnt lgkmcnt(3)
	v_fma_f64 v[90:91], -v[116:117], v[234:235], v[90:91]
	v_fma_f64 v[110:111], -v[116:117], v[236:237], v[110:111]
	s_waitcnt lgkmcnt(2)
	v_fma_f64 v[88:89], -v[116:117], v[238:239], v[88:89]
	v_fma_f64 v[108:109], -v[116:117], v[240:241], v[108:109]
	s_waitcnt lgkmcnt(1)
	v_fma_f64 v[86:87], -v[116:117], v[242:243], v[86:87]
	v_fma_f64 v[106:107], -v[116:117], v[244:245], v[106:107]
	s_waitcnt lgkmcnt(0)
	v_fma_f64 v[84:85], -v[116:117], v[249:250], v[84:85]
	v_fma_f64 v[158:159], -v[116:117], v[251:252], v[158:159]
.LBB81_146:
	s_or_b32 exec_lo, exec_lo, s1
	s_mov_b32 s1, exec_lo
	s_waitcnt lgkmcnt(0)
	s_barrier
	buffer_gl0_inv
	v_cmpx_eq_u32_e32 29, v0
	s_cbranch_execz .LBB81_149
; %bb.147:
	v_mov_b32_e32 v226, v114
	v_mov_b32_e32 v227, v115
	v_mov_b32_e32 v228, v92
	v_mov_b32_e32 v229, v93
	v_mov_b32_e32 v230, v112
	v_mov_b32_e32 v231, v113
	v_mov_b32_e32 v232, v90
	v_mov_b32_e32 v233, v91
	v_mov_b32_e32 v234, v110
	v_mov_b32_e32 v235, v111
	v_mov_b32_e32 v236, v88
	v_mov_b32_e32 v237, v89
	v_mov_b32_e32 v238, v108
	v_mov_b32_e32 v239, v109
	v_mov_b32_e32 v240, v86
	v_mov_b32_e32 v241, v87
	v_mov_b32_e32 v242, v106
	v_mov_b32_e32 v243, v107
	v_mov_b32_e32 v244, v84
	v_mov_b32_e32 v245, v85
	ds_write_b64 v1, v[94:95]
	ds_write2_b64 v248, v[226:227], v[228:229] offset0:30 offset1:31
	ds_write2_b64 v248, v[230:231], v[232:233] offset0:32 offset1:33
	;; [unrolled: 1-line block ×5, first 2 shown]
	ds_write_b64 v248, v[158:159] offset:320
	ds_read_b64 v[226:227], v1
	s_waitcnt lgkmcnt(0)
	v_cmp_neq_f64_e32 vcc_lo, 0, v[226:227]
	s_and_b32 exec_lo, exec_lo, vcc_lo
	s_cbranch_execz .LBB81_149
; %bb.148:
	v_div_scale_f64 v[228:229], null, v[226:227], v[226:227], 1.0
	v_rcp_f64_e32 v[230:231], v[228:229]
	v_fma_f64 v[232:233], -v[228:229], v[230:231], 1.0
	v_fma_f64 v[230:231], v[230:231], v[232:233], v[230:231]
	v_fma_f64 v[232:233], -v[228:229], v[230:231], 1.0
	v_fma_f64 v[230:231], v[230:231], v[232:233], v[230:231]
	v_div_scale_f64 v[232:233], vcc_lo, 1.0, v[226:227], 1.0
	v_mul_f64 v[234:235], v[232:233], v[230:231]
	v_fma_f64 v[228:229], -v[228:229], v[234:235], v[232:233]
	v_div_fmas_f64 v[228:229], v[228:229], v[230:231], v[234:235]
	v_div_fixup_f64 v[226:227], v[228:229], v[226:227], 1.0
	ds_write_b64 v1, v[226:227]
.LBB81_149:
	s_or_b32 exec_lo, exec_lo, s1
	s_waitcnt lgkmcnt(0)
	s_barrier
	buffer_gl0_inv
	ds_read_b64 v[226:227], v1
	s_mov_b32 s1, exec_lo
	v_cmpx_lt_u32_e32 29, v0
	s_cbranch_execz .LBB81_151
; %bb.150:
	s_waitcnt lgkmcnt(0)
	v_mul_f64 v[94:95], v[226:227], v[94:95]
	ds_read2_b64 v[228:231], v248 offset0:30 offset1:31
	ds_read2_b64 v[232:235], v248 offset0:32 offset1:33
	;; [unrolled: 1-line block ×5, first 2 shown]
	ds_read_b64 v[249:250], v248 offset:320
	s_waitcnt lgkmcnt(5)
	v_fma_f64 v[114:115], -v[94:95], v[228:229], v[114:115]
	v_fma_f64 v[92:93], -v[94:95], v[230:231], v[92:93]
	s_waitcnt lgkmcnt(4)
	v_fma_f64 v[112:113], -v[94:95], v[232:233], v[112:113]
	v_fma_f64 v[90:91], -v[94:95], v[234:235], v[90:91]
	;; [unrolled: 3-line block ×5, first 2 shown]
	s_waitcnt lgkmcnt(0)
	v_fma_f64 v[158:159], -v[94:95], v[249:250], v[158:159]
.LBB81_151:
	s_or_b32 exec_lo, exec_lo, s1
	s_mov_b32 s1, exec_lo
	s_waitcnt lgkmcnt(0)
	s_barrier
	buffer_gl0_inv
	v_cmpx_eq_u32_e32 30, v0
	s_cbranch_execz .LBB81_154
; %bb.152:
	ds_write_b64 v1, v[114:115]
	ds_write2_b64 v248, v[92:93], v[112:113] offset0:31 offset1:32
	ds_write2_b64 v248, v[90:91], v[110:111] offset0:33 offset1:34
	;; [unrolled: 1-line block ×5, first 2 shown]
	ds_read_b64 v[228:229], v1
	s_waitcnt lgkmcnt(0)
	v_cmp_neq_f64_e32 vcc_lo, 0, v[228:229]
	s_and_b32 exec_lo, exec_lo, vcc_lo
	s_cbranch_execz .LBB81_154
; %bb.153:
	v_div_scale_f64 v[230:231], null, v[228:229], v[228:229], 1.0
	v_rcp_f64_e32 v[232:233], v[230:231]
	v_fma_f64 v[234:235], -v[230:231], v[232:233], 1.0
	v_fma_f64 v[232:233], v[232:233], v[234:235], v[232:233]
	v_fma_f64 v[234:235], -v[230:231], v[232:233], 1.0
	v_fma_f64 v[232:233], v[232:233], v[234:235], v[232:233]
	v_div_scale_f64 v[234:235], vcc_lo, 1.0, v[228:229], 1.0
	v_mul_f64 v[236:237], v[234:235], v[232:233]
	v_fma_f64 v[230:231], -v[230:231], v[236:237], v[234:235]
	v_div_fmas_f64 v[230:231], v[230:231], v[232:233], v[236:237]
	v_div_fixup_f64 v[228:229], v[230:231], v[228:229], 1.0
	ds_write_b64 v1, v[228:229]
.LBB81_154:
	s_or_b32 exec_lo, exec_lo, s1
	s_waitcnt lgkmcnt(0)
	s_barrier
	buffer_gl0_inv
	ds_read_b64 v[228:229], v1
	s_mov_b32 s1, exec_lo
	v_cmpx_lt_u32_e32 30, v0
	s_cbranch_execz .LBB81_156
; %bb.155:
	s_waitcnt lgkmcnt(0)
	v_mul_f64 v[114:115], v[228:229], v[114:115]
	ds_read2_b64 v[230:233], v248 offset0:31 offset1:32
	ds_read2_b64 v[234:237], v248 offset0:33 offset1:34
	;; [unrolled: 1-line block ×5, first 2 shown]
	s_waitcnt lgkmcnt(4)
	v_fma_f64 v[92:93], -v[114:115], v[230:231], v[92:93]
	v_fma_f64 v[112:113], -v[114:115], v[232:233], v[112:113]
	s_waitcnt lgkmcnt(3)
	v_fma_f64 v[90:91], -v[114:115], v[234:235], v[90:91]
	v_fma_f64 v[110:111], -v[114:115], v[236:237], v[110:111]
	s_waitcnt lgkmcnt(2)
	v_fma_f64 v[88:89], -v[114:115], v[238:239], v[88:89]
	v_fma_f64 v[108:109], -v[114:115], v[240:241], v[108:109]
	s_waitcnt lgkmcnt(1)
	v_fma_f64 v[86:87], -v[114:115], v[242:243], v[86:87]
	v_fma_f64 v[106:107], -v[114:115], v[244:245], v[106:107]
	s_waitcnt lgkmcnt(0)
	v_fma_f64 v[84:85], -v[114:115], v[249:250], v[84:85]
	v_fma_f64 v[158:159], -v[114:115], v[251:252], v[158:159]
.LBB81_156:
	s_or_b32 exec_lo, exec_lo, s1
	s_mov_b32 s1, exec_lo
	s_waitcnt lgkmcnt(0)
	s_barrier
	buffer_gl0_inv
	v_cmpx_eq_u32_e32 31, v0
	s_cbranch_execz .LBB81_159
; %bb.157:
	v_mov_b32_e32 v230, v112
	v_mov_b32_e32 v231, v113
	;; [unrolled: 1-line block ×16, first 2 shown]
	ds_write_b64 v1, v[92:93]
	ds_write2_b64 v248, v[230:231], v[232:233] offset0:32 offset1:33
	ds_write2_b64 v248, v[234:235], v[236:237] offset0:34 offset1:35
	;; [unrolled: 1-line block ×4, first 2 shown]
	ds_write_b64 v248, v[158:159] offset:320
	ds_read_b64 v[230:231], v1
	s_waitcnt lgkmcnt(0)
	v_cmp_neq_f64_e32 vcc_lo, 0, v[230:231]
	s_and_b32 exec_lo, exec_lo, vcc_lo
	s_cbranch_execz .LBB81_159
; %bb.158:
	v_div_scale_f64 v[232:233], null, v[230:231], v[230:231], 1.0
	v_rcp_f64_e32 v[234:235], v[232:233]
	v_fma_f64 v[236:237], -v[232:233], v[234:235], 1.0
	v_fma_f64 v[234:235], v[234:235], v[236:237], v[234:235]
	v_fma_f64 v[236:237], -v[232:233], v[234:235], 1.0
	v_fma_f64 v[234:235], v[234:235], v[236:237], v[234:235]
	v_div_scale_f64 v[236:237], vcc_lo, 1.0, v[230:231], 1.0
	v_mul_f64 v[238:239], v[236:237], v[234:235]
	v_fma_f64 v[232:233], -v[232:233], v[238:239], v[236:237]
	v_div_fmas_f64 v[232:233], v[232:233], v[234:235], v[238:239]
	v_div_fixup_f64 v[230:231], v[232:233], v[230:231], 1.0
	ds_write_b64 v1, v[230:231]
.LBB81_159:
	s_or_b32 exec_lo, exec_lo, s1
	s_waitcnt lgkmcnt(0)
	s_barrier
	buffer_gl0_inv
	ds_read_b64 v[230:231], v1
	s_mov_b32 s1, exec_lo
	v_cmpx_lt_u32_e32 31, v0
	s_cbranch_execz .LBB81_161
; %bb.160:
	s_waitcnt lgkmcnt(0)
	v_mul_f64 v[92:93], v[230:231], v[92:93]
	ds_read2_b64 v[232:235], v248 offset0:32 offset1:33
	ds_read2_b64 v[236:239], v248 offset0:34 offset1:35
	;; [unrolled: 1-line block ×4, first 2 shown]
	ds_read_b64 v[249:250], v248 offset:320
	s_waitcnt lgkmcnt(4)
	v_fma_f64 v[112:113], -v[92:93], v[232:233], v[112:113]
	v_fma_f64 v[90:91], -v[92:93], v[234:235], v[90:91]
	s_waitcnt lgkmcnt(3)
	v_fma_f64 v[110:111], -v[92:93], v[236:237], v[110:111]
	v_fma_f64 v[88:89], -v[92:93], v[238:239], v[88:89]
	;; [unrolled: 3-line block ×4, first 2 shown]
	s_waitcnt lgkmcnt(0)
	v_fma_f64 v[158:159], -v[92:93], v[249:250], v[158:159]
.LBB81_161:
	s_or_b32 exec_lo, exec_lo, s1
	s_mov_b32 s1, exec_lo
	s_waitcnt lgkmcnt(0)
	s_barrier
	buffer_gl0_inv
	v_cmpx_eq_u32_e32 32, v0
	s_cbranch_execz .LBB81_164
; %bb.162:
	ds_write_b64 v1, v[112:113]
	ds_write2_b64 v248, v[90:91], v[110:111] offset0:33 offset1:34
	ds_write2_b64 v248, v[88:89], v[108:109] offset0:35 offset1:36
	;; [unrolled: 1-line block ×4, first 2 shown]
	ds_read_b64 v[232:233], v1
	s_waitcnt lgkmcnt(0)
	v_cmp_neq_f64_e32 vcc_lo, 0, v[232:233]
	s_and_b32 exec_lo, exec_lo, vcc_lo
	s_cbranch_execz .LBB81_164
; %bb.163:
	v_div_scale_f64 v[234:235], null, v[232:233], v[232:233], 1.0
	v_rcp_f64_e32 v[236:237], v[234:235]
	v_fma_f64 v[238:239], -v[234:235], v[236:237], 1.0
	v_fma_f64 v[236:237], v[236:237], v[238:239], v[236:237]
	v_fma_f64 v[238:239], -v[234:235], v[236:237], 1.0
	v_fma_f64 v[236:237], v[236:237], v[238:239], v[236:237]
	v_div_scale_f64 v[238:239], vcc_lo, 1.0, v[232:233], 1.0
	v_mul_f64 v[240:241], v[238:239], v[236:237]
	v_fma_f64 v[234:235], -v[234:235], v[240:241], v[238:239]
	v_div_fmas_f64 v[234:235], v[234:235], v[236:237], v[240:241]
	v_div_fixup_f64 v[232:233], v[234:235], v[232:233], 1.0
	ds_write_b64 v1, v[232:233]
.LBB81_164:
	s_or_b32 exec_lo, exec_lo, s1
	s_waitcnt lgkmcnt(0)
	s_barrier
	buffer_gl0_inv
	ds_read_b64 v[232:233], v1
	s_mov_b32 s1, exec_lo
	v_cmpx_lt_u32_e32 32, v0
	s_cbranch_execz .LBB81_166
; %bb.165:
	s_waitcnt lgkmcnt(0)
	v_mul_f64 v[112:113], v[232:233], v[112:113]
	ds_read2_b64 v[234:237], v248 offset0:33 offset1:34
	ds_read2_b64 v[238:241], v248 offset0:35 offset1:36
	;; [unrolled: 1-line block ×4, first 2 shown]
	s_waitcnt lgkmcnt(3)
	v_fma_f64 v[90:91], -v[112:113], v[234:235], v[90:91]
	v_fma_f64 v[110:111], -v[112:113], v[236:237], v[110:111]
	s_waitcnt lgkmcnt(2)
	v_fma_f64 v[88:89], -v[112:113], v[238:239], v[88:89]
	v_fma_f64 v[108:109], -v[112:113], v[240:241], v[108:109]
	;; [unrolled: 3-line block ×4, first 2 shown]
.LBB81_166:
	s_or_b32 exec_lo, exec_lo, s1
	s_mov_b32 s1, exec_lo
	s_waitcnt lgkmcnt(0)
	s_barrier
	buffer_gl0_inv
	v_cmpx_eq_u32_e32 33, v0
	s_cbranch_execz .LBB81_169
; %bb.167:
	v_mov_b32_e32 v234, v110
	v_mov_b32_e32 v235, v111
	;; [unrolled: 1-line block ×12, first 2 shown]
	ds_write_b64 v1, v[90:91]
	ds_write2_b64 v248, v[234:235], v[236:237] offset0:34 offset1:35
	ds_write2_b64 v248, v[238:239], v[240:241] offset0:36 offset1:37
	;; [unrolled: 1-line block ×3, first 2 shown]
	ds_write_b64 v248, v[158:159] offset:320
	ds_read_b64 v[234:235], v1
	s_waitcnt lgkmcnt(0)
	v_cmp_neq_f64_e32 vcc_lo, 0, v[234:235]
	s_and_b32 exec_lo, exec_lo, vcc_lo
	s_cbranch_execz .LBB81_169
; %bb.168:
	v_div_scale_f64 v[236:237], null, v[234:235], v[234:235], 1.0
	v_rcp_f64_e32 v[238:239], v[236:237]
	v_fma_f64 v[240:241], -v[236:237], v[238:239], 1.0
	v_fma_f64 v[238:239], v[238:239], v[240:241], v[238:239]
	v_fma_f64 v[240:241], -v[236:237], v[238:239], 1.0
	v_fma_f64 v[238:239], v[238:239], v[240:241], v[238:239]
	v_div_scale_f64 v[240:241], vcc_lo, 1.0, v[234:235], 1.0
	v_mul_f64 v[242:243], v[240:241], v[238:239]
	v_fma_f64 v[236:237], -v[236:237], v[242:243], v[240:241]
	v_div_fmas_f64 v[236:237], v[236:237], v[238:239], v[242:243]
	v_div_fixup_f64 v[234:235], v[236:237], v[234:235], 1.0
	ds_write_b64 v1, v[234:235]
.LBB81_169:
	s_or_b32 exec_lo, exec_lo, s1
	s_waitcnt lgkmcnt(0)
	s_barrier
	buffer_gl0_inv
	ds_read_b64 v[234:235], v1
	s_mov_b32 s1, exec_lo
	v_cmpx_lt_u32_e32 33, v0
	s_cbranch_execz .LBB81_171
; %bb.170:
	s_waitcnt lgkmcnt(0)
	v_mul_f64 v[90:91], v[234:235], v[90:91]
	ds_read2_b64 v[236:239], v248 offset0:34 offset1:35
	ds_read2_b64 v[240:243], v248 offset0:36 offset1:37
	;; [unrolled: 1-line block ×3, first 2 shown]
	ds_read_b64 v[249:250], v248 offset:320
	s_waitcnt lgkmcnt(3)
	v_fma_f64 v[110:111], -v[90:91], v[236:237], v[110:111]
	v_fma_f64 v[88:89], -v[90:91], v[238:239], v[88:89]
	s_waitcnt lgkmcnt(2)
	v_fma_f64 v[108:109], -v[90:91], v[240:241], v[108:109]
	v_fma_f64 v[86:87], -v[90:91], v[242:243], v[86:87]
	;; [unrolled: 3-line block ×3, first 2 shown]
	s_waitcnt lgkmcnt(0)
	v_fma_f64 v[158:159], -v[90:91], v[249:250], v[158:159]
.LBB81_171:
	s_or_b32 exec_lo, exec_lo, s1
	s_mov_b32 s1, exec_lo
	s_waitcnt lgkmcnt(0)
	s_barrier
	buffer_gl0_inv
	v_cmpx_eq_u32_e32 34, v0
	s_cbranch_execz .LBB81_174
; %bb.172:
	ds_write_b64 v1, v[110:111]
	ds_write2_b64 v248, v[88:89], v[108:109] offset0:35 offset1:36
	ds_write2_b64 v248, v[86:87], v[106:107] offset0:37 offset1:38
	;; [unrolled: 1-line block ×3, first 2 shown]
	ds_read_b64 v[236:237], v1
	s_waitcnt lgkmcnt(0)
	v_cmp_neq_f64_e32 vcc_lo, 0, v[236:237]
	s_and_b32 exec_lo, exec_lo, vcc_lo
	s_cbranch_execz .LBB81_174
; %bb.173:
	v_div_scale_f64 v[238:239], null, v[236:237], v[236:237], 1.0
	v_rcp_f64_e32 v[240:241], v[238:239]
	v_fma_f64 v[242:243], -v[238:239], v[240:241], 1.0
	v_fma_f64 v[240:241], v[240:241], v[242:243], v[240:241]
	v_fma_f64 v[242:243], -v[238:239], v[240:241], 1.0
	v_fma_f64 v[240:241], v[240:241], v[242:243], v[240:241]
	v_div_scale_f64 v[242:243], vcc_lo, 1.0, v[236:237], 1.0
	v_mul_f64 v[244:245], v[242:243], v[240:241]
	v_fma_f64 v[238:239], -v[238:239], v[244:245], v[242:243]
	v_div_fmas_f64 v[238:239], v[238:239], v[240:241], v[244:245]
	v_div_fixup_f64 v[236:237], v[238:239], v[236:237], 1.0
	ds_write_b64 v1, v[236:237]
.LBB81_174:
	s_or_b32 exec_lo, exec_lo, s1
	s_waitcnt lgkmcnt(0)
	s_barrier
	buffer_gl0_inv
	ds_read_b64 v[236:237], v1
	s_mov_b32 s1, exec_lo
	v_cmpx_lt_u32_e32 34, v0
	s_cbranch_execz .LBB81_176
; %bb.175:
	s_waitcnt lgkmcnt(0)
	v_mul_f64 v[110:111], v[236:237], v[110:111]
	ds_read2_b64 v[238:241], v248 offset0:35 offset1:36
	ds_read2_b64 v[242:245], v248 offset0:37 offset1:38
	;; [unrolled: 1-line block ×3, first 2 shown]
	s_waitcnt lgkmcnt(2)
	v_fma_f64 v[88:89], -v[110:111], v[238:239], v[88:89]
	v_fma_f64 v[108:109], -v[110:111], v[240:241], v[108:109]
	s_waitcnt lgkmcnt(1)
	v_fma_f64 v[86:87], -v[110:111], v[242:243], v[86:87]
	v_fma_f64 v[106:107], -v[110:111], v[244:245], v[106:107]
	;; [unrolled: 3-line block ×3, first 2 shown]
.LBB81_176:
	s_or_b32 exec_lo, exec_lo, s1
	s_mov_b32 s1, exec_lo
	s_waitcnt lgkmcnt(0)
	s_barrier
	buffer_gl0_inv
	v_cmpx_eq_u32_e32 35, v0
	s_cbranch_execz .LBB81_179
; %bb.177:
	v_mov_b32_e32 v238, v108
	v_mov_b32_e32 v239, v109
	;; [unrolled: 1-line block ×8, first 2 shown]
	ds_write_b64 v1, v[88:89]
	ds_write2_b64 v248, v[238:239], v[240:241] offset0:36 offset1:37
	ds_write2_b64 v248, v[242:243], v[244:245] offset0:38 offset1:39
	ds_write_b64 v248, v[158:159] offset:320
	ds_read_b64 v[238:239], v1
	s_waitcnt lgkmcnt(0)
	v_cmp_neq_f64_e32 vcc_lo, 0, v[238:239]
	s_and_b32 exec_lo, exec_lo, vcc_lo
	s_cbranch_execz .LBB81_179
; %bb.178:
	v_div_scale_f64 v[240:241], null, v[238:239], v[238:239], 1.0
	v_rcp_f64_e32 v[242:243], v[240:241]
	v_fma_f64 v[244:245], -v[240:241], v[242:243], 1.0
	v_fma_f64 v[242:243], v[242:243], v[244:245], v[242:243]
	v_fma_f64 v[244:245], -v[240:241], v[242:243], 1.0
	v_fma_f64 v[242:243], v[242:243], v[244:245], v[242:243]
	v_div_scale_f64 v[244:245], vcc_lo, 1.0, v[238:239], 1.0
	v_mul_f64 v[246:247], v[244:245], v[242:243]
	v_fma_f64 v[240:241], -v[240:241], v[246:247], v[244:245]
	v_div_fmas_f64 v[240:241], v[240:241], v[242:243], v[246:247]
	v_div_fixup_f64 v[238:239], v[240:241], v[238:239], 1.0
	ds_write_b64 v1, v[238:239]
.LBB81_179:
	s_or_b32 exec_lo, exec_lo, s1
	s_waitcnt lgkmcnt(0)
	s_barrier
	buffer_gl0_inv
	ds_read_b64 v[238:239], v1
	s_mov_b32 s1, exec_lo
	v_cmpx_lt_u32_e32 35, v0
	s_cbranch_execz .LBB81_181
; %bb.180:
	s_waitcnt lgkmcnt(0)
	v_mul_f64 v[88:89], v[238:239], v[88:89]
	ds_read2_b64 v[240:243], v248 offset0:36 offset1:37
	ds_read2_b64 v[244:247], v248 offset0:38 offset1:39
	ds_read_b64 v[249:250], v248 offset:320
	s_waitcnt lgkmcnt(2)
	v_fma_f64 v[108:109], -v[88:89], v[240:241], v[108:109]
	v_fma_f64 v[86:87], -v[88:89], v[242:243], v[86:87]
	s_waitcnt lgkmcnt(1)
	v_fma_f64 v[106:107], -v[88:89], v[244:245], v[106:107]
	v_fma_f64 v[84:85], -v[88:89], v[246:247], v[84:85]
	s_waitcnt lgkmcnt(0)
	v_fma_f64 v[158:159], -v[88:89], v[249:250], v[158:159]
.LBB81_181:
	s_or_b32 exec_lo, exec_lo, s1
	s_mov_b32 s1, exec_lo
	s_waitcnt lgkmcnt(0)
	s_barrier
	buffer_gl0_inv
	v_cmpx_eq_u32_e32 36, v0
	s_cbranch_execz .LBB81_184
; %bb.182:
	ds_write_b64 v1, v[108:109]
	ds_write2_b64 v248, v[86:87], v[106:107] offset0:37 offset1:38
	ds_write2_b64 v248, v[84:85], v[158:159] offset0:39 offset1:40
	ds_read_b64 v[240:241], v1
	s_waitcnt lgkmcnt(0)
	v_cmp_neq_f64_e32 vcc_lo, 0, v[240:241]
	s_and_b32 exec_lo, exec_lo, vcc_lo
	s_cbranch_execz .LBB81_184
; %bb.183:
	v_div_scale_f64 v[242:243], null, v[240:241], v[240:241], 1.0
	v_rcp_f64_e32 v[244:245], v[242:243]
	v_fma_f64 v[246:247], -v[242:243], v[244:245], 1.0
	v_fma_f64 v[244:245], v[244:245], v[246:247], v[244:245]
	v_fma_f64 v[246:247], -v[242:243], v[244:245], 1.0
	v_fma_f64 v[244:245], v[244:245], v[246:247], v[244:245]
	v_div_scale_f64 v[246:247], vcc_lo, 1.0, v[240:241], 1.0
	v_mul_f64 v[249:250], v[246:247], v[244:245]
	v_fma_f64 v[242:243], -v[242:243], v[249:250], v[246:247]
	v_div_fmas_f64 v[242:243], v[242:243], v[244:245], v[249:250]
	v_div_fixup_f64 v[240:241], v[242:243], v[240:241], 1.0
	ds_write_b64 v1, v[240:241]
.LBB81_184:
	s_or_b32 exec_lo, exec_lo, s1
	s_waitcnt lgkmcnt(0)
	s_barrier
	buffer_gl0_inv
	ds_read_b64 v[240:241], v1
	s_mov_b32 s1, exec_lo
	v_cmpx_lt_u32_e32 36, v0
	s_cbranch_execz .LBB81_186
; %bb.185:
	s_waitcnt lgkmcnt(0)
	v_mul_f64 v[108:109], v[240:241], v[108:109]
	ds_read2_b64 v[242:245], v248 offset0:37 offset1:38
	ds_read2_b64 v[249:252], v248 offset0:39 offset1:40
	s_waitcnt lgkmcnt(1)
	v_fma_f64 v[86:87], -v[108:109], v[242:243], v[86:87]
	v_fma_f64 v[106:107], -v[108:109], v[244:245], v[106:107]
	s_waitcnt lgkmcnt(0)
	v_fma_f64 v[84:85], -v[108:109], v[249:250], v[84:85]
	v_fma_f64 v[158:159], -v[108:109], v[251:252], v[158:159]
.LBB81_186:
	s_or_b32 exec_lo, exec_lo, s1
	s_mov_b32 s1, exec_lo
	s_waitcnt lgkmcnt(0)
	s_barrier
	buffer_gl0_inv
	v_cmpx_eq_u32_e32 37, v0
	s_cbranch_execz .LBB81_189
; %bb.187:
	v_mov_b32_e32 v242, v106
	v_mov_b32_e32 v243, v107
	;; [unrolled: 1-line block ×4, first 2 shown]
	ds_write_b64 v1, v[86:87]
	ds_write2_b64 v248, v[242:243], v[244:245] offset0:38 offset1:39
	ds_write_b64 v248, v[158:159] offset:320
	ds_read_b64 v[242:243], v1
	s_waitcnt lgkmcnt(0)
	v_cmp_neq_f64_e32 vcc_lo, 0, v[242:243]
	s_and_b32 exec_lo, exec_lo, vcc_lo
	s_cbranch_execz .LBB81_189
; %bb.188:
	v_div_scale_f64 v[244:245], null, v[242:243], v[242:243], 1.0
	v_rcp_f64_e32 v[246:247], v[244:245]
	v_fma_f64 v[249:250], -v[244:245], v[246:247], 1.0
	v_fma_f64 v[246:247], v[246:247], v[249:250], v[246:247]
	v_fma_f64 v[249:250], -v[244:245], v[246:247], 1.0
	v_fma_f64 v[246:247], v[246:247], v[249:250], v[246:247]
	v_div_scale_f64 v[249:250], vcc_lo, 1.0, v[242:243], 1.0
	v_mul_f64 v[251:252], v[249:250], v[246:247]
	v_fma_f64 v[244:245], -v[244:245], v[251:252], v[249:250]
	v_div_fmas_f64 v[244:245], v[244:245], v[246:247], v[251:252]
	v_div_fixup_f64 v[242:243], v[244:245], v[242:243], 1.0
	ds_write_b64 v1, v[242:243]
.LBB81_189:
	s_or_b32 exec_lo, exec_lo, s1
	s_waitcnt lgkmcnt(0)
	s_barrier
	buffer_gl0_inv
	ds_read_b64 v[242:243], v1
	s_mov_b32 s1, exec_lo
	v_cmpx_lt_u32_e32 37, v0
	s_cbranch_execz .LBB81_191
; %bb.190:
	s_waitcnt lgkmcnt(0)
	v_mul_f64 v[86:87], v[242:243], v[86:87]
	ds_read2_b64 v[244:247], v248 offset0:38 offset1:39
	ds_read_b64 v[249:250], v248 offset:320
	s_waitcnt lgkmcnt(1)
	v_fma_f64 v[106:107], -v[86:87], v[244:245], v[106:107]
	v_fma_f64 v[84:85], -v[86:87], v[246:247], v[84:85]
	s_waitcnt lgkmcnt(0)
	v_fma_f64 v[158:159], -v[86:87], v[249:250], v[158:159]
.LBB81_191:
	s_or_b32 exec_lo, exec_lo, s1
	s_mov_b32 s1, exec_lo
	s_waitcnt lgkmcnt(0)
	s_barrier
	buffer_gl0_inv
	v_cmpx_eq_u32_e32 38, v0
	s_cbranch_execz .LBB81_194
; %bb.192:
	ds_write_b64 v1, v[106:107]
	ds_write2_b64 v248, v[84:85], v[158:159] offset0:39 offset1:40
	ds_read_b64 v[244:245], v1
	s_waitcnt lgkmcnt(0)
	v_cmp_neq_f64_e32 vcc_lo, 0, v[244:245]
	s_and_b32 exec_lo, exec_lo, vcc_lo
	s_cbranch_execz .LBB81_194
; %bb.193:
	v_div_scale_f64 v[246:247], null, v[244:245], v[244:245], 1.0
	v_mov_b32_e32 v168, v254
	v_mov_b32_e32 v169, v255
	v_rcp_f64_e32 v[249:250], v[246:247]
	v_fma_f64 v[251:252], -v[246:247], v[249:250], 1.0
	v_fma_f64 v[249:250], v[249:250], v[251:252], v[249:250]
	v_fma_f64 v[251:252], -v[246:247], v[249:250], 1.0
	v_fma_f64 v[249:250], v[249:250], v[251:252], v[249:250]
	v_div_scale_f64 v[251:252], vcc_lo, 1.0, v[244:245], 1.0
	v_mul_f64 v[253:254], v[251:252], v[249:250]
	v_fma_f64 v[246:247], -v[246:247], v[253:254], v[251:252]
	v_div_fmas_f64 v[246:247], v[246:247], v[249:250], v[253:254]
	v_mov_b32_e32 v255, v169
	v_mov_b32_e32 v254, v168
	v_div_fixup_f64 v[244:245], v[246:247], v[244:245], 1.0
	ds_write_b64 v1, v[244:245]
.LBB81_194:
	s_or_b32 exec_lo, exec_lo, s1
	s_waitcnt lgkmcnt(0)
	s_barrier
	buffer_gl0_inv
	ds_read_b64 v[244:245], v1
	s_mov_b32 s1, exec_lo
	v_cmpx_lt_u32_e32 38, v0
	s_cbranch_execz .LBB81_196
; %bb.195:
	s_waitcnt lgkmcnt(0)
	v_mul_f64 v[106:107], v[244:245], v[106:107]
	ds_read2_b64 v[249:252], v248 offset0:39 offset1:40
	s_waitcnt lgkmcnt(0)
	v_fma_f64 v[84:85], -v[106:107], v[249:250], v[84:85]
	v_fma_f64 v[158:159], -v[106:107], v[251:252], v[158:159]
.LBB81_196:
	s_or_b32 exec_lo, exec_lo, s1
	s_mov_b32 s1, exec_lo
	s_waitcnt lgkmcnt(0)
	s_barrier
	buffer_gl0_inv
	v_cmpx_eq_u32_e32 39, v0
	s_cbranch_execz .LBB81_199
; %bb.197:
	ds_write_b64 v1, v[84:85]
	ds_write_b64 v248, v[158:159] offset:320
	ds_read_b64 v[246:247], v1
	s_waitcnt lgkmcnt(0)
	v_cmp_neq_f64_e32 vcc_lo, 0, v[246:247]
	s_and_b32 exec_lo, exec_lo, vcc_lo
	s_cbranch_execz .LBB81_199
; %bb.198:
	buffer_store_dword v142, off, s[12:15], 0 ; 4-byte Folded Spill
	buffer_store_dword v143, off, s[12:15], 0 offset:4 ; 4-byte Folded Spill
	v_mov_b32_e32 v143, v129
	v_mov_b32_e32 v142, v128
	;; [unrolled: 1-line block ×99, first 2 shown]
	v_div_scale_f64 v[249:250], null, v[246:247], v[246:247], 1.0
	v_mov_b32_e32 v64, v62
	v_mov_b32_e32 v63, v61
	;; [unrolled: 1-line block ×44, first 2 shown]
	v_rcp_f64_e32 v[251:252], v[249:250]
	v_mov_b32_e32 v20, v18
	v_mov_b32_e32 v19, v17
	;; [unrolled: 1-line block ×49, first 2 shown]
	v_fma_f64 v[253:254], -v[249:250], v[251:252], 1.0
	v_fma_f64 v[251:252], v[251:252], v[253:254], v[251:252]
	v_fma_f64 v[253:254], -v[249:250], v[251:252], 1.0
	v_fma_f64 v[251:252], v[251:252], v[253:254], v[251:252]
	v_div_scale_f64 v[253:254], vcc_lo, 1.0, v[246:247], 1.0
	v_mul_f64 v[168:169], v[253:254], v[251:252]
	v_fma_f64 v[249:250], -v[249:250], v[168:169], v[253:254]
	v_mov_b32_e32 v255, v171
	v_mov_b32_e32 v254, v170
	;; [unrolled: 1-line block ×192, first 2 shown]
	s_clause 0x1
	buffer_load_dword v142, off, s[12:15], 0
	buffer_load_dword v143, off, s[12:15], 0 offset:4
	v_div_fmas_f64 v[168:169], v[249:250], v[251:252], v[168:169]
	v_div_fixup_f64 v[168:169], v[168:169], v[246:247], 1.0
	ds_write_b64 v1, v[168:169]
.LBB81_199:
	s_or_b32 exec_lo, exec_lo, s1
	s_waitcnt vmcnt(0) lgkmcnt(0)
	s_waitcnt_vscnt null, 0x0
	s_barrier
	buffer_gl0_inv
	ds_read_b64 v[246:247], v1
	s_mov_b32 s1, exec_lo
	v_cmpx_lt_u32_e32 39, v0
	s_cbranch_execz .LBB81_201
; %bb.200:
	s_waitcnt lgkmcnt(0)
	v_mul_f64 v[84:85], v[246:247], v[84:85]
	ds_read_b64 v[168:169], v248 offset:320
	s_waitcnt lgkmcnt(0)
	v_fma_f64 v[158:159], -v[84:85], v[168:169], v[158:159]
.LBB81_201:
	s_or_b32 exec_lo, exec_lo, s1
	s_mov_b32 s1, exec_lo
	s_waitcnt lgkmcnt(0)
	s_barrier
	buffer_gl0_inv
	v_cmpx_eq_u32_e32 40, v0
	s_cbranch_execz .LBB81_204
; %bb.202:
	v_cmp_neq_f64_e32 vcc_lo, 0, v[158:159]
	ds_write_b64 v1, v[158:159]
	s_and_b32 exec_lo, exec_lo, vcc_lo
	s_cbranch_execz .LBB81_204
; %bb.203:
	v_div_scale_f64 v[168:169], null, v[158:159], v[158:159], 1.0
	v_rcp_f64_e32 v[248:249], v[168:169]
	v_fma_f64 v[250:251], -v[168:169], v[248:249], 1.0
	v_fma_f64 v[248:249], v[248:249], v[250:251], v[248:249]
	v_fma_f64 v[250:251], -v[168:169], v[248:249], 1.0
	v_fma_f64 v[248:249], v[248:249], v[250:251], v[248:249]
	v_div_scale_f64 v[250:251], vcc_lo, 1.0, v[158:159], 1.0
	v_mul_f64 v[252:253], v[250:251], v[248:249]
	v_fma_f64 v[168:169], -v[168:169], v[252:253], v[250:251]
	v_div_fmas_f64 v[168:169], v[168:169], v[248:249], v[252:253]
	v_div_fixup_f64 v[168:169], v[168:169], v[158:159], 1.0
	ds_write_b64 v1, v[168:169]
.LBB81_204:
	s_or_b32 exec_lo, exec_lo, s1
	s_waitcnt lgkmcnt(0)
	s_barrier
	buffer_gl0_inv
	ds_read_b64 v[248:249], v1
	s_waitcnt lgkmcnt(0)
	s_barrier
	buffer_gl0_inv
	s_and_saveexec_b32 s6, s0
	s_cbranch_execz .LBB81_207
; %bb.205:
	v_cmp_eq_f64_e32 vcc_lo, 0, v[254:255]
	v_cmp_neq_f64_e64 s0, 0, v[170:171]
	v_cmp_eq_f64_e64 s1, 0, v[172:173]
	v_cmp_eq_f64_e64 s2, 0, v[174:175]
	s_load_dwordx2 s[4:5], s[4:5], 0x28
	v_cndmask_b32_e64 v1, 0, 1, vcc_lo
	s_or_b32 vcc_lo, s0, vcc_lo
	v_cmp_eq_f64_e64 s0, 0, v[176:177]
	v_cndmask_b32_e32 v1, 2, v1, vcc_lo
	v_cmp_eq_u32_e32 vcc_lo, 0, v1
	s_and_b32 s1, s1, vcc_lo
	v_cndmask_b32_e64 v1, v1, 3, s1
	v_cmp_eq_f64_e64 s1, 0, v[178:179]
	v_cmp_eq_u32_e32 vcc_lo, 0, v1
	s_and_b32 s2, s2, vcc_lo
	v_cndmask_b32_e64 v1, v1, 4, s2
	v_cmp_eq_f64_e64 s2, 0, v[180:181]
	;; [unrolled: 4-line block ×8, first 2 shown]
	v_cmp_eq_u32_e32 vcc_lo, 0, v1
	s_and_b32 s0, s0, vcc_lo
	v_cmp_eq_f64_e32 vcc_lo, 0, v[194:195]
	v_cndmask_b32_e64 v168, v1, 11, s0
	v_lshlrev_b64 v[1:2], 2, v[2:3]
	v_cmp_eq_u32_e64 s0, 0, v168
	s_waitcnt lgkmcnt(0)
	v_add_co_u32 v1, s3, s4, v1
	v_add_co_ci_u32_e64 v2, null, s5, v2, s3
	s_and_b32 s0, s1, s0
	v_cmp_eq_f64_e64 s1, 0, v[196:197]
	v_cndmask_b32_e64 v3, v168, 12, s0
	global_load_dword v168, v[1:2], off
	v_cmp_eq_u32_e64 s0, 0, v3
	s_and_b32 s0, s2, s0
	v_cmp_eq_f64_e64 s2, 0, v[198:199]
	v_cndmask_b32_e64 v3, v3, 13, s0
	v_cmp_eq_u32_e64 s0, 0, v3
	s_and_b32 s0, vcc_lo, s0
	v_cndmask_b32_e64 v3, v3, 14, s0
	v_cmp_eq_f64_e64 s0, 0, v[200:201]
	v_cmp_eq_u32_e32 vcc_lo, 0, v3
	s_and_b32 s1, s1, vcc_lo
	v_cndmask_b32_e64 v3, v3, 15, s1
	v_cmp_eq_f64_e64 s1, 0, v[202:203]
	v_cmp_eq_u32_e32 vcc_lo, 0, v3
	s_and_b32 s2, s2, vcc_lo
	;; [unrolled: 4-line block ×25, first 2 shown]
	v_cndmask_b32_e64 v3, v3, 39, s1
	v_cmp_eq_u32_e32 vcc_lo, 0, v3
	s_and_b32 s1, s2, vcc_lo
	v_cndmask_b32_e64 v3, v3, 40, s1
	v_cmp_eq_u32_e32 vcc_lo, 0, v3
	s_and_b32 s0, s0, vcc_lo
	s_waitcnt vmcnt(0)
	v_cmp_eq_u32_e32 vcc_lo, 0, v168
	v_cndmask_b32_e64 v3, v3, 41, s0
	v_cmp_ne_u32_e64 s0, 0, v3
	s_and_b32 s0, vcc_lo, s0
	s_and_b32 exec_lo, exec_lo, s0
	s_cbranch_execz .LBB81_207
; %bb.206:
	v_add_nc_u32_e32 v3, s9, v3
	global_store_dword v[1:2], v3, off
.LBB81_207:
	s_or_b32 exec_lo, exec_lo, s6
	v_mul_f64 v[1:2], v[248:249], v[158:159]
	v_cmp_lt_u32_e32 vcc_lo, 40, v0
	flat_store_dwordx2 v[82:83], v[160:161]
	flat_store_dwordx2 v[156:157], v[164:165]
	flat_store_dwordx2 v[4:5], v[166:167]
	flat_store_dwordx2 v[6:7], v[162:163]
	flat_store_dwordx2 v[8:9], v[154:155]
	flat_store_dwordx2 v[10:11], v[138:139]
	flat_store_dwordx2 v[12:13], v[152:153]
	flat_store_dwordx2 v[14:15], v[136:137]
	flat_store_dwordx2 v[16:17], v[150:151]
	flat_store_dwordx2 v[18:19], v[134:135]
	flat_store_dwordx2 v[20:21], v[148:149]
	flat_store_dwordx2 v[22:23], v[132:133]
	flat_store_dwordx2 v[24:25], v[146:147]
	flat_store_dwordx2 v[26:27], v[130:131]
	flat_store_dwordx2 v[28:29], v[144:145]
	flat_store_dwordx2 v[30:31], v[128:129]
	flat_store_dwordx2 v[32:33], v[142:143]
	flat_store_dwordx2 v[34:35], v[126:127]
	flat_store_dwordx2 v[38:39], v[140:141]
	v_cndmask_b32_e32 v2, v159, v2, vcc_lo
	v_cndmask_b32_e32 v1, v158, v1, vcc_lo
	flat_store_dwordx2 v[36:37], v[104:105]
	flat_store_dwordx2 v[40:41], v[124:125]
	;; [unrolled: 1-line block ×22, first 2 shown]
.LBB81_208:
	s_endpgm
	.section	.rodata,"a",@progbits
	.p2align	6, 0x0
	.amdhsa_kernel _ZN9rocsolver6v33100L23getf2_npvt_small_kernelILi41EdiiPKPdEEvT1_T3_lS5_lPT2_S5_S5_
		.amdhsa_group_segment_fixed_size 0
		.amdhsa_private_segment_fixed_size 12
		.amdhsa_kernarg_size 312
		.amdhsa_user_sgpr_count 6
		.amdhsa_user_sgpr_private_segment_buffer 1
		.amdhsa_user_sgpr_dispatch_ptr 0
		.amdhsa_user_sgpr_queue_ptr 0
		.amdhsa_user_sgpr_kernarg_segment_ptr 1
		.amdhsa_user_sgpr_dispatch_id 0
		.amdhsa_user_sgpr_flat_scratch_init 0
		.amdhsa_user_sgpr_private_segment_size 0
		.amdhsa_wavefront_size32 1
		.amdhsa_uses_dynamic_stack 0
		.amdhsa_system_sgpr_private_segment_wavefront_offset 1
		.amdhsa_system_sgpr_workgroup_id_x 1
		.amdhsa_system_sgpr_workgroup_id_y 1
		.amdhsa_system_sgpr_workgroup_id_z 0
		.amdhsa_system_sgpr_workgroup_info 0
		.amdhsa_system_vgpr_workitem_id 1
		.amdhsa_next_free_vgpr 256
		.amdhsa_next_free_sgpr 16
		.amdhsa_reserve_vcc 1
		.amdhsa_reserve_flat_scratch 1
		.amdhsa_float_round_mode_32 0
		.amdhsa_float_round_mode_16_64 0
		.amdhsa_float_denorm_mode_32 3
		.amdhsa_float_denorm_mode_16_64 3
		.amdhsa_dx10_clamp 1
		.amdhsa_ieee_mode 1
		.amdhsa_fp16_overflow 0
		.amdhsa_workgroup_processor_mode 1
		.amdhsa_memory_ordered 1
		.amdhsa_forward_progress 1
		.amdhsa_shared_vgpr_count 0
		.amdhsa_exception_fp_ieee_invalid_op 0
		.amdhsa_exception_fp_denorm_src 0
		.amdhsa_exception_fp_ieee_div_zero 0
		.amdhsa_exception_fp_ieee_overflow 0
		.amdhsa_exception_fp_ieee_underflow 0
		.amdhsa_exception_fp_ieee_inexact 0
		.amdhsa_exception_int_div_zero 0
	.end_amdhsa_kernel
	.section	.text._ZN9rocsolver6v33100L23getf2_npvt_small_kernelILi41EdiiPKPdEEvT1_T3_lS5_lPT2_S5_S5_,"axG",@progbits,_ZN9rocsolver6v33100L23getf2_npvt_small_kernelILi41EdiiPKPdEEvT1_T3_lS5_lPT2_S5_S5_,comdat
.Lfunc_end81:
	.size	_ZN9rocsolver6v33100L23getf2_npvt_small_kernelILi41EdiiPKPdEEvT1_T3_lS5_lPT2_S5_S5_, .Lfunc_end81-_ZN9rocsolver6v33100L23getf2_npvt_small_kernelILi41EdiiPKPdEEvT1_T3_lS5_lPT2_S5_S5_
                                        ; -- End function
	.set _ZN9rocsolver6v33100L23getf2_npvt_small_kernelILi41EdiiPKPdEEvT1_T3_lS5_lPT2_S5_S5_.num_vgpr, 256
	.set _ZN9rocsolver6v33100L23getf2_npvt_small_kernelILi41EdiiPKPdEEvT1_T3_lS5_lPT2_S5_S5_.num_agpr, 0
	.set _ZN9rocsolver6v33100L23getf2_npvt_small_kernelILi41EdiiPKPdEEvT1_T3_lS5_lPT2_S5_S5_.numbered_sgpr, 16
	.set _ZN9rocsolver6v33100L23getf2_npvt_small_kernelILi41EdiiPKPdEEvT1_T3_lS5_lPT2_S5_S5_.num_named_barrier, 0
	.set _ZN9rocsolver6v33100L23getf2_npvt_small_kernelILi41EdiiPKPdEEvT1_T3_lS5_lPT2_S5_S5_.private_seg_size, 12
	.set _ZN9rocsolver6v33100L23getf2_npvt_small_kernelILi41EdiiPKPdEEvT1_T3_lS5_lPT2_S5_S5_.uses_vcc, 1
	.set _ZN9rocsolver6v33100L23getf2_npvt_small_kernelILi41EdiiPKPdEEvT1_T3_lS5_lPT2_S5_S5_.uses_flat_scratch, 1
	.set _ZN9rocsolver6v33100L23getf2_npvt_small_kernelILi41EdiiPKPdEEvT1_T3_lS5_lPT2_S5_S5_.has_dyn_sized_stack, 0
	.set _ZN9rocsolver6v33100L23getf2_npvt_small_kernelILi41EdiiPKPdEEvT1_T3_lS5_lPT2_S5_S5_.has_recursion, 0
	.set _ZN9rocsolver6v33100L23getf2_npvt_small_kernelILi41EdiiPKPdEEvT1_T3_lS5_lPT2_S5_S5_.has_indirect_call, 0
	.section	.AMDGPU.csdata,"",@progbits
; Kernel info:
; codeLenInByte = 31332
; TotalNumSgprs: 18
; NumVgprs: 256
; ScratchSize: 12
; MemoryBound: 0
; FloatMode: 240
; IeeeMode: 1
; LDSByteSize: 0 bytes/workgroup (compile time only)
; SGPRBlocks: 0
; VGPRBlocks: 31
; NumSGPRsForWavesPerEU: 18
; NumVGPRsForWavesPerEU: 256
; Occupancy: 4
; WaveLimiterHint : 1
; COMPUTE_PGM_RSRC2:SCRATCH_EN: 1
; COMPUTE_PGM_RSRC2:USER_SGPR: 6
; COMPUTE_PGM_RSRC2:TRAP_HANDLER: 0
; COMPUTE_PGM_RSRC2:TGID_X_EN: 1
; COMPUTE_PGM_RSRC2:TGID_Y_EN: 1
; COMPUTE_PGM_RSRC2:TGID_Z_EN: 0
; COMPUTE_PGM_RSRC2:TIDIG_COMP_CNT: 1
	.section	.text._ZN9rocsolver6v33100L18getf2_small_kernelILi42EdiiPKPdEEvT1_T3_lS5_lPS5_llPT2_S5_S5_S7_l,"axG",@progbits,_ZN9rocsolver6v33100L18getf2_small_kernelILi42EdiiPKPdEEvT1_T3_lS5_lPS5_llPT2_S5_S5_S7_l,comdat
	.globl	_ZN9rocsolver6v33100L18getf2_small_kernelILi42EdiiPKPdEEvT1_T3_lS5_lPS5_llPT2_S5_S5_S7_l ; -- Begin function _ZN9rocsolver6v33100L18getf2_small_kernelILi42EdiiPKPdEEvT1_T3_lS5_lPS5_llPT2_S5_S5_S7_l
	.p2align	8
	.type	_ZN9rocsolver6v33100L18getf2_small_kernelILi42EdiiPKPdEEvT1_T3_lS5_lPS5_llPT2_S5_S5_S7_l,@function
_ZN9rocsolver6v33100L18getf2_small_kernelILi42EdiiPKPdEEvT1_T3_lS5_lPS5_llPT2_S5_S5_S7_l: ; @_ZN9rocsolver6v33100L18getf2_small_kernelILi42EdiiPKPdEEvT1_T3_lS5_lPS5_llPT2_S5_S5_S7_l
; %bb.0:
	s_clause 0x1
	s_load_dword s0, s[4:5], 0x6c
	s_load_dwordx2 s[12:13], s[4:5], 0x48
	s_waitcnt lgkmcnt(0)
	s_lshr_b32 s0, s0, 16
	v_mad_u64_u32 v[2:3], null, s7, s0, v[1:2]
	s_mov_b32 s0, exec_lo
	v_cmpx_gt_i32_e64 s12, v2
	s_cbranch_execz .LBB82_711
; %bb.1:
	s_clause 0x1
	s_load_dwordx4 s[0:3], s[4:5], 0x8
	s_load_dwordx4 s[8:11], s[4:5], 0x50
	v_ashrrev_i32_e32 v3, 31, v2
	v_lshlrev_b64 v[4:5], 3, v[2:3]
	s_waitcnt lgkmcnt(0)
	v_add_co_u32 v4, vcc_lo, s0, v4
	v_add_co_ci_u32_e64 v5, null, s1, v5, vcc_lo
	s_cmp_eq_u64 s[8:9], 0
	s_cselect_b32 s6, -1, 0
	global_load_dwordx2 v[6:7], v[4:5], off
	v_mov_b32_e32 v4, 0
	v_mov_b32_e32 v5, 0
	s_and_b32 vcc_lo, exec_lo, s6
	s_cbranch_vccnz .LBB82_3
; %bb.2:
	v_mul_lo_u32 v8, s11, v2
	v_mul_lo_u32 v9, s10, v3
	v_mad_u64_u32 v[4:5], null, s10, v2, 0
	v_add3_u32 v5, v5, v9, v8
	v_lshlrev_b64 v[4:5], 2, v[4:5]
	v_add_co_u32 v4, vcc_lo, s8, v4
	v_add_co_ci_u32_e64 v5, null, s9, v5, vcc_lo
.LBB82_3:
	s_clause 0x1
	s_load_dword s8, s[4:5], 0x18
	s_load_dword s7, s[4:5], 0x0
	s_lshl_b64 s[0:1], s[2:3], 3
	v_lshlrev_b32_e32 v130, 3, v0
	s_waitcnt vmcnt(0)
	v_add_co_u32 v94, vcc_lo, v6, s0
	v_add_co_ci_u32_e64 v95, null, s1, v7, vcc_lo
	s_waitcnt lgkmcnt(0)
	v_add3_u32 v8, s8, s8, v0
	s_ashr_i32 s9, s8, 31
	s_max_i32 s0, s7, 42
	s_lshl_b64 s[10:11], s[8:9], 3
	v_mul_lo_u32 v1, s0, v1
	v_add_nc_u32_e32 v10, s8, v8
	v_ashrrev_i32_e32 v9, 31, v8
	s_cmp_lt_i32 s7, 2
	v_ashrrev_i32_e32 v11, 31, v10
	v_add_nc_u32_e32 v12, s8, v10
	v_lshlrev_b64 v[8:9], 3, v[8:9]
	v_lshlrev_b64 v[6:7], 3, v[10:11]
	v_add_nc_u32_e32 v10, s8, v12
	v_ashrrev_i32_e32 v13, 31, v12
	v_add_co_u32 v8, vcc_lo, v94, v8
	v_add_co_ci_u32_e64 v9, null, v95, v9, vcc_lo
	v_add_nc_u32_e32 v14, s8, v10
	v_ashrrev_i32_e32 v11, 31, v10
	v_lshlrev_b64 v[12:13], 3, v[12:13]
	v_add_co_u32 v6, vcc_lo, v94, v6
	v_add_nc_u32_e32 v16, s8, v14
	v_ashrrev_i32_e32 v15, 31, v14
	v_lshlrev_b64 v[10:11], 3, v[10:11]
	v_add_co_ci_u32_e64 v7, null, v95, v7, vcc_lo
	v_add_nc_u32_e32 v18, s8, v16
	v_ashrrev_i32_e32 v17, 31, v16
	v_lshlrev_b64 v[14:15], 3, v[14:15]
	v_add_co_u32 v12, vcc_lo, v94, v12
	v_add_nc_u32_e32 v20, s8, v18
	v_ashrrev_i32_e32 v19, 31, v18
	v_lshlrev_b64 v[16:17], 3, v[16:17]
	v_add_co_ci_u32_e64 v13, null, v95, v13, vcc_lo
	v_add_nc_u32_e32 v22, s8, v20
	v_ashrrev_i32_e32 v21, 31, v20
	v_add_co_u32 v10, vcc_lo, v94, v10
	v_lshlrev_b64 v[18:19], 3, v[18:19]
	v_add_nc_u32_e32 v24, s8, v22
	v_ashrrev_i32_e32 v23, 31, v22
	v_add_co_ci_u32_e64 v11, null, v95, v11, vcc_lo
	v_add_co_u32 v14, vcc_lo, v94, v14
	v_add_nc_u32_e32 v26, s8, v24
	v_ashrrev_i32_e32 v25, 31, v24
	v_lshlrev_b64 v[20:21], 3, v[20:21]
	v_add_co_ci_u32_e64 v15, null, v95, v15, vcc_lo
	v_add_nc_u32_e32 v28, s8, v26
	v_ashrrev_i32_e32 v27, 31, v26
	v_add_co_u32 v16, vcc_lo, v94, v16
	v_lshlrev_b64 v[22:23], 3, v[22:23]
	v_add_nc_u32_e32 v30, s8, v28
	v_ashrrev_i32_e32 v29, 31, v28
	v_add_co_ci_u32_e64 v17, null, v95, v17, vcc_lo
	v_add_co_u32 v18, vcc_lo, v94, v18
	v_add_nc_u32_e32 v32, s8, v30
	v_lshlrev_b64 v[24:25], 3, v[24:25]
	v_ashrrev_i32_e32 v31, 31, v30
	v_add_co_ci_u32_e64 v19, null, v95, v19, vcc_lo
	v_add_nc_u32_e32 v34, s8, v32
	v_add_co_u32 v20, vcc_lo, v94, v20
	v_lshlrev_b64 v[26:27], 3, v[26:27]
	v_ashrrev_i32_e32 v33, 31, v32
	v_add_nc_u32_e32 v36, s8, v34
	v_add_co_ci_u32_e64 v21, null, v95, v21, vcc_lo
	v_add_co_u32 v22, vcc_lo, v94, v22
	v_add_nc_u32_e32 v38, s8, v36
	v_lshlrev_b64 v[28:29], 3, v[28:29]
	v_ashrrev_i32_e32 v35, 31, v34
	v_add_co_ci_u32_e64 v23, null, v95, v23, vcc_lo
	v_add_nc_u32_e32 v40, s8, v38
	v_add_co_u32 v24, vcc_lo, v94, v24
	v_lshlrev_b64 v[30:31], 3, v[30:31]
	v_ashrrev_i32_e32 v37, 31, v36
	v_add_nc_u32_e32 v42, s8, v40
	v_add_co_ci_u32_e64 v25, null, v95, v25, vcc_lo
	v_add_co_u32 v26, vcc_lo, v94, v26
	v_add_nc_u32_e32 v44, s8, v42
	v_lshlrev_b64 v[32:33], 3, v[32:33]
	v_ashrrev_i32_e32 v39, 31, v38
	v_add_co_ci_u32_e64 v27, null, v95, v27, vcc_lo
	v_add_co_u32 v28, vcc_lo, v94, v28
	v_lshlrev_b64 v[34:35], 3, v[34:35]
	v_add_nc_u32_e32 v46, s8, v44
	v_ashrrev_i32_e32 v41, 31, v40
	v_add_co_ci_u32_e64 v29, null, v95, v29, vcc_lo
	v_add_co_u32 v30, vcc_lo, v94, v30
	v_lshlrev_b64 v[36:37], 3, v[36:37]
	v_ashrrev_i32_e32 v43, 31, v42
	v_add_co_ci_u32_e64 v31, null, v95, v31, vcc_lo
	v_add_co_u32 v32, vcc_lo, v94, v32
	v_lshlrev_b64 v[38:39], 3, v[38:39]
	v_ashrrev_i32_e32 v45, 31, v44
	v_add_nc_u32_e32 v48, s8, v46
	v_add_co_ci_u32_e64 v33, null, v95, v33, vcc_lo
	v_add_co_u32 v34, vcc_lo, v94, v34
	v_lshlrev_b64 v[40:41], 3, v[40:41]
	v_ashrrev_i32_e32 v47, 31, v46
	v_add_co_ci_u32_e64 v35, null, v95, v35, vcc_lo
	v_add_co_u32 v36, vcc_lo, v94, v36
	v_lshlrev_b64 v[42:43], 3, v[42:43]
	v_add_co_ci_u32_e64 v37, null, v95, v37, vcc_lo
	v_add_co_u32 v38, vcc_lo, v94, v38
	v_lshlrev_b64 v[44:45], 3, v[44:45]
	v_add_nc_u32_e32 v50, s8, v48
	v_add_co_ci_u32_e64 v39, null, v95, v39, vcc_lo
	v_add_co_u32 v40, vcc_lo, v94, v40
	v_lshlrev_b64 v[46:47], 3, v[46:47]
	v_ashrrev_i32_e32 v49, 31, v48
	v_add_co_ci_u32_e64 v41, null, v95, v41, vcc_lo
	v_add_co_u32 v42, vcc_lo, v94, v42
	v_ashrrev_i32_e32 v51, 31, v50
	v_add_nc_u32_e32 v52, s8, v50
	v_add_co_ci_u32_e64 v43, null, v95, v43, vcc_lo
	v_add_co_u32 v44, vcc_lo, v94, v44
	v_lshlrev_b64 v[48:49], 3, v[48:49]
	v_add_co_ci_u32_e64 v45, null, v95, v45, vcc_lo
	v_add_co_u32 v88, vcc_lo, v94, v46
	v_add_co_ci_u32_e64 v89, null, v95, v47, vcc_lo
	v_lshlrev_b64 v[46:47], 3, v[50:51]
	v_ashrrev_i32_e32 v53, 31, v52
	v_add_nc_u32_e32 v50, s8, v52
	v_add_co_u32 v90, vcc_lo, v94, v48
	v_add_co_ci_u32_e64 v91, null, v95, v49, vcc_lo
	v_lshlrev_b64 v[48:49], 3, v[52:53]
	v_ashrrev_i32_e32 v51, 31, v50
	v_add_nc_u32_e32 v52, s8, v50
	;; [unrolled: 5-line block ×14, first 2 shown]
	v_add_co_u32 v118, vcc_lo, v94, v46
	v_add_co_ci_u32_e64 v119, null, v95, v47, vcc_lo
	v_lshlrev_b64 v[46:47], 3, v[50:51]
	v_add_nc_u32_e32 v50, s8, v52
	v_ashrrev_i32_e32 v53, 31, v52
	v_add_co_u32 v120, vcc_lo, v94, v48
	v_add_co_ci_u32_e64 v121, null, v95, v49, vcc_lo
	v_ashrrev_i32_e32 v51, 31, v50
	v_lshlrev_b64 v[48:49], 3, v[52:53]
	v_add_co_u32 v122, vcc_lo, v94, v46
	v_add_co_ci_u32_e64 v123, null, v95, v47, vcc_lo
	v_lshlrev_b64 v[46:47], 3, v[50:51]
	v_add_nc_u32_e32 v50, s8, v50
	v_add_co_u32 v124, vcc_lo, v94, v48
	v_add_co_ci_u32_e64 v125, null, v95, v49, vcc_lo
	v_ashrrev_i32_e32 v51, 31, v50
	v_add_co_u32 v126, vcc_lo, v94, v46
	v_add_co_ci_u32_e64 v127, null, v95, v47, vcc_lo
	v_add_co_u32 v48, vcc_lo, v94, v130
	v_add_co_ci_u32_e64 v49, null, 0, v95, vcc_lo
	v_lshlrev_b64 v[46:47], 3, v[50:51]
	v_add_co_u32 v50, vcc_lo, v48, s10
	v_add_co_ci_u32_e64 v51, null, s11, v49, vcc_lo
	v_add_co_u32 v128, vcc_lo, v94, v46
	v_add_co_ci_u32_e64 v129, null, v95, v47, vcc_lo
	s_clause 0x29
	flat_load_dwordx2 v[86:87], v[48:49]
	flat_load_dwordx2 v[84:85], v[50:51]
	;; [unrolled: 1-line block ×42, first 2 shown]
	v_lshl_add_u32 v96, v1, 3, 0
	v_lshlrev_b32_e32 v97, 3, v1
	v_mov_b32_e32 v92, 0
	v_add_nc_u32_e32 v90, v96, v130
	s_waitcnt vmcnt(41) lgkmcnt(41)
	ds_write_b64 v90, v[86:87]
	s_waitcnt vmcnt(0) lgkmcnt(0)
	s_barrier
	buffer_gl0_inv
	ds_read_b64 v[90:91], v96
	s_cbranch_scc1 .LBB82_6
; %bb.4:
	v_add3_u32 v1, v97, 0, 8
	v_mov_b32_e32 v92, 0
	s_mov_b32 s0, 1
.LBB82_5:                               ; =>This Inner Loop Header: Depth=1
	ds_read_b64 v[98:99], v1
	v_add_nc_u32_e32 v1, 8, v1
	s_waitcnt lgkmcnt(0)
	v_cmp_lt_f64_e64 vcc_lo, |v[90:91]|, |v[98:99]|
	v_cndmask_b32_e32 v91, v91, v99, vcc_lo
	v_cndmask_b32_e32 v90, v90, v98, vcc_lo
	v_cndmask_b32_e64 v92, v92, s0, vcc_lo
	s_add_i32 s0, s0, 1
	s_cmp_eq_u32 s7, s0
	s_cbranch_scc0 .LBB82_5
.LBB82_6:
	s_mov_b32 s0, exec_lo
                                        ; implicit-def: $vgpr99
	v_cmpx_ne_u32_e64 v0, v92
	s_xor_b32 s0, exec_lo, s0
	s_cbranch_execz .LBB82_12
; %bb.7:
	s_mov_b32 s1, exec_lo
	v_cmpx_eq_u32_e32 0, v0
	s_cbranch_execz .LBB82_11
; %bb.8:
	v_cmp_ne_u32_e32 vcc_lo, 0, v92
	s_xor_b32 s2, s6, -1
	s_and_b32 s3, s2, vcc_lo
	s_and_saveexec_b32 s2, s3
	s_cbranch_execz .LBB82_10
; %bb.9:
	v_ashrrev_i32_e32 v93, 31, v92
	v_lshlrev_b64 v[0:1], 2, v[92:93]
	v_add_co_u32 v0, vcc_lo, v4, v0
	v_add_co_ci_u32_e64 v1, null, v5, v1, vcc_lo
	s_clause 0x1
	global_load_dword v93, v[0:1], off
	global_load_dword v98, v[4:5], off
	s_waitcnt vmcnt(1)
	global_store_dword v[4:5], v93, off
	s_waitcnt vmcnt(0)
	global_store_dword v[0:1], v98, off
.LBB82_10:
	s_or_b32 exec_lo, exec_lo, s2
	v_mov_b32_e32 v0, v92
.LBB82_11:
	s_or_b32 exec_lo, exec_lo, s1
	v_mov_b32_e32 v99, v0
                                        ; implicit-def: $vgpr0
.LBB82_12:
	s_or_saveexec_b32 s0, s0
	v_mov_b32_e32 v98, v99
	s_xor_b32 exec_lo, exec_lo, s0
	s_cbranch_execz .LBB82_14
; %bb.13:
	v_mov_b32_e32 v99, 0
	v_mov_b32_e32 v98, v0
	ds_write2_b64 v96, v[84:85], v[82:83] offset0:1 offset1:2
	ds_write2_b64 v96, v[78:79], v[80:81] offset0:3 offset1:4
	;; [unrolled: 1-line block ×20, first 2 shown]
	ds_write_b64 v96, v[88:89] offset:328
.LBB82_14:
	s_or_b32 exec_lo, exec_lo, s0
	s_waitcnt lgkmcnt(0)
	v_cmp_eq_f64_e64 s0, 0, v[90:91]
	s_mov_b32 s1, exec_lo
	s_waitcnt_vscnt null, 0x0
	s_barrier
	buffer_gl0_inv
	v_cmpx_lt_i32_e32 0, v99
	s_cbranch_execz .LBB82_16
; %bb.15:
	v_div_scale_f64 v[0:1], null, v[90:91], v[90:91], 1.0
	v_div_scale_f64 v[102:103], vcc_lo, 1.0, v[90:91], 1.0
	v_rcp_f64_e32 v[92:93], v[0:1]
	v_fma_f64 v[100:101], -v[0:1], v[92:93], 1.0
	v_fma_f64 v[92:93], v[92:93], v[100:101], v[92:93]
	v_fma_f64 v[100:101], -v[0:1], v[92:93], 1.0
	v_fma_f64 v[92:93], v[92:93], v[100:101], v[92:93]
	v_mul_f64 v[100:101], v[102:103], v[92:93]
	v_fma_f64 v[0:1], -v[0:1], v[100:101], v[102:103]
	v_div_fmas_f64 v[0:1], v[0:1], v[92:93], v[100:101]
	v_div_fixup_f64 v[0:1], v[0:1], v[90:91], 1.0
	v_cndmask_b32_e64 v1, v1, v91, s0
	v_cndmask_b32_e64 v0, v0, v90, s0
	ds_read2_b64 v[90:93], v96 offset0:1 offset1:2
	ds_read2_b64 v[100:103], v96 offset0:3 offset1:4
	;; [unrolled: 1-line block ×16, first 2 shown]
	v_mul_f64 v[86:87], v[0:1], v[86:87]
	s_waitcnt lgkmcnt(15)
	v_fma_f64 v[84:85], -v[86:87], v[90:91], v[84:85]
	v_fma_f64 v[82:83], -v[86:87], v[92:93], v[82:83]
	ds_read2_b64 v[90:93], v96 offset0:33 offset1:34
	ds_read2_b64 v[160:163], v96 offset0:35 offset1:36
	s_waitcnt lgkmcnt(16)
	v_fma_f64 v[78:79], -v[86:87], v[100:101], v[78:79]
	v_fma_f64 v[80:81], -v[86:87], v[102:103], v[80:81]
	s_waitcnt lgkmcnt(15)
	v_fma_f64 v[74:75], -v[86:87], v[104:105], v[74:75]
	v_fma_f64 v[76:77], -v[86:87], v[106:107], v[76:77]
	ds_read2_b64 v[100:103], v96 offset0:37 offset1:38
	ds_read2_b64 v[104:107], v96 offset0:39 offset1:40
	ds_read_b64 v[0:1], v96 offset:328
	s_waitcnt lgkmcnt(17)
	v_fma_f64 v[72:73], -v[86:87], v[108:109], v[72:73]
	v_fma_f64 v[70:71], -v[86:87], v[110:111], v[70:71]
	s_waitcnt lgkmcnt(16)
	v_fma_f64 v[68:69], -v[86:87], v[112:113], v[68:69]
	v_fma_f64 v[66:67], -v[86:87], v[114:115], v[66:67]
	;; [unrolled: 3-line block ×17, first 2 shown]
	s_waitcnt lgkmcnt(0)
	v_fma_f64 v[88:89], -v[86:87], v[0:1], v[88:89]
.LBB82_16:
	s_or_b32 exec_lo, exec_lo, s1
	v_lshl_add_u32 v0, v99, 3, v96
	s_barrier
	buffer_gl0_inv
	v_mov_b32_e32 v90, 1
	ds_write_b64 v0, v[84:85]
	s_waitcnt lgkmcnt(0)
	s_barrier
	buffer_gl0_inv
	ds_read_b64 v[0:1], v96 offset:8
	s_cmp_lt_i32 s7, 3
	s_cbranch_scc1 .LBB82_19
; %bb.17:
	v_add3_u32 v91, v97, 0, 16
	v_mov_b32_e32 v90, 1
	s_mov_b32 s1, 2
.LBB82_18:                              ; =>This Inner Loop Header: Depth=1
	ds_read_b64 v[92:93], v91
	v_add_nc_u32_e32 v91, 8, v91
	s_waitcnt lgkmcnt(0)
	v_cmp_lt_f64_e64 vcc_lo, |v[0:1]|, |v[92:93]|
	v_cndmask_b32_e32 v1, v1, v93, vcc_lo
	v_cndmask_b32_e32 v0, v0, v92, vcc_lo
	v_cndmask_b32_e64 v90, v90, s1, vcc_lo
	s_add_i32 s1, s1, 1
	s_cmp_lg_u32 s7, s1
	s_cbranch_scc1 .LBB82_18
.LBB82_19:
	s_mov_b32 s1, exec_lo
	v_cmpx_ne_u32_e64 v99, v90
	s_xor_b32 s1, exec_lo, s1
	s_cbranch_execz .LBB82_25
; %bb.20:
	s_mov_b32 s2, exec_lo
	v_cmpx_eq_u32_e32 1, v99
	s_cbranch_execz .LBB82_24
; %bb.21:
	v_cmp_ne_u32_e32 vcc_lo, 1, v90
	s_xor_b32 s3, s6, -1
	s_and_b32 s9, s3, vcc_lo
	s_and_saveexec_b32 s3, s9
	s_cbranch_execz .LBB82_23
; %bb.22:
	v_ashrrev_i32_e32 v91, 31, v90
	v_lshlrev_b64 v[91:92], 2, v[90:91]
	v_add_co_u32 v91, vcc_lo, v4, v91
	v_add_co_ci_u32_e64 v92, null, v5, v92, vcc_lo
	s_clause 0x1
	global_load_dword v93, v[91:92], off
	global_load_dword v98, v[4:5], off offset:4
	s_waitcnt vmcnt(1)
	global_store_dword v[4:5], v93, off offset:4
	s_waitcnt vmcnt(0)
	global_store_dword v[91:92], v98, off
.LBB82_23:
	s_or_b32 exec_lo, exec_lo, s3
	v_mov_b32_e32 v98, v90
	v_mov_b32_e32 v99, v90
.LBB82_24:
	s_or_b32 exec_lo, exec_lo, s2
.LBB82_25:
	s_andn2_saveexec_b32 s1, s1
	s_cbranch_execz .LBB82_27
; %bb.26:
	v_mov_b32_e32 v90, v82
	v_mov_b32_e32 v91, v83
	v_mov_b32_e32 v92, v78
	v_mov_b32_e32 v93, v79
	v_mov_b32_e32 v99, v80
	v_mov_b32_e32 v100, v81
	v_mov_b32_e32 v101, v72
	v_mov_b32_e32 v102, v73
	ds_write2_b64 v96, v[90:91], v[92:93] offset0:2 offset1:3
	v_mov_b32_e32 v90, v74
	v_mov_b32_e32 v91, v75
	v_mov_b32_e32 v92, v76
	v_mov_b32_e32 v93, v77
	v_mov_b32_e32 v103, v70
	v_mov_b32_e32 v104, v71
	v_mov_b32_e32 v105, v68
	v_mov_b32_e32 v106, v69
	v_mov_b32_e32 v107, v66
	v_mov_b32_e32 v108, v67
	v_mov_b32_e32 v109, v64
	v_mov_b32_e32 v110, v65
	v_mov_b32_e32 v111, v62
	v_mov_b32_e32 v112, v63
	v_mov_b32_e32 v113, v58
	v_mov_b32_e32 v114, v59
	ds_write2_b64 v96, v[99:100], v[90:91] offset0:4 offset1:5
	ds_write2_b64 v96, v[92:93], v[101:102] offset0:6 offset1:7
	ds_write2_b64 v96, v[103:104], v[105:106] offset0:8 offset1:9
	ds_write2_b64 v96, v[107:108], v[109:110] offset0:10 offset1:11
	ds_write2_b64 v96, v[111:112], v[113:114] offset0:12 offset1:13
	v_mov_b32_e32 v90, v60
	v_mov_b32_e32 v91, v61
	v_mov_b32_e32 v92, v54
	v_mov_b32_e32 v93, v55
	v_mov_b32_e32 v99, v56
	v_mov_b32_e32 v100, v57
	v_mov_b32_e32 v101, v52
	v_mov_b32_e32 v102, v53
	v_mov_b32_e32 v103, v50
	v_mov_b32_e32 v104, v51
	v_mov_b32_e32 v105, v48
	v_mov_b32_e32 v106, v49
	v_mov_b32_e32 v107, v46
	v_mov_b32_e32 v108, v47
	v_mov_b32_e32 v109, v44
	v_mov_b32_e32 v110, v45
	v_mov_b32_e32 v111, v42
	v_mov_b32_e32 v112, v43
	v_mov_b32_e32 v113, v38
	v_mov_b32_e32 v114, v39
	ds_write2_b64 v96, v[90:91], v[92:93] offset0:14 offset1:15
	ds_write2_b64 v96, v[99:100], v[101:102] offset0:16 offset1:17
	ds_write2_b64 v96, v[103:104], v[105:106] offset0:18 offset1:19
	ds_write2_b64 v96, v[107:108], v[109:110] offset0:20 offset1:21
	ds_write2_b64 v96, v[111:112], v[113:114] offset0:22 offset1:23
	v_mov_b32_e32 v90, v40
	v_mov_b32_e32 v91, v41
	v_mov_b32_e32 v92, v34
	v_mov_b32_e32 v93, v35
	v_mov_b32_e32 v99, v36
	v_mov_b32_e32 v100, v37
	v_mov_b32_e32 v101, v32
	v_mov_b32_e32 v102, v33
	v_mov_b32_e32 v103, v30
	v_mov_b32_e32 v104, v31
	v_mov_b32_e32 v105, v28
	v_mov_b32_e32 v106, v29
	v_mov_b32_e32 v107, v26
	v_mov_b32_e32 v108, v27
	v_mov_b32_e32 v109, v24
	v_mov_b32_e32 v110, v25
	v_mov_b32_e32 v111, v22
	v_mov_b32_e32 v112, v23
	v_mov_b32_e32 v113, v18
	v_mov_b32_e32 v114, v19
	ds_write2_b64 v96, v[90:91], v[92:93] offset0:24 offset1:25
	ds_write2_b64 v96, v[99:100], v[101:102] offset0:26 offset1:27
	ds_write2_b64 v96, v[103:104], v[105:106] offset0:28 offset1:29
	ds_write2_b64 v96, v[107:108], v[109:110] offset0:30 offset1:31
	ds_write2_b64 v96, v[111:112], v[113:114] offset0:32 offset1:33
	v_mov_b32_e32 v90, v20
	v_mov_b32_e32 v91, v21
	v_mov_b32_e32 v92, v16
	v_mov_b32_e32 v93, v17
	v_mov_b32_e32 v99, 1
	v_mov_b32_e32 v100, v14
	;; [unrolled: 1-line block ×11, first 2 shown]
	ds_write2_b64 v96, v[90:91], v[92:93] offset0:34 offset1:35
	ds_write2_b64 v96, v[100:101], v[102:103] offset0:36 offset1:37
	;; [unrolled: 1-line block ×4, first 2 shown]
.LBB82_27:
	s_or_b32 exec_lo, exec_lo, s1
	s_waitcnt lgkmcnt(0)
	v_cmp_neq_f64_e64 s1, 0, v[0:1]
	s_mov_b32 s2, exec_lo
	s_waitcnt_vscnt null, 0x0
	s_barrier
	buffer_gl0_inv
	v_cmpx_lt_i32_e32 1, v99
	s_cbranch_execz .LBB82_29
; %bb.28:
	v_div_scale_f64 v[90:91], null, v[0:1], v[0:1], 1.0
	v_div_scale_f64 v[102:103], vcc_lo, 1.0, v[0:1], 1.0
	v_rcp_f64_e32 v[92:93], v[90:91]
	v_fma_f64 v[100:101], -v[90:91], v[92:93], 1.0
	v_fma_f64 v[92:93], v[92:93], v[100:101], v[92:93]
	v_fma_f64 v[100:101], -v[90:91], v[92:93], 1.0
	v_fma_f64 v[92:93], v[92:93], v[100:101], v[92:93]
	v_mul_f64 v[100:101], v[102:103], v[92:93]
	v_fma_f64 v[90:91], -v[90:91], v[100:101], v[102:103]
	v_div_fmas_f64 v[90:91], v[90:91], v[92:93], v[100:101]
	v_div_fixup_f64 v[90:91], v[90:91], v[0:1], 1.0
	v_cndmask_b32_e64 v1, v1, v91, s1
	v_cndmask_b32_e64 v0, v0, v90, s1
	ds_read2_b64 v[90:93], v96 offset0:2 offset1:3
	ds_read2_b64 v[100:103], v96 offset0:4 offset1:5
	;; [unrolled: 1-line block ×20, first 2 shown]
	v_mul_f64 v[84:85], v[0:1], v[84:85]
	s_waitcnt lgkmcnt(19)
	v_fma_f64 v[82:83], -v[84:85], v[90:91], v[82:83]
	v_fma_f64 v[78:79], -v[84:85], v[92:93], v[78:79]
	s_waitcnt lgkmcnt(18)
	v_fma_f64 v[80:81], -v[84:85], v[100:101], v[80:81]
	v_fma_f64 v[74:75], -v[84:85], v[102:103], v[74:75]
	;; [unrolled: 3-line block ×20, first 2 shown]
.LBB82_29:
	s_or_b32 exec_lo, exec_lo, s2
	v_lshl_add_u32 v0, v99, 3, v96
	s_barrier
	buffer_gl0_inv
	v_mov_b32_e32 v90, 2
	ds_write_b64 v0, v[82:83]
	s_waitcnt lgkmcnt(0)
	s_barrier
	buffer_gl0_inv
	ds_read_b64 v[0:1], v96 offset:16
	s_cmp_lt_i32 s7, 4
	s_mov_b32 s2, 3
	s_cbranch_scc1 .LBB82_32
; %bb.30:
	v_add3_u32 v91, v97, 0, 24
	v_mov_b32_e32 v90, 2
.LBB82_31:                              ; =>This Inner Loop Header: Depth=1
	ds_read_b64 v[92:93], v91
	v_add_nc_u32_e32 v91, 8, v91
	s_waitcnt lgkmcnt(0)
	v_cmp_lt_f64_e64 vcc_lo, |v[0:1]|, |v[92:93]|
	v_cndmask_b32_e32 v1, v1, v93, vcc_lo
	v_cndmask_b32_e32 v0, v0, v92, vcc_lo
	v_cndmask_b32_e64 v90, v90, s2, vcc_lo
	s_add_i32 s2, s2, 1
	s_cmp_lg_u32 s7, s2
	s_cbranch_scc1 .LBB82_31
.LBB82_32:
	v_cndmask_b32_e64 v91, 2, 1, s0
	v_cndmask_b32_e64 v92, 0, 1, s0
	s_mov_b32 s0, exec_lo
	v_cndmask_b32_e64 v93, v91, v92, s1
	s_waitcnt lgkmcnt(0)
	v_cmpx_eq_f64_e32 0, v[0:1]
	s_xor_b32 s0, exec_lo, s0
; %bb.33:
	v_cmp_ne_u32_e32 vcc_lo, 0, v93
	v_cndmask_b32_e32 v93, 3, v93, vcc_lo
; %bb.34:
	s_andn2_saveexec_b32 s0, s0
	s_cbranch_execz .LBB82_36
; %bb.35:
	v_div_scale_f64 v[91:92], null, v[0:1], v[0:1], 1.0
	v_rcp_f64_e32 v[100:101], v[91:92]
	v_fma_f64 v[102:103], -v[91:92], v[100:101], 1.0
	v_fma_f64 v[100:101], v[100:101], v[102:103], v[100:101]
	v_fma_f64 v[102:103], -v[91:92], v[100:101], 1.0
	v_fma_f64 v[100:101], v[100:101], v[102:103], v[100:101]
	v_div_scale_f64 v[102:103], vcc_lo, 1.0, v[0:1], 1.0
	v_mul_f64 v[104:105], v[102:103], v[100:101]
	v_fma_f64 v[91:92], -v[91:92], v[104:105], v[102:103]
	v_div_fmas_f64 v[91:92], v[91:92], v[100:101], v[104:105]
	v_div_fixup_f64 v[0:1], v[91:92], v[0:1], 1.0
.LBB82_36:
	s_or_b32 exec_lo, exec_lo, s0
	s_mov_b32 s0, exec_lo
	v_cmpx_ne_u32_e64 v99, v90
	s_xor_b32 s0, exec_lo, s0
	s_cbranch_execz .LBB82_42
; %bb.37:
	s_mov_b32 s1, exec_lo
	v_cmpx_eq_u32_e32 2, v99
	s_cbranch_execz .LBB82_41
; %bb.38:
	v_cmp_ne_u32_e32 vcc_lo, 2, v90
	s_xor_b32 s2, s6, -1
	s_and_b32 s3, s2, vcc_lo
	s_and_saveexec_b32 s2, s3
	s_cbranch_execz .LBB82_40
; %bb.39:
	v_ashrrev_i32_e32 v91, 31, v90
	v_lshlrev_b64 v[91:92], 2, v[90:91]
	v_add_co_u32 v91, vcc_lo, v4, v91
	v_add_co_ci_u32_e64 v92, null, v5, v92, vcc_lo
	s_clause 0x1
	global_load_dword v98, v[91:92], off
	global_load_dword v99, v[4:5], off offset:8
	s_waitcnt vmcnt(1)
	global_store_dword v[4:5], v98, off offset:8
	s_waitcnt vmcnt(0)
	global_store_dword v[91:92], v99, off
.LBB82_40:
	s_or_b32 exec_lo, exec_lo, s2
	v_mov_b32_e32 v98, v90
	v_mov_b32_e32 v99, v90
.LBB82_41:
	s_or_b32 exec_lo, exec_lo, s1
.LBB82_42:
	s_andn2_saveexec_b32 s0, s0
	s_cbranch_execz .LBB82_44
; %bb.43:
	v_mov_b32_e32 v99, 2
	ds_write2_b64 v96, v[78:79], v[80:81] offset0:3 offset1:4
	ds_write2_b64 v96, v[74:75], v[76:77] offset0:5 offset1:6
	ds_write2_b64 v96, v[72:73], v[70:71] offset0:7 offset1:8
	ds_write2_b64 v96, v[68:69], v[66:67] offset0:9 offset1:10
	ds_write2_b64 v96, v[64:65], v[62:63] offset0:11 offset1:12
	ds_write2_b64 v96, v[58:59], v[60:61] offset0:13 offset1:14
	ds_write2_b64 v96, v[54:55], v[56:57] offset0:15 offset1:16
	ds_write2_b64 v96, v[52:53], v[50:51] offset0:17 offset1:18
	ds_write2_b64 v96, v[48:49], v[46:47] offset0:19 offset1:20
	ds_write2_b64 v96, v[44:45], v[42:43] offset0:21 offset1:22
	ds_write2_b64 v96, v[38:39], v[40:41] offset0:23 offset1:24
	ds_write2_b64 v96, v[34:35], v[36:37] offset0:25 offset1:26
	ds_write2_b64 v96, v[32:33], v[30:31] offset0:27 offset1:28
	ds_write2_b64 v96, v[28:29], v[26:27] offset0:29 offset1:30
	ds_write2_b64 v96, v[24:25], v[22:23] offset0:31 offset1:32
	ds_write2_b64 v96, v[18:19], v[20:21] offset0:33 offset1:34
	ds_write2_b64 v96, v[16:17], v[14:15] offset0:35 offset1:36
	ds_write2_b64 v96, v[8:9], v[12:13] offset0:37 offset1:38
	ds_write2_b64 v96, v[6:7], v[10:11] offset0:39 offset1:40
	ds_write_b64 v96, v[88:89] offset:328
.LBB82_44:
	s_or_b32 exec_lo, exec_lo, s0
	s_mov_b32 s0, exec_lo
	s_waitcnt lgkmcnt(0)
	s_waitcnt_vscnt null, 0x0
	s_barrier
	buffer_gl0_inv
	v_cmpx_lt_i32_e32 2, v99
	s_cbranch_execz .LBB82_46
; %bb.45:
	v_mul_f64 v[82:83], v[0:1], v[82:83]
	ds_read2_b64 v[100:103], v96 offset0:3 offset1:4
	ds_read2_b64 v[104:107], v96 offset0:5 offset1:6
	ds_read2_b64 v[108:111], v96 offset0:7 offset1:8
	ds_read2_b64 v[112:115], v96 offset0:9 offset1:10
	ds_read2_b64 v[116:119], v96 offset0:11 offset1:12
	ds_read2_b64 v[120:123], v96 offset0:13 offset1:14
	ds_read2_b64 v[124:127], v96 offset0:15 offset1:16
	ds_read2_b64 v[128:131], v96 offset0:17 offset1:18
	ds_read2_b64 v[132:135], v96 offset0:19 offset1:20
	ds_read2_b64 v[136:139], v96 offset0:21 offset1:22
	ds_read2_b64 v[140:143], v96 offset0:23 offset1:24
	ds_read_b64 v[0:1], v96 offset:328
	s_waitcnt lgkmcnt(11)
	v_fma_f64 v[78:79], -v[82:83], v[100:101], v[78:79]
	v_fma_f64 v[80:81], -v[82:83], v[102:103], v[80:81]
	s_waitcnt lgkmcnt(10)
	v_fma_f64 v[74:75], -v[82:83], v[104:105], v[74:75]
	v_fma_f64 v[76:77], -v[82:83], v[106:107], v[76:77]
	;; [unrolled: 3-line block ×5, first 2 shown]
	s_waitcnt lgkmcnt(6)
	v_fma_f64 v[58:59], -v[82:83], v[120:121], v[58:59]
	ds_read2_b64 v[100:103], v96 offset0:25 offset1:26
	ds_read2_b64 v[104:107], v96 offset0:27 offset1:28
	v_fma_f64 v[60:61], -v[82:83], v[122:123], v[60:61]
	s_waitcnt lgkmcnt(7)
	v_fma_f64 v[54:55], -v[82:83], v[124:125], v[54:55]
	ds_read2_b64 v[108:111], v96 offset0:29 offset1:30
	ds_read2_b64 v[112:115], v96 offset0:31 offset1:32
	v_fma_f64 v[56:57], -v[82:83], v[126:127], v[56:57]
	;; [unrolled: 5-line block ×3, first 2 shown]
	ds_read2_b64 v[124:127], v96 offset0:37 offset1:38
	ds_read2_b64 v[128:131], v96 offset0:39 offset1:40
	s_waitcnt lgkmcnt(11)
	v_fma_f64 v[48:49], -v[82:83], v[132:133], v[48:49]
	v_fma_f64 v[46:47], -v[82:83], v[134:135], v[46:47]
	s_waitcnt lgkmcnt(10)
	v_fma_f64 v[44:45], -v[82:83], v[136:137], v[44:45]
	v_fma_f64 v[42:43], -v[82:83], v[138:139], v[42:43]
	;; [unrolled: 3-line block ×3, first 2 shown]
	s_waitcnt lgkmcnt(8)
	v_fma_f64 v[88:89], -v[82:83], v[0:1], v[88:89]
	s_waitcnt lgkmcnt(7)
	v_fma_f64 v[34:35], -v[82:83], v[100:101], v[34:35]
	v_fma_f64 v[36:37], -v[82:83], v[102:103], v[36:37]
	s_waitcnt lgkmcnt(6)
	v_fma_f64 v[32:33], -v[82:83], v[104:105], v[32:33]
	;; [unrolled: 3-line block ×8, first 2 shown]
	v_fma_f64 v[10:11], -v[82:83], v[130:131], v[10:11]
.LBB82_46:
	s_or_b32 exec_lo, exec_lo, s0
	v_lshl_add_u32 v0, v99, 3, v96
	s_barrier
	buffer_gl0_inv
	v_mov_b32_e32 v90, 3
	ds_write_b64 v0, v[78:79]
	s_waitcnt lgkmcnt(0)
	s_barrier
	buffer_gl0_inv
	ds_read_b64 v[0:1], v96 offset:24
	s_cmp_lt_i32 s7, 5
	s_cbranch_scc1 .LBB82_49
; %bb.47:
	v_mov_b32_e32 v90, 3
	v_add3_u32 v91, v97, 0, 32
	s_mov_b32 s0, 4
.LBB82_48:                              ; =>This Inner Loop Header: Depth=1
	ds_read_b64 v[100:101], v91
	v_add_nc_u32_e32 v91, 8, v91
	s_waitcnt lgkmcnt(0)
	v_cmp_lt_f64_e64 vcc_lo, |v[0:1]|, |v[100:101]|
	v_cndmask_b32_e32 v1, v1, v101, vcc_lo
	v_cndmask_b32_e32 v0, v0, v100, vcc_lo
	v_cndmask_b32_e64 v90, v90, s0, vcc_lo
	s_add_i32 s0, s0, 1
	s_cmp_lg_u32 s7, s0
	s_cbranch_scc1 .LBB82_48
.LBB82_49:
	s_mov_b32 s0, exec_lo
	s_waitcnt lgkmcnt(0)
	v_cmpx_eq_f64_e32 0, v[0:1]
	s_xor_b32 s0, exec_lo, s0
; %bb.50:
	v_cmp_ne_u32_e32 vcc_lo, 0, v93
	v_cndmask_b32_e32 v93, 4, v93, vcc_lo
; %bb.51:
	s_andn2_saveexec_b32 s0, s0
	s_cbranch_execz .LBB82_53
; %bb.52:
	v_div_scale_f64 v[91:92], null, v[0:1], v[0:1], 1.0
	v_rcp_f64_e32 v[100:101], v[91:92]
	v_fma_f64 v[102:103], -v[91:92], v[100:101], 1.0
	v_fma_f64 v[100:101], v[100:101], v[102:103], v[100:101]
	v_fma_f64 v[102:103], -v[91:92], v[100:101], 1.0
	v_fma_f64 v[100:101], v[100:101], v[102:103], v[100:101]
	v_div_scale_f64 v[102:103], vcc_lo, 1.0, v[0:1], 1.0
	v_mul_f64 v[104:105], v[102:103], v[100:101]
	v_fma_f64 v[91:92], -v[91:92], v[104:105], v[102:103]
	v_div_fmas_f64 v[91:92], v[91:92], v[100:101], v[104:105]
	v_div_fixup_f64 v[0:1], v[91:92], v[0:1], 1.0
.LBB82_53:
	s_or_b32 exec_lo, exec_lo, s0
	s_mov_b32 s0, exec_lo
	v_cmpx_ne_u32_e64 v99, v90
	s_xor_b32 s0, exec_lo, s0
	s_cbranch_execz .LBB82_59
; %bb.54:
	s_mov_b32 s1, exec_lo
	v_cmpx_eq_u32_e32 3, v99
	s_cbranch_execz .LBB82_58
; %bb.55:
	v_cmp_ne_u32_e32 vcc_lo, 3, v90
	s_xor_b32 s2, s6, -1
	s_and_b32 s3, s2, vcc_lo
	s_and_saveexec_b32 s2, s3
	s_cbranch_execz .LBB82_57
; %bb.56:
	v_ashrrev_i32_e32 v91, 31, v90
	v_lshlrev_b64 v[91:92], 2, v[90:91]
	v_add_co_u32 v91, vcc_lo, v4, v91
	v_add_co_ci_u32_e64 v92, null, v5, v92, vcc_lo
	s_clause 0x1
	global_load_dword v98, v[91:92], off
	global_load_dword v99, v[4:5], off offset:12
	s_waitcnt vmcnt(1)
	global_store_dword v[4:5], v98, off offset:12
	s_waitcnt vmcnt(0)
	global_store_dword v[91:92], v99, off
.LBB82_57:
	s_or_b32 exec_lo, exec_lo, s2
	v_mov_b32_e32 v98, v90
	v_mov_b32_e32 v99, v90
.LBB82_58:
	s_or_b32 exec_lo, exec_lo, s1
.LBB82_59:
	s_andn2_saveexec_b32 s0, s0
	s_cbranch_execz .LBB82_61
; %bb.60:
	v_mov_b32_e32 v90, v80
	v_mov_b32_e32 v91, v81
	v_mov_b32_e32 v99, v74
	v_mov_b32_e32 v100, v75
	v_mov_b32_e32 v101, v76
	v_mov_b32_e32 v102, v77
	v_mov_b32_e32 v103, v72
	v_mov_b32_e32 v104, v73
	v_mov_b32_e32 v105, v70
	v_mov_b32_e32 v106, v71
	v_mov_b32_e32 v107, v68
	v_mov_b32_e32 v108, v69
	v_mov_b32_e32 v109, v66
	v_mov_b32_e32 v110, v67
	v_mov_b32_e32 v111, v64
	v_mov_b32_e32 v112, v65
	v_mov_b32_e32 v113, v62
	v_mov_b32_e32 v114, v63
	v_mov_b32_e32 v115, v58
	v_mov_b32_e32 v116, v59
	ds_write2_b64 v96, v[90:91], v[99:100] offset0:4 offset1:5
	ds_write2_b64 v96, v[101:102], v[103:104] offset0:6 offset1:7
	ds_write2_b64 v96, v[105:106], v[107:108] offset0:8 offset1:9
	ds_write2_b64 v96, v[109:110], v[111:112] offset0:10 offset1:11
	ds_write2_b64 v96, v[113:114], v[115:116] offset0:12 offset1:13
	v_mov_b32_e32 v90, v60
	v_mov_b32_e32 v91, v61
	v_mov_b32_e32 v99, v54
	v_mov_b32_e32 v100, v55
	v_mov_b32_e32 v101, v56
	v_mov_b32_e32 v102, v57
	v_mov_b32_e32 v103, v52
	v_mov_b32_e32 v104, v53
	v_mov_b32_e32 v105, v50
	v_mov_b32_e32 v106, v51
	v_mov_b32_e32 v107, v48
	v_mov_b32_e32 v108, v49
	v_mov_b32_e32 v109, v46
	v_mov_b32_e32 v110, v47
	v_mov_b32_e32 v111, v44
	v_mov_b32_e32 v112, v45
	v_mov_b32_e32 v113, v42
	v_mov_b32_e32 v114, v43
	v_mov_b32_e32 v115, v38
	v_mov_b32_e32 v116, v39
	ds_write2_b64 v96, v[90:91], v[99:100] offset0:14 offset1:15
	ds_write2_b64 v96, v[101:102], v[103:104] offset0:16 offset1:17
	ds_write2_b64 v96, v[105:106], v[107:108] offset0:18 offset1:19
	ds_write2_b64 v96, v[109:110], v[111:112] offset0:20 offset1:21
	ds_write2_b64 v96, v[113:114], v[115:116] offset0:22 offset1:23
	;; [unrolled: 25-line block ×3, first 2 shown]
	v_mov_b32_e32 v90, v20
	v_mov_b32_e32 v91, v21
	;; [unrolled: 1-line block ×15, first 2 shown]
	ds_write2_b64 v96, v[90:91], v[100:101] offset0:34 offset1:35
	ds_write2_b64 v96, v[102:103], v[104:105] offset0:36 offset1:37
	;; [unrolled: 1-line block ×4, first 2 shown]
.LBB82_61:
	s_or_b32 exec_lo, exec_lo, s0
	s_mov_b32 s0, exec_lo
	s_waitcnt lgkmcnt(0)
	s_waitcnt_vscnt null, 0x0
	s_barrier
	buffer_gl0_inv
	v_cmpx_lt_i32_e32 3, v99
	s_cbranch_execz .LBB82_63
; %bb.62:
	v_mul_f64 v[78:79], v[0:1], v[78:79]
	ds_read2_b64 v[100:103], v96 offset0:4 offset1:5
	ds_read2_b64 v[104:107], v96 offset0:6 offset1:7
	;; [unrolled: 1-line block ×12, first 2 shown]
	s_waitcnt lgkmcnt(11)
	v_fma_f64 v[80:81], -v[78:79], v[100:101], v[80:81]
	v_fma_f64 v[74:75], -v[78:79], v[102:103], v[74:75]
	s_waitcnt lgkmcnt(10)
	v_fma_f64 v[76:77], -v[78:79], v[104:105], v[76:77]
	v_fma_f64 v[72:73], -v[78:79], v[106:107], v[72:73]
	s_waitcnt lgkmcnt(9)
	v_fma_f64 v[70:71], -v[78:79], v[108:109], v[70:71]
	v_fma_f64 v[68:69], -v[78:79], v[110:111], v[68:69]
	s_waitcnt lgkmcnt(8)
	v_fma_f64 v[66:67], -v[78:79], v[112:113], v[66:67]
	v_fma_f64 v[64:65], -v[78:79], v[114:115], v[64:65]
	s_waitcnt lgkmcnt(7)
	v_fma_f64 v[62:63], -v[78:79], v[116:117], v[62:63]
	v_fma_f64 v[58:59], -v[78:79], v[118:119], v[58:59]
	s_waitcnt lgkmcnt(6)
	v_fma_f64 v[60:61], -v[78:79], v[120:121], v[60:61]
	ds_read2_b64 v[100:103], v96 offset0:28 offset1:29
	ds_read2_b64 v[104:107], v96 offset0:30 offset1:31
	v_fma_f64 v[54:55], -v[78:79], v[122:123], v[54:55]
	s_waitcnt lgkmcnt(7)
	v_fma_f64 v[56:57], -v[78:79], v[124:125], v[56:57]
	ds_read2_b64 v[108:111], v96 offset0:32 offset1:33
	ds_read2_b64 v[112:115], v96 offset0:34 offset1:35
	v_fma_f64 v[52:53], -v[78:79], v[126:127], v[52:53]
	ds_read2_b64 v[116:119], v96 offset0:36 offset1:37
	ds_read2_b64 v[120:123], v96 offset0:38 offset1:39
	;; [unrolled: 1-line block ×3, first 2 shown]
	s_waitcnt lgkmcnt(11)
	v_fma_f64 v[50:51], -v[78:79], v[128:129], v[50:51]
	v_fma_f64 v[48:49], -v[78:79], v[130:131], v[48:49]
	s_waitcnt lgkmcnt(10)
	v_fma_f64 v[46:47], -v[78:79], v[132:133], v[46:47]
	v_fma_f64 v[44:45], -v[78:79], v[134:135], v[44:45]
	;; [unrolled: 3-line block ×12, first 2 shown]
.LBB82_63:
	s_or_b32 exec_lo, exec_lo, s0
	v_lshl_add_u32 v0, v99, 3, v96
	s_barrier
	buffer_gl0_inv
	v_mov_b32_e32 v90, 4
	ds_write_b64 v0, v[80:81]
	s_waitcnt lgkmcnt(0)
	s_barrier
	buffer_gl0_inv
	ds_read_b64 v[0:1], v96 offset:32
	s_cmp_lt_i32 s7, 6
	s_cbranch_scc1 .LBB82_66
; %bb.64:
	v_add3_u32 v91, v97, 0, 40
	v_mov_b32_e32 v90, 4
	s_mov_b32 s0, 5
.LBB82_65:                              ; =>This Inner Loop Header: Depth=1
	ds_read_b64 v[100:101], v91
	v_add_nc_u32_e32 v91, 8, v91
	s_waitcnt lgkmcnt(0)
	v_cmp_lt_f64_e64 vcc_lo, |v[0:1]|, |v[100:101]|
	v_cndmask_b32_e32 v1, v1, v101, vcc_lo
	v_cndmask_b32_e32 v0, v0, v100, vcc_lo
	v_cndmask_b32_e64 v90, v90, s0, vcc_lo
	s_add_i32 s0, s0, 1
	s_cmp_lg_u32 s7, s0
	s_cbranch_scc1 .LBB82_65
.LBB82_66:
	s_mov_b32 s0, exec_lo
	s_waitcnt lgkmcnt(0)
	v_cmpx_eq_f64_e32 0, v[0:1]
	s_xor_b32 s0, exec_lo, s0
; %bb.67:
	v_cmp_ne_u32_e32 vcc_lo, 0, v93
	v_cndmask_b32_e32 v93, 5, v93, vcc_lo
; %bb.68:
	s_andn2_saveexec_b32 s0, s0
	s_cbranch_execz .LBB82_70
; %bb.69:
	v_div_scale_f64 v[91:92], null, v[0:1], v[0:1], 1.0
	v_rcp_f64_e32 v[100:101], v[91:92]
	v_fma_f64 v[102:103], -v[91:92], v[100:101], 1.0
	v_fma_f64 v[100:101], v[100:101], v[102:103], v[100:101]
	v_fma_f64 v[102:103], -v[91:92], v[100:101], 1.0
	v_fma_f64 v[100:101], v[100:101], v[102:103], v[100:101]
	v_div_scale_f64 v[102:103], vcc_lo, 1.0, v[0:1], 1.0
	v_mul_f64 v[104:105], v[102:103], v[100:101]
	v_fma_f64 v[91:92], -v[91:92], v[104:105], v[102:103]
	v_div_fmas_f64 v[91:92], v[91:92], v[100:101], v[104:105]
	v_div_fixup_f64 v[0:1], v[91:92], v[0:1], 1.0
.LBB82_70:
	s_or_b32 exec_lo, exec_lo, s0
	s_mov_b32 s0, exec_lo
	v_cmpx_ne_u32_e64 v99, v90
	s_xor_b32 s0, exec_lo, s0
	s_cbranch_execz .LBB82_76
; %bb.71:
	s_mov_b32 s1, exec_lo
	v_cmpx_eq_u32_e32 4, v99
	s_cbranch_execz .LBB82_75
; %bb.72:
	v_cmp_ne_u32_e32 vcc_lo, 4, v90
	s_xor_b32 s2, s6, -1
	s_and_b32 s3, s2, vcc_lo
	s_and_saveexec_b32 s2, s3
	s_cbranch_execz .LBB82_74
; %bb.73:
	v_ashrrev_i32_e32 v91, 31, v90
	v_lshlrev_b64 v[91:92], 2, v[90:91]
	v_add_co_u32 v91, vcc_lo, v4, v91
	v_add_co_ci_u32_e64 v92, null, v5, v92, vcc_lo
	s_clause 0x1
	global_load_dword v98, v[91:92], off
	global_load_dword v99, v[4:5], off offset:16
	s_waitcnt vmcnt(1)
	global_store_dword v[4:5], v98, off offset:16
	s_waitcnt vmcnt(0)
	global_store_dword v[91:92], v99, off
.LBB82_74:
	s_or_b32 exec_lo, exec_lo, s2
	v_mov_b32_e32 v98, v90
	v_mov_b32_e32 v99, v90
.LBB82_75:
	s_or_b32 exec_lo, exec_lo, s1
.LBB82_76:
	s_andn2_saveexec_b32 s0, s0
	s_cbranch_execz .LBB82_78
; %bb.77:
	v_mov_b32_e32 v99, 4
	ds_write2_b64 v96, v[74:75], v[76:77] offset0:5 offset1:6
	ds_write2_b64 v96, v[72:73], v[70:71] offset0:7 offset1:8
	;; [unrolled: 1-line block ×18, first 2 shown]
	ds_write_b64 v96, v[88:89] offset:328
.LBB82_78:
	s_or_b32 exec_lo, exec_lo, s0
	s_mov_b32 s0, exec_lo
	s_waitcnt lgkmcnt(0)
	s_waitcnt_vscnt null, 0x0
	s_barrier
	buffer_gl0_inv
	v_cmpx_lt_i32_e32 4, v99
	s_cbranch_execz .LBB82_80
; %bb.79:
	v_mul_f64 v[80:81], v[0:1], v[80:81]
	ds_read2_b64 v[100:103], v96 offset0:5 offset1:6
	ds_read2_b64 v[104:107], v96 offset0:7 offset1:8
	;; [unrolled: 1-line block ×12, first 2 shown]
	ds_read_b64 v[0:1], v96 offset:328
	s_waitcnt lgkmcnt(12)
	v_fma_f64 v[74:75], -v[80:81], v[100:101], v[74:75]
	v_fma_f64 v[76:77], -v[80:81], v[102:103], v[76:77]
	s_waitcnt lgkmcnt(11)
	v_fma_f64 v[72:73], -v[80:81], v[104:105], v[72:73]
	v_fma_f64 v[70:71], -v[80:81], v[106:107], v[70:71]
	s_waitcnt lgkmcnt(10)
	v_fma_f64 v[68:69], -v[80:81], v[108:109], v[68:69]
	v_fma_f64 v[66:67], -v[80:81], v[110:111], v[66:67]
	s_waitcnt lgkmcnt(9)
	v_fma_f64 v[64:65], -v[80:81], v[112:113], v[64:65]
	v_fma_f64 v[62:63], -v[80:81], v[114:115], v[62:63]
	s_waitcnt lgkmcnt(8)
	v_fma_f64 v[58:59], -v[80:81], v[116:117], v[58:59]
	v_fma_f64 v[60:61], -v[80:81], v[118:119], v[60:61]
	s_waitcnt lgkmcnt(7)
	v_fma_f64 v[54:55], -v[80:81], v[120:121], v[54:55]
	ds_read2_b64 v[100:103], v96 offset0:29 offset1:30
	ds_read2_b64 v[104:107], v96 offset0:31 offset1:32
	v_fma_f64 v[56:57], -v[80:81], v[122:123], v[56:57]
	ds_read2_b64 v[108:111], v96 offset0:33 offset1:34
	ds_read2_b64 v[112:115], v96 offset0:35 offset1:36
	;; [unrolled: 1-line block ×4, first 2 shown]
	s_waitcnt lgkmcnt(12)
	v_fma_f64 v[52:53], -v[80:81], v[124:125], v[52:53]
	v_fma_f64 v[50:51], -v[80:81], v[126:127], v[50:51]
	s_waitcnt lgkmcnt(11)
	v_fma_f64 v[48:49], -v[80:81], v[128:129], v[48:49]
	v_fma_f64 v[46:47], -v[80:81], v[130:131], v[46:47]
	;; [unrolled: 3-line block ×6, first 2 shown]
	s_waitcnt lgkmcnt(6)
	v_fma_f64 v[88:89], -v[80:81], v[0:1], v[88:89]
	s_waitcnt lgkmcnt(5)
	v_fma_f64 v[28:29], -v[80:81], v[100:101], v[28:29]
	v_fma_f64 v[26:27], -v[80:81], v[102:103], v[26:27]
	s_waitcnt lgkmcnt(4)
	v_fma_f64 v[24:25], -v[80:81], v[104:105], v[24:25]
	;; [unrolled: 3-line block ×6, first 2 shown]
	v_fma_f64 v[10:11], -v[80:81], v[122:123], v[10:11]
.LBB82_80:
	s_or_b32 exec_lo, exec_lo, s0
	v_lshl_add_u32 v0, v99, 3, v96
	s_barrier
	buffer_gl0_inv
	v_mov_b32_e32 v90, 5
	ds_write_b64 v0, v[74:75]
	s_waitcnt lgkmcnt(0)
	s_barrier
	buffer_gl0_inv
	ds_read_b64 v[0:1], v96 offset:40
	s_cmp_lt_i32 s7, 7
	s_cbranch_scc1 .LBB82_83
; %bb.81:
	v_add3_u32 v91, v97, 0, 48
	v_mov_b32_e32 v90, 5
	s_mov_b32 s0, 6
.LBB82_82:                              ; =>This Inner Loop Header: Depth=1
	ds_read_b64 v[100:101], v91
	v_add_nc_u32_e32 v91, 8, v91
	s_waitcnt lgkmcnt(0)
	v_cmp_lt_f64_e64 vcc_lo, |v[0:1]|, |v[100:101]|
	v_cndmask_b32_e32 v1, v1, v101, vcc_lo
	v_cndmask_b32_e32 v0, v0, v100, vcc_lo
	v_cndmask_b32_e64 v90, v90, s0, vcc_lo
	s_add_i32 s0, s0, 1
	s_cmp_lg_u32 s7, s0
	s_cbranch_scc1 .LBB82_82
.LBB82_83:
	s_mov_b32 s0, exec_lo
	s_waitcnt lgkmcnt(0)
	v_cmpx_eq_f64_e32 0, v[0:1]
	s_xor_b32 s0, exec_lo, s0
; %bb.84:
	v_cmp_ne_u32_e32 vcc_lo, 0, v93
	v_cndmask_b32_e32 v93, 6, v93, vcc_lo
; %bb.85:
	s_andn2_saveexec_b32 s0, s0
	s_cbranch_execz .LBB82_87
; %bb.86:
	v_div_scale_f64 v[91:92], null, v[0:1], v[0:1], 1.0
	v_rcp_f64_e32 v[100:101], v[91:92]
	v_fma_f64 v[102:103], -v[91:92], v[100:101], 1.0
	v_fma_f64 v[100:101], v[100:101], v[102:103], v[100:101]
	v_fma_f64 v[102:103], -v[91:92], v[100:101], 1.0
	v_fma_f64 v[100:101], v[100:101], v[102:103], v[100:101]
	v_div_scale_f64 v[102:103], vcc_lo, 1.0, v[0:1], 1.0
	v_mul_f64 v[104:105], v[102:103], v[100:101]
	v_fma_f64 v[91:92], -v[91:92], v[104:105], v[102:103]
	v_div_fmas_f64 v[91:92], v[91:92], v[100:101], v[104:105]
	v_div_fixup_f64 v[0:1], v[91:92], v[0:1], 1.0
.LBB82_87:
	s_or_b32 exec_lo, exec_lo, s0
	s_mov_b32 s0, exec_lo
	v_cmpx_ne_u32_e64 v99, v90
	s_xor_b32 s0, exec_lo, s0
	s_cbranch_execz .LBB82_93
; %bb.88:
	s_mov_b32 s1, exec_lo
	v_cmpx_eq_u32_e32 5, v99
	s_cbranch_execz .LBB82_92
; %bb.89:
	v_cmp_ne_u32_e32 vcc_lo, 5, v90
	s_xor_b32 s2, s6, -1
	s_and_b32 s3, s2, vcc_lo
	s_and_saveexec_b32 s2, s3
	s_cbranch_execz .LBB82_91
; %bb.90:
	v_ashrrev_i32_e32 v91, 31, v90
	v_lshlrev_b64 v[91:92], 2, v[90:91]
	v_add_co_u32 v91, vcc_lo, v4, v91
	v_add_co_ci_u32_e64 v92, null, v5, v92, vcc_lo
	s_clause 0x1
	global_load_dword v98, v[91:92], off
	global_load_dword v99, v[4:5], off offset:20
	s_waitcnt vmcnt(1)
	global_store_dword v[4:5], v98, off offset:20
	s_waitcnt vmcnt(0)
	global_store_dword v[91:92], v99, off
.LBB82_91:
	s_or_b32 exec_lo, exec_lo, s2
	v_mov_b32_e32 v98, v90
	v_mov_b32_e32 v99, v90
.LBB82_92:
	s_or_b32 exec_lo, exec_lo, s1
.LBB82_93:
	s_andn2_saveexec_b32 s0, s0
	s_cbranch_execz .LBB82_95
; %bb.94:
	v_mov_b32_e32 v90, v76
	v_mov_b32_e32 v91, v77
	;; [unrolled: 1-line block ×16, first 2 shown]
	ds_write2_b64 v96, v[90:91], v[99:100] offset0:6 offset1:7
	ds_write2_b64 v96, v[101:102], v[103:104] offset0:8 offset1:9
	;; [unrolled: 1-line block ×4, first 2 shown]
	v_mov_b32_e32 v90, v60
	v_mov_b32_e32 v91, v61
	;; [unrolled: 1-line block ×20, first 2 shown]
	ds_write2_b64 v96, v[90:91], v[99:100] offset0:14 offset1:15
	ds_write2_b64 v96, v[101:102], v[103:104] offset0:16 offset1:17
	;; [unrolled: 1-line block ×5, first 2 shown]
	v_mov_b32_e32 v90, v40
	v_mov_b32_e32 v91, v41
	;; [unrolled: 1-line block ×20, first 2 shown]
	ds_write2_b64 v96, v[90:91], v[99:100] offset0:24 offset1:25
	ds_write2_b64 v96, v[101:102], v[103:104] offset0:26 offset1:27
	ds_write2_b64 v96, v[105:106], v[107:108] offset0:28 offset1:29
	ds_write2_b64 v96, v[109:110], v[111:112] offset0:30 offset1:31
	ds_write2_b64 v96, v[113:114], v[115:116] offset0:32 offset1:33
	v_mov_b32_e32 v90, v20
	v_mov_b32_e32 v91, v21
	;; [unrolled: 1-line block ×15, first 2 shown]
	ds_write2_b64 v96, v[90:91], v[100:101] offset0:34 offset1:35
	ds_write2_b64 v96, v[102:103], v[104:105] offset0:36 offset1:37
	;; [unrolled: 1-line block ×4, first 2 shown]
.LBB82_95:
	s_or_b32 exec_lo, exec_lo, s0
	s_mov_b32 s0, exec_lo
	s_waitcnt lgkmcnt(0)
	s_waitcnt_vscnt null, 0x0
	s_barrier
	buffer_gl0_inv
	v_cmpx_lt_i32_e32 5, v99
	s_cbranch_execz .LBB82_97
; %bb.96:
	v_mul_f64 v[74:75], v[0:1], v[74:75]
	ds_read2_b64 v[100:103], v96 offset0:6 offset1:7
	ds_read2_b64 v[104:107], v96 offset0:8 offset1:9
	;; [unrolled: 1-line block ×12, first 2 shown]
	s_waitcnt lgkmcnt(11)
	v_fma_f64 v[76:77], -v[74:75], v[100:101], v[76:77]
	v_fma_f64 v[72:73], -v[74:75], v[102:103], v[72:73]
	s_waitcnt lgkmcnt(10)
	v_fma_f64 v[70:71], -v[74:75], v[104:105], v[70:71]
	v_fma_f64 v[68:69], -v[74:75], v[106:107], v[68:69]
	;; [unrolled: 3-line block ×5, first 2 shown]
	ds_read2_b64 v[100:103], v96 offset0:30 offset1:31
	ds_read2_b64 v[104:107], v96 offset0:32 offset1:33
	s_waitcnt lgkmcnt(8)
	v_fma_f64 v[56:57], -v[74:75], v[120:121], v[56:57]
	v_fma_f64 v[52:53], -v[74:75], v[122:123], v[52:53]
	ds_read2_b64 v[108:111], v96 offset0:34 offset1:35
	ds_read2_b64 v[112:115], v96 offset0:36 offset1:37
	;; [unrolled: 1-line block ×4, first 2 shown]
	s_waitcnt lgkmcnt(11)
	v_fma_f64 v[50:51], -v[74:75], v[124:125], v[50:51]
	v_fma_f64 v[48:49], -v[74:75], v[126:127], v[48:49]
	s_waitcnt lgkmcnt(10)
	v_fma_f64 v[46:47], -v[74:75], v[128:129], v[46:47]
	v_fma_f64 v[44:45], -v[74:75], v[130:131], v[44:45]
	;; [unrolled: 3-line block ×12, first 2 shown]
.LBB82_97:
	s_or_b32 exec_lo, exec_lo, s0
	v_lshl_add_u32 v0, v99, 3, v96
	s_barrier
	buffer_gl0_inv
	v_mov_b32_e32 v90, 6
	ds_write_b64 v0, v[76:77]
	s_waitcnt lgkmcnt(0)
	s_barrier
	buffer_gl0_inv
	ds_read_b64 v[0:1], v96 offset:48
	s_cmp_lt_i32 s7, 8
	s_cbranch_scc1 .LBB82_100
; %bb.98:
	v_add3_u32 v91, v97, 0, 56
	v_mov_b32_e32 v90, 6
	s_mov_b32 s0, 7
.LBB82_99:                              ; =>This Inner Loop Header: Depth=1
	ds_read_b64 v[100:101], v91
	v_add_nc_u32_e32 v91, 8, v91
	s_waitcnt lgkmcnt(0)
	v_cmp_lt_f64_e64 vcc_lo, |v[0:1]|, |v[100:101]|
	v_cndmask_b32_e32 v1, v1, v101, vcc_lo
	v_cndmask_b32_e32 v0, v0, v100, vcc_lo
	v_cndmask_b32_e64 v90, v90, s0, vcc_lo
	s_add_i32 s0, s0, 1
	s_cmp_lg_u32 s7, s0
	s_cbranch_scc1 .LBB82_99
.LBB82_100:
	s_mov_b32 s0, exec_lo
	s_waitcnt lgkmcnt(0)
	v_cmpx_eq_f64_e32 0, v[0:1]
	s_xor_b32 s0, exec_lo, s0
; %bb.101:
	v_cmp_ne_u32_e32 vcc_lo, 0, v93
	v_cndmask_b32_e32 v93, 7, v93, vcc_lo
; %bb.102:
	s_andn2_saveexec_b32 s0, s0
	s_cbranch_execz .LBB82_104
; %bb.103:
	v_div_scale_f64 v[91:92], null, v[0:1], v[0:1], 1.0
	v_rcp_f64_e32 v[100:101], v[91:92]
	v_fma_f64 v[102:103], -v[91:92], v[100:101], 1.0
	v_fma_f64 v[100:101], v[100:101], v[102:103], v[100:101]
	v_fma_f64 v[102:103], -v[91:92], v[100:101], 1.0
	v_fma_f64 v[100:101], v[100:101], v[102:103], v[100:101]
	v_div_scale_f64 v[102:103], vcc_lo, 1.0, v[0:1], 1.0
	v_mul_f64 v[104:105], v[102:103], v[100:101]
	v_fma_f64 v[91:92], -v[91:92], v[104:105], v[102:103]
	v_div_fmas_f64 v[91:92], v[91:92], v[100:101], v[104:105]
	v_div_fixup_f64 v[0:1], v[91:92], v[0:1], 1.0
.LBB82_104:
	s_or_b32 exec_lo, exec_lo, s0
	s_mov_b32 s0, exec_lo
	v_cmpx_ne_u32_e64 v99, v90
	s_xor_b32 s0, exec_lo, s0
	s_cbranch_execz .LBB82_110
; %bb.105:
	s_mov_b32 s1, exec_lo
	v_cmpx_eq_u32_e32 6, v99
	s_cbranch_execz .LBB82_109
; %bb.106:
	v_cmp_ne_u32_e32 vcc_lo, 6, v90
	s_xor_b32 s2, s6, -1
	s_and_b32 s3, s2, vcc_lo
	s_and_saveexec_b32 s2, s3
	s_cbranch_execz .LBB82_108
; %bb.107:
	v_ashrrev_i32_e32 v91, 31, v90
	v_lshlrev_b64 v[91:92], 2, v[90:91]
	v_add_co_u32 v91, vcc_lo, v4, v91
	v_add_co_ci_u32_e64 v92, null, v5, v92, vcc_lo
	s_clause 0x1
	global_load_dword v98, v[91:92], off
	global_load_dword v99, v[4:5], off offset:24
	s_waitcnt vmcnt(1)
	global_store_dword v[4:5], v98, off offset:24
	s_waitcnt vmcnt(0)
	global_store_dword v[91:92], v99, off
.LBB82_108:
	s_or_b32 exec_lo, exec_lo, s2
	v_mov_b32_e32 v98, v90
	v_mov_b32_e32 v99, v90
.LBB82_109:
	s_or_b32 exec_lo, exec_lo, s1
.LBB82_110:
	s_andn2_saveexec_b32 s0, s0
	s_cbranch_execz .LBB82_112
; %bb.111:
	v_mov_b32_e32 v99, 6
	ds_write2_b64 v96, v[72:73], v[70:71] offset0:7 offset1:8
	ds_write2_b64 v96, v[68:69], v[66:67] offset0:9 offset1:10
	;; [unrolled: 1-line block ×17, first 2 shown]
	ds_write_b64 v96, v[88:89] offset:328
.LBB82_112:
	s_or_b32 exec_lo, exec_lo, s0
	s_mov_b32 s0, exec_lo
	s_waitcnt lgkmcnt(0)
	s_waitcnt_vscnt null, 0x0
	s_barrier
	buffer_gl0_inv
	v_cmpx_lt_i32_e32 6, v99
	s_cbranch_execz .LBB82_114
; %bb.113:
	v_mul_f64 v[76:77], v[0:1], v[76:77]
	ds_read2_b64 v[100:103], v96 offset0:7 offset1:8
	ds_read2_b64 v[104:107], v96 offset0:9 offset1:10
	;; [unrolled: 1-line block ×12, first 2 shown]
	ds_read_b64 v[0:1], v96 offset:328
	s_waitcnt lgkmcnt(12)
	v_fma_f64 v[72:73], -v[76:77], v[100:101], v[72:73]
	v_fma_f64 v[70:71], -v[76:77], v[102:103], v[70:71]
	s_waitcnt lgkmcnt(11)
	v_fma_f64 v[68:69], -v[76:77], v[104:105], v[68:69]
	v_fma_f64 v[66:67], -v[76:77], v[106:107], v[66:67]
	;; [unrolled: 3-line block ×5, first 2 shown]
	ds_read2_b64 v[100:103], v96 offset0:31 offset1:32
	ds_read2_b64 v[104:107], v96 offset0:33 offset1:34
	;; [unrolled: 1-line block ×5, first 2 shown]
	s_waitcnt lgkmcnt(12)
	v_fma_f64 v[52:53], -v[76:77], v[120:121], v[52:53]
	v_fma_f64 v[50:51], -v[76:77], v[122:123], v[50:51]
	s_waitcnt lgkmcnt(11)
	v_fma_f64 v[48:49], -v[76:77], v[124:125], v[48:49]
	v_fma_f64 v[46:47], -v[76:77], v[126:127], v[46:47]
	;; [unrolled: 3-line block ×7, first 2 shown]
	s_waitcnt lgkmcnt(5)
	v_fma_f64 v[88:89], -v[76:77], v[0:1], v[88:89]
	s_waitcnt lgkmcnt(4)
	v_fma_f64 v[24:25], -v[76:77], v[100:101], v[24:25]
	v_fma_f64 v[22:23], -v[76:77], v[102:103], v[22:23]
	s_waitcnt lgkmcnt(3)
	v_fma_f64 v[18:19], -v[76:77], v[104:105], v[18:19]
	;; [unrolled: 3-line block ×5, first 2 shown]
	v_fma_f64 v[10:11], -v[76:77], v[118:119], v[10:11]
.LBB82_114:
	s_or_b32 exec_lo, exec_lo, s0
	v_lshl_add_u32 v0, v99, 3, v96
	s_barrier
	buffer_gl0_inv
	v_mov_b32_e32 v90, 7
	ds_write_b64 v0, v[72:73]
	s_waitcnt lgkmcnt(0)
	s_barrier
	buffer_gl0_inv
	ds_read_b64 v[0:1], v96 offset:56
	s_cmp_lt_i32 s7, 9
	s_cbranch_scc1 .LBB82_117
; %bb.115:
	v_add3_u32 v91, v97, 0, 64
	v_mov_b32_e32 v90, 7
	s_mov_b32 s0, 8
.LBB82_116:                             ; =>This Inner Loop Header: Depth=1
	ds_read_b64 v[100:101], v91
	v_add_nc_u32_e32 v91, 8, v91
	s_waitcnt lgkmcnt(0)
	v_cmp_lt_f64_e64 vcc_lo, |v[0:1]|, |v[100:101]|
	v_cndmask_b32_e32 v1, v1, v101, vcc_lo
	v_cndmask_b32_e32 v0, v0, v100, vcc_lo
	v_cndmask_b32_e64 v90, v90, s0, vcc_lo
	s_add_i32 s0, s0, 1
	s_cmp_lg_u32 s7, s0
	s_cbranch_scc1 .LBB82_116
.LBB82_117:
	s_mov_b32 s0, exec_lo
	s_waitcnt lgkmcnt(0)
	v_cmpx_eq_f64_e32 0, v[0:1]
	s_xor_b32 s0, exec_lo, s0
; %bb.118:
	v_cmp_ne_u32_e32 vcc_lo, 0, v93
	v_cndmask_b32_e32 v93, 8, v93, vcc_lo
; %bb.119:
	s_andn2_saveexec_b32 s0, s0
	s_cbranch_execz .LBB82_121
; %bb.120:
	v_div_scale_f64 v[91:92], null, v[0:1], v[0:1], 1.0
	v_rcp_f64_e32 v[100:101], v[91:92]
	v_fma_f64 v[102:103], -v[91:92], v[100:101], 1.0
	v_fma_f64 v[100:101], v[100:101], v[102:103], v[100:101]
	v_fma_f64 v[102:103], -v[91:92], v[100:101], 1.0
	v_fma_f64 v[100:101], v[100:101], v[102:103], v[100:101]
	v_div_scale_f64 v[102:103], vcc_lo, 1.0, v[0:1], 1.0
	v_mul_f64 v[104:105], v[102:103], v[100:101]
	v_fma_f64 v[91:92], -v[91:92], v[104:105], v[102:103]
	v_div_fmas_f64 v[91:92], v[91:92], v[100:101], v[104:105]
	v_div_fixup_f64 v[0:1], v[91:92], v[0:1], 1.0
.LBB82_121:
	s_or_b32 exec_lo, exec_lo, s0
	s_mov_b32 s0, exec_lo
	v_cmpx_ne_u32_e64 v99, v90
	s_xor_b32 s0, exec_lo, s0
	s_cbranch_execz .LBB82_127
; %bb.122:
	s_mov_b32 s1, exec_lo
	v_cmpx_eq_u32_e32 7, v99
	s_cbranch_execz .LBB82_126
; %bb.123:
	v_cmp_ne_u32_e32 vcc_lo, 7, v90
	s_xor_b32 s2, s6, -1
	s_and_b32 s3, s2, vcc_lo
	s_and_saveexec_b32 s2, s3
	s_cbranch_execz .LBB82_125
; %bb.124:
	v_ashrrev_i32_e32 v91, 31, v90
	v_lshlrev_b64 v[91:92], 2, v[90:91]
	v_add_co_u32 v91, vcc_lo, v4, v91
	v_add_co_ci_u32_e64 v92, null, v5, v92, vcc_lo
	s_clause 0x1
	global_load_dword v98, v[91:92], off
	global_load_dword v99, v[4:5], off offset:28
	s_waitcnt vmcnt(1)
	global_store_dword v[4:5], v98, off offset:28
	s_waitcnt vmcnt(0)
	global_store_dword v[91:92], v99, off
.LBB82_125:
	s_or_b32 exec_lo, exec_lo, s2
	v_mov_b32_e32 v98, v90
	v_mov_b32_e32 v99, v90
.LBB82_126:
	s_or_b32 exec_lo, exec_lo, s1
.LBB82_127:
	s_andn2_saveexec_b32 s0, s0
	s_cbranch_execz .LBB82_129
; %bb.128:
	v_mov_b32_e32 v90, v70
	v_mov_b32_e32 v91, v71
	;; [unrolled: 1-line block ×12, first 2 shown]
	ds_write2_b64 v96, v[90:91], v[99:100] offset0:8 offset1:9
	ds_write2_b64 v96, v[101:102], v[103:104] offset0:10 offset1:11
	;; [unrolled: 1-line block ×3, first 2 shown]
	v_mov_b32_e32 v90, v60
	v_mov_b32_e32 v91, v61
	;; [unrolled: 1-line block ×20, first 2 shown]
	ds_write2_b64 v96, v[90:91], v[99:100] offset0:14 offset1:15
	ds_write2_b64 v96, v[101:102], v[103:104] offset0:16 offset1:17
	;; [unrolled: 1-line block ×5, first 2 shown]
	v_mov_b32_e32 v90, v40
	v_mov_b32_e32 v91, v41
	;; [unrolled: 1-line block ×20, first 2 shown]
	ds_write2_b64 v96, v[90:91], v[99:100] offset0:24 offset1:25
	ds_write2_b64 v96, v[101:102], v[103:104] offset0:26 offset1:27
	;; [unrolled: 1-line block ×5, first 2 shown]
	v_mov_b32_e32 v90, v20
	v_mov_b32_e32 v91, v21
	v_mov_b32_e32 v100, v16
	v_mov_b32_e32 v101, v17
	v_mov_b32_e32 v99, 7
	v_mov_b32_e32 v102, v14
	v_mov_b32_e32 v103, v15
	v_mov_b32_e32 v104, v8
	v_mov_b32_e32 v105, v9
	v_mov_b32_e32 v106, v12
	v_mov_b32_e32 v107, v13
	v_mov_b32_e32 v108, v6
	v_mov_b32_e32 v109, v7
	v_mov_b32_e32 v110, v10
	v_mov_b32_e32 v111, v11
	ds_write2_b64 v96, v[90:91], v[100:101] offset0:34 offset1:35
	ds_write2_b64 v96, v[102:103], v[104:105] offset0:36 offset1:37
	;; [unrolled: 1-line block ×4, first 2 shown]
.LBB82_129:
	s_or_b32 exec_lo, exec_lo, s0
	s_mov_b32 s0, exec_lo
	s_waitcnt lgkmcnt(0)
	s_waitcnt_vscnt null, 0x0
	s_barrier
	buffer_gl0_inv
	v_cmpx_lt_i32_e32 7, v99
	s_cbranch_execz .LBB82_131
; %bb.130:
	v_mul_f64 v[72:73], v[0:1], v[72:73]
	ds_read2_b64 v[100:103], v96 offset0:8 offset1:9
	ds_read2_b64 v[104:107], v96 offset0:10 offset1:11
	ds_read2_b64 v[108:111], v96 offset0:12 offset1:13
	ds_read2_b64 v[112:115], v96 offset0:14 offset1:15
	ds_read2_b64 v[116:119], v96 offset0:16 offset1:17
	ds_read2_b64 v[120:123], v96 offset0:18 offset1:19
	ds_read2_b64 v[124:127], v96 offset0:20 offset1:21
	ds_read2_b64 v[128:131], v96 offset0:22 offset1:23
	ds_read2_b64 v[132:135], v96 offset0:24 offset1:25
	ds_read2_b64 v[136:139], v96 offset0:26 offset1:27
	ds_read2_b64 v[140:143], v96 offset0:28 offset1:29
	ds_read2_b64 v[144:147], v96 offset0:30 offset1:31
	ds_read2_b64 v[148:151], v96 offset0:32 offset1:33
	s_waitcnt lgkmcnt(12)
	v_fma_f64 v[70:71], -v[72:73], v[100:101], v[70:71]
	v_fma_f64 v[68:69], -v[72:73], v[102:103], v[68:69]
	s_waitcnt lgkmcnt(11)
	v_fma_f64 v[66:67], -v[72:73], v[104:105], v[66:67]
	v_fma_f64 v[64:65], -v[72:73], v[106:107], v[64:65]
	;; [unrolled: 3-line block ×4, first 2 shown]
	ds_read2_b64 v[100:103], v96 offset0:34 offset1:35
	ds_read2_b64 v[104:107], v96 offset0:36 offset1:37
	;; [unrolled: 1-line block ×4, first 2 shown]
	s_waitcnt lgkmcnt(12)
	v_fma_f64 v[56:57], -v[72:73], v[116:117], v[56:57]
	v_fma_f64 v[52:53], -v[72:73], v[118:119], v[52:53]
	s_waitcnt lgkmcnt(11)
	v_fma_f64 v[50:51], -v[72:73], v[120:121], v[50:51]
	v_fma_f64 v[48:49], -v[72:73], v[122:123], v[48:49]
	;; [unrolled: 3-line block ×13, first 2 shown]
.LBB82_131:
	s_or_b32 exec_lo, exec_lo, s0
	v_lshl_add_u32 v0, v99, 3, v96
	s_barrier
	buffer_gl0_inv
	v_mov_b32_e32 v90, 8
	ds_write_b64 v0, v[70:71]
	s_waitcnt lgkmcnt(0)
	s_barrier
	buffer_gl0_inv
	ds_read_b64 v[0:1], v96 offset:64
	s_cmp_lt_i32 s7, 10
	s_cbranch_scc1 .LBB82_134
; %bb.132:
	v_add3_u32 v91, v97, 0, 0x48
	v_mov_b32_e32 v90, 8
	s_mov_b32 s0, 9
.LBB82_133:                             ; =>This Inner Loop Header: Depth=1
	ds_read_b64 v[100:101], v91
	v_add_nc_u32_e32 v91, 8, v91
	s_waitcnt lgkmcnt(0)
	v_cmp_lt_f64_e64 vcc_lo, |v[0:1]|, |v[100:101]|
	v_cndmask_b32_e32 v1, v1, v101, vcc_lo
	v_cndmask_b32_e32 v0, v0, v100, vcc_lo
	v_cndmask_b32_e64 v90, v90, s0, vcc_lo
	s_add_i32 s0, s0, 1
	s_cmp_lg_u32 s7, s0
	s_cbranch_scc1 .LBB82_133
.LBB82_134:
	s_mov_b32 s0, exec_lo
	s_waitcnt lgkmcnt(0)
	v_cmpx_eq_f64_e32 0, v[0:1]
	s_xor_b32 s0, exec_lo, s0
; %bb.135:
	v_cmp_ne_u32_e32 vcc_lo, 0, v93
	v_cndmask_b32_e32 v93, 9, v93, vcc_lo
; %bb.136:
	s_andn2_saveexec_b32 s0, s0
	s_cbranch_execz .LBB82_138
; %bb.137:
	v_div_scale_f64 v[91:92], null, v[0:1], v[0:1], 1.0
	v_rcp_f64_e32 v[100:101], v[91:92]
	v_fma_f64 v[102:103], -v[91:92], v[100:101], 1.0
	v_fma_f64 v[100:101], v[100:101], v[102:103], v[100:101]
	v_fma_f64 v[102:103], -v[91:92], v[100:101], 1.0
	v_fma_f64 v[100:101], v[100:101], v[102:103], v[100:101]
	v_div_scale_f64 v[102:103], vcc_lo, 1.0, v[0:1], 1.0
	v_mul_f64 v[104:105], v[102:103], v[100:101]
	v_fma_f64 v[91:92], -v[91:92], v[104:105], v[102:103]
	v_div_fmas_f64 v[91:92], v[91:92], v[100:101], v[104:105]
	v_div_fixup_f64 v[0:1], v[91:92], v[0:1], 1.0
.LBB82_138:
	s_or_b32 exec_lo, exec_lo, s0
	s_mov_b32 s0, exec_lo
	v_cmpx_ne_u32_e64 v99, v90
	s_xor_b32 s0, exec_lo, s0
	s_cbranch_execz .LBB82_144
; %bb.139:
	s_mov_b32 s1, exec_lo
	v_cmpx_eq_u32_e32 8, v99
	s_cbranch_execz .LBB82_143
; %bb.140:
	v_cmp_ne_u32_e32 vcc_lo, 8, v90
	s_xor_b32 s2, s6, -1
	s_and_b32 s3, s2, vcc_lo
	s_and_saveexec_b32 s2, s3
	s_cbranch_execz .LBB82_142
; %bb.141:
	v_ashrrev_i32_e32 v91, 31, v90
	v_lshlrev_b64 v[91:92], 2, v[90:91]
	v_add_co_u32 v91, vcc_lo, v4, v91
	v_add_co_ci_u32_e64 v92, null, v5, v92, vcc_lo
	s_clause 0x1
	global_load_dword v98, v[91:92], off
	global_load_dword v99, v[4:5], off offset:32
	s_waitcnt vmcnt(1)
	global_store_dword v[4:5], v98, off offset:32
	s_waitcnt vmcnt(0)
	global_store_dword v[91:92], v99, off
.LBB82_142:
	s_or_b32 exec_lo, exec_lo, s2
	v_mov_b32_e32 v98, v90
	v_mov_b32_e32 v99, v90
.LBB82_143:
	s_or_b32 exec_lo, exec_lo, s1
.LBB82_144:
	s_andn2_saveexec_b32 s0, s0
	s_cbranch_execz .LBB82_146
; %bb.145:
	v_mov_b32_e32 v99, 8
	ds_write2_b64 v96, v[68:69], v[66:67] offset0:9 offset1:10
	ds_write2_b64 v96, v[64:65], v[62:63] offset0:11 offset1:12
	;; [unrolled: 1-line block ×16, first 2 shown]
	ds_write_b64 v96, v[88:89] offset:328
.LBB82_146:
	s_or_b32 exec_lo, exec_lo, s0
	s_mov_b32 s0, exec_lo
	s_waitcnt lgkmcnt(0)
	s_waitcnt_vscnt null, 0x0
	s_barrier
	buffer_gl0_inv
	v_cmpx_lt_i32_e32 8, v99
	s_cbranch_execz .LBB82_148
; %bb.147:
	v_mul_f64 v[70:71], v[0:1], v[70:71]
	ds_read2_b64 v[100:103], v96 offset0:9 offset1:10
	ds_read2_b64 v[104:107], v96 offset0:11 offset1:12
	ds_read2_b64 v[108:111], v96 offset0:13 offset1:14
	ds_read2_b64 v[112:115], v96 offset0:15 offset1:16
	ds_read2_b64 v[116:119], v96 offset0:17 offset1:18
	ds_read2_b64 v[120:123], v96 offset0:19 offset1:20
	ds_read2_b64 v[124:127], v96 offset0:21 offset1:22
	ds_read2_b64 v[128:131], v96 offset0:23 offset1:24
	ds_read2_b64 v[132:135], v96 offset0:25 offset1:26
	ds_read2_b64 v[136:139], v96 offset0:27 offset1:28
	ds_read2_b64 v[140:143], v96 offset0:29 offset1:30
	ds_read2_b64 v[144:147], v96 offset0:31 offset1:32
	ds_read2_b64 v[148:151], v96 offset0:33 offset1:34
	ds_read_b64 v[0:1], v96 offset:328
	s_waitcnt lgkmcnt(13)
	v_fma_f64 v[68:69], -v[70:71], v[100:101], v[68:69]
	v_fma_f64 v[66:67], -v[70:71], v[102:103], v[66:67]
	s_waitcnt lgkmcnt(12)
	v_fma_f64 v[64:65], -v[70:71], v[104:105], v[64:65]
	v_fma_f64 v[62:63], -v[70:71], v[106:107], v[62:63]
	;; [unrolled: 3-line block ×3, first 2 shown]
	ds_read2_b64 v[100:103], v96 offset0:35 offset1:36
	ds_read2_b64 v[104:107], v96 offset0:37 offset1:38
	;; [unrolled: 1-line block ×3, first 2 shown]
	s_waitcnt lgkmcnt(13)
	v_fma_f64 v[54:55], -v[70:71], v[112:113], v[54:55]
	v_fma_f64 v[56:57], -v[70:71], v[114:115], v[56:57]
	s_waitcnt lgkmcnt(12)
	v_fma_f64 v[52:53], -v[70:71], v[116:117], v[52:53]
	v_fma_f64 v[50:51], -v[70:71], v[118:119], v[50:51]
	;; [unrolled: 3-line block ×13, first 2 shown]
	v_fma_f64 v[88:89], -v[70:71], v[0:1], v[88:89]
.LBB82_148:
	s_or_b32 exec_lo, exec_lo, s0
	v_lshl_add_u32 v0, v99, 3, v96
	s_barrier
	buffer_gl0_inv
	v_mov_b32_e32 v90, 9
	ds_write_b64 v0, v[68:69]
	s_waitcnt lgkmcnt(0)
	s_barrier
	buffer_gl0_inv
	ds_read_b64 v[0:1], v96 offset:72
	s_cmp_lt_i32 s7, 11
	s_cbranch_scc1 .LBB82_151
; %bb.149:
	v_add3_u32 v91, v97, 0, 0x50
	v_mov_b32_e32 v90, 9
	s_mov_b32 s0, 10
.LBB82_150:                             ; =>This Inner Loop Header: Depth=1
	ds_read_b64 v[100:101], v91
	v_add_nc_u32_e32 v91, 8, v91
	s_waitcnt lgkmcnt(0)
	v_cmp_lt_f64_e64 vcc_lo, |v[0:1]|, |v[100:101]|
	v_cndmask_b32_e32 v1, v1, v101, vcc_lo
	v_cndmask_b32_e32 v0, v0, v100, vcc_lo
	v_cndmask_b32_e64 v90, v90, s0, vcc_lo
	s_add_i32 s0, s0, 1
	s_cmp_lg_u32 s7, s0
	s_cbranch_scc1 .LBB82_150
.LBB82_151:
	s_mov_b32 s0, exec_lo
	s_waitcnt lgkmcnt(0)
	v_cmpx_eq_f64_e32 0, v[0:1]
	s_xor_b32 s0, exec_lo, s0
; %bb.152:
	v_cmp_ne_u32_e32 vcc_lo, 0, v93
	v_cndmask_b32_e32 v93, 10, v93, vcc_lo
; %bb.153:
	s_andn2_saveexec_b32 s0, s0
	s_cbranch_execz .LBB82_155
; %bb.154:
	v_div_scale_f64 v[91:92], null, v[0:1], v[0:1], 1.0
	v_rcp_f64_e32 v[100:101], v[91:92]
	v_fma_f64 v[102:103], -v[91:92], v[100:101], 1.0
	v_fma_f64 v[100:101], v[100:101], v[102:103], v[100:101]
	v_fma_f64 v[102:103], -v[91:92], v[100:101], 1.0
	v_fma_f64 v[100:101], v[100:101], v[102:103], v[100:101]
	v_div_scale_f64 v[102:103], vcc_lo, 1.0, v[0:1], 1.0
	v_mul_f64 v[104:105], v[102:103], v[100:101]
	v_fma_f64 v[91:92], -v[91:92], v[104:105], v[102:103]
	v_div_fmas_f64 v[91:92], v[91:92], v[100:101], v[104:105]
	v_div_fixup_f64 v[0:1], v[91:92], v[0:1], 1.0
.LBB82_155:
	s_or_b32 exec_lo, exec_lo, s0
	s_mov_b32 s0, exec_lo
	v_cmpx_ne_u32_e64 v99, v90
	s_xor_b32 s0, exec_lo, s0
	s_cbranch_execz .LBB82_161
; %bb.156:
	s_mov_b32 s1, exec_lo
	v_cmpx_eq_u32_e32 9, v99
	s_cbranch_execz .LBB82_160
; %bb.157:
	v_cmp_ne_u32_e32 vcc_lo, 9, v90
	s_xor_b32 s2, s6, -1
	s_and_b32 s3, s2, vcc_lo
	s_and_saveexec_b32 s2, s3
	s_cbranch_execz .LBB82_159
; %bb.158:
	v_ashrrev_i32_e32 v91, 31, v90
	v_lshlrev_b64 v[91:92], 2, v[90:91]
	v_add_co_u32 v91, vcc_lo, v4, v91
	v_add_co_ci_u32_e64 v92, null, v5, v92, vcc_lo
	s_clause 0x1
	global_load_dword v98, v[91:92], off
	global_load_dword v99, v[4:5], off offset:36
	s_waitcnt vmcnt(1)
	global_store_dword v[4:5], v98, off offset:36
	s_waitcnt vmcnt(0)
	global_store_dword v[91:92], v99, off
.LBB82_159:
	s_or_b32 exec_lo, exec_lo, s2
	v_mov_b32_e32 v98, v90
	v_mov_b32_e32 v99, v90
.LBB82_160:
	s_or_b32 exec_lo, exec_lo, s1
.LBB82_161:
	s_andn2_saveexec_b32 s0, s0
	s_cbranch_execz .LBB82_163
; %bb.162:
	v_mov_b32_e32 v90, v66
	v_mov_b32_e32 v91, v67
	v_mov_b32_e32 v99, v64
	v_mov_b32_e32 v100, v65
	v_mov_b32_e32 v101, v62
	v_mov_b32_e32 v102, v63
	v_mov_b32_e32 v103, v58
	v_mov_b32_e32 v104, v59
	ds_write2_b64 v96, v[90:91], v[99:100] offset0:10 offset1:11
	ds_write2_b64 v96, v[101:102], v[103:104] offset0:12 offset1:13
	v_mov_b32_e32 v90, v60
	v_mov_b32_e32 v91, v61
	v_mov_b32_e32 v99, v54
	v_mov_b32_e32 v100, v55
	v_mov_b32_e32 v101, v56
	v_mov_b32_e32 v102, v57
	v_mov_b32_e32 v103, v52
	v_mov_b32_e32 v104, v53
	v_mov_b32_e32 v105, v50
	v_mov_b32_e32 v106, v51
	v_mov_b32_e32 v107, v48
	v_mov_b32_e32 v108, v49
	v_mov_b32_e32 v109, v46
	v_mov_b32_e32 v110, v47
	v_mov_b32_e32 v111, v44
	v_mov_b32_e32 v112, v45
	v_mov_b32_e32 v113, v42
	v_mov_b32_e32 v114, v43
	v_mov_b32_e32 v115, v38
	v_mov_b32_e32 v116, v39
	ds_write2_b64 v96, v[90:91], v[99:100] offset0:14 offset1:15
	ds_write2_b64 v96, v[101:102], v[103:104] offset0:16 offset1:17
	;; [unrolled: 1-line block ×5, first 2 shown]
	v_mov_b32_e32 v90, v40
	v_mov_b32_e32 v91, v41
	;; [unrolled: 1-line block ×20, first 2 shown]
	ds_write2_b64 v96, v[90:91], v[99:100] offset0:24 offset1:25
	ds_write2_b64 v96, v[101:102], v[103:104] offset0:26 offset1:27
	;; [unrolled: 1-line block ×5, first 2 shown]
	v_mov_b32_e32 v90, v20
	v_mov_b32_e32 v91, v21
	;; [unrolled: 1-line block ×15, first 2 shown]
	ds_write2_b64 v96, v[90:91], v[100:101] offset0:34 offset1:35
	ds_write2_b64 v96, v[102:103], v[104:105] offset0:36 offset1:37
	;; [unrolled: 1-line block ×4, first 2 shown]
.LBB82_163:
	s_or_b32 exec_lo, exec_lo, s0
	s_mov_b32 s0, exec_lo
	s_waitcnt lgkmcnt(0)
	s_waitcnt_vscnt null, 0x0
	s_barrier
	buffer_gl0_inv
	v_cmpx_lt_i32_e32 9, v99
	s_cbranch_execz .LBB82_165
; %bb.164:
	v_mul_f64 v[68:69], v[0:1], v[68:69]
	ds_read2_b64 v[100:103], v96 offset0:10 offset1:11
	ds_read2_b64 v[104:107], v96 offset0:12 offset1:13
	ds_read2_b64 v[108:111], v96 offset0:14 offset1:15
	ds_read2_b64 v[112:115], v96 offset0:16 offset1:17
	ds_read2_b64 v[116:119], v96 offset0:18 offset1:19
	ds_read2_b64 v[120:123], v96 offset0:20 offset1:21
	ds_read2_b64 v[124:127], v96 offset0:22 offset1:23
	ds_read2_b64 v[128:131], v96 offset0:24 offset1:25
	ds_read2_b64 v[132:135], v96 offset0:26 offset1:27
	ds_read2_b64 v[136:139], v96 offset0:28 offset1:29
	ds_read2_b64 v[140:143], v96 offset0:30 offset1:31
	ds_read2_b64 v[144:147], v96 offset0:32 offset1:33
	ds_read2_b64 v[148:151], v96 offset0:34 offset1:35
	s_waitcnt lgkmcnt(12)
	v_fma_f64 v[66:67], -v[68:69], v[100:101], v[66:67]
	v_fma_f64 v[64:65], -v[68:69], v[102:103], v[64:65]
	s_waitcnt lgkmcnt(11)
	v_fma_f64 v[62:63], -v[68:69], v[104:105], v[62:63]
	v_fma_f64 v[58:59], -v[68:69], v[106:107], v[58:59]
	;; [unrolled: 3-line block ×3, first 2 shown]
	ds_read2_b64 v[100:103], v96 offset0:36 offset1:37
	ds_read2_b64 v[104:107], v96 offset0:38 offset1:39
	;; [unrolled: 1-line block ×3, first 2 shown]
	s_waitcnt lgkmcnt(12)
	v_fma_f64 v[56:57], -v[68:69], v[112:113], v[56:57]
	v_fma_f64 v[52:53], -v[68:69], v[114:115], v[52:53]
	s_waitcnt lgkmcnt(11)
	v_fma_f64 v[50:51], -v[68:69], v[116:117], v[50:51]
	v_fma_f64 v[48:49], -v[68:69], v[118:119], v[48:49]
	;; [unrolled: 3-line block ×13, first 2 shown]
.LBB82_165:
	s_or_b32 exec_lo, exec_lo, s0
	v_lshl_add_u32 v0, v99, 3, v96
	s_barrier
	buffer_gl0_inv
	v_mov_b32_e32 v90, 10
	ds_write_b64 v0, v[66:67]
	s_waitcnt lgkmcnt(0)
	s_barrier
	buffer_gl0_inv
	ds_read_b64 v[0:1], v96 offset:80
	s_cmp_lt_i32 s7, 12
	s_cbranch_scc1 .LBB82_168
; %bb.166:
	v_add3_u32 v91, v97, 0, 0x58
	v_mov_b32_e32 v90, 10
	s_mov_b32 s0, 11
.LBB82_167:                             ; =>This Inner Loop Header: Depth=1
	ds_read_b64 v[100:101], v91
	v_add_nc_u32_e32 v91, 8, v91
	s_waitcnt lgkmcnt(0)
	v_cmp_lt_f64_e64 vcc_lo, |v[0:1]|, |v[100:101]|
	v_cndmask_b32_e32 v1, v1, v101, vcc_lo
	v_cndmask_b32_e32 v0, v0, v100, vcc_lo
	v_cndmask_b32_e64 v90, v90, s0, vcc_lo
	s_add_i32 s0, s0, 1
	s_cmp_lg_u32 s7, s0
	s_cbranch_scc1 .LBB82_167
.LBB82_168:
	s_mov_b32 s0, exec_lo
	s_waitcnt lgkmcnt(0)
	v_cmpx_eq_f64_e32 0, v[0:1]
	s_xor_b32 s0, exec_lo, s0
; %bb.169:
	v_cmp_ne_u32_e32 vcc_lo, 0, v93
	v_cndmask_b32_e32 v93, 11, v93, vcc_lo
; %bb.170:
	s_andn2_saveexec_b32 s0, s0
	s_cbranch_execz .LBB82_172
; %bb.171:
	v_div_scale_f64 v[91:92], null, v[0:1], v[0:1], 1.0
	v_rcp_f64_e32 v[100:101], v[91:92]
	v_fma_f64 v[102:103], -v[91:92], v[100:101], 1.0
	v_fma_f64 v[100:101], v[100:101], v[102:103], v[100:101]
	v_fma_f64 v[102:103], -v[91:92], v[100:101], 1.0
	v_fma_f64 v[100:101], v[100:101], v[102:103], v[100:101]
	v_div_scale_f64 v[102:103], vcc_lo, 1.0, v[0:1], 1.0
	v_mul_f64 v[104:105], v[102:103], v[100:101]
	v_fma_f64 v[91:92], -v[91:92], v[104:105], v[102:103]
	v_div_fmas_f64 v[91:92], v[91:92], v[100:101], v[104:105]
	v_div_fixup_f64 v[0:1], v[91:92], v[0:1], 1.0
.LBB82_172:
	s_or_b32 exec_lo, exec_lo, s0
	s_mov_b32 s0, exec_lo
	v_cmpx_ne_u32_e64 v99, v90
	s_xor_b32 s0, exec_lo, s0
	s_cbranch_execz .LBB82_178
; %bb.173:
	s_mov_b32 s1, exec_lo
	v_cmpx_eq_u32_e32 10, v99
	s_cbranch_execz .LBB82_177
; %bb.174:
	v_cmp_ne_u32_e32 vcc_lo, 10, v90
	s_xor_b32 s2, s6, -1
	s_and_b32 s3, s2, vcc_lo
	s_and_saveexec_b32 s2, s3
	s_cbranch_execz .LBB82_176
; %bb.175:
	v_ashrrev_i32_e32 v91, 31, v90
	v_lshlrev_b64 v[91:92], 2, v[90:91]
	v_add_co_u32 v91, vcc_lo, v4, v91
	v_add_co_ci_u32_e64 v92, null, v5, v92, vcc_lo
	s_clause 0x1
	global_load_dword v98, v[91:92], off
	global_load_dword v99, v[4:5], off offset:40
	s_waitcnt vmcnt(1)
	global_store_dword v[4:5], v98, off offset:40
	s_waitcnt vmcnt(0)
	global_store_dword v[91:92], v99, off
.LBB82_176:
	s_or_b32 exec_lo, exec_lo, s2
	v_mov_b32_e32 v98, v90
	v_mov_b32_e32 v99, v90
.LBB82_177:
	s_or_b32 exec_lo, exec_lo, s1
.LBB82_178:
	s_andn2_saveexec_b32 s0, s0
	s_cbranch_execz .LBB82_180
; %bb.179:
	v_mov_b32_e32 v99, 10
	ds_write2_b64 v96, v[64:65], v[62:63] offset0:11 offset1:12
	ds_write2_b64 v96, v[58:59], v[60:61] offset0:13 offset1:14
	;; [unrolled: 1-line block ×15, first 2 shown]
	ds_write_b64 v96, v[88:89] offset:328
.LBB82_180:
	s_or_b32 exec_lo, exec_lo, s0
	s_mov_b32 s0, exec_lo
	s_waitcnt lgkmcnt(0)
	s_waitcnt_vscnt null, 0x0
	s_barrier
	buffer_gl0_inv
	v_cmpx_lt_i32_e32 10, v99
	s_cbranch_execz .LBB82_182
; %bb.181:
	v_mul_f64 v[66:67], v[0:1], v[66:67]
	ds_read2_b64 v[100:103], v96 offset0:11 offset1:12
	ds_read2_b64 v[104:107], v96 offset0:13 offset1:14
	;; [unrolled: 1-line block ×13, first 2 shown]
	ds_read_b64 v[0:1], v96 offset:328
	s_waitcnt lgkmcnt(13)
	v_fma_f64 v[64:65], -v[66:67], v[100:101], v[64:65]
	v_fma_f64 v[62:63], -v[66:67], v[102:103], v[62:63]
	s_waitcnt lgkmcnt(12)
	v_fma_f64 v[58:59], -v[66:67], v[104:105], v[58:59]
	v_fma_f64 v[60:61], -v[66:67], v[106:107], v[60:61]
	ds_read2_b64 v[100:103], v96 offset0:37 offset1:38
	ds_read2_b64 v[104:107], v96 offset0:39 offset1:40
	s_waitcnt lgkmcnt(13)
	v_fma_f64 v[54:55], -v[66:67], v[108:109], v[54:55]
	v_fma_f64 v[56:57], -v[66:67], v[110:111], v[56:57]
	s_waitcnt lgkmcnt(12)
	v_fma_f64 v[52:53], -v[66:67], v[112:113], v[52:53]
	v_fma_f64 v[50:51], -v[66:67], v[114:115], v[50:51]
	s_waitcnt lgkmcnt(11)
	v_fma_f64 v[48:49], -v[66:67], v[116:117], v[48:49]
	v_fma_f64 v[46:47], -v[66:67], v[118:119], v[46:47]
	s_waitcnt lgkmcnt(10)
	v_fma_f64 v[44:45], -v[66:67], v[120:121], v[44:45]
	v_fma_f64 v[42:43], -v[66:67], v[122:123], v[42:43]
	s_waitcnt lgkmcnt(9)
	v_fma_f64 v[38:39], -v[66:67], v[124:125], v[38:39]
	v_fma_f64 v[40:41], -v[66:67], v[126:127], v[40:41]
	s_waitcnt lgkmcnt(8)
	v_fma_f64 v[34:35], -v[66:67], v[128:129], v[34:35]
	v_fma_f64 v[36:37], -v[66:67], v[130:131], v[36:37]
	s_waitcnt lgkmcnt(7)
	v_fma_f64 v[32:33], -v[66:67], v[132:133], v[32:33]
	v_fma_f64 v[30:31], -v[66:67], v[134:135], v[30:31]
	s_waitcnt lgkmcnt(6)
	v_fma_f64 v[28:29], -v[66:67], v[136:137], v[28:29]
	v_fma_f64 v[26:27], -v[66:67], v[138:139], v[26:27]
	s_waitcnt lgkmcnt(5)
	v_fma_f64 v[24:25], -v[66:67], v[140:141], v[24:25]
	v_fma_f64 v[22:23], -v[66:67], v[142:143], v[22:23]
	s_waitcnt lgkmcnt(4)
	v_fma_f64 v[18:19], -v[66:67], v[144:145], v[18:19]
	v_fma_f64 v[20:21], -v[66:67], v[146:147], v[20:21]
	s_waitcnt lgkmcnt(3)
	v_fma_f64 v[16:17], -v[66:67], v[148:149], v[16:17]
	v_fma_f64 v[14:15], -v[66:67], v[150:151], v[14:15]
	s_waitcnt lgkmcnt(1)
	v_fma_f64 v[8:9], -v[66:67], v[100:101], v[8:9]
	v_fma_f64 v[12:13], -v[66:67], v[102:103], v[12:13]
	s_waitcnt lgkmcnt(0)
	v_fma_f64 v[6:7], -v[66:67], v[104:105], v[6:7]
	v_fma_f64 v[10:11], -v[66:67], v[106:107], v[10:11]
	v_fma_f64 v[88:89], -v[66:67], v[0:1], v[88:89]
.LBB82_182:
	s_or_b32 exec_lo, exec_lo, s0
	v_lshl_add_u32 v0, v99, 3, v96
	s_barrier
	buffer_gl0_inv
	v_mov_b32_e32 v90, 11
	ds_write_b64 v0, v[64:65]
	s_waitcnt lgkmcnt(0)
	s_barrier
	buffer_gl0_inv
	ds_read_b64 v[0:1], v96 offset:88
	s_cmp_lt_i32 s7, 13
	s_cbranch_scc1 .LBB82_185
; %bb.183:
	v_add3_u32 v91, v97, 0, 0x60
	v_mov_b32_e32 v90, 11
	s_mov_b32 s0, 12
.LBB82_184:                             ; =>This Inner Loop Header: Depth=1
	ds_read_b64 v[100:101], v91
	v_add_nc_u32_e32 v91, 8, v91
	s_waitcnt lgkmcnt(0)
	v_cmp_lt_f64_e64 vcc_lo, |v[0:1]|, |v[100:101]|
	v_cndmask_b32_e32 v1, v1, v101, vcc_lo
	v_cndmask_b32_e32 v0, v0, v100, vcc_lo
	v_cndmask_b32_e64 v90, v90, s0, vcc_lo
	s_add_i32 s0, s0, 1
	s_cmp_lg_u32 s7, s0
	s_cbranch_scc1 .LBB82_184
.LBB82_185:
	s_mov_b32 s0, exec_lo
	s_waitcnt lgkmcnt(0)
	v_cmpx_eq_f64_e32 0, v[0:1]
	s_xor_b32 s0, exec_lo, s0
; %bb.186:
	v_cmp_ne_u32_e32 vcc_lo, 0, v93
	v_cndmask_b32_e32 v93, 12, v93, vcc_lo
; %bb.187:
	s_andn2_saveexec_b32 s0, s0
	s_cbranch_execz .LBB82_189
; %bb.188:
	v_div_scale_f64 v[91:92], null, v[0:1], v[0:1], 1.0
	v_rcp_f64_e32 v[100:101], v[91:92]
	v_fma_f64 v[102:103], -v[91:92], v[100:101], 1.0
	v_fma_f64 v[100:101], v[100:101], v[102:103], v[100:101]
	v_fma_f64 v[102:103], -v[91:92], v[100:101], 1.0
	v_fma_f64 v[100:101], v[100:101], v[102:103], v[100:101]
	v_div_scale_f64 v[102:103], vcc_lo, 1.0, v[0:1], 1.0
	v_mul_f64 v[104:105], v[102:103], v[100:101]
	v_fma_f64 v[91:92], -v[91:92], v[104:105], v[102:103]
	v_div_fmas_f64 v[91:92], v[91:92], v[100:101], v[104:105]
	v_div_fixup_f64 v[0:1], v[91:92], v[0:1], 1.0
.LBB82_189:
	s_or_b32 exec_lo, exec_lo, s0
	s_mov_b32 s0, exec_lo
	v_cmpx_ne_u32_e64 v99, v90
	s_xor_b32 s0, exec_lo, s0
	s_cbranch_execz .LBB82_195
; %bb.190:
	s_mov_b32 s1, exec_lo
	v_cmpx_eq_u32_e32 11, v99
	s_cbranch_execz .LBB82_194
; %bb.191:
	v_cmp_ne_u32_e32 vcc_lo, 11, v90
	s_xor_b32 s2, s6, -1
	s_and_b32 s3, s2, vcc_lo
	s_and_saveexec_b32 s2, s3
	s_cbranch_execz .LBB82_193
; %bb.192:
	v_ashrrev_i32_e32 v91, 31, v90
	v_lshlrev_b64 v[91:92], 2, v[90:91]
	v_add_co_u32 v91, vcc_lo, v4, v91
	v_add_co_ci_u32_e64 v92, null, v5, v92, vcc_lo
	s_clause 0x1
	global_load_dword v98, v[91:92], off
	global_load_dword v99, v[4:5], off offset:44
	s_waitcnt vmcnt(1)
	global_store_dword v[4:5], v98, off offset:44
	s_waitcnt vmcnt(0)
	global_store_dword v[91:92], v99, off
.LBB82_193:
	s_or_b32 exec_lo, exec_lo, s2
	v_mov_b32_e32 v98, v90
	v_mov_b32_e32 v99, v90
.LBB82_194:
	s_or_b32 exec_lo, exec_lo, s1
.LBB82_195:
	s_andn2_saveexec_b32 s0, s0
	s_cbranch_execz .LBB82_197
; %bb.196:
	v_mov_b32_e32 v90, v62
	v_mov_b32_e32 v91, v63
	;; [unrolled: 1-line block ×8, first 2 shown]
	ds_write2_b64 v96, v[90:91], v[99:100] offset0:12 offset1:13
	v_mov_b32_e32 v90, v54
	v_mov_b32_e32 v91, v55
	;; [unrolled: 1-line block ×16, first 2 shown]
	ds_write2_b64 v96, v[101:102], v[90:91] offset0:14 offset1:15
	ds_write2_b64 v96, v[99:100], v[103:104] offset0:16 offset1:17
	;; [unrolled: 1-line block ×5, first 2 shown]
	v_mov_b32_e32 v90, v40
	v_mov_b32_e32 v91, v41
	;; [unrolled: 1-line block ×20, first 2 shown]
	ds_write2_b64 v96, v[90:91], v[99:100] offset0:24 offset1:25
	ds_write2_b64 v96, v[101:102], v[103:104] offset0:26 offset1:27
	;; [unrolled: 1-line block ×5, first 2 shown]
	v_mov_b32_e32 v90, v20
	v_mov_b32_e32 v91, v21
	;; [unrolled: 1-line block ×15, first 2 shown]
	ds_write2_b64 v96, v[90:91], v[100:101] offset0:34 offset1:35
	ds_write2_b64 v96, v[102:103], v[104:105] offset0:36 offset1:37
	;; [unrolled: 1-line block ×4, first 2 shown]
.LBB82_197:
	s_or_b32 exec_lo, exec_lo, s0
	s_mov_b32 s0, exec_lo
	s_waitcnt lgkmcnt(0)
	s_waitcnt_vscnt null, 0x0
	s_barrier
	buffer_gl0_inv
	v_cmpx_lt_i32_e32 11, v99
	s_cbranch_execz .LBB82_199
; %bb.198:
	v_mul_f64 v[64:65], v[0:1], v[64:65]
	ds_read2_b64 v[100:103], v96 offset0:12 offset1:13
	ds_read2_b64 v[104:107], v96 offset0:14 offset1:15
	;; [unrolled: 1-line block ×14, first 2 shown]
	s_waitcnt lgkmcnt(13)
	v_fma_f64 v[62:63], -v[64:65], v[100:101], v[62:63]
	v_fma_f64 v[58:59], -v[64:65], v[102:103], v[58:59]
	ds_read2_b64 v[100:103], v96 offset0:40 offset1:41
	s_waitcnt lgkmcnt(13)
	v_fma_f64 v[60:61], -v[64:65], v[104:105], v[60:61]
	v_fma_f64 v[54:55], -v[64:65], v[106:107], v[54:55]
	s_waitcnt lgkmcnt(12)
	v_fma_f64 v[56:57], -v[64:65], v[108:109], v[56:57]
	v_fma_f64 v[52:53], -v[64:65], v[110:111], v[52:53]
	;; [unrolled: 3-line block ×14, first 2 shown]
.LBB82_199:
	s_or_b32 exec_lo, exec_lo, s0
	v_lshl_add_u32 v0, v99, 3, v96
	s_barrier
	buffer_gl0_inv
	v_mov_b32_e32 v90, 12
	ds_write_b64 v0, v[62:63]
	s_waitcnt lgkmcnt(0)
	s_barrier
	buffer_gl0_inv
	ds_read_b64 v[0:1], v96 offset:96
	s_cmp_lt_i32 s7, 14
	s_cbranch_scc1 .LBB82_202
; %bb.200:
	v_add3_u32 v91, v97, 0, 0x68
	v_mov_b32_e32 v90, 12
	s_mov_b32 s0, 13
.LBB82_201:                             ; =>This Inner Loop Header: Depth=1
	ds_read_b64 v[100:101], v91
	v_add_nc_u32_e32 v91, 8, v91
	s_waitcnt lgkmcnt(0)
	v_cmp_lt_f64_e64 vcc_lo, |v[0:1]|, |v[100:101]|
	v_cndmask_b32_e32 v1, v1, v101, vcc_lo
	v_cndmask_b32_e32 v0, v0, v100, vcc_lo
	v_cndmask_b32_e64 v90, v90, s0, vcc_lo
	s_add_i32 s0, s0, 1
	s_cmp_lg_u32 s7, s0
	s_cbranch_scc1 .LBB82_201
.LBB82_202:
	s_mov_b32 s0, exec_lo
	s_waitcnt lgkmcnt(0)
	v_cmpx_eq_f64_e32 0, v[0:1]
	s_xor_b32 s0, exec_lo, s0
; %bb.203:
	v_cmp_ne_u32_e32 vcc_lo, 0, v93
	v_cndmask_b32_e32 v93, 13, v93, vcc_lo
; %bb.204:
	s_andn2_saveexec_b32 s0, s0
	s_cbranch_execz .LBB82_206
; %bb.205:
	v_div_scale_f64 v[91:92], null, v[0:1], v[0:1], 1.0
	v_rcp_f64_e32 v[100:101], v[91:92]
	v_fma_f64 v[102:103], -v[91:92], v[100:101], 1.0
	v_fma_f64 v[100:101], v[100:101], v[102:103], v[100:101]
	v_fma_f64 v[102:103], -v[91:92], v[100:101], 1.0
	v_fma_f64 v[100:101], v[100:101], v[102:103], v[100:101]
	v_div_scale_f64 v[102:103], vcc_lo, 1.0, v[0:1], 1.0
	v_mul_f64 v[104:105], v[102:103], v[100:101]
	v_fma_f64 v[91:92], -v[91:92], v[104:105], v[102:103]
	v_div_fmas_f64 v[91:92], v[91:92], v[100:101], v[104:105]
	v_div_fixup_f64 v[0:1], v[91:92], v[0:1], 1.0
.LBB82_206:
	s_or_b32 exec_lo, exec_lo, s0
	s_mov_b32 s0, exec_lo
	v_cmpx_ne_u32_e64 v99, v90
	s_xor_b32 s0, exec_lo, s0
	s_cbranch_execz .LBB82_212
; %bb.207:
	s_mov_b32 s1, exec_lo
	v_cmpx_eq_u32_e32 12, v99
	s_cbranch_execz .LBB82_211
; %bb.208:
	v_cmp_ne_u32_e32 vcc_lo, 12, v90
	s_xor_b32 s2, s6, -1
	s_and_b32 s3, s2, vcc_lo
	s_and_saveexec_b32 s2, s3
	s_cbranch_execz .LBB82_210
; %bb.209:
	v_ashrrev_i32_e32 v91, 31, v90
	v_lshlrev_b64 v[91:92], 2, v[90:91]
	v_add_co_u32 v91, vcc_lo, v4, v91
	v_add_co_ci_u32_e64 v92, null, v5, v92, vcc_lo
	s_clause 0x1
	global_load_dword v98, v[91:92], off
	global_load_dword v99, v[4:5], off offset:48
	s_waitcnt vmcnt(1)
	global_store_dword v[4:5], v98, off offset:48
	s_waitcnt vmcnt(0)
	global_store_dword v[91:92], v99, off
.LBB82_210:
	s_or_b32 exec_lo, exec_lo, s2
	v_mov_b32_e32 v98, v90
	v_mov_b32_e32 v99, v90
.LBB82_211:
	s_or_b32 exec_lo, exec_lo, s1
.LBB82_212:
	s_andn2_saveexec_b32 s0, s0
	s_cbranch_execz .LBB82_214
; %bb.213:
	v_mov_b32_e32 v99, 12
	ds_write2_b64 v96, v[58:59], v[60:61] offset0:13 offset1:14
	ds_write2_b64 v96, v[54:55], v[56:57] offset0:15 offset1:16
	;; [unrolled: 1-line block ×14, first 2 shown]
	ds_write_b64 v96, v[88:89] offset:328
.LBB82_214:
	s_or_b32 exec_lo, exec_lo, s0
	s_mov_b32 s0, exec_lo
	s_waitcnt lgkmcnt(0)
	s_waitcnt_vscnt null, 0x0
	s_barrier
	buffer_gl0_inv
	v_cmpx_lt_i32_e32 12, v99
	s_cbranch_execz .LBB82_216
; %bb.215:
	v_mul_f64 v[62:63], v[0:1], v[62:63]
	ds_read2_b64 v[100:103], v96 offset0:13 offset1:14
	ds_read2_b64 v[104:107], v96 offset0:15 offset1:16
	;; [unrolled: 1-line block ×14, first 2 shown]
	ds_read_b64 v[0:1], v96 offset:328
	s_waitcnt lgkmcnt(14)
	v_fma_f64 v[58:59], -v[62:63], v[100:101], v[58:59]
	v_fma_f64 v[60:61], -v[62:63], v[102:103], v[60:61]
	s_waitcnt lgkmcnt(13)
	v_fma_f64 v[54:55], -v[62:63], v[104:105], v[54:55]
	v_fma_f64 v[56:57], -v[62:63], v[106:107], v[56:57]
	s_waitcnt lgkmcnt(12)
	v_fma_f64 v[52:53], -v[62:63], v[108:109], v[52:53]
	v_fma_f64 v[50:51], -v[62:63], v[110:111], v[50:51]
	s_waitcnt lgkmcnt(11)
	v_fma_f64 v[48:49], -v[62:63], v[112:113], v[48:49]
	v_fma_f64 v[46:47], -v[62:63], v[114:115], v[46:47]
	s_waitcnt lgkmcnt(10)
	v_fma_f64 v[44:45], -v[62:63], v[116:117], v[44:45]
	v_fma_f64 v[42:43], -v[62:63], v[118:119], v[42:43]
	s_waitcnt lgkmcnt(9)
	v_fma_f64 v[38:39], -v[62:63], v[120:121], v[38:39]
	v_fma_f64 v[40:41], -v[62:63], v[122:123], v[40:41]
	s_waitcnt lgkmcnt(8)
	v_fma_f64 v[34:35], -v[62:63], v[124:125], v[34:35]
	v_fma_f64 v[36:37], -v[62:63], v[126:127], v[36:37]
	s_waitcnt lgkmcnt(7)
	v_fma_f64 v[32:33], -v[62:63], v[128:129], v[32:33]
	v_fma_f64 v[30:31], -v[62:63], v[130:131], v[30:31]
	s_waitcnt lgkmcnt(6)
	v_fma_f64 v[28:29], -v[62:63], v[132:133], v[28:29]
	v_fma_f64 v[26:27], -v[62:63], v[134:135], v[26:27]
	s_waitcnt lgkmcnt(5)
	v_fma_f64 v[24:25], -v[62:63], v[136:137], v[24:25]
	v_fma_f64 v[22:23], -v[62:63], v[138:139], v[22:23]
	s_waitcnt lgkmcnt(4)
	v_fma_f64 v[18:19], -v[62:63], v[140:141], v[18:19]
	v_fma_f64 v[20:21], -v[62:63], v[142:143], v[20:21]
	s_waitcnt lgkmcnt(3)
	v_fma_f64 v[16:17], -v[62:63], v[144:145], v[16:17]
	v_fma_f64 v[14:15], -v[62:63], v[146:147], v[14:15]
	s_waitcnt lgkmcnt(2)
	v_fma_f64 v[8:9], -v[62:63], v[148:149], v[8:9]
	v_fma_f64 v[12:13], -v[62:63], v[150:151], v[12:13]
	s_waitcnt lgkmcnt(1)
	v_fma_f64 v[6:7], -v[62:63], v[152:153], v[6:7]
	v_fma_f64 v[10:11], -v[62:63], v[154:155], v[10:11]
	s_waitcnt lgkmcnt(0)
	v_fma_f64 v[88:89], -v[62:63], v[0:1], v[88:89]
.LBB82_216:
	s_or_b32 exec_lo, exec_lo, s0
	v_lshl_add_u32 v0, v99, 3, v96
	s_barrier
	buffer_gl0_inv
	v_mov_b32_e32 v90, 13
	ds_write_b64 v0, v[58:59]
	s_waitcnt lgkmcnt(0)
	s_barrier
	buffer_gl0_inv
	ds_read_b64 v[0:1], v96 offset:104
	s_cmp_lt_i32 s7, 15
	s_cbranch_scc1 .LBB82_219
; %bb.217:
	v_add3_u32 v91, v97, 0, 0x70
	v_mov_b32_e32 v90, 13
	s_mov_b32 s0, 14
.LBB82_218:                             ; =>This Inner Loop Header: Depth=1
	ds_read_b64 v[100:101], v91
	v_add_nc_u32_e32 v91, 8, v91
	s_waitcnt lgkmcnt(0)
	v_cmp_lt_f64_e64 vcc_lo, |v[0:1]|, |v[100:101]|
	v_cndmask_b32_e32 v1, v1, v101, vcc_lo
	v_cndmask_b32_e32 v0, v0, v100, vcc_lo
	v_cndmask_b32_e64 v90, v90, s0, vcc_lo
	s_add_i32 s0, s0, 1
	s_cmp_lg_u32 s7, s0
	s_cbranch_scc1 .LBB82_218
.LBB82_219:
	s_mov_b32 s0, exec_lo
	s_waitcnt lgkmcnt(0)
	v_cmpx_eq_f64_e32 0, v[0:1]
	s_xor_b32 s0, exec_lo, s0
; %bb.220:
	v_cmp_ne_u32_e32 vcc_lo, 0, v93
	v_cndmask_b32_e32 v93, 14, v93, vcc_lo
; %bb.221:
	s_andn2_saveexec_b32 s0, s0
	s_cbranch_execz .LBB82_223
; %bb.222:
	v_div_scale_f64 v[91:92], null, v[0:1], v[0:1], 1.0
	v_rcp_f64_e32 v[100:101], v[91:92]
	v_fma_f64 v[102:103], -v[91:92], v[100:101], 1.0
	v_fma_f64 v[100:101], v[100:101], v[102:103], v[100:101]
	v_fma_f64 v[102:103], -v[91:92], v[100:101], 1.0
	v_fma_f64 v[100:101], v[100:101], v[102:103], v[100:101]
	v_div_scale_f64 v[102:103], vcc_lo, 1.0, v[0:1], 1.0
	v_mul_f64 v[104:105], v[102:103], v[100:101]
	v_fma_f64 v[91:92], -v[91:92], v[104:105], v[102:103]
	v_div_fmas_f64 v[91:92], v[91:92], v[100:101], v[104:105]
	v_div_fixup_f64 v[0:1], v[91:92], v[0:1], 1.0
.LBB82_223:
	s_or_b32 exec_lo, exec_lo, s0
	s_mov_b32 s0, exec_lo
	v_cmpx_ne_u32_e64 v99, v90
	s_xor_b32 s0, exec_lo, s0
	s_cbranch_execz .LBB82_229
; %bb.224:
	s_mov_b32 s1, exec_lo
	v_cmpx_eq_u32_e32 13, v99
	s_cbranch_execz .LBB82_228
; %bb.225:
	v_cmp_ne_u32_e32 vcc_lo, 13, v90
	s_xor_b32 s2, s6, -1
	s_and_b32 s3, s2, vcc_lo
	s_and_saveexec_b32 s2, s3
	s_cbranch_execz .LBB82_227
; %bb.226:
	v_ashrrev_i32_e32 v91, 31, v90
	v_lshlrev_b64 v[91:92], 2, v[90:91]
	v_add_co_u32 v91, vcc_lo, v4, v91
	v_add_co_ci_u32_e64 v92, null, v5, v92, vcc_lo
	s_clause 0x1
	global_load_dword v98, v[91:92], off
	global_load_dword v99, v[4:5], off offset:52
	s_waitcnt vmcnt(1)
	global_store_dword v[4:5], v98, off offset:52
	s_waitcnt vmcnt(0)
	global_store_dword v[91:92], v99, off
.LBB82_227:
	s_or_b32 exec_lo, exec_lo, s2
	v_mov_b32_e32 v98, v90
	v_mov_b32_e32 v99, v90
.LBB82_228:
	s_or_b32 exec_lo, exec_lo, s1
.LBB82_229:
	s_andn2_saveexec_b32 s0, s0
	s_cbranch_execz .LBB82_231
; %bb.230:
	v_mov_b32_e32 v90, v60
	v_mov_b32_e32 v91, v61
	;; [unrolled: 1-line block ×20, first 2 shown]
	ds_write2_b64 v96, v[90:91], v[99:100] offset0:14 offset1:15
	ds_write2_b64 v96, v[101:102], v[103:104] offset0:16 offset1:17
	;; [unrolled: 1-line block ×5, first 2 shown]
	v_mov_b32_e32 v90, v40
	v_mov_b32_e32 v91, v41
	;; [unrolled: 1-line block ×20, first 2 shown]
	ds_write2_b64 v96, v[90:91], v[99:100] offset0:24 offset1:25
	ds_write2_b64 v96, v[101:102], v[103:104] offset0:26 offset1:27
	;; [unrolled: 1-line block ×5, first 2 shown]
	v_mov_b32_e32 v90, v20
	v_mov_b32_e32 v91, v21
	;; [unrolled: 1-line block ×15, first 2 shown]
	ds_write2_b64 v96, v[90:91], v[100:101] offset0:34 offset1:35
	ds_write2_b64 v96, v[102:103], v[104:105] offset0:36 offset1:37
	ds_write2_b64 v96, v[106:107], v[108:109] offset0:38 offset1:39
	ds_write2_b64 v96, v[110:111], v[88:89] offset0:40 offset1:41
.LBB82_231:
	s_or_b32 exec_lo, exec_lo, s0
	s_mov_b32 s0, exec_lo
	s_waitcnt lgkmcnt(0)
	s_waitcnt_vscnt null, 0x0
	s_barrier
	buffer_gl0_inv
	v_cmpx_lt_i32_e32 13, v99
	s_cbranch_execz .LBB82_233
; %bb.232:
	v_mul_f64 v[58:59], v[0:1], v[58:59]
	ds_read2_b64 v[100:103], v96 offset0:14 offset1:15
	ds_read2_b64 v[104:107], v96 offset0:16 offset1:17
	;; [unrolled: 1-line block ×14, first 2 shown]
	s_waitcnt lgkmcnt(13)
	v_fma_f64 v[60:61], -v[58:59], v[100:101], v[60:61]
	v_fma_f64 v[54:55], -v[58:59], v[102:103], v[54:55]
	s_waitcnt lgkmcnt(12)
	v_fma_f64 v[56:57], -v[58:59], v[104:105], v[56:57]
	v_fma_f64 v[52:53], -v[58:59], v[106:107], v[52:53]
	;; [unrolled: 3-line block ×14, first 2 shown]
.LBB82_233:
	s_or_b32 exec_lo, exec_lo, s0
	v_lshl_add_u32 v0, v99, 3, v96
	s_barrier
	buffer_gl0_inv
	v_mov_b32_e32 v90, 14
	ds_write_b64 v0, v[60:61]
	s_waitcnt lgkmcnt(0)
	s_barrier
	buffer_gl0_inv
	ds_read_b64 v[0:1], v96 offset:112
	s_cmp_lt_i32 s7, 16
	s_cbranch_scc1 .LBB82_236
; %bb.234:
	v_add3_u32 v91, v97, 0, 0x78
	v_mov_b32_e32 v90, 14
	s_mov_b32 s0, 15
.LBB82_235:                             ; =>This Inner Loop Header: Depth=1
	ds_read_b64 v[100:101], v91
	v_add_nc_u32_e32 v91, 8, v91
	s_waitcnt lgkmcnt(0)
	v_cmp_lt_f64_e64 vcc_lo, |v[0:1]|, |v[100:101]|
	v_cndmask_b32_e32 v1, v1, v101, vcc_lo
	v_cndmask_b32_e32 v0, v0, v100, vcc_lo
	v_cndmask_b32_e64 v90, v90, s0, vcc_lo
	s_add_i32 s0, s0, 1
	s_cmp_lg_u32 s7, s0
	s_cbranch_scc1 .LBB82_235
.LBB82_236:
	s_mov_b32 s0, exec_lo
	s_waitcnt lgkmcnt(0)
	v_cmpx_eq_f64_e32 0, v[0:1]
	s_xor_b32 s0, exec_lo, s0
; %bb.237:
	v_cmp_ne_u32_e32 vcc_lo, 0, v93
	v_cndmask_b32_e32 v93, 15, v93, vcc_lo
; %bb.238:
	s_andn2_saveexec_b32 s0, s0
	s_cbranch_execz .LBB82_240
; %bb.239:
	v_div_scale_f64 v[91:92], null, v[0:1], v[0:1], 1.0
	v_rcp_f64_e32 v[100:101], v[91:92]
	v_fma_f64 v[102:103], -v[91:92], v[100:101], 1.0
	v_fma_f64 v[100:101], v[100:101], v[102:103], v[100:101]
	v_fma_f64 v[102:103], -v[91:92], v[100:101], 1.0
	v_fma_f64 v[100:101], v[100:101], v[102:103], v[100:101]
	v_div_scale_f64 v[102:103], vcc_lo, 1.0, v[0:1], 1.0
	v_mul_f64 v[104:105], v[102:103], v[100:101]
	v_fma_f64 v[91:92], -v[91:92], v[104:105], v[102:103]
	v_div_fmas_f64 v[91:92], v[91:92], v[100:101], v[104:105]
	v_div_fixup_f64 v[0:1], v[91:92], v[0:1], 1.0
.LBB82_240:
	s_or_b32 exec_lo, exec_lo, s0
	s_mov_b32 s0, exec_lo
	v_cmpx_ne_u32_e64 v99, v90
	s_xor_b32 s0, exec_lo, s0
	s_cbranch_execz .LBB82_246
; %bb.241:
	s_mov_b32 s1, exec_lo
	v_cmpx_eq_u32_e32 14, v99
	s_cbranch_execz .LBB82_245
; %bb.242:
	v_cmp_ne_u32_e32 vcc_lo, 14, v90
	s_xor_b32 s2, s6, -1
	s_and_b32 s3, s2, vcc_lo
	s_and_saveexec_b32 s2, s3
	s_cbranch_execz .LBB82_244
; %bb.243:
	v_ashrrev_i32_e32 v91, 31, v90
	v_lshlrev_b64 v[91:92], 2, v[90:91]
	v_add_co_u32 v91, vcc_lo, v4, v91
	v_add_co_ci_u32_e64 v92, null, v5, v92, vcc_lo
	s_clause 0x1
	global_load_dword v98, v[91:92], off
	global_load_dword v99, v[4:5], off offset:56
	s_waitcnt vmcnt(1)
	global_store_dword v[4:5], v98, off offset:56
	s_waitcnt vmcnt(0)
	global_store_dword v[91:92], v99, off
.LBB82_244:
	s_or_b32 exec_lo, exec_lo, s2
	v_mov_b32_e32 v98, v90
	v_mov_b32_e32 v99, v90
.LBB82_245:
	s_or_b32 exec_lo, exec_lo, s1
.LBB82_246:
	s_andn2_saveexec_b32 s0, s0
	s_cbranch_execz .LBB82_248
; %bb.247:
	v_mov_b32_e32 v99, 14
	ds_write2_b64 v96, v[54:55], v[56:57] offset0:15 offset1:16
	ds_write2_b64 v96, v[52:53], v[50:51] offset0:17 offset1:18
	;; [unrolled: 1-line block ×13, first 2 shown]
	ds_write_b64 v96, v[88:89] offset:328
.LBB82_248:
	s_or_b32 exec_lo, exec_lo, s0
	s_mov_b32 s0, exec_lo
	s_waitcnt lgkmcnt(0)
	s_waitcnt_vscnt null, 0x0
	s_barrier
	buffer_gl0_inv
	v_cmpx_lt_i32_e32 14, v99
	s_cbranch_execz .LBB82_250
; %bb.249:
	v_mul_f64 v[60:61], v[0:1], v[60:61]
	ds_read2_b64 v[100:103], v96 offset0:15 offset1:16
	ds_read2_b64 v[104:107], v96 offset0:17 offset1:18
	;; [unrolled: 1-line block ×13, first 2 shown]
	ds_read_b64 v[0:1], v96 offset:328
	s_waitcnt lgkmcnt(13)
	v_fma_f64 v[54:55], -v[60:61], v[100:101], v[54:55]
	v_fma_f64 v[56:57], -v[60:61], v[102:103], v[56:57]
	s_waitcnt lgkmcnt(12)
	v_fma_f64 v[52:53], -v[60:61], v[104:105], v[52:53]
	v_fma_f64 v[50:51], -v[60:61], v[106:107], v[50:51]
	;; [unrolled: 3-line block ×13, first 2 shown]
	s_waitcnt lgkmcnt(0)
	v_fma_f64 v[88:89], -v[60:61], v[0:1], v[88:89]
.LBB82_250:
	s_or_b32 exec_lo, exec_lo, s0
	v_lshl_add_u32 v0, v99, 3, v96
	s_barrier
	buffer_gl0_inv
	v_mov_b32_e32 v90, 15
	ds_write_b64 v0, v[54:55]
	s_waitcnt lgkmcnt(0)
	s_barrier
	buffer_gl0_inv
	ds_read_b64 v[0:1], v96 offset:120
	s_cmp_lt_i32 s7, 17
	s_cbranch_scc1 .LBB82_253
; %bb.251:
	v_add3_u32 v91, v97, 0, 0x80
	v_mov_b32_e32 v90, 15
	s_mov_b32 s0, 16
.LBB82_252:                             ; =>This Inner Loop Header: Depth=1
	ds_read_b64 v[100:101], v91
	v_add_nc_u32_e32 v91, 8, v91
	s_waitcnt lgkmcnt(0)
	v_cmp_lt_f64_e64 vcc_lo, |v[0:1]|, |v[100:101]|
	v_cndmask_b32_e32 v1, v1, v101, vcc_lo
	v_cndmask_b32_e32 v0, v0, v100, vcc_lo
	v_cndmask_b32_e64 v90, v90, s0, vcc_lo
	s_add_i32 s0, s0, 1
	s_cmp_lg_u32 s7, s0
	s_cbranch_scc1 .LBB82_252
.LBB82_253:
	s_mov_b32 s0, exec_lo
	s_waitcnt lgkmcnt(0)
	v_cmpx_eq_f64_e32 0, v[0:1]
	s_xor_b32 s0, exec_lo, s0
; %bb.254:
	v_cmp_ne_u32_e32 vcc_lo, 0, v93
	v_cndmask_b32_e32 v93, 16, v93, vcc_lo
; %bb.255:
	s_andn2_saveexec_b32 s0, s0
	s_cbranch_execz .LBB82_257
; %bb.256:
	v_div_scale_f64 v[91:92], null, v[0:1], v[0:1], 1.0
	v_rcp_f64_e32 v[100:101], v[91:92]
	v_fma_f64 v[102:103], -v[91:92], v[100:101], 1.0
	v_fma_f64 v[100:101], v[100:101], v[102:103], v[100:101]
	v_fma_f64 v[102:103], -v[91:92], v[100:101], 1.0
	v_fma_f64 v[100:101], v[100:101], v[102:103], v[100:101]
	v_div_scale_f64 v[102:103], vcc_lo, 1.0, v[0:1], 1.0
	v_mul_f64 v[104:105], v[102:103], v[100:101]
	v_fma_f64 v[91:92], -v[91:92], v[104:105], v[102:103]
	v_div_fmas_f64 v[91:92], v[91:92], v[100:101], v[104:105]
	v_div_fixup_f64 v[0:1], v[91:92], v[0:1], 1.0
.LBB82_257:
	s_or_b32 exec_lo, exec_lo, s0
	s_mov_b32 s0, exec_lo
	v_cmpx_ne_u32_e64 v99, v90
	s_xor_b32 s0, exec_lo, s0
	s_cbranch_execz .LBB82_263
; %bb.258:
	s_mov_b32 s1, exec_lo
	v_cmpx_eq_u32_e32 15, v99
	s_cbranch_execz .LBB82_262
; %bb.259:
	v_cmp_ne_u32_e32 vcc_lo, 15, v90
	s_xor_b32 s2, s6, -1
	s_and_b32 s3, s2, vcc_lo
	s_and_saveexec_b32 s2, s3
	s_cbranch_execz .LBB82_261
; %bb.260:
	v_ashrrev_i32_e32 v91, 31, v90
	v_lshlrev_b64 v[91:92], 2, v[90:91]
	v_add_co_u32 v91, vcc_lo, v4, v91
	v_add_co_ci_u32_e64 v92, null, v5, v92, vcc_lo
	s_clause 0x1
	global_load_dword v98, v[91:92], off
	global_load_dword v99, v[4:5], off offset:60
	s_waitcnt vmcnt(1)
	global_store_dword v[4:5], v98, off offset:60
	s_waitcnt vmcnt(0)
	global_store_dword v[91:92], v99, off
.LBB82_261:
	s_or_b32 exec_lo, exec_lo, s2
	v_mov_b32_e32 v98, v90
	v_mov_b32_e32 v99, v90
.LBB82_262:
	s_or_b32 exec_lo, exec_lo, s1
.LBB82_263:
	s_andn2_saveexec_b32 s0, s0
	s_cbranch_execz .LBB82_265
; %bb.264:
	v_mov_b32_e32 v90, v56
	v_mov_b32_e32 v91, v57
	;; [unrolled: 1-line block ×16, first 2 shown]
	ds_write2_b64 v96, v[90:91], v[99:100] offset0:16 offset1:17
	ds_write2_b64 v96, v[101:102], v[103:104] offset0:18 offset1:19
	;; [unrolled: 1-line block ×4, first 2 shown]
	v_mov_b32_e32 v90, v40
	v_mov_b32_e32 v91, v41
	;; [unrolled: 1-line block ×20, first 2 shown]
	ds_write2_b64 v96, v[90:91], v[99:100] offset0:24 offset1:25
	ds_write2_b64 v96, v[101:102], v[103:104] offset0:26 offset1:27
	;; [unrolled: 1-line block ×5, first 2 shown]
	v_mov_b32_e32 v90, v20
	v_mov_b32_e32 v91, v21
	;; [unrolled: 1-line block ×15, first 2 shown]
	ds_write2_b64 v96, v[90:91], v[100:101] offset0:34 offset1:35
	ds_write2_b64 v96, v[102:103], v[104:105] offset0:36 offset1:37
	;; [unrolled: 1-line block ×4, first 2 shown]
.LBB82_265:
	s_or_b32 exec_lo, exec_lo, s0
	s_mov_b32 s0, exec_lo
	s_waitcnt lgkmcnt(0)
	s_waitcnt_vscnt null, 0x0
	s_barrier
	buffer_gl0_inv
	v_cmpx_lt_i32_e32 15, v99
	s_cbranch_execz .LBB82_267
; %bb.266:
	v_mul_f64 v[54:55], v[0:1], v[54:55]
	ds_read2_b64 v[100:103], v96 offset0:16 offset1:17
	ds_read2_b64 v[104:107], v96 offset0:18 offset1:19
	;; [unrolled: 1-line block ×13, first 2 shown]
	s_waitcnt lgkmcnt(12)
	v_fma_f64 v[56:57], -v[54:55], v[100:101], v[56:57]
	v_fma_f64 v[52:53], -v[54:55], v[102:103], v[52:53]
	s_waitcnt lgkmcnt(11)
	v_fma_f64 v[50:51], -v[54:55], v[104:105], v[50:51]
	v_fma_f64 v[48:49], -v[54:55], v[106:107], v[48:49]
	s_waitcnt lgkmcnt(10)
	v_fma_f64 v[46:47], -v[54:55], v[108:109], v[46:47]
	v_fma_f64 v[44:45], -v[54:55], v[110:111], v[44:45]
	s_waitcnt lgkmcnt(9)
	v_fma_f64 v[42:43], -v[54:55], v[112:113], v[42:43]
	v_fma_f64 v[38:39], -v[54:55], v[114:115], v[38:39]
	s_waitcnt lgkmcnt(8)
	v_fma_f64 v[40:41], -v[54:55], v[116:117], v[40:41]
	v_fma_f64 v[34:35], -v[54:55], v[118:119], v[34:35]
	s_waitcnt lgkmcnt(7)
	v_fma_f64 v[36:37], -v[54:55], v[120:121], v[36:37]
	v_fma_f64 v[32:33], -v[54:55], v[122:123], v[32:33]
	s_waitcnt lgkmcnt(6)
	v_fma_f64 v[30:31], -v[54:55], v[124:125], v[30:31]
	v_fma_f64 v[28:29], -v[54:55], v[126:127], v[28:29]
	s_waitcnt lgkmcnt(5)
	v_fma_f64 v[26:27], -v[54:55], v[128:129], v[26:27]
	v_fma_f64 v[24:25], -v[54:55], v[130:131], v[24:25]
	s_waitcnt lgkmcnt(4)
	v_fma_f64 v[22:23], -v[54:55], v[132:133], v[22:23]
	v_fma_f64 v[18:19], -v[54:55], v[134:135], v[18:19]
	s_waitcnt lgkmcnt(3)
	v_fma_f64 v[20:21], -v[54:55], v[136:137], v[20:21]
	v_fma_f64 v[16:17], -v[54:55], v[138:139], v[16:17]
	s_waitcnt lgkmcnt(2)
	v_fma_f64 v[14:15], -v[54:55], v[140:141], v[14:15]
	v_fma_f64 v[8:9], -v[54:55], v[142:143], v[8:9]
	s_waitcnt lgkmcnt(1)
	v_fma_f64 v[12:13], -v[54:55], v[144:145], v[12:13]
	v_fma_f64 v[6:7], -v[54:55], v[146:147], v[6:7]
	s_waitcnt lgkmcnt(0)
	v_fma_f64 v[10:11], -v[54:55], v[148:149], v[10:11]
	v_fma_f64 v[88:89], -v[54:55], v[150:151], v[88:89]
.LBB82_267:
	s_or_b32 exec_lo, exec_lo, s0
	v_lshl_add_u32 v0, v99, 3, v96
	s_barrier
	buffer_gl0_inv
	v_mov_b32_e32 v90, 16
	ds_write_b64 v0, v[56:57]
	s_waitcnt lgkmcnt(0)
	s_barrier
	buffer_gl0_inv
	ds_read_b64 v[0:1], v96 offset:128
	s_cmp_lt_i32 s7, 18
	s_cbranch_scc1 .LBB82_270
; %bb.268:
	v_add3_u32 v91, v97, 0, 0x88
	v_mov_b32_e32 v90, 16
	s_mov_b32 s0, 17
.LBB82_269:                             ; =>This Inner Loop Header: Depth=1
	ds_read_b64 v[100:101], v91
	v_add_nc_u32_e32 v91, 8, v91
	s_waitcnt lgkmcnt(0)
	v_cmp_lt_f64_e64 vcc_lo, |v[0:1]|, |v[100:101]|
	v_cndmask_b32_e32 v1, v1, v101, vcc_lo
	v_cndmask_b32_e32 v0, v0, v100, vcc_lo
	v_cndmask_b32_e64 v90, v90, s0, vcc_lo
	s_add_i32 s0, s0, 1
	s_cmp_lg_u32 s7, s0
	s_cbranch_scc1 .LBB82_269
.LBB82_270:
	s_mov_b32 s0, exec_lo
	s_waitcnt lgkmcnt(0)
	v_cmpx_eq_f64_e32 0, v[0:1]
	s_xor_b32 s0, exec_lo, s0
; %bb.271:
	v_cmp_ne_u32_e32 vcc_lo, 0, v93
	v_cndmask_b32_e32 v93, 17, v93, vcc_lo
; %bb.272:
	s_andn2_saveexec_b32 s0, s0
	s_cbranch_execz .LBB82_274
; %bb.273:
	v_div_scale_f64 v[91:92], null, v[0:1], v[0:1], 1.0
	v_rcp_f64_e32 v[100:101], v[91:92]
	v_fma_f64 v[102:103], -v[91:92], v[100:101], 1.0
	v_fma_f64 v[100:101], v[100:101], v[102:103], v[100:101]
	v_fma_f64 v[102:103], -v[91:92], v[100:101], 1.0
	v_fma_f64 v[100:101], v[100:101], v[102:103], v[100:101]
	v_div_scale_f64 v[102:103], vcc_lo, 1.0, v[0:1], 1.0
	v_mul_f64 v[104:105], v[102:103], v[100:101]
	v_fma_f64 v[91:92], -v[91:92], v[104:105], v[102:103]
	v_div_fmas_f64 v[91:92], v[91:92], v[100:101], v[104:105]
	v_div_fixup_f64 v[0:1], v[91:92], v[0:1], 1.0
.LBB82_274:
	s_or_b32 exec_lo, exec_lo, s0
	s_mov_b32 s0, exec_lo
	v_cmpx_ne_u32_e64 v99, v90
	s_xor_b32 s0, exec_lo, s0
	s_cbranch_execz .LBB82_280
; %bb.275:
	s_mov_b32 s1, exec_lo
	v_cmpx_eq_u32_e32 16, v99
	s_cbranch_execz .LBB82_279
; %bb.276:
	v_cmp_ne_u32_e32 vcc_lo, 16, v90
	s_xor_b32 s2, s6, -1
	s_and_b32 s3, s2, vcc_lo
	s_and_saveexec_b32 s2, s3
	s_cbranch_execz .LBB82_278
; %bb.277:
	v_ashrrev_i32_e32 v91, 31, v90
	v_lshlrev_b64 v[91:92], 2, v[90:91]
	v_add_co_u32 v91, vcc_lo, v4, v91
	v_add_co_ci_u32_e64 v92, null, v5, v92, vcc_lo
	s_clause 0x1
	global_load_dword v98, v[91:92], off
	global_load_dword v99, v[4:5], off offset:64
	s_waitcnt vmcnt(1)
	global_store_dword v[4:5], v98, off offset:64
	s_waitcnt vmcnt(0)
	global_store_dword v[91:92], v99, off
.LBB82_278:
	s_or_b32 exec_lo, exec_lo, s2
	v_mov_b32_e32 v98, v90
	v_mov_b32_e32 v99, v90
.LBB82_279:
	s_or_b32 exec_lo, exec_lo, s1
.LBB82_280:
	s_andn2_saveexec_b32 s0, s0
	s_cbranch_execz .LBB82_282
; %bb.281:
	v_mov_b32_e32 v99, 16
	ds_write2_b64 v96, v[52:53], v[50:51] offset0:17 offset1:18
	ds_write2_b64 v96, v[48:49], v[46:47] offset0:19 offset1:20
	;; [unrolled: 1-line block ×12, first 2 shown]
	ds_write_b64 v96, v[88:89] offset:328
.LBB82_282:
	s_or_b32 exec_lo, exec_lo, s0
	s_mov_b32 s0, exec_lo
	s_waitcnt lgkmcnt(0)
	s_waitcnt_vscnt null, 0x0
	s_barrier
	buffer_gl0_inv
	v_cmpx_lt_i32_e32 16, v99
	s_cbranch_execz .LBB82_284
; %bb.283:
	v_mul_f64 v[56:57], v[0:1], v[56:57]
	ds_read2_b64 v[100:103], v96 offset0:17 offset1:18
	ds_read2_b64 v[104:107], v96 offset0:19 offset1:20
	;; [unrolled: 1-line block ×12, first 2 shown]
	ds_read_b64 v[0:1], v96 offset:328
	s_waitcnt lgkmcnt(12)
	v_fma_f64 v[52:53], -v[56:57], v[100:101], v[52:53]
	v_fma_f64 v[50:51], -v[56:57], v[102:103], v[50:51]
	s_waitcnt lgkmcnt(11)
	v_fma_f64 v[48:49], -v[56:57], v[104:105], v[48:49]
	v_fma_f64 v[46:47], -v[56:57], v[106:107], v[46:47]
	;; [unrolled: 3-line block ×12, first 2 shown]
	s_waitcnt lgkmcnt(0)
	v_fma_f64 v[88:89], -v[56:57], v[0:1], v[88:89]
.LBB82_284:
	s_or_b32 exec_lo, exec_lo, s0
	v_lshl_add_u32 v0, v99, 3, v96
	s_barrier
	buffer_gl0_inv
	v_mov_b32_e32 v90, 17
	ds_write_b64 v0, v[52:53]
	s_waitcnt lgkmcnt(0)
	s_barrier
	buffer_gl0_inv
	ds_read_b64 v[0:1], v96 offset:136
	s_cmp_lt_i32 s7, 19
	s_cbranch_scc1 .LBB82_287
; %bb.285:
	v_add3_u32 v91, v97, 0, 0x90
	v_mov_b32_e32 v90, 17
	s_mov_b32 s0, 18
.LBB82_286:                             ; =>This Inner Loop Header: Depth=1
	ds_read_b64 v[100:101], v91
	v_add_nc_u32_e32 v91, 8, v91
	s_waitcnt lgkmcnt(0)
	v_cmp_lt_f64_e64 vcc_lo, |v[0:1]|, |v[100:101]|
	v_cndmask_b32_e32 v1, v1, v101, vcc_lo
	v_cndmask_b32_e32 v0, v0, v100, vcc_lo
	v_cndmask_b32_e64 v90, v90, s0, vcc_lo
	s_add_i32 s0, s0, 1
	s_cmp_lg_u32 s7, s0
	s_cbranch_scc1 .LBB82_286
.LBB82_287:
	s_mov_b32 s0, exec_lo
	s_waitcnt lgkmcnt(0)
	v_cmpx_eq_f64_e32 0, v[0:1]
	s_xor_b32 s0, exec_lo, s0
; %bb.288:
	v_cmp_ne_u32_e32 vcc_lo, 0, v93
	v_cndmask_b32_e32 v93, 18, v93, vcc_lo
; %bb.289:
	s_andn2_saveexec_b32 s0, s0
	s_cbranch_execz .LBB82_291
; %bb.290:
	v_div_scale_f64 v[91:92], null, v[0:1], v[0:1], 1.0
	v_rcp_f64_e32 v[100:101], v[91:92]
	v_fma_f64 v[102:103], -v[91:92], v[100:101], 1.0
	v_fma_f64 v[100:101], v[100:101], v[102:103], v[100:101]
	v_fma_f64 v[102:103], -v[91:92], v[100:101], 1.0
	v_fma_f64 v[100:101], v[100:101], v[102:103], v[100:101]
	v_div_scale_f64 v[102:103], vcc_lo, 1.0, v[0:1], 1.0
	v_mul_f64 v[104:105], v[102:103], v[100:101]
	v_fma_f64 v[91:92], -v[91:92], v[104:105], v[102:103]
	v_div_fmas_f64 v[91:92], v[91:92], v[100:101], v[104:105]
	v_div_fixup_f64 v[0:1], v[91:92], v[0:1], 1.0
.LBB82_291:
	s_or_b32 exec_lo, exec_lo, s0
	s_mov_b32 s0, exec_lo
	v_cmpx_ne_u32_e64 v99, v90
	s_xor_b32 s0, exec_lo, s0
	s_cbranch_execz .LBB82_297
; %bb.292:
	s_mov_b32 s1, exec_lo
	v_cmpx_eq_u32_e32 17, v99
	s_cbranch_execz .LBB82_296
; %bb.293:
	v_cmp_ne_u32_e32 vcc_lo, 17, v90
	s_xor_b32 s2, s6, -1
	s_and_b32 s3, s2, vcc_lo
	s_and_saveexec_b32 s2, s3
	s_cbranch_execz .LBB82_295
; %bb.294:
	v_ashrrev_i32_e32 v91, 31, v90
	v_lshlrev_b64 v[91:92], 2, v[90:91]
	v_add_co_u32 v91, vcc_lo, v4, v91
	v_add_co_ci_u32_e64 v92, null, v5, v92, vcc_lo
	s_clause 0x1
	global_load_dword v98, v[91:92], off
	global_load_dword v99, v[4:5], off offset:68
	s_waitcnt vmcnt(1)
	global_store_dword v[4:5], v98, off offset:68
	s_waitcnt vmcnt(0)
	global_store_dword v[91:92], v99, off
.LBB82_295:
	s_or_b32 exec_lo, exec_lo, s2
	v_mov_b32_e32 v98, v90
	v_mov_b32_e32 v99, v90
.LBB82_296:
	s_or_b32 exec_lo, exec_lo, s1
.LBB82_297:
	s_andn2_saveexec_b32 s0, s0
	s_cbranch_execz .LBB82_299
; %bb.298:
	v_mov_b32_e32 v90, v50
	v_mov_b32_e32 v91, v51
	;; [unrolled: 1-line block ×12, first 2 shown]
	ds_write2_b64 v96, v[90:91], v[99:100] offset0:18 offset1:19
	ds_write2_b64 v96, v[101:102], v[103:104] offset0:20 offset1:21
	ds_write2_b64 v96, v[105:106], v[107:108] offset0:22 offset1:23
	v_mov_b32_e32 v90, v40
	v_mov_b32_e32 v91, v41
	;; [unrolled: 1-line block ×20, first 2 shown]
	ds_write2_b64 v96, v[90:91], v[99:100] offset0:24 offset1:25
	ds_write2_b64 v96, v[101:102], v[103:104] offset0:26 offset1:27
	;; [unrolled: 1-line block ×5, first 2 shown]
	v_mov_b32_e32 v90, v20
	v_mov_b32_e32 v91, v21
	;; [unrolled: 1-line block ×15, first 2 shown]
	ds_write2_b64 v96, v[90:91], v[100:101] offset0:34 offset1:35
	ds_write2_b64 v96, v[102:103], v[104:105] offset0:36 offset1:37
	;; [unrolled: 1-line block ×4, first 2 shown]
.LBB82_299:
	s_or_b32 exec_lo, exec_lo, s0
	s_mov_b32 s0, exec_lo
	s_waitcnt lgkmcnt(0)
	s_waitcnt_vscnt null, 0x0
	s_barrier
	buffer_gl0_inv
	v_cmpx_lt_i32_e32 17, v99
	s_cbranch_execz .LBB82_301
; %bb.300:
	v_mul_f64 v[52:53], v[0:1], v[52:53]
	ds_read2_b64 v[100:103], v96 offset0:18 offset1:19
	ds_read2_b64 v[104:107], v96 offset0:20 offset1:21
	ds_read2_b64 v[108:111], v96 offset0:22 offset1:23
	ds_read2_b64 v[112:115], v96 offset0:24 offset1:25
	ds_read2_b64 v[116:119], v96 offset0:26 offset1:27
	ds_read2_b64 v[120:123], v96 offset0:28 offset1:29
	ds_read2_b64 v[124:127], v96 offset0:30 offset1:31
	ds_read2_b64 v[128:131], v96 offset0:32 offset1:33
	ds_read2_b64 v[132:135], v96 offset0:34 offset1:35
	ds_read2_b64 v[136:139], v96 offset0:36 offset1:37
	ds_read2_b64 v[140:143], v96 offset0:38 offset1:39
	ds_read2_b64 v[144:147], v96 offset0:40 offset1:41
	s_waitcnt lgkmcnt(11)
	v_fma_f64 v[50:51], -v[52:53], v[100:101], v[50:51]
	v_fma_f64 v[48:49], -v[52:53], v[102:103], v[48:49]
	s_waitcnt lgkmcnt(10)
	v_fma_f64 v[46:47], -v[52:53], v[104:105], v[46:47]
	v_fma_f64 v[44:45], -v[52:53], v[106:107], v[44:45]
	;; [unrolled: 3-line block ×12, first 2 shown]
.LBB82_301:
	s_or_b32 exec_lo, exec_lo, s0
	v_lshl_add_u32 v0, v99, 3, v96
	s_barrier
	buffer_gl0_inv
	v_mov_b32_e32 v90, 18
	ds_write_b64 v0, v[50:51]
	s_waitcnt lgkmcnt(0)
	s_barrier
	buffer_gl0_inv
	ds_read_b64 v[0:1], v96 offset:144
	s_cmp_lt_i32 s7, 20
	s_cbranch_scc1 .LBB82_304
; %bb.302:
	v_add3_u32 v91, v97, 0, 0x98
	v_mov_b32_e32 v90, 18
	s_mov_b32 s0, 19
.LBB82_303:                             ; =>This Inner Loop Header: Depth=1
	ds_read_b64 v[100:101], v91
	v_add_nc_u32_e32 v91, 8, v91
	s_waitcnt lgkmcnt(0)
	v_cmp_lt_f64_e64 vcc_lo, |v[0:1]|, |v[100:101]|
	v_cndmask_b32_e32 v1, v1, v101, vcc_lo
	v_cndmask_b32_e32 v0, v0, v100, vcc_lo
	v_cndmask_b32_e64 v90, v90, s0, vcc_lo
	s_add_i32 s0, s0, 1
	s_cmp_lg_u32 s7, s0
	s_cbranch_scc1 .LBB82_303
.LBB82_304:
	s_mov_b32 s0, exec_lo
	s_waitcnt lgkmcnt(0)
	v_cmpx_eq_f64_e32 0, v[0:1]
	s_xor_b32 s0, exec_lo, s0
; %bb.305:
	v_cmp_ne_u32_e32 vcc_lo, 0, v93
	v_cndmask_b32_e32 v93, 19, v93, vcc_lo
; %bb.306:
	s_andn2_saveexec_b32 s0, s0
	s_cbranch_execz .LBB82_308
; %bb.307:
	v_div_scale_f64 v[91:92], null, v[0:1], v[0:1], 1.0
	v_rcp_f64_e32 v[100:101], v[91:92]
	v_fma_f64 v[102:103], -v[91:92], v[100:101], 1.0
	v_fma_f64 v[100:101], v[100:101], v[102:103], v[100:101]
	v_fma_f64 v[102:103], -v[91:92], v[100:101], 1.0
	v_fma_f64 v[100:101], v[100:101], v[102:103], v[100:101]
	v_div_scale_f64 v[102:103], vcc_lo, 1.0, v[0:1], 1.0
	v_mul_f64 v[104:105], v[102:103], v[100:101]
	v_fma_f64 v[91:92], -v[91:92], v[104:105], v[102:103]
	v_div_fmas_f64 v[91:92], v[91:92], v[100:101], v[104:105]
	v_div_fixup_f64 v[0:1], v[91:92], v[0:1], 1.0
.LBB82_308:
	s_or_b32 exec_lo, exec_lo, s0
	s_mov_b32 s0, exec_lo
	v_cmpx_ne_u32_e64 v99, v90
	s_xor_b32 s0, exec_lo, s0
	s_cbranch_execz .LBB82_314
; %bb.309:
	s_mov_b32 s1, exec_lo
	v_cmpx_eq_u32_e32 18, v99
	s_cbranch_execz .LBB82_313
; %bb.310:
	v_cmp_ne_u32_e32 vcc_lo, 18, v90
	s_xor_b32 s2, s6, -1
	s_and_b32 s3, s2, vcc_lo
	s_and_saveexec_b32 s2, s3
	s_cbranch_execz .LBB82_312
; %bb.311:
	v_ashrrev_i32_e32 v91, 31, v90
	v_lshlrev_b64 v[91:92], 2, v[90:91]
	v_add_co_u32 v91, vcc_lo, v4, v91
	v_add_co_ci_u32_e64 v92, null, v5, v92, vcc_lo
	s_clause 0x1
	global_load_dword v98, v[91:92], off
	global_load_dword v99, v[4:5], off offset:72
	s_waitcnt vmcnt(1)
	global_store_dword v[4:5], v98, off offset:72
	s_waitcnt vmcnt(0)
	global_store_dword v[91:92], v99, off
.LBB82_312:
	s_or_b32 exec_lo, exec_lo, s2
	v_mov_b32_e32 v98, v90
	v_mov_b32_e32 v99, v90
.LBB82_313:
	s_or_b32 exec_lo, exec_lo, s1
.LBB82_314:
	s_andn2_saveexec_b32 s0, s0
	s_cbranch_execz .LBB82_316
; %bb.315:
	v_mov_b32_e32 v99, 18
	ds_write2_b64 v96, v[48:49], v[46:47] offset0:19 offset1:20
	ds_write2_b64 v96, v[44:45], v[42:43] offset0:21 offset1:22
	;; [unrolled: 1-line block ×11, first 2 shown]
	ds_write_b64 v96, v[88:89] offset:328
.LBB82_316:
	s_or_b32 exec_lo, exec_lo, s0
	s_mov_b32 s0, exec_lo
	s_waitcnt lgkmcnt(0)
	s_waitcnt_vscnt null, 0x0
	s_barrier
	buffer_gl0_inv
	v_cmpx_lt_i32_e32 18, v99
	s_cbranch_execz .LBB82_318
; %bb.317:
	v_mul_f64 v[50:51], v[0:1], v[50:51]
	ds_read2_b64 v[100:103], v96 offset0:19 offset1:20
	ds_read2_b64 v[104:107], v96 offset0:21 offset1:22
	;; [unrolled: 1-line block ×11, first 2 shown]
	ds_read_b64 v[0:1], v96 offset:328
	s_waitcnt lgkmcnt(11)
	v_fma_f64 v[48:49], -v[50:51], v[100:101], v[48:49]
	v_fma_f64 v[46:47], -v[50:51], v[102:103], v[46:47]
	s_waitcnt lgkmcnt(10)
	v_fma_f64 v[44:45], -v[50:51], v[104:105], v[44:45]
	v_fma_f64 v[42:43], -v[50:51], v[106:107], v[42:43]
	;; [unrolled: 3-line block ×11, first 2 shown]
	s_waitcnt lgkmcnt(0)
	v_fma_f64 v[88:89], -v[50:51], v[0:1], v[88:89]
.LBB82_318:
	s_or_b32 exec_lo, exec_lo, s0
	v_lshl_add_u32 v0, v99, 3, v96
	s_barrier
	buffer_gl0_inv
	v_mov_b32_e32 v90, 19
	ds_write_b64 v0, v[48:49]
	s_waitcnt lgkmcnt(0)
	s_barrier
	buffer_gl0_inv
	ds_read_b64 v[0:1], v96 offset:152
	s_cmp_lt_i32 s7, 21
	s_cbranch_scc1 .LBB82_321
; %bb.319:
	v_add3_u32 v91, v97, 0, 0xa0
	v_mov_b32_e32 v90, 19
	s_mov_b32 s0, 20
.LBB82_320:                             ; =>This Inner Loop Header: Depth=1
	ds_read_b64 v[100:101], v91
	v_add_nc_u32_e32 v91, 8, v91
	s_waitcnt lgkmcnt(0)
	v_cmp_lt_f64_e64 vcc_lo, |v[0:1]|, |v[100:101]|
	v_cndmask_b32_e32 v1, v1, v101, vcc_lo
	v_cndmask_b32_e32 v0, v0, v100, vcc_lo
	v_cndmask_b32_e64 v90, v90, s0, vcc_lo
	s_add_i32 s0, s0, 1
	s_cmp_lg_u32 s7, s0
	s_cbranch_scc1 .LBB82_320
.LBB82_321:
	s_mov_b32 s0, exec_lo
	s_waitcnt lgkmcnt(0)
	v_cmpx_eq_f64_e32 0, v[0:1]
	s_xor_b32 s0, exec_lo, s0
; %bb.322:
	v_cmp_ne_u32_e32 vcc_lo, 0, v93
	v_cndmask_b32_e32 v93, 20, v93, vcc_lo
; %bb.323:
	s_andn2_saveexec_b32 s0, s0
	s_cbranch_execz .LBB82_325
; %bb.324:
	v_div_scale_f64 v[91:92], null, v[0:1], v[0:1], 1.0
	v_rcp_f64_e32 v[100:101], v[91:92]
	v_fma_f64 v[102:103], -v[91:92], v[100:101], 1.0
	v_fma_f64 v[100:101], v[100:101], v[102:103], v[100:101]
	v_fma_f64 v[102:103], -v[91:92], v[100:101], 1.0
	v_fma_f64 v[100:101], v[100:101], v[102:103], v[100:101]
	v_div_scale_f64 v[102:103], vcc_lo, 1.0, v[0:1], 1.0
	v_mul_f64 v[104:105], v[102:103], v[100:101]
	v_fma_f64 v[91:92], -v[91:92], v[104:105], v[102:103]
	v_div_fmas_f64 v[91:92], v[91:92], v[100:101], v[104:105]
	v_div_fixup_f64 v[0:1], v[91:92], v[0:1], 1.0
.LBB82_325:
	s_or_b32 exec_lo, exec_lo, s0
	s_mov_b32 s0, exec_lo
	v_cmpx_ne_u32_e64 v99, v90
	s_xor_b32 s0, exec_lo, s0
	s_cbranch_execz .LBB82_331
; %bb.326:
	s_mov_b32 s1, exec_lo
	v_cmpx_eq_u32_e32 19, v99
	s_cbranch_execz .LBB82_330
; %bb.327:
	v_cmp_ne_u32_e32 vcc_lo, 19, v90
	s_xor_b32 s2, s6, -1
	s_and_b32 s3, s2, vcc_lo
	s_and_saveexec_b32 s2, s3
	s_cbranch_execz .LBB82_329
; %bb.328:
	v_ashrrev_i32_e32 v91, 31, v90
	v_lshlrev_b64 v[91:92], 2, v[90:91]
	v_add_co_u32 v91, vcc_lo, v4, v91
	v_add_co_ci_u32_e64 v92, null, v5, v92, vcc_lo
	s_clause 0x1
	global_load_dword v98, v[91:92], off
	global_load_dword v99, v[4:5], off offset:76
	s_waitcnt vmcnt(1)
	global_store_dword v[4:5], v98, off offset:76
	s_waitcnt vmcnt(0)
	global_store_dword v[91:92], v99, off
.LBB82_329:
	s_or_b32 exec_lo, exec_lo, s2
	v_mov_b32_e32 v98, v90
	v_mov_b32_e32 v99, v90
.LBB82_330:
	s_or_b32 exec_lo, exec_lo, s1
.LBB82_331:
	s_andn2_saveexec_b32 s0, s0
	s_cbranch_execz .LBB82_333
; %bb.332:
	v_mov_b32_e32 v90, v46
	v_mov_b32_e32 v91, v47
	;; [unrolled: 1-line block ×8, first 2 shown]
	ds_write2_b64 v96, v[90:91], v[99:100] offset0:20 offset1:21
	ds_write2_b64 v96, v[101:102], v[103:104] offset0:22 offset1:23
	v_mov_b32_e32 v90, v40
	v_mov_b32_e32 v91, v41
	;; [unrolled: 1-line block ×20, first 2 shown]
	ds_write2_b64 v96, v[90:91], v[99:100] offset0:24 offset1:25
	ds_write2_b64 v96, v[101:102], v[103:104] offset0:26 offset1:27
	;; [unrolled: 1-line block ×5, first 2 shown]
	v_mov_b32_e32 v90, v20
	v_mov_b32_e32 v91, v21
	v_mov_b32_e32 v100, v16
	v_mov_b32_e32 v101, v17
	v_mov_b32_e32 v99, 19
	v_mov_b32_e32 v102, v14
	v_mov_b32_e32 v103, v15
	v_mov_b32_e32 v104, v8
	v_mov_b32_e32 v105, v9
	v_mov_b32_e32 v106, v12
	v_mov_b32_e32 v107, v13
	v_mov_b32_e32 v108, v6
	v_mov_b32_e32 v109, v7
	v_mov_b32_e32 v110, v10
	v_mov_b32_e32 v111, v11
	ds_write2_b64 v96, v[90:91], v[100:101] offset0:34 offset1:35
	ds_write2_b64 v96, v[102:103], v[104:105] offset0:36 offset1:37
	;; [unrolled: 1-line block ×4, first 2 shown]
.LBB82_333:
	s_or_b32 exec_lo, exec_lo, s0
	s_mov_b32 s0, exec_lo
	s_waitcnt lgkmcnt(0)
	s_waitcnt_vscnt null, 0x0
	s_barrier
	buffer_gl0_inv
	v_cmpx_lt_i32_e32 19, v99
	s_cbranch_execz .LBB82_335
; %bb.334:
	v_mul_f64 v[48:49], v[0:1], v[48:49]
	ds_read2_b64 v[100:103], v96 offset0:20 offset1:21
	ds_read2_b64 v[104:107], v96 offset0:22 offset1:23
	;; [unrolled: 1-line block ×11, first 2 shown]
	s_waitcnt lgkmcnt(10)
	v_fma_f64 v[46:47], -v[48:49], v[100:101], v[46:47]
	v_fma_f64 v[44:45], -v[48:49], v[102:103], v[44:45]
	s_waitcnt lgkmcnt(9)
	v_fma_f64 v[42:43], -v[48:49], v[104:105], v[42:43]
	v_fma_f64 v[38:39], -v[48:49], v[106:107], v[38:39]
	;; [unrolled: 3-line block ×11, first 2 shown]
.LBB82_335:
	s_or_b32 exec_lo, exec_lo, s0
	v_lshl_add_u32 v0, v99, 3, v96
	s_barrier
	buffer_gl0_inv
	v_mov_b32_e32 v90, 20
	ds_write_b64 v0, v[46:47]
	s_waitcnt lgkmcnt(0)
	s_barrier
	buffer_gl0_inv
	ds_read_b64 v[0:1], v96 offset:160
	s_cmp_lt_i32 s7, 22
	s_cbranch_scc1 .LBB82_338
; %bb.336:
	v_add3_u32 v91, v97, 0, 0xa8
	v_mov_b32_e32 v90, 20
	s_mov_b32 s0, 21
.LBB82_337:                             ; =>This Inner Loop Header: Depth=1
	ds_read_b64 v[100:101], v91
	v_add_nc_u32_e32 v91, 8, v91
	s_waitcnt lgkmcnt(0)
	v_cmp_lt_f64_e64 vcc_lo, |v[0:1]|, |v[100:101]|
	v_cndmask_b32_e32 v1, v1, v101, vcc_lo
	v_cndmask_b32_e32 v0, v0, v100, vcc_lo
	v_cndmask_b32_e64 v90, v90, s0, vcc_lo
	s_add_i32 s0, s0, 1
	s_cmp_lg_u32 s7, s0
	s_cbranch_scc1 .LBB82_337
.LBB82_338:
	s_mov_b32 s0, exec_lo
	s_waitcnt lgkmcnt(0)
	v_cmpx_eq_f64_e32 0, v[0:1]
	s_xor_b32 s0, exec_lo, s0
; %bb.339:
	v_cmp_ne_u32_e32 vcc_lo, 0, v93
	v_cndmask_b32_e32 v93, 21, v93, vcc_lo
; %bb.340:
	s_andn2_saveexec_b32 s0, s0
	s_cbranch_execz .LBB82_342
; %bb.341:
	v_div_scale_f64 v[91:92], null, v[0:1], v[0:1], 1.0
	v_rcp_f64_e32 v[100:101], v[91:92]
	v_fma_f64 v[102:103], -v[91:92], v[100:101], 1.0
	v_fma_f64 v[100:101], v[100:101], v[102:103], v[100:101]
	v_fma_f64 v[102:103], -v[91:92], v[100:101], 1.0
	v_fma_f64 v[100:101], v[100:101], v[102:103], v[100:101]
	v_div_scale_f64 v[102:103], vcc_lo, 1.0, v[0:1], 1.0
	v_mul_f64 v[104:105], v[102:103], v[100:101]
	v_fma_f64 v[91:92], -v[91:92], v[104:105], v[102:103]
	v_div_fmas_f64 v[91:92], v[91:92], v[100:101], v[104:105]
	v_div_fixup_f64 v[0:1], v[91:92], v[0:1], 1.0
.LBB82_342:
	s_or_b32 exec_lo, exec_lo, s0
	s_mov_b32 s0, exec_lo
	v_cmpx_ne_u32_e64 v99, v90
	s_xor_b32 s0, exec_lo, s0
	s_cbranch_execz .LBB82_348
; %bb.343:
	s_mov_b32 s1, exec_lo
	v_cmpx_eq_u32_e32 20, v99
	s_cbranch_execz .LBB82_347
; %bb.344:
	v_cmp_ne_u32_e32 vcc_lo, 20, v90
	s_xor_b32 s2, s6, -1
	s_and_b32 s3, s2, vcc_lo
	s_and_saveexec_b32 s2, s3
	s_cbranch_execz .LBB82_346
; %bb.345:
	v_ashrrev_i32_e32 v91, 31, v90
	v_lshlrev_b64 v[91:92], 2, v[90:91]
	v_add_co_u32 v91, vcc_lo, v4, v91
	v_add_co_ci_u32_e64 v92, null, v5, v92, vcc_lo
	s_clause 0x1
	global_load_dword v98, v[91:92], off
	global_load_dword v99, v[4:5], off offset:80
	s_waitcnt vmcnt(1)
	global_store_dword v[4:5], v98, off offset:80
	s_waitcnt vmcnt(0)
	global_store_dword v[91:92], v99, off
.LBB82_346:
	s_or_b32 exec_lo, exec_lo, s2
	v_mov_b32_e32 v98, v90
	v_mov_b32_e32 v99, v90
.LBB82_347:
	s_or_b32 exec_lo, exec_lo, s1
.LBB82_348:
	s_andn2_saveexec_b32 s0, s0
	s_cbranch_execz .LBB82_350
; %bb.349:
	v_mov_b32_e32 v99, 20
	ds_write2_b64 v96, v[44:45], v[42:43] offset0:21 offset1:22
	ds_write2_b64 v96, v[38:39], v[40:41] offset0:23 offset1:24
	;; [unrolled: 1-line block ×10, first 2 shown]
	ds_write_b64 v96, v[88:89] offset:328
.LBB82_350:
	s_or_b32 exec_lo, exec_lo, s0
	s_mov_b32 s0, exec_lo
	s_waitcnt lgkmcnt(0)
	s_waitcnt_vscnt null, 0x0
	s_barrier
	buffer_gl0_inv
	v_cmpx_lt_i32_e32 20, v99
	s_cbranch_execz .LBB82_352
; %bb.351:
	v_mul_f64 v[46:47], v[0:1], v[46:47]
	ds_read2_b64 v[100:103], v96 offset0:21 offset1:22
	ds_read2_b64 v[104:107], v96 offset0:23 offset1:24
	;; [unrolled: 1-line block ×10, first 2 shown]
	ds_read_b64 v[0:1], v96 offset:328
	s_waitcnt lgkmcnt(10)
	v_fma_f64 v[44:45], -v[46:47], v[100:101], v[44:45]
	v_fma_f64 v[42:43], -v[46:47], v[102:103], v[42:43]
	s_waitcnt lgkmcnt(9)
	v_fma_f64 v[38:39], -v[46:47], v[104:105], v[38:39]
	v_fma_f64 v[40:41], -v[46:47], v[106:107], v[40:41]
	;; [unrolled: 3-line block ×10, first 2 shown]
	s_waitcnt lgkmcnt(0)
	v_fma_f64 v[88:89], -v[46:47], v[0:1], v[88:89]
.LBB82_352:
	s_or_b32 exec_lo, exec_lo, s0
	v_lshl_add_u32 v0, v99, 3, v96
	s_barrier
	buffer_gl0_inv
	v_mov_b32_e32 v90, 21
	ds_write_b64 v0, v[44:45]
	s_waitcnt lgkmcnt(0)
	s_barrier
	buffer_gl0_inv
	ds_read_b64 v[0:1], v96 offset:168
	s_cmp_lt_i32 s7, 23
	s_cbranch_scc1 .LBB82_355
; %bb.353:
	v_add3_u32 v91, v97, 0, 0xb0
	v_mov_b32_e32 v90, 21
	s_mov_b32 s0, 22
.LBB82_354:                             ; =>This Inner Loop Header: Depth=1
	ds_read_b64 v[100:101], v91
	v_add_nc_u32_e32 v91, 8, v91
	s_waitcnt lgkmcnt(0)
	v_cmp_lt_f64_e64 vcc_lo, |v[0:1]|, |v[100:101]|
	v_cndmask_b32_e32 v1, v1, v101, vcc_lo
	v_cndmask_b32_e32 v0, v0, v100, vcc_lo
	v_cndmask_b32_e64 v90, v90, s0, vcc_lo
	s_add_i32 s0, s0, 1
	s_cmp_lg_u32 s7, s0
	s_cbranch_scc1 .LBB82_354
.LBB82_355:
	s_mov_b32 s0, exec_lo
	s_waitcnt lgkmcnt(0)
	v_cmpx_eq_f64_e32 0, v[0:1]
	s_xor_b32 s0, exec_lo, s0
; %bb.356:
	v_cmp_ne_u32_e32 vcc_lo, 0, v93
	v_cndmask_b32_e32 v93, 22, v93, vcc_lo
; %bb.357:
	s_andn2_saveexec_b32 s0, s0
	s_cbranch_execz .LBB82_359
; %bb.358:
	v_div_scale_f64 v[91:92], null, v[0:1], v[0:1], 1.0
	v_rcp_f64_e32 v[100:101], v[91:92]
	v_fma_f64 v[102:103], -v[91:92], v[100:101], 1.0
	v_fma_f64 v[100:101], v[100:101], v[102:103], v[100:101]
	v_fma_f64 v[102:103], -v[91:92], v[100:101], 1.0
	v_fma_f64 v[100:101], v[100:101], v[102:103], v[100:101]
	v_div_scale_f64 v[102:103], vcc_lo, 1.0, v[0:1], 1.0
	v_mul_f64 v[104:105], v[102:103], v[100:101]
	v_fma_f64 v[91:92], -v[91:92], v[104:105], v[102:103]
	v_div_fmas_f64 v[91:92], v[91:92], v[100:101], v[104:105]
	v_div_fixup_f64 v[0:1], v[91:92], v[0:1], 1.0
.LBB82_359:
	s_or_b32 exec_lo, exec_lo, s0
	s_mov_b32 s0, exec_lo
	v_cmpx_ne_u32_e64 v99, v90
	s_xor_b32 s0, exec_lo, s0
	s_cbranch_execz .LBB82_365
; %bb.360:
	s_mov_b32 s1, exec_lo
	v_cmpx_eq_u32_e32 21, v99
	s_cbranch_execz .LBB82_364
; %bb.361:
	v_cmp_ne_u32_e32 vcc_lo, 21, v90
	s_xor_b32 s2, s6, -1
	s_and_b32 s3, s2, vcc_lo
	s_and_saveexec_b32 s2, s3
	s_cbranch_execz .LBB82_363
; %bb.362:
	v_ashrrev_i32_e32 v91, 31, v90
	v_lshlrev_b64 v[91:92], 2, v[90:91]
	v_add_co_u32 v91, vcc_lo, v4, v91
	v_add_co_ci_u32_e64 v92, null, v5, v92, vcc_lo
	s_clause 0x1
	global_load_dword v98, v[91:92], off
	global_load_dword v99, v[4:5], off offset:84
	s_waitcnt vmcnt(1)
	global_store_dword v[4:5], v98, off offset:84
	s_waitcnt vmcnt(0)
	global_store_dword v[91:92], v99, off
.LBB82_363:
	s_or_b32 exec_lo, exec_lo, s2
	v_mov_b32_e32 v98, v90
	v_mov_b32_e32 v99, v90
.LBB82_364:
	s_or_b32 exec_lo, exec_lo, s1
.LBB82_365:
	s_andn2_saveexec_b32 s0, s0
	s_cbranch_execz .LBB82_367
; %bb.366:
	v_mov_b32_e32 v90, v42
	v_mov_b32_e32 v91, v43
	;; [unrolled: 1-line block ×8, first 2 shown]
	ds_write2_b64 v96, v[90:91], v[99:100] offset0:22 offset1:23
	v_mov_b32_e32 v90, v34
	v_mov_b32_e32 v91, v35
	;; [unrolled: 1-line block ×16, first 2 shown]
	ds_write2_b64 v96, v[101:102], v[90:91] offset0:24 offset1:25
	ds_write2_b64 v96, v[99:100], v[103:104] offset0:26 offset1:27
	;; [unrolled: 1-line block ×5, first 2 shown]
	v_mov_b32_e32 v90, v20
	v_mov_b32_e32 v91, v21
	v_mov_b32_e32 v100, v16
	v_mov_b32_e32 v101, v17
	v_mov_b32_e32 v99, 21
	v_mov_b32_e32 v102, v14
	v_mov_b32_e32 v103, v15
	v_mov_b32_e32 v104, v8
	v_mov_b32_e32 v105, v9
	v_mov_b32_e32 v106, v12
	v_mov_b32_e32 v107, v13
	v_mov_b32_e32 v108, v6
	v_mov_b32_e32 v109, v7
	v_mov_b32_e32 v110, v10
	v_mov_b32_e32 v111, v11
	ds_write2_b64 v96, v[90:91], v[100:101] offset0:34 offset1:35
	ds_write2_b64 v96, v[102:103], v[104:105] offset0:36 offset1:37
	;; [unrolled: 1-line block ×4, first 2 shown]
.LBB82_367:
	s_or_b32 exec_lo, exec_lo, s0
	s_mov_b32 s0, exec_lo
	s_waitcnt lgkmcnt(0)
	s_waitcnt_vscnt null, 0x0
	s_barrier
	buffer_gl0_inv
	v_cmpx_lt_i32_e32 21, v99
	s_cbranch_execz .LBB82_369
; %bb.368:
	v_mul_f64 v[44:45], v[0:1], v[44:45]
	ds_read2_b64 v[100:103], v96 offset0:22 offset1:23
	ds_read2_b64 v[104:107], v96 offset0:24 offset1:25
	;; [unrolled: 1-line block ×10, first 2 shown]
	s_waitcnt lgkmcnt(9)
	v_fma_f64 v[42:43], -v[44:45], v[100:101], v[42:43]
	v_fma_f64 v[38:39], -v[44:45], v[102:103], v[38:39]
	s_waitcnt lgkmcnt(8)
	v_fma_f64 v[40:41], -v[44:45], v[104:105], v[40:41]
	v_fma_f64 v[34:35], -v[44:45], v[106:107], v[34:35]
	;; [unrolled: 3-line block ×10, first 2 shown]
.LBB82_369:
	s_or_b32 exec_lo, exec_lo, s0
	v_lshl_add_u32 v0, v99, 3, v96
	s_barrier
	buffer_gl0_inv
	v_mov_b32_e32 v90, 22
	ds_write_b64 v0, v[42:43]
	s_waitcnt lgkmcnt(0)
	s_barrier
	buffer_gl0_inv
	ds_read_b64 v[0:1], v96 offset:176
	s_cmp_lt_i32 s7, 24
	s_cbranch_scc1 .LBB82_372
; %bb.370:
	v_add3_u32 v91, v97, 0, 0xb8
	v_mov_b32_e32 v90, 22
	s_mov_b32 s0, 23
.LBB82_371:                             ; =>This Inner Loop Header: Depth=1
	ds_read_b64 v[100:101], v91
	v_add_nc_u32_e32 v91, 8, v91
	s_waitcnt lgkmcnt(0)
	v_cmp_lt_f64_e64 vcc_lo, |v[0:1]|, |v[100:101]|
	v_cndmask_b32_e32 v1, v1, v101, vcc_lo
	v_cndmask_b32_e32 v0, v0, v100, vcc_lo
	v_cndmask_b32_e64 v90, v90, s0, vcc_lo
	s_add_i32 s0, s0, 1
	s_cmp_lg_u32 s7, s0
	s_cbranch_scc1 .LBB82_371
.LBB82_372:
	s_mov_b32 s0, exec_lo
	s_waitcnt lgkmcnt(0)
	v_cmpx_eq_f64_e32 0, v[0:1]
	s_xor_b32 s0, exec_lo, s0
; %bb.373:
	v_cmp_ne_u32_e32 vcc_lo, 0, v93
	v_cndmask_b32_e32 v93, 23, v93, vcc_lo
; %bb.374:
	s_andn2_saveexec_b32 s0, s0
	s_cbranch_execz .LBB82_376
; %bb.375:
	v_div_scale_f64 v[91:92], null, v[0:1], v[0:1], 1.0
	v_rcp_f64_e32 v[100:101], v[91:92]
	v_fma_f64 v[102:103], -v[91:92], v[100:101], 1.0
	v_fma_f64 v[100:101], v[100:101], v[102:103], v[100:101]
	v_fma_f64 v[102:103], -v[91:92], v[100:101], 1.0
	v_fma_f64 v[100:101], v[100:101], v[102:103], v[100:101]
	v_div_scale_f64 v[102:103], vcc_lo, 1.0, v[0:1], 1.0
	v_mul_f64 v[104:105], v[102:103], v[100:101]
	v_fma_f64 v[91:92], -v[91:92], v[104:105], v[102:103]
	v_div_fmas_f64 v[91:92], v[91:92], v[100:101], v[104:105]
	v_div_fixup_f64 v[0:1], v[91:92], v[0:1], 1.0
.LBB82_376:
	s_or_b32 exec_lo, exec_lo, s0
	s_mov_b32 s0, exec_lo
	v_cmpx_ne_u32_e64 v99, v90
	s_xor_b32 s0, exec_lo, s0
	s_cbranch_execz .LBB82_382
; %bb.377:
	s_mov_b32 s1, exec_lo
	v_cmpx_eq_u32_e32 22, v99
	s_cbranch_execz .LBB82_381
; %bb.378:
	v_cmp_ne_u32_e32 vcc_lo, 22, v90
	s_xor_b32 s2, s6, -1
	s_and_b32 s3, s2, vcc_lo
	s_and_saveexec_b32 s2, s3
	s_cbranch_execz .LBB82_380
; %bb.379:
	v_ashrrev_i32_e32 v91, 31, v90
	v_lshlrev_b64 v[91:92], 2, v[90:91]
	v_add_co_u32 v91, vcc_lo, v4, v91
	v_add_co_ci_u32_e64 v92, null, v5, v92, vcc_lo
	s_clause 0x1
	global_load_dword v98, v[91:92], off
	global_load_dword v99, v[4:5], off offset:88
	s_waitcnt vmcnt(1)
	global_store_dword v[4:5], v98, off offset:88
	s_waitcnt vmcnt(0)
	global_store_dword v[91:92], v99, off
.LBB82_380:
	s_or_b32 exec_lo, exec_lo, s2
	v_mov_b32_e32 v98, v90
	v_mov_b32_e32 v99, v90
.LBB82_381:
	s_or_b32 exec_lo, exec_lo, s1
.LBB82_382:
	s_andn2_saveexec_b32 s0, s0
	s_cbranch_execz .LBB82_384
; %bb.383:
	v_mov_b32_e32 v99, 22
	ds_write2_b64 v96, v[38:39], v[40:41] offset0:23 offset1:24
	ds_write2_b64 v96, v[34:35], v[36:37] offset0:25 offset1:26
	;; [unrolled: 1-line block ×9, first 2 shown]
	ds_write_b64 v96, v[88:89] offset:328
.LBB82_384:
	s_or_b32 exec_lo, exec_lo, s0
	s_mov_b32 s0, exec_lo
	s_waitcnt lgkmcnt(0)
	s_waitcnt_vscnt null, 0x0
	s_barrier
	buffer_gl0_inv
	v_cmpx_lt_i32_e32 22, v99
	s_cbranch_execz .LBB82_386
; %bb.385:
	v_mul_f64 v[42:43], v[0:1], v[42:43]
	ds_read2_b64 v[100:103], v96 offset0:23 offset1:24
	ds_read2_b64 v[104:107], v96 offset0:25 offset1:26
	;; [unrolled: 1-line block ×9, first 2 shown]
	ds_read_b64 v[0:1], v96 offset:328
	s_waitcnt lgkmcnt(9)
	v_fma_f64 v[38:39], -v[42:43], v[100:101], v[38:39]
	v_fma_f64 v[40:41], -v[42:43], v[102:103], v[40:41]
	s_waitcnt lgkmcnt(8)
	v_fma_f64 v[34:35], -v[42:43], v[104:105], v[34:35]
	v_fma_f64 v[36:37], -v[42:43], v[106:107], v[36:37]
	;; [unrolled: 3-line block ×9, first 2 shown]
	s_waitcnt lgkmcnt(0)
	v_fma_f64 v[88:89], -v[42:43], v[0:1], v[88:89]
.LBB82_386:
	s_or_b32 exec_lo, exec_lo, s0
	v_lshl_add_u32 v0, v99, 3, v96
	s_barrier
	buffer_gl0_inv
	v_mov_b32_e32 v90, 23
	ds_write_b64 v0, v[38:39]
	s_waitcnt lgkmcnt(0)
	s_barrier
	buffer_gl0_inv
	ds_read_b64 v[0:1], v96 offset:184
	s_cmp_lt_i32 s7, 25
	s_cbranch_scc1 .LBB82_389
; %bb.387:
	v_add3_u32 v91, v97, 0, 0xc0
	v_mov_b32_e32 v90, 23
	s_mov_b32 s0, 24
.LBB82_388:                             ; =>This Inner Loop Header: Depth=1
	ds_read_b64 v[100:101], v91
	v_add_nc_u32_e32 v91, 8, v91
	s_waitcnt lgkmcnt(0)
	v_cmp_lt_f64_e64 vcc_lo, |v[0:1]|, |v[100:101]|
	v_cndmask_b32_e32 v1, v1, v101, vcc_lo
	v_cndmask_b32_e32 v0, v0, v100, vcc_lo
	v_cndmask_b32_e64 v90, v90, s0, vcc_lo
	s_add_i32 s0, s0, 1
	s_cmp_lg_u32 s7, s0
	s_cbranch_scc1 .LBB82_388
.LBB82_389:
	s_mov_b32 s0, exec_lo
	s_waitcnt lgkmcnt(0)
	v_cmpx_eq_f64_e32 0, v[0:1]
	s_xor_b32 s0, exec_lo, s0
; %bb.390:
	v_cmp_ne_u32_e32 vcc_lo, 0, v93
	v_cndmask_b32_e32 v93, 24, v93, vcc_lo
; %bb.391:
	s_andn2_saveexec_b32 s0, s0
	s_cbranch_execz .LBB82_393
; %bb.392:
	v_div_scale_f64 v[91:92], null, v[0:1], v[0:1], 1.0
	v_rcp_f64_e32 v[100:101], v[91:92]
	v_fma_f64 v[102:103], -v[91:92], v[100:101], 1.0
	v_fma_f64 v[100:101], v[100:101], v[102:103], v[100:101]
	v_fma_f64 v[102:103], -v[91:92], v[100:101], 1.0
	v_fma_f64 v[100:101], v[100:101], v[102:103], v[100:101]
	v_div_scale_f64 v[102:103], vcc_lo, 1.0, v[0:1], 1.0
	v_mul_f64 v[104:105], v[102:103], v[100:101]
	v_fma_f64 v[91:92], -v[91:92], v[104:105], v[102:103]
	v_div_fmas_f64 v[91:92], v[91:92], v[100:101], v[104:105]
	v_div_fixup_f64 v[0:1], v[91:92], v[0:1], 1.0
.LBB82_393:
	s_or_b32 exec_lo, exec_lo, s0
	s_mov_b32 s0, exec_lo
	v_cmpx_ne_u32_e64 v99, v90
	s_xor_b32 s0, exec_lo, s0
	s_cbranch_execz .LBB82_399
; %bb.394:
	s_mov_b32 s1, exec_lo
	v_cmpx_eq_u32_e32 23, v99
	s_cbranch_execz .LBB82_398
; %bb.395:
	v_cmp_ne_u32_e32 vcc_lo, 23, v90
	s_xor_b32 s2, s6, -1
	s_and_b32 s3, s2, vcc_lo
	s_and_saveexec_b32 s2, s3
	s_cbranch_execz .LBB82_397
; %bb.396:
	v_ashrrev_i32_e32 v91, 31, v90
	v_lshlrev_b64 v[91:92], 2, v[90:91]
	v_add_co_u32 v91, vcc_lo, v4, v91
	v_add_co_ci_u32_e64 v92, null, v5, v92, vcc_lo
	s_clause 0x1
	global_load_dword v98, v[91:92], off
	global_load_dword v99, v[4:5], off offset:92
	s_waitcnt vmcnt(1)
	global_store_dword v[4:5], v98, off offset:92
	s_waitcnt vmcnt(0)
	global_store_dword v[91:92], v99, off
.LBB82_397:
	s_or_b32 exec_lo, exec_lo, s2
	v_mov_b32_e32 v98, v90
	v_mov_b32_e32 v99, v90
.LBB82_398:
	s_or_b32 exec_lo, exec_lo, s1
.LBB82_399:
	s_andn2_saveexec_b32 s0, s0
	s_cbranch_execz .LBB82_401
; %bb.400:
	v_mov_b32_e32 v90, v40
	v_mov_b32_e32 v91, v41
	;; [unrolled: 1-line block ×20, first 2 shown]
	ds_write2_b64 v96, v[90:91], v[99:100] offset0:24 offset1:25
	ds_write2_b64 v96, v[101:102], v[103:104] offset0:26 offset1:27
	;; [unrolled: 1-line block ×5, first 2 shown]
	v_mov_b32_e32 v90, v20
	v_mov_b32_e32 v91, v21
	;; [unrolled: 1-line block ×15, first 2 shown]
	ds_write2_b64 v96, v[90:91], v[100:101] offset0:34 offset1:35
	ds_write2_b64 v96, v[102:103], v[104:105] offset0:36 offset1:37
	;; [unrolled: 1-line block ×4, first 2 shown]
.LBB82_401:
	s_or_b32 exec_lo, exec_lo, s0
	s_mov_b32 s0, exec_lo
	s_waitcnt lgkmcnt(0)
	s_waitcnt_vscnt null, 0x0
	s_barrier
	buffer_gl0_inv
	v_cmpx_lt_i32_e32 23, v99
	s_cbranch_execz .LBB82_403
; %bb.402:
	v_mul_f64 v[38:39], v[0:1], v[38:39]
	ds_read2_b64 v[100:103], v96 offset0:24 offset1:25
	ds_read2_b64 v[104:107], v96 offset0:26 offset1:27
	;; [unrolled: 1-line block ×9, first 2 shown]
	s_waitcnt lgkmcnt(8)
	v_fma_f64 v[40:41], -v[38:39], v[100:101], v[40:41]
	v_fma_f64 v[34:35], -v[38:39], v[102:103], v[34:35]
	s_waitcnt lgkmcnt(7)
	v_fma_f64 v[36:37], -v[38:39], v[104:105], v[36:37]
	v_fma_f64 v[32:33], -v[38:39], v[106:107], v[32:33]
	;; [unrolled: 3-line block ×9, first 2 shown]
.LBB82_403:
	s_or_b32 exec_lo, exec_lo, s0
	v_lshl_add_u32 v0, v99, 3, v96
	s_barrier
	buffer_gl0_inv
	v_mov_b32_e32 v90, 24
	ds_write_b64 v0, v[40:41]
	s_waitcnt lgkmcnt(0)
	s_barrier
	buffer_gl0_inv
	ds_read_b64 v[0:1], v96 offset:192
	s_cmp_lt_i32 s7, 26
	s_cbranch_scc1 .LBB82_406
; %bb.404:
	v_add3_u32 v91, v97, 0, 0xc8
	v_mov_b32_e32 v90, 24
	s_mov_b32 s0, 25
.LBB82_405:                             ; =>This Inner Loop Header: Depth=1
	ds_read_b64 v[100:101], v91
	v_add_nc_u32_e32 v91, 8, v91
	s_waitcnt lgkmcnt(0)
	v_cmp_lt_f64_e64 vcc_lo, |v[0:1]|, |v[100:101]|
	v_cndmask_b32_e32 v1, v1, v101, vcc_lo
	v_cndmask_b32_e32 v0, v0, v100, vcc_lo
	v_cndmask_b32_e64 v90, v90, s0, vcc_lo
	s_add_i32 s0, s0, 1
	s_cmp_lg_u32 s7, s0
	s_cbranch_scc1 .LBB82_405
.LBB82_406:
	s_mov_b32 s0, exec_lo
	s_waitcnt lgkmcnt(0)
	v_cmpx_eq_f64_e32 0, v[0:1]
	s_xor_b32 s0, exec_lo, s0
; %bb.407:
	v_cmp_ne_u32_e32 vcc_lo, 0, v93
	v_cndmask_b32_e32 v93, 25, v93, vcc_lo
; %bb.408:
	s_andn2_saveexec_b32 s0, s0
	s_cbranch_execz .LBB82_410
; %bb.409:
	v_div_scale_f64 v[91:92], null, v[0:1], v[0:1], 1.0
	v_rcp_f64_e32 v[100:101], v[91:92]
	v_fma_f64 v[102:103], -v[91:92], v[100:101], 1.0
	v_fma_f64 v[100:101], v[100:101], v[102:103], v[100:101]
	v_fma_f64 v[102:103], -v[91:92], v[100:101], 1.0
	v_fma_f64 v[100:101], v[100:101], v[102:103], v[100:101]
	v_div_scale_f64 v[102:103], vcc_lo, 1.0, v[0:1], 1.0
	v_mul_f64 v[104:105], v[102:103], v[100:101]
	v_fma_f64 v[91:92], -v[91:92], v[104:105], v[102:103]
	v_div_fmas_f64 v[91:92], v[91:92], v[100:101], v[104:105]
	v_div_fixup_f64 v[0:1], v[91:92], v[0:1], 1.0
.LBB82_410:
	s_or_b32 exec_lo, exec_lo, s0
	s_mov_b32 s0, exec_lo
	v_cmpx_ne_u32_e64 v99, v90
	s_xor_b32 s0, exec_lo, s0
	s_cbranch_execz .LBB82_416
; %bb.411:
	s_mov_b32 s1, exec_lo
	v_cmpx_eq_u32_e32 24, v99
	s_cbranch_execz .LBB82_415
; %bb.412:
	v_cmp_ne_u32_e32 vcc_lo, 24, v90
	s_xor_b32 s2, s6, -1
	s_and_b32 s3, s2, vcc_lo
	s_and_saveexec_b32 s2, s3
	s_cbranch_execz .LBB82_414
; %bb.413:
	v_ashrrev_i32_e32 v91, 31, v90
	v_lshlrev_b64 v[91:92], 2, v[90:91]
	v_add_co_u32 v91, vcc_lo, v4, v91
	v_add_co_ci_u32_e64 v92, null, v5, v92, vcc_lo
	s_clause 0x1
	global_load_dword v98, v[91:92], off
	global_load_dword v99, v[4:5], off offset:96
	s_waitcnt vmcnt(1)
	global_store_dword v[4:5], v98, off offset:96
	s_waitcnt vmcnt(0)
	global_store_dword v[91:92], v99, off
.LBB82_414:
	s_or_b32 exec_lo, exec_lo, s2
	v_mov_b32_e32 v98, v90
	v_mov_b32_e32 v99, v90
.LBB82_415:
	s_or_b32 exec_lo, exec_lo, s1
.LBB82_416:
	s_andn2_saveexec_b32 s0, s0
	s_cbranch_execz .LBB82_418
; %bb.417:
	v_mov_b32_e32 v99, 24
	ds_write2_b64 v96, v[34:35], v[36:37] offset0:25 offset1:26
	ds_write2_b64 v96, v[32:33], v[30:31] offset0:27 offset1:28
	;; [unrolled: 1-line block ×8, first 2 shown]
	ds_write_b64 v96, v[88:89] offset:328
.LBB82_418:
	s_or_b32 exec_lo, exec_lo, s0
	s_mov_b32 s0, exec_lo
	s_waitcnt lgkmcnt(0)
	s_waitcnt_vscnt null, 0x0
	s_barrier
	buffer_gl0_inv
	v_cmpx_lt_i32_e32 24, v99
	s_cbranch_execz .LBB82_420
; %bb.419:
	v_mul_f64 v[40:41], v[0:1], v[40:41]
	ds_read2_b64 v[100:103], v96 offset0:25 offset1:26
	ds_read2_b64 v[104:107], v96 offset0:27 offset1:28
	;; [unrolled: 1-line block ×8, first 2 shown]
	ds_read_b64 v[0:1], v96 offset:328
	s_waitcnt lgkmcnt(8)
	v_fma_f64 v[34:35], -v[40:41], v[100:101], v[34:35]
	v_fma_f64 v[36:37], -v[40:41], v[102:103], v[36:37]
	s_waitcnt lgkmcnt(7)
	v_fma_f64 v[32:33], -v[40:41], v[104:105], v[32:33]
	v_fma_f64 v[30:31], -v[40:41], v[106:107], v[30:31]
	;; [unrolled: 3-line block ×8, first 2 shown]
	s_waitcnt lgkmcnt(0)
	v_fma_f64 v[88:89], -v[40:41], v[0:1], v[88:89]
.LBB82_420:
	s_or_b32 exec_lo, exec_lo, s0
	v_lshl_add_u32 v0, v99, 3, v96
	s_barrier
	buffer_gl0_inv
	v_mov_b32_e32 v90, 25
	ds_write_b64 v0, v[34:35]
	s_waitcnt lgkmcnt(0)
	s_barrier
	buffer_gl0_inv
	ds_read_b64 v[0:1], v96 offset:200
	s_cmp_lt_i32 s7, 27
	s_cbranch_scc1 .LBB82_423
; %bb.421:
	v_add3_u32 v91, v97, 0, 0xd0
	v_mov_b32_e32 v90, 25
	s_mov_b32 s0, 26
.LBB82_422:                             ; =>This Inner Loop Header: Depth=1
	ds_read_b64 v[100:101], v91
	v_add_nc_u32_e32 v91, 8, v91
	s_waitcnt lgkmcnt(0)
	v_cmp_lt_f64_e64 vcc_lo, |v[0:1]|, |v[100:101]|
	v_cndmask_b32_e32 v1, v1, v101, vcc_lo
	v_cndmask_b32_e32 v0, v0, v100, vcc_lo
	v_cndmask_b32_e64 v90, v90, s0, vcc_lo
	s_add_i32 s0, s0, 1
	s_cmp_lg_u32 s7, s0
	s_cbranch_scc1 .LBB82_422
.LBB82_423:
	s_mov_b32 s0, exec_lo
	s_waitcnt lgkmcnt(0)
	v_cmpx_eq_f64_e32 0, v[0:1]
	s_xor_b32 s0, exec_lo, s0
; %bb.424:
	v_cmp_ne_u32_e32 vcc_lo, 0, v93
	v_cndmask_b32_e32 v93, 26, v93, vcc_lo
; %bb.425:
	s_andn2_saveexec_b32 s0, s0
	s_cbranch_execz .LBB82_427
; %bb.426:
	v_div_scale_f64 v[91:92], null, v[0:1], v[0:1], 1.0
	v_rcp_f64_e32 v[100:101], v[91:92]
	v_fma_f64 v[102:103], -v[91:92], v[100:101], 1.0
	v_fma_f64 v[100:101], v[100:101], v[102:103], v[100:101]
	v_fma_f64 v[102:103], -v[91:92], v[100:101], 1.0
	v_fma_f64 v[100:101], v[100:101], v[102:103], v[100:101]
	v_div_scale_f64 v[102:103], vcc_lo, 1.0, v[0:1], 1.0
	v_mul_f64 v[104:105], v[102:103], v[100:101]
	v_fma_f64 v[91:92], -v[91:92], v[104:105], v[102:103]
	v_div_fmas_f64 v[91:92], v[91:92], v[100:101], v[104:105]
	v_div_fixup_f64 v[0:1], v[91:92], v[0:1], 1.0
.LBB82_427:
	s_or_b32 exec_lo, exec_lo, s0
	s_mov_b32 s0, exec_lo
	v_cmpx_ne_u32_e64 v99, v90
	s_xor_b32 s0, exec_lo, s0
	s_cbranch_execz .LBB82_433
; %bb.428:
	s_mov_b32 s1, exec_lo
	v_cmpx_eq_u32_e32 25, v99
	s_cbranch_execz .LBB82_432
; %bb.429:
	v_cmp_ne_u32_e32 vcc_lo, 25, v90
	s_xor_b32 s2, s6, -1
	s_and_b32 s3, s2, vcc_lo
	s_and_saveexec_b32 s2, s3
	s_cbranch_execz .LBB82_431
; %bb.430:
	v_ashrrev_i32_e32 v91, 31, v90
	v_lshlrev_b64 v[91:92], 2, v[90:91]
	v_add_co_u32 v91, vcc_lo, v4, v91
	v_add_co_ci_u32_e64 v92, null, v5, v92, vcc_lo
	s_clause 0x1
	global_load_dword v98, v[91:92], off
	global_load_dword v99, v[4:5], off offset:100
	s_waitcnt vmcnt(1)
	global_store_dword v[4:5], v98, off offset:100
	s_waitcnt vmcnt(0)
	global_store_dword v[91:92], v99, off
.LBB82_431:
	s_or_b32 exec_lo, exec_lo, s2
	v_mov_b32_e32 v98, v90
	v_mov_b32_e32 v99, v90
.LBB82_432:
	s_or_b32 exec_lo, exec_lo, s1
.LBB82_433:
	s_andn2_saveexec_b32 s0, s0
	s_cbranch_execz .LBB82_435
; %bb.434:
	v_mov_b32_e32 v90, v36
	v_mov_b32_e32 v91, v37
	;; [unrolled: 1-line block ×16, first 2 shown]
	ds_write2_b64 v96, v[90:91], v[99:100] offset0:26 offset1:27
	ds_write2_b64 v96, v[101:102], v[103:104] offset0:28 offset1:29
	;; [unrolled: 1-line block ×4, first 2 shown]
	v_mov_b32_e32 v90, v20
	v_mov_b32_e32 v91, v21
	;; [unrolled: 1-line block ×15, first 2 shown]
	ds_write2_b64 v96, v[90:91], v[100:101] offset0:34 offset1:35
	ds_write2_b64 v96, v[102:103], v[104:105] offset0:36 offset1:37
	;; [unrolled: 1-line block ×4, first 2 shown]
.LBB82_435:
	s_or_b32 exec_lo, exec_lo, s0
	s_mov_b32 s0, exec_lo
	s_waitcnt lgkmcnt(0)
	s_waitcnt_vscnt null, 0x0
	s_barrier
	buffer_gl0_inv
	v_cmpx_lt_i32_e32 25, v99
	s_cbranch_execz .LBB82_437
; %bb.436:
	v_mul_f64 v[34:35], v[0:1], v[34:35]
	ds_read2_b64 v[100:103], v96 offset0:26 offset1:27
	ds_read2_b64 v[104:107], v96 offset0:28 offset1:29
	;; [unrolled: 1-line block ×8, first 2 shown]
	s_waitcnt lgkmcnt(7)
	v_fma_f64 v[36:37], -v[34:35], v[100:101], v[36:37]
	v_fma_f64 v[32:33], -v[34:35], v[102:103], v[32:33]
	s_waitcnt lgkmcnt(6)
	v_fma_f64 v[30:31], -v[34:35], v[104:105], v[30:31]
	v_fma_f64 v[28:29], -v[34:35], v[106:107], v[28:29]
	;; [unrolled: 3-line block ×8, first 2 shown]
.LBB82_437:
	s_or_b32 exec_lo, exec_lo, s0
	v_lshl_add_u32 v0, v99, 3, v96
	s_barrier
	buffer_gl0_inv
	v_mov_b32_e32 v90, 26
	ds_write_b64 v0, v[36:37]
	s_waitcnt lgkmcnt(0)
	s_barrier
	buffer_gl0_inv
	ds_read_b64 v[0:1], v96 offset:208
	s_cmp_lt_i32 s7, 28
	s_cbranch_scc1 .LBB82_440
; %bb.438:
	v_add3_u32 v91, v97, 0, 0xd8
	v_mov_b32_e32 v90, 26
	s_mov_b32 s0, 27
.LBB82_439:                             ; =>This Inner Loop Header: Depth=1
	ds_read_b64 v[100:101], v91
	v_add_nc_u32_e32 v91, 8, v91
	s_waitcnt lgkmcnt(0)
	v_cmp_lt_f64_e64 vcc_lo, |v[0:1]|, |v[100:101]|
	v_cndmask_b32_e32 v1, v1, v101, vcc_lo
	v_cndmask_b32_e32 v0, v0, v100, vcc_lo
	v_cndmask_b32_e64 v90, v90, s0, vcc_lo
	s_add_i32 s0, s0, 1
	s_cmp_lg_u32 s7, s0
	s_cbranch_scc1 .LBB82_439
.LBB82_440:
	s_mov_b32 s0, exec_lo
	s_waitcnt lgkmcnt(0)
	v_cmpx_eq_f64_e32 0, v[0:1]
	s_xor_b32 s0, exec_lo, s0
; %bb.441:
	v_cmp_ne_u32_e32 vcc_lo, 0, v93
	v_cndmask_b32_e32 v93, 27, v93, vcc_lo
; %bb.442:
	s_andn2_saveexec_b32 s0, s0
	s_cbranch_execz .LBB82_444
; %bb.443:
	v_div_scale_f64 v[91:92], null, v[0:1], v[0:1], 1.0
	v_rcp_f64_e32 v[100:101], v[91:92]
	v_fma_f64 v[102:103], -v[91:92], v[100:101], 1.0
	v_fma_f64 v[100:101], v[100:101], v[102:103], v[100:101]
	v_fma_f64 v[102:103], -v[91:92], v[100:101], 1.0
	v_fma_f64 v[100:101], v[100:101], v[102:103], v[100:101]
	v_div_scale_f64 v[102:103], vcc_lo, 1.0, v[0:1], 1.0
	v_mul_f64 v[104:105], v[102:103], v[100:101]
	v_fma_f64 v[91:92], -v[91:92], v[104:105], v[102:103]
	v_div_fmas_f64 v[91:92], v[91:92], v[100:101], v[104:105]
	v_div_fixup_f64 v[0:1], v[91:92], v[0:1], 1.0
.LBB82_444:
	s_or_b32 exec_lo, exec_lo, s0
	s_mov_b32 s0, exec_lo
	v_cmpx_ne_u32_e64 v99, v90
	s_xor_b32 s0, exec_lo, s0
	s_cbranch_execz .LBB82_450
; %bb.445:
	s_mov_b32 s1, exec_lo
	v_cmpx_eq_u32_e32 26, v99
	s_cbranch_execz .LBB82_449
; %bb.446:
	v_cmp_ne_u32_e32 vcc_lo, 26, v90
	s_xor_b32 s2, s6, -1
	s_and_b32 s3, s2, vcc_lo
	s_and_saveexec_b32 s2, s3
	s_cbranch_execz .LBB82_448
; %bb.447:
	v_ashrrev_i32_e32 v91, 31, v90
	v_lshlrev_b64 v[91:92], 2, v[90:91]
	v_add_co_u32 v91, vcc_lo, v4, v91
	v_add_co_ci_u32_e64 v92, null, v5, v92, vcc_lo
	s_clause 0x1
	global_load_dword v98, v[91:92], off
	global_load_dword v99, v[4:5], off offset:104
	s_waitcnt vmcnt(1)
	global_store_dword v[4:5], v98, off offset:104
	s_waitcnt vmcnt(0)
	global_store_dword v[91:92], v99, off
.LBB82_448:
	s_or_b32 exec_lo, exec_lo, s2
	v_mov_b32_e32 v98, v90
	v_mov_b32_e32 v99, v90
.LBB82_449:
	s_or_b32 exec_lo, exec_lo, s1
.LBB82_450:
	s_andn2_saveexec_b32 s0, s0
	s_cbranch_execz .LBB82_452
; %bb.451:
	v_mov_b32_e32 v99, 26
	ds_write2_b64 v96, v[32:33], v[30:31] offset0:27 offset1:28
	ds_write2_b64 v96, v[28:29], v[26:27] offset0:29 offset1:30
	;; [unrolled: 1-line block ×7, first 2 shown]
	ds_write_b64 v96, v[88:89] offset:328
.LBB82_452:
	s_or_b32 exec_lo, exec_lo, s0
	s_mov_b32 s0, exec_lo
	s_waitcnt lgkmcnt(0)
	s_waitcnt_vscnt null, 0x0
	s_barrier
	buffer_gl0_inv
	v_cmpx_lt_i32_e32 26, v99
	s_cbranch_execz .LBB82_454
; %bb.453:
	v_mul_f64 v[36:37], v[0:1], v[36:37]
	ds_read2_b64 v[100:103], v96 offset0:27 offset1:28
	ds_read2_b64 v[104:107], v96 offset0:29 offset1:30
	;; [unrolled: 1-line block ×7, first 2 shown]
	ds_read_b64 v[0:1], v96 offset:328
	s_waitcnt lgkmcnt(7)
	v_fma_f64 v[32:33], -v[36:37], v[100:101], v[32:33]
	v_fma_f64 v[30:31], -v[36:37], v[102:103], v[30:31]
	s_waitcnt lgkmcnt(6)
	v_fma_f64 v[28:29], -v[36:37], v[104:105], v[28:29]
	v_fma_f64 v[26:27], -v[36:37], v[106:107], v[26:27]
	;; [unrolled: 3-line block ×7, first 2 shown]
	s_waitcnt lgkmcnt(0)
	v_fma_f64 v[88:89], -v[36:37], v[0:1], v[88:89]
.LBB82_454:
	s_or_b32 exec_lo, exec_lo, s0
	v_lshl_add_u32 v0, v99, 3, v96
	s_barrier
	buffer_gl0_inv
	v_mov_b32_e32 v90, 27
	ds_write_b64 v0, v[32:33]
	s_waitcnt lgkmcnt(0)
	s_barrier
	buffer_gl0_inv
	ds_read_b64 v[0:1], v96 offset:216
	s_cmp_lt_i32 s7, 29
	s_cbranch_scc1 .LBB82_457
; %bb.455:
	v_add3_u32 v91, v97, 0, 0xe0
	v_mov_b32_e32 v90, 27
	s_mov_b32 s0, 28
.LBB82_456:                             ; =>This Inner Loop Header: Depth=1
	ds_read_b64 v[100:101], v91
	v_add_nc_u32_e32 v91, 8, v91
	s_waitcnt lgkmcnt(0)
	v_cmp_lt_f64_e64 vcc_lo, |v[0:1]|, |v[100:101]|
	v_cndmask_b32_e32 v1, v1, v101, vcc_lo
	v_cndmask_b32_e32 v0, v0, v100, vcc_lo
	v_cndmask_b32_e64 v90, v90, s0, vcc_lo
	s_add_i32 s0, s0, 1
	s_cmp_lg_u32 s7, s0
	s_cbranch_scc1 .LBB82_456
.LBB82_457:
	s_mov_b32 s0, exec_lo
	s_waitcnt lgkmcnt(0)
	v_cmpx_eq_f64_e32 0, v[0:1]
	s_xor_b32 s0, exec_lo, s0
; %bb.458:
	v_cmp_ne_u32_e32 vcc_lo, 0, v93
	v_cndmask_b32_e32 v93, 28, v93, vcc_lo
; %bb.459:
	s_andn2_saveexec_b32 s0, s0
	s_cbranch_execz .LBB82_461
; %bb.460:
	v_div_scale_f64 v[91:92], null, v[0:1], v[0:1], 1.0
	v_rcp_f64_e32 v[100:101], v[91:92]
	v_fma_f64 v[102:103], -v[91:92], v[100:101], 1.0
	v_fma_f64 v[100:101], v[100:101], v[102:103], v[100:101]
	v_fma_f64 v[102:103], -v[91:92], v[100:101], 1.0
	v_fma_f64 v[100:101], v[100:101], v[102:103], v[100:101]
	v_div_scale_f64 v[102:103], vcc_lo, 1.0, v[0:1], 1.0
	v_mul_f64 v[104:105], v[102:103], v[100:101]
	v_fma_f64 v[91:92], -v[91:92], v[104:105], v[102:103]
	v_div_fmas_f64 v[91:92], v[91:92], v[100:101], v[104:105]
	v_div_fixup_f64 v[0:1], v[91:92], v[0:1], 1.0
.LBB82_461:
	s_or_b32 exec_lo, exec_lo, s0
	s_mov_b32 s0, exec_lo
	v_cmpx_ne_u32_e64 v99, v90
	s_xor_b32 s0, exec_lo, s0
	s_cbranch_execz .LBB82_467
; %bb.462:
	s_mov_b32 s1, exec_lo
	v_cmpx_eq_u32_e32 27, v99
	s_cbranch_execz .LBB82_466
; %bb.463:
	v_cmp_ne_u32_e32 vcc_lo, 27, v90
	s_xor_b32 s2, s6, -1
	s_and_b32 s3, s2, vcc_lo
	s_and_saveexec_b32 s2, s3
	s_cbranch_execz .LBB82_465
; %bb.464:
	v_ashrrev_i32_e32 v91, 31, v90
	v_lshlrev_b64 v[91:92], 2, v[90:91]
	v_add_co_u32 v91, vcc_lo, v4, v91
	v_add_co_ci_u32_e64 v92, null, v5, v92, vcc_lo
	s_clause 0x1
	global_load_dword v98, v[91:92], off
	global_load_dword v99, v[4:5], off offset:108
	s_waitcnt vmcnt(1)
	global_store_dword v[4:5], v98, off offset:108
	s_waitcnt vmcnt(0)
	global_store_dword v[91:92], v99, off
.LBB82_465:
	s_or_b32 exec_lo, exec_lo, s2
	v_mov_b32_e32 v98, v90
	v_mov_b32_e32 v99, v90
.LBB82_466:
	s_or_b32 exec_lo, exec_lo, s1
.LBB82_467:
	s_andn2_saveexec_b32 s0, s0
	s_cbranch_execz .LBB82_469
; %bb.468:
	v_mov_b32_e32 v90, v30
	v_mov_b32_e32 v91, v31
	;; [unrolled: 1-line block ×12, first 2 shown]
	ds_write2_b64 v96, v[90:91], v[99:100] offset0:28 offset1:29
	ds_write2_b64 v96, v[101:102], v[103:104] offset0:30 offset1:31
	;; [unrolled: 1-line block ×3, first 2 shown]
	v_mov_b32_e32 v90, v20
	v_mov_b32_e32 v91, v21
	;; [unrolled: 1-line block ×15, first 2 shown]
	ds_write2_b64 v96, v[90:91], v[100:101] offset0:34 offset1:35
	ds_write2_b64 v96, v[102:103], v[104:105] offset0:36 offset1:37
	;; [unrolled: 1-line block ×4, first 2 shown]
.LBB82_469:
	s_or_b32 exec_lo, exec_lo, s0
	s_mov_b32 s0, exec_lo
	s_waitcnt lgkmcnt(0)
	s_waitcnt_vscnt null, 0x0
	s_barrier
	buffer_gl0_inv
	v_cmpx_lt_i32_e32 27, v99
	s_cbranch_execz .LBB82_471
; %bb.470:
	v_mul_f64 v[32:33], v[0:1], v[32:33]
	ds_read2_b64 v[100:103], v96 offset0:28 offset1:29
	ds_read2_b64 v[104:107], v96 offset0:30 offset1:31
	;; [unrolled: 1-line block ×7, first 2 shown]
	s_waitcnt lgkmcnt(6)
	v_fma_f64 v[30:31], -v[32:33], v[100:101], v[30:31]
	v_fma_f64 v[28:29], -v[32:33], v[102:103], v[28:29]
	s_waitcnt lgkmcnt(5)
	v_fma_f64 v[26:27], -v[32:33], v[104:105], v[26:27]
	v_fma_f64 v[24:25], -v[32:33], v[106:107], v[24:25]
	s_waitcnt lgkmcnt(4)
	v_fma_f64 v[22:23], -v[32:33], v[108:109], v[22:23]
	v_fma_f64 v[18:19], -v[32:33], v[110:111], v[18:19]
	s_waitcnt lgkmcnt(3)
	v_fma_f64 v[20:21], -v[32:33], v[112:113], v[20:21]
	v_fma_f64 v[16:17], -v[32:33], v[114:115], v[16:17]
	s_waitcnt lgkmcnt(2)
	v_fma_f64 v[14:15], -v[32:33], v[116:117], v[14:15]
	v_fma_f64 v[8:9], -v[32:33], v[118:119], v[8:9]
	s_waitcnt lgkmcnt(1)
	v_fma_f64 v[12:13], -v[32:33], v[120:121], v[12:13]
	v_fma_f64 v[6:7], -v[32:33], v[122:123], v[6:7]
	s_waitcnt lgkmcnt(0)
	v_fma_f64 v[10:11], -v[32:33], v[124:125], v[10:11]
	v_fma_f64 v[88:89], -v[32:33], v[126:127], v[88:89]
.LBB82_471:
	s_or_b32 exec_lo, exec_lo, s0
	v_lshl_add_u32 v0, v99, 3, v96
	s_barrier
	buffer_gl0_inv
	v_mov_b32_e32 v90, 28
	ds_write_b64 v0, v[30:31]
	s_waitcnt lgkmcnt(0)
	s_barrier
	buffer_gl0_inv
	ds_read_b64 v[0:1], v96 offset:224
	s_cmp_lt_i32 s7, 30
	s_cbranch_scc1 .LBB82_474
; %bb.472:
	v_add3_u32 v91, v97, 0, 0xe8
	v_mov_b32_e32 v90, 28
	s_mov_b32 s0, 29
.LBB82_473:                             ; =>This Inner Loop Header: Depth=1
	ds_read_b64 v[100:101], v91
	v_add_nc_u32_e32 v91, 8, v91
	s_waitcnt lgkmcnt(0)
	v_cmp_lt_f64_e64 vcc_lo, |v[0:1]|, |v[100:101]|
	v_cndmask_b32_e32 v1, v1, v101, vcc_lo
	v_cndmask_b32_e32 v0, v0, v100, vcc_lo
	v_cndmask_b32_e64 v90, v90, s0, vcc_lo
	s_add_i32 s0, s0, 1
	s_cmp_lg_u32 s7, s0
	s_cbranch_scc1 .LBB82_473
.LBB82_474:
	s_mov_b32 s0, exec_lo
	s_waitcnt lgkmcnt(0)
	v_cmpx_eq_f64_e32 0, v[0:1]
	s_xor_b32 s0, exec_lo, s0
; %bb.475:
	v_cmp_ne_u32_e32 vcc_lo, 0, v93
	v_cndmask_b32_e32 v93, 29, v93, vcc_lo
; %bb.476:
	s_andn2_saveexec_b32 s0, s0
	s_cbranch_execz .LBB82_478
; %bb.477:
	v_div_scale_f64 v[91:92], null, v[0:1], v[0:1], 1.0
	v_rcp_f64_e32 v[100:101], v[91:92]
	v_fma_f64 v[102:103], -v[91:92], v[100:101], 1.0
	v_fma_f64 v[100:101], v[100:101], v[102:103], v[100:101]
	v_fma_f64 v[102:103], -v[91:92], v[100:101], 1.0
	v_fma_f64 v[100:101], v[100:101], v[102:103], v[100:101]
	v_div_scale_f64 v[102:103], vcc_lo, 1.0, v[0:1], 1.0
	v_mul_f64 v[104:105], v[102:103], v[100:101]
	v_fma_f64 v[91:92], -v[91:92], v[104:105], v[102:103]
	v_div_fmas_f64 v[91:92], v[91:92], v[100:101], v[104:105]
	v_div_fixup_f64 v[0:1], v[91:92], v[0:1], 1.0
.LBB82_478:
	s_or_b32 exec_lo, exec_lo, s0
	s_mov_b32 s0, exec_lo
	v_cmpx_ne_u32_e64 v99, v90
	s_xor_b32 s0, exec_lo, s0
	s_cbranch_execz .LBB82_484
; %bb.479:
	s_mov_b32 s1, exec_lo
	v_cmpx_eq_u32_e32 28, v99
	s_cbranch_execz .LBB82_483
; %bb.480:
	v_cmp_ne_u32_e32 vcc_lo, 28, v90
	s_xor_b32 s2, s6, -1
	s_and_b32 s3, s2, vcc_lo
	s_and_saveexec_b32 s2, s3
	s_cbranch_execz .LBB82_482
; %bb.481:
	v_ashrrev_i32_e32 v91, 31, v90
	v_lshlrev_b64 v[91:92], 2, v[90:91]
	v_add_co_u32 v91, vcc_lo, v4, v91
	v_add_co_ci_u32_e64 v92, null, v5, v92, vcc_lo
	s_clause 0x1
	global_load_dword v98, v[91:92], off
	global_load_dword v99, v[4:5], off offset:112
	s_waitcnt vmcnt(1)
	global_store_dword v[4:5], v98, off offset:112
	s_waitcnt vmcnt(0)
	global_store_dword v[91:92], v99, off
.LBB82_482:
	s_or_b32 exec_lo, exec_lo, s2
	v_mov_b32_e32 v98, v90
	v_mov_b32_e32 v99, v90
.LBB82_483:
	s_or_b32 exec_lo, exec_lo, s1
.LBB82_484:
	s_andn2_saveexec_b32 s0, s0
	s_cbranch_execz .LBB82_486
; %bb.485:
	v_mov_b32_e32 v99, 28
	ds_write2_b64 v96, v[28:29], v[26:27] offset0:29 offset1:30
	ds_write2_b64 v96, v[24:25], v[22:23] offset0:31 offset1:32
	;; [unrolled: 1-line block ×6, first 2 shown]
	ds_write_b64 v96, v[88:89] offset:328
.LBB82_486:
	s_or_b32 exec_lo, exec_lo, s0
	s_mov_b32 s0, exec_lo
	s_waitcnt lgkmcnt(0)
	s_waitcnt_vscnt null, 0x0
	s_barrier
	buffer_gl0_inv
	v_cmpx_lt_i32_e32 28, v99
	s_cbranch_execz .LBB82_488
; %bb.487:
	v_mul_f64 v[30:31], v[0:1], v[30:31]
	ds_read2_b64 v[100:103], v96 offset0:29 offset1:30
	ds_read2_b64 v[104:107], v96 offset0:31 offset1:32
	;; [unrolled: 1-line block ×6, first 2 shown]
	ds_read_b64 v[0:1], v96 offset:328
	s_waitcnt lgkmcnt(6)
	v_fma_f64 v[28:29], -v[30:31], v[100:101], v[28:29]
	v_fma_f64 v[26:27], -v[30:31], v[102:103], v[26:27]
	s_waitcnt lgkmcnt(5)
	v_fma_f64 v[24:25], -v[30:31], v[104:105], v[24:25]
	v_fma_f64 v[22:23], -v[30:31], v[106:107], v[22:23]
	s_waitcnt lgkmcnt(4)
	v_fma_f64 v[18:19], -v[30:31], v[108:109], v[18:19]
	v_fma_f64 v[20:21], -v[30:31], v[110:111], v[20:21]
	s_waitcnt lgkmcnt(3)
	v_fma_f64 v[16:17], -v[30:31], v[112:113], v[16:17]
	v_fma_f64 v[14:15], -v[30:31], v[114:115], v[14:15]
	s_waitcnt lgkmcnt(2)
	v_fma_f64 v[8:9], -v[30:31], v[116:117], v[8:9]
	v_fma_f64 v[12:13], -v[30:31], v[118:119], v[12:13]
	s_waitcnt lgkmcnt(1)
	v_fma_f64 v[6:7], -v[30:31], v[120:121], v[6:7]
	v_fma_f64 v[10:11], -v[30:31], v[122:123], v[10:11]
	s_waitcnt lgkmcnt(0)
	v_fma_f64 v[88:89], -v[30:31], v[0:1], v[88:89]
.LBB82_488:
	s_or_b32 exec_lo, exec_lo, s0
	v_lshl_add_u32 v0, v99, 3, v96
	s_barrier
	buffer_gl0_inv
	v_mov_b32_e32 v90, 29
	ds_write_b64 v0, v[28:29]
	s_waitcnt lgkmcnt(0)
	s_barrier
	buffer_gl0_inv
	ds_read_b64 v[0:1], v96 offset:232
	s_cmp_lt_i32 s7, 31
	s_cbranch_scc1 .LBB82_491
; %bb.489:
	v_add3_u32 v91, v97, 0, 0xf0
	v_mov_b32_e32 v90, 29
	s_mov_b32 s0, 30
.LBB82_490:                             ; =>This Inner Loop Header: Depth=1
	ds_read_b64 v[100:101], v91
	v_add_nc_u32_e32 v91, 8, v91
	s_waitcnt lgkmcnt(0)
	v_cmp_lt_f64_e64 vcc_lo, |v[0:1]|, |v[100:101]|
	v_cndmask_b32_e32 v1, v1, v101, vcc_lo
	v_cndmask_b32_e32 v0, v0, v100, vcc_lo
	v_cndmask_b32_e64 v90, v90, s0, vcc_lo
	s_add_i32 s0, s0, 1
	s_cmp_lg_u32 s7, s0
	s_cbranch_scc1 .LBB82_490
.LBB82_491:
	s_mov_b32 s0, exec_lo
	s_waitcnt lgkmcnt(0)
	v_cmpx_eq_f64_e32 0, v[0:1]
	s_xor_b32 s0, exec_lo, s0
; %bb.492:
	v_cmp_ne_u32_e32 vcc_lo, 0, v93
	v_cndmask_b32_e32 v93, 30, v93, vcc_lo
; %bb.493:
	s_andn2_saveexec_b32 s0, s0
	s_cbranch_execz .LBB82_495
; %bb.494:
	v_div_scale_f64 v[91:92], null, v[0:1], v[0:1], 1.0
	v_rcp_f64_e32 v[100:101], v[91:92]
	v_fma_f64 v[102:103], -v[91:92], v[100:101], 1.0
	v_fma_f64 v[100:101], v[100:101], v[102:103], v[100:101]
	v_fma_f64 v[102:103], -v[91:92], v[100:101], 1.0
	v_fma_f64 v[100:101], v[100:101], v[102:103], v[100:101]
	v_div_scale_f64 v[102:103], vcc_lo, 1.0, v[0:1], 1.0
	v_mul_f64 v[104:105], v[102:103], v[100:101]
	v_fma_f64 v[91:92], -v[91:92], v[104:105], v[102:103]
	v_div_fmas_f64 v[91:92], v[91:92], v[100:101], v[104:105]
	v_div_fixup_f64 v[0:1], v[91:92], v[0:1], 1.0
.LBB82_495:
	s_or_b32 exec_lo, exec_lo, s0
	s_mov_b32 s0, exec_lo
	v_cmpx_ne_u32_e64 v99, v90
	s_xor_b32 s0, exec_lo, s0
	s_cbranch_execz .LBB82_501
; %bb.496:
	s_mov_b32 s1, exec_lo
	v_cmpx_eq_u32_e32 29, v99
	s_cbranch_execz .LBB82_500
; %bb.497:
	v_cmp_ne_u32_e32 vcc_lo, 29, v90
	s_xor_b32 s2, s6, -1
	s_and_b32 s3, s2, vcc_lo
	s_and_saveexec_b32 s2, s3
	s_cbranch_execz .LBB82_499
; %bb.498:
	v_ashrrev_i32_e32 v91, 31, v90
	v_lshlrev_b64 v[91:92], 2, v[90:91]
	v_add_co_u32 v91, vcc_lo, v4, v91
	v_add_co_ci_u32_e64 v92, null, v5, v92, vcc_lo
	s_clause 0x1
	global_load_dword v98, v[91:92], off
	global_load_dword v99, v[4:5], off offset:116
	s_waitcnt vmcnt(1)
	global_store_dword v[4:5], v98, off offset:116
	s_waitcnt vmcnt(0)
	global_store_dword v[91:92], v99, off
.LBB82_499:
	s_or_b32 exec_lo, exec_lo, s2
	v_mov_b32_e32 v98, v90
	v_mov_b32_e32 v99, v90
.LBB82_500:
	s_or_b32 exec_lo, exec_lo, s1
.LBB82_501:
	s_andn2_saveexec_b32 s0, s0
	s_cbranch_execz .LBB82_503
; %bb.502:
	v_mov_b32_e32 v90, v26
	v_mov_b32_e32 v91, v27
	;; [unrolled: 1-line block ×8, first 2 shown]
	ds_write2_b64 v96, v[90:91], v[99:100] offset0:30 offset1:31
	ds_write2_b64 v96, v[101:102], v[103:104] offset0:32 offset1:33
	v_mov_b32_e32 v90, v20
	v_mov_b32_e32 v91, v21
	;; [unrolled: 1-line block ×15, first 2 shown]
	ds_write2_b64 v96, v[90:91], v[100:101] offset0:34 offset1:35
	ds_write2_b64 v96, v[102:103], v[104:105] offset0:36 offset1:37
	;; [unrolled: 1-line block ×4, first 2 shown]
.LBB82_503:
	s_or_b32 exec_lo, exec_lo, s0
	s_mov_b32 s0, exec_lo
	s_waitcnt lgkmcnt(0)
	s_waitcnt_vscnt null, 0x0
	s_barrier
	buffer_gl0_inv
	v_cmpx_lt_i32_e32 29, v99
	s_cbranch_execz .LBB82_505
; %bb.504:
	v_mul_f64 v[28:29], v[0:1], v[28:29]
	ds_read2_b64 v[100:103], v96 offset0:30 offset1:31
	ds_read2_b64 v[104:107], v96 offset0:32 offset1:33
	;; [unrolled: 1-line block ×6, first 2 shown]
	s_waitcnt lgkmcnt(5)
	v_fma_f64 v[26:27], -v[28:29], v[100:101], v[26:27]
	v_fma_f64 v[24:25], -v[28:29], v[102:103], v[24:25]
	s_waitcnt lgkmcnt(4)
	v_fma_f64 v[22:23], -v[28:29], v[104:105], v[22:23]
	v_fma_f64 v[18:19], -v[28:29], v[106:107], v[18:19]
	;; [unrolled: 3-line block ×6, first 2 shown]
.LBB82_505:
	s_or_b32 exec_lo, exec_lo, s0
	v_lshl_add_u32 v0, v99, 3, v96
	s_barrier
	buffer_gl0_inv
	v_mov_b32_e32 v90, 30
	ds_write_b64 v0, v[26:27]
	s_waitcnt lgkmcnt(0)
	s_barrier
	buffer_gl0_inv
	ds_read_b64 v[0:1], v96 offset:240
	s_cmp_lt_i32 s7, 32
	s_cbranch_scc1 .LBB82_508
; %bb.506:
	v_add3_u32 v91, v97, 0, 0xf8
	v_mov_b32_e32 v90, 30
	s_mov_b32 s0, 31
.LBB82_507:                             ; =>This Inner Loop Header: Depth=1
	ds_read_b64 v[100:101], v91
	v_add_nc_u32_e32 v91, 8, v91
	s_waitcnt lgkmcnt(0)
	v_cmp_lt_f64_e64 vcc_lo, |v[0:1]|, |v[100:101]|
	v_cndmask_b32_e32 v1, v1, v101, vcc_lo
	v_cndmask_b32_e32 v0, v0, v100, vcc_lo
	v_cndmask_b32_e64 v90, v90, s0, vcc_lo
	s_add_i32 s0, s0, 1
	s_cmp_lg_u32 s7, s0
	s_cbranch_scc1 .LBB82_507
.LBB82_508:
	s_mov_b32 s0, exec_lo
	s_waitcnt lgkmcnt(0)
	v_cmpx_eq_f64_e32 0, v[0:1]
	s_xor_b32 s0, exec_lo, s0
; %bb.509:
	v_cmp_ne_u32_e32 vcc_lo, 0, v93
	v_cndmask_b32_e32 v93, 31, v93, vcc_lo
; %bb.510:
	s_andn2_saveexec_b32 s0, s0
	s_cbranch_execz .LBB82_512
; %bb.511:
	v_div_scale_f64 v[91:92], null, v[0:1], v[0:1], 1.0
	v_rcp_f64_e32 v[100:101], v[91:92]
	v_fma_f64 v[102:103], -v[91:92], v[100:101], 1.0
	v_fma_f64 v[100:101], v[100:101], v[102:103], v[100:101]
	v_fma_f64 v[102:103], -v[91:92], v[100:101], 1.0
	v_fma_f64 v[100:101], v[100:101], v[102:103], v[100:101]
	v_div_scale_f64 v[102:103], vcc_lo, 1.0, v[0:1], 1.0
	v_mul_f64 v[104:105], v[102:103], v[100:101]
	v_fma_f64 v[91:92], -v[91:92], v[104:105], v[102:103]
	v_div_fmas_f64 v[91:92], v[91:92], v[100:101], v[104:105]
	v_div_fixup_f64 v[0:1], v[91:92], v[0:1], 1.0
.LBB82_512:
	s_or_b32 exec_lo, exec_lo, s0
	s_mov_b32 s0, exec_lo
	v_cmpx_ne_u32_e64 v99, v90
	s_xor_b32 s0, exec_lo, s0
	s_cbranch_execz .LBB82_518
; %bb.513:
	s_mov_b32 s1, exec_lo
	v_cmpx_eq_u32_e32 30, v99
	s_cbranch_execz .LBB82_517
; %bb.514:
	v_cmp_ne_u32_e32 vcc_lo, 30, v90
	s_xor_b32 s2, s6, -1
	s_and_b32 s3, s2, vcc_lo
	s_and_saveexec_b32 s2, s3
	s_cbranch_execz .LBB82_516
; %bb.515:
	v_ashrrev_i32_e32 v91, 31, v90
	v_lshlrev_b64 v[91:92], 2, v[90:91]
	v_add_co_u32 v91, vcc_lo, v4, v91
	v_add_co_ci_u32_e64 v92, null, v5, v92, vcc_lo
	s_clause 0x1
	global_load_dword v98, v[91:92], off
	global_load_dword v99, v[4:5], off offset:120
	s_waitcnt vmcnt(1)
	global_store_dword v[4:5], v98, off offset:120
	s_waitcnt vmcnt(0)
	global_store_dword v[91:92], v99, off
.LBB82_516:
	s_or_b32 exec_lo, exec_lo, s2
	v_mov_b32_e32 v98, v90
	v_mov_b32_e32 v99, v90
.LBB82_517:
	s_or_b32 exec_lo, exec_lo, s1
.LBB82_518:
	s_andn2_saveexec_b32 s0, s0
	s_cbranch_execz .LBB82_520
; %bb.519:
	v_mov_b32_e32 v99, 30
	ds_write2_b64 v96, v[24:25], v[22:23] offset0:31 offset1:32
	ds_write2_b64 v96, v[18:19], v[20:21] offset0:33 offset1:34
	;; [unrolled: 1-line block ×5, first 2 shown]
	ds_write_b64 v96, v[88:89] offset:328
.LBB82_520:
	s_or_b32 exec_lo, exec_lo, s0
	s_mov_b32 s0, exec_lo
	s_waitcnt lgkmcnt(0)
	s_waitcnt_vscnt null, 0x0
	s_barrier
	buffer_gl0_inv
	v_cmpx_lt_i32_e32 30, v99
	s_cbranch_execz .LBB82_522
; %bb.521:
	v_mul_f64 v[26:27], v[0:1], v[26:27]
	ds_read2_b64 v[100:103], v96 offset0:31 offset1:32
	ds_read2_b64 v[104:107], v96 offset0:33 offset1:34
	;; [unrolled: 1-line block ×5, first 2 shown]
	ds_read_b64 v[0:1], v96 offset:328
	s_waitcnt lgkmcnt(5)
	v_fma_f64 v[24:25], -v[26:27], v[100:101], v[24:25]
	v_fma_f64 v[22:23], -v[26:27], v[102:103], v[22:23]
	s_waitcnt lgkmcnt(4)
	v_fma_f64 v[18:19], -v[26:27], v[104:105], v[18:19]
	v_fma_f64 v[20:21], -v[26:27], v[106:107], v[20:21]
	;; [unrolled: 3-line block ×5, first 2 shown]
	s_waitcnt lgkmcnt(0)
	v_fma_f64 v[88:89], -v[26:27], v[0:1], v[88:89]
.LBB82_522:
	s_or_b32 exec_lo, exec_lo, s0
	v_lshl_add_u32 v0, v99, 3, v96
	s_barrier
	buffer_gl0_inv
	v_mov_b32_e32 v90, 31
	ds_write_b64 v0, v[24:25]
	s_waitcnt lgkmcnt(0)
	s_barrier
	buffer_gl0_inv
	ds_read_b64 v[0:1], v96 offset:248
	s_cmp_lt_i32 s7, 33
	s_cbranch_scc1 .LBB82_525
; %bb.523:
	v_add3_u32 v91, v97, 0, 0x100
	v_mov_b32_e32 v90, 31
	s_mov_b32 s0, 32
.LBB82_524:                             ; =>This Inner Loop Header: Depth=1
	ds_read_b64 v[100:101], v91
	v_add_nc_u32_e32 v91, 8, v91
	s_waitcnt lgkmcnt(0)
	v_cmp_lt_f64_e64 vcc_lo, |v[0:1]|, |v[100:101]|
	v_cndmask_b32_e32 v1, v1, v101, vcc_lo
	v_cndmask_b32_e32 v0, v0, v100, vcc_lo
	v_cndmask_b32_e64 v90, v90, s0, vcc_lo
	s_add_i32 s0, s0, 1
	s_cmp_lg_u32 s7, s0
	s_cbranch_scc1 .LBB82_524
.LBB82_525:
	s_mov_b32 s0, exec_lo
	s_waitcnt lgkmcnt(0)
	v_cmpx_eq_f64_e32 0, v[0:1]
	s_xor_b32 s0, exec_lo, s0
; %bb.526:
	v_cmp_ne_u32_e32 vcc_lo, 0, v93
	v_cndmask_b32_e32 v93, 32, v93, vcc_lo
; %bb.527:
	s_andn2_saveexec_b32 s0, s0
	s_cbranch_execz .LBB82_529
; %bb.528:
	v_div_scale_f64 v[91:92], null, v[0:1], v[0:1], 1.0
	v_rcp_f64_e32 v[100:101], v[91:92]
	v_fma_f64 v[102:103], -v[91:92], v[100:101], 1.0
	v_fma_f64 v[100:101], v[100:101], v[102:103], v[100:101]
	v_fma_f64 v[102:103], -v[91:92], v[100:101], 1.0
	v_fma_f64 v[100:101], v[100:101], v[102:103], v[100:101]
	v_div_scale_f64 v[102:103], vcc_lo, 1.0, v[0:1], 1.0
	v_mul_f64 v[104:105], v[102:103], v[100:101]
	v_fma_f64 v[91:92], -v[91:92], v[104:105], v[102:103]
	v_div_fmas_f64 v[91:92], v[91:92], v[100:101], v[104:105]
	v_div_fixup_f64 v[0:1], v[91:92], v[0:1], 1.0
.LBB82_529:
	s_or_b32 exec_lo, exec_lo, s0
	s_mov_b32 s0, exec_lo
	v_cmpx_ne_u32_e64 v99, v90
	s_xor_b32 s0, exec_lo, s0
	s_cbranch_execz .LBB82_535
; %bb.530:
	s_mov_b32 s1, exec_lo
	v_cmpx_eq_u32_e32 31, v99
	s_cbranch_execz .LBB82_534
; %bb.531:
	v_cmp_ne_u32_e32 vcc_lo, 31, v90
	s_xor_b32 s2, s6, -1
	s_and_b32 s3, s2, vcc_lo
	s_and_saveexec_b32 s2, s3
	s_cbranch_execz .LBB82_533
; %bb.532:
	v_ashrrev_i32_e32 v91, 31, v90
	v_lshlrev_b64 v[91:92], 2, v[90:91]
	v_add_co_u32 v91, vcc_lo, v4, v91
	v_add_co_ci_u32_e64 v92, null, v5, v92, vcc_lo
	s_clause 0x1
	global_load_dword v98, v[91:92], off
	global_load_dword v99, v[4:5], off offset:124
	s_waitcnt vmcnt(1)
	global_store_dword v[4:5], v98, off offset:124
	s_waitcnt vmcnt(0)
	global_store_dword v[91:92], v99, off
.LBB82_533:
	s_or_b32 exec_lo, exec_lo, s2
	v_mov_b32_e32 v98, v90
	v_mov_b32_e32 v99, v90
.LBB82_534:
	s_or_b32 exec_lo, exec_lo, s1
.LBB82_535:
	s_andn2_saveexec_b32 s0, s0
	s_cbranch_execz .LBB82_537
; %bb.536:
	v_mov_b32_e32 v90, v22
	v_mov_b32_e32 v91, v23
	;; [unrolled: 1-line block ×8, first 2 shown]
	ds_write2_b64 v96, v[90:91], v[99:100] offset0:32 offset1:33
	v_mov_b32_e32 v90, v16
	v_mov_b32_e32 v91, v17
	;; [unrolled: 1-line block ×11, first 2 shown]
	ds_write2_b64 v96, v[101:102], v[90:91] offset0:34 offset1:35
	ds_write2_b64 v96, v[103:104], v[105:106] offset0:36 offset1:37
	;; [unrolled: 1-line block ×4, first 2 shown]
.LBB82_537:
	s_or_b32 exec_lo, exec_lo, s0
	s_mov_b32 s0, exec_lo
	s_waitcnt lgkmcnt(0)
	s_waitcnt_vscnt null, 0x0
	s_barrier
	buffer_gl0_inv
	v_cmpx_lt_i32_e32 31, v99
	s_cbranch_execz .LBB82_539
; %bb.538:
	v_mul_f64 v[24:25], v[0:1], v[24:25]
	ds_read2_b64 v[100:103], v96 offset0:32 offset1:33
	ds_read2_b64 v[104:107], v96 offset0:34 offset1:35
	;; [unrolled: 1-line block ×5, first 2 shown]
	s_waitcnt lgkmcnt(4)
	v_fma_f64 v[22:23], -v[24:25], v[100:101], v[22:23]
	v_fma_f64 v[18:19], -v[24:25], v[102:103], v[18:19]
	s_waitcnt lgkmcnt(3)
	v_fma_f64 v[20:21], -v[24:25], v[104:105], v[20:21]
	v_fma_f64 v[16:17], -v[24:25], v[106:107], v[16:17]
	;; [unrolled: 3-line block ×5, first 2 shown]
.LBB82_539:
	s_or_b32 exec_lo, exec_lo, s0
	v_lshl_add_u32 v0, v99, 3, v96
	s_barrier
	buffer_gl0_inv
	v_mov_b32_e32 v90, 32
	ds_write_b64 v0, v[22:23]
	s_waitcnt lgkmcnt(0)
	s_barrier
	buffer_gl0_inv
	ds_read_b64 v[0:1], v96 offset:256
	s_cmp_lt_i32 s7, 34
	s_cbranch_scc1 .LBB82_542
; %bb.540:
	v_add3_u32 v91, v97, 0, 0x108
	v_mov_b32_e32 v90, 32
	s_mov_b32 s0, 33
.LBB82_541:                             ; =>This Inner Loop Header: Depth=1
	ds_read_b64 v[100:101], v91
	v_add_nc_u32_e32 v91, 8, v91
	s_waitcnt lgkmcnt(0)
	v_cmp_lt_f64_e64 vcc_lo, |v[0:1]|, |v[100:101]|
	v_cndmask_b32_e32 v1, v1, v101, vcc_lo
	v_cndmask_b32_e32 v0, v0, v100, vcc_lo
	v_cndmask_b32_e64 v90, v90, s0, vcc_lo
	s_add_i32 s0, s0, 1
	s_cmp_lg_u32 s7, s0
	s_cbranch_scc1 .LBB82_541
.LBB82_542:
	s_mov_b32 s0, exec_lo
	s_waitcnt lgkmcnt(0)
	v_cmpx_eq_f64_e32 0, v[0:1]
	s_xor_b32 s0, exec_lo, s0
; %bb.543:
	v_cmp_ne_u32_e32 vcc_lo, 0, v93
	v_cndmask_b32_e32 v93, 33, v93, vcc_lo
; %bb.544:
	s_andn2_saveexec_b32 s0, s0
	s_cbranch_execz .LBB82_546
; %bb.545:
	v_div_scale_f64 v[91:92], null, v[0:1], v[0:1], 1.0
	v_rcp_f64_e32 v[100:101], v[91:92]
	v_fma_f64 v[102:103], -v[91:92], v[100:101], 1.0
	v_fma_f64 v[100:101], v[100:101], v[102:103], v[100:101]
	v_fma_f64 v[102:103], -v[91:92], v[100:101], 1.0
	v_fma_f64 v[100:101], v[100:101], v[102:103], v[100:101]
	v_div_scale_f64 v[102:103], vcc_lo, 1.0, v[0:1], 1.0
	v_mul_f64 v[104:105], v[102:103], v[100:101]
	v_fma_f64 v[91:92], -v[91:92], v[104:105], v[102:103]
	v_div_fmas_f64 v[91:92], v[91:92], v[100:101], v[104:105]
	v_div_fixup_f64 v[0:1], v[91:92], v[0:1], 1.0
.LBB82_546:
	s_or_b32 exec_lo, exec_lo, s0
	s_mov_b32 s0, exec_lo
	v_cmpx_ne_u32_e64 v99, v90
	s_xor_b32 s0, exec_lo, s0
	s_cbranch_execz .LBB82_552
; %bb.547:
	s_mov_b32 s1, exec_lo
	v_cmpx_eq_u32_e32 32, v99
	s_cbranch_execz .LBB82_551
; %bb.548:
	v_cmp_ne_u32_e32 vcc_lo, 32, v90
	s_xor_b32 s2, s6, -1
	s_and_b32 s3, s2, vcc_lo
	s_and_saveexec_b32 s2, s3
	s_cbranch_execz .LBB82_550
; %bb.549:
	v_ashrrev_i32_e32 v91, 31, v90
	v_lshlrev_b64 v[91:92], 2, v[90:91]
	v_add_co_u32 v91, vcc_lo, v4, v91
	v_add_co_ci_u32_e64 v92, null, v5, v92, vcc_lo
	s_clause 0x1
	global_load_dword v98, v[91:92], off
	global_load_dword v99, v[4:5], off offset:128
	s_waitcnt vmcnt(1)
	global_store_dword v[4:5], v98, off offset:128
	s_waitcnt vmcnt(0)
	global_store_dword v[91:92], v99, off
.LBB82_550:
	s_or_b32 exec_lo, exec_lo, s2
	v_mov_b32_e32 v98, v90
	v_mov_b32_e32 v99, v90
.LBB82_551:
	s_or_b32 exec_lo, exec_lo, s1
.LBB82_552:
	s_andn2_saveexec_b32 s0, s0
	s_cbranch_execz .LBB82_554
; %bb.553:
	v_mov_b32_e32 v99, 32
	ds_write2_b64 v96, v[18:19], v[20:21] offset0:33 offset1:34
	ds_write2_b64 v96, v[16:17], v[14:15] offset0:35 offset1:36
	;; [unrolled: 1-line block ×4, first 2 shown]
	ds_write_b64 v96, v[88:89] offset:328
.LBB82_554:
	s_or_b32 exec_lo, exec_lo, s0
	s_mov_b32 s0, exec_lo
	s_waitcnt lgkmcnt(0)
	s_waitcnt_vscnt null, 0x0
	s_barrier
	buffer_gl0_inv
	v_cmpx_lt_i32_e32 32, v99
	s_cbranch_execz .LBB82_556
; %bb.555:
	v_mul_f64 v[22:23], v[0:1], v[22:23]
	ds_read2_b64 v[100:103], v96 offset0:33 offset1:34
	ds_read2_b64 v[104:107], v96 offset0:35 offset1:36
	;; [unrolled: 1-line block ×4, first 2 shown]
	ds_read_b64 v[0:1], v96 offset:328
	s_waitcnt lgkmcnt(4)
	v_fma_f64 v[18:19], -v[22:23], v[100:101], v[18:19]
	v_fma_f64 v[20:21], -v[22:23], v[102:103], v[20:21]
	s_waitcnt lgkmcnt(3)
	v_fma_f64 v[16:17], -v[22:23], v[104:105], v[16:17]
	v_fma_f64 v[14:15], -v[22:23], v[106:107], v[14:15]
	;; [unrolled: 3-line block ×4, first 2 shown]
	s_waitcnt lgkmcnt(0)
	v_fma_f64 v[88:89], -v[22:23], v[0:1], v[88:89]
.LBB82_556:
	s_or_b32 exec_lo, exec_lo, s0
	v_lshl_add_u32 v0, v99, 3, v96
	s_barrier
	buffer_gl0_inv
	v_mov_b32_e32 v90, 33
	ds_write_b64 v0, v[18:19]
	s_waitcnt lgkmcnt(0)
	s_barrier
	buffer_gl0_inv
	ds_read_b64 v[0:1], v96 offset:264
	s_cmp_lt_i32 s7, 35
	s_cbranch_scc1 .LBB82_559
; %bb.557:
	v_add3_u32 v91, v97, 0, 0x110
	v_mov_b32_e32 v90, 33
	s_mov_b32 s0, 34
.LBB82_558:                             ; =>This Inner Loop Header: Depth=1
	ds_read_b64 v[100:101], v91
	v_add_nc_u32_e32 v91, 8, v91
	s_waitcnt lgkmcnt(0)
	v_cmp_lt_f64_e64 vcc_lo, |v[0:1]|, |v[100:101]|
	v_cndmask_b32_e32 v1, v1, v101, vcc_lo
	v_cndmask_b32_e32 v0, v0, v100, vcc_lo
	v_cndmask_b32_e64 v90, v90, s0, vcc_lo
	s_add_i32 s0, s0, 1
	s_cmp_lg_u32 s7, s0
	s_cbranch_scc1 .LBB82_558
.LBB82_559:
	s_mov_b32 s0, exec_lo
	s_waitcnt lgkmcnt(0)
	v_cmpx_eq_f64_e32 0, v[0:1]
	s_xor_b32 s0, exec_lo, s0
; %bb.560:
	v_cmp_ne_u32_e32 vcc_lo, 0, v93
	v_cndmask_b32_e32 v93, 34, v93, vcc_lo
; %bb.561:
	s_andn2_saveexec_b32 s0, s0
	s_cbranch_execz .LBB82_563
; %bb.562:
	v_div_scale_f64 v[91:92], null, v[0:1], v[0:1], 1.0
	v_rcp_f64_e32 v[100:101], v[91:92]
	v_fma_f64 v[102:103], -v[91:92], v[100:101], 1.0
	v_fma_f64 v[100:101], v[100:101], v[102:103], v[100:101]
	v_fma_f64 v[102:103], -v[91:92], v[100:101], 1.0
	v_fma_f64 v[100:101], v[100:101], v[102:103], v[100:101]
	v_div_scale_f64 v[102:103], vcc_lo, 1.0, v[0:1], 1.0
	v_mul_f64 v[104:105], v[102:103], v[100:101]
	v_fma_f64 v[91:92], -v[91:92], v[104:105], v[102:103]
	v_div_fmas_f64 v[91:92], v[91:92], v[100:101], v[104:105]
	v_div_fixup_f64 v[0:1], v[91:92], v[0:1], 1.0
.LBB82_563:
	s_or_b32 exec_lo, exec_lo, s0
	s_mov_b32 s0, exec_lo
	v_cmpx_ne_u32_e64 v99, v90
	s_xor_b32 s0, exec_lo, s0
	s_cbranch_execz .LBB82_569
; %bb.564:
	s_mov_b32 s1, exec_lo
	v_cmpx_eq_u32_e32 33, v99
	s_cbranch_execz .LBB82_568
; %bb.565:
	v_cmp_ne_u32_e32 vcc_lo, 33, v90
	s_xor_b32 s2, s6, -1
	s_and_b32 s3, s2, vcc_lo
	s_and_saveexec_b32 s2, s3
	s_cbranch_execz .LBB82_567
; %bb.566:
	v_ashrrev_i32_e32 v91, 31, v90
	v_lshlrev_b64 v[91:92], 2, v[90:91]
	v_add_co_u32 v91, vcc_lo, v4, v91
	v_add_co_ci_u32_e64 v92, null, v5, v92, vcc_lo
	s_clause 0x1
	global_load_dword v98, v[91:92], off
	global_load_dword v99, v[4:5], off offset:132
	s_waitcnt vmcnt(1)
	global_store_dword v[4:5], v98, off offset:132
	s_waitcnt vmcnt(0)
	global_store_dword v[91:92], v99, off
.LBB82_567:
	s_or_b32 exec_lo, exec_lo, s2
	v_mov_b32_e32 v98, v90
	v_mov_b32_e32 v99, v90
.LBB82_568:
	s_or_b32 exec_lo, exec_lo, s1
.LBB82_569:
	s_andn2_saveexec_b32 s0, s0
	s_cbranch_execz .LBB82_571
; %bb.570:
	v_mov_b32_e32 v90, v20
	v_mov_b32_e32 v91, v21
	;; [unrolled: 1-line block ×15, first 2 shown]
	ds_write2_b64 v96, v[90:91], v[100:101] offset0:34 offset1:35
	ds_write2_b64 v96, v[102:103], v[104:105] offset0:36 offset1:37
	ds_write2_b64 v96, v[106:107], v[108:109] offset0:38 offset1:39
	ds_write2_b64 v96, v[110:111], v[88:89] offset0:40 offset1:41
.LBB82_571:
	s_or_b32 exec_lo, exec_lo, s0
	s_mov_b32 s0, exec_lo
	s_waitcnt lgkmcnt(0)
	s_waitcnt_vscnt null, 0x0
	s_barrier
	buffer_gl0_inv
	v_cmpx_lt_i32_e32 33, v99
	s_cbranch_execz .LBB82_573
; %bb.572:
	v_mul_f64 v[18:19], v[0:1], v[18:19]
	ds_read2_b64 v[100:103], v96 offset0:34 offset1:35
	ds_read2_b64 v[104:107], v96 offset0:36 offset1:37
	;; [unrolled: 1-line block ×4, first 2 shown]
	s_waitcnt lgkmcnt(3)
	v_fma_f64 v[20:21], -v[18:19], v[100:101], v[20:21]
	v_fma_f64 v[16:17], -v[18:19], v[102:103], v[16:17]
	s_waitcnt lgkmcnt(2)
	v_fma_f64 v[14:15], -v[18:19], v[104:105], v[14:15]
	v_fma_f64 v[8:9], -v[18:19], v[106:107], v[8:9]
	;; [unrolled: 3-line block ×4, first 2 shown]
.LBB82_573:
	s_or_b32 exec_lo, exec_lo, s0
	v_lshl_add_u32 v0, v99, 3, v96
	s_barrier
	buffer_gl0_inv
	v_mov_b32_e32 v90, 34
	ds_write_b64 v0, v[20:21]
	s_waitcnt lgkmcnt(0)
	s_barrier
	buffer_gl0_inv
	ds_read_b64 v[0:1], v96 offset:272
	s_cmp_lt_i32 s7, 36
	s_cbranch_scc1 .LBB82_576
; %bb.574:
	v_add3_u32 v91, v97, 0, 0x118
	v_mov_b32_e32 v90, 34
	s_mov_b32 s0, 35
.LBB82_575:                             ; =>This Inner Loop Header: Depth=1
	ds_read_b64 v[100:101], v91
	v_add_nc_u32_e32 v91, 8, v91
	s_waitcnt lgkmcnt(0)
	v_cmp_lt_f64_e64 vcc_lo, |v[0:1]|, |v[100:101]|
	v_cndmask_b32_e32 v1, v1, v101, vcc_lo
	v_cndmask_b32_e32 v0, v0, v100, vcc_lo
	v_cndmask_b32_e64 v90, v90, s0, vcc_lo
	s_add_i32 s0, s0, 1
	s_cmp_lg_u32 s7, s0
	s_cbranch_scc1 .LBB82_575
.LBB82_576:
	s_mov_b32 s0, exec_lo
	s_waitcnt lgkmcnt(0)
	v_cmpx_eq_f64_e32 0, v[0:1]
	s_xor_b32 s0, exec_lo, s0
; %bb.577:
	v_cmp_ne_u32_e32 vcc_lo, 0, v93
	v_cndmask_b32_e32 v93, 35, v93, vcc_lo
; %bb.578:
	s_andn2_saveexec_b32 s0, s0
	s_cbranch_execz .LBB82_580
; %bb.579:
	v_div_scale_f64 v[91:92], null, v[0:1], v[0:1], 1.0
	v_rcp_f64_e32 v[100:101], v[91:92]
	v_fma_f64 v[102:103], -v[91:92], v[100:101], 1.0
	v_fma_f64 v[100:101], v[100:101], v[102:103], v[100:101]
	v_fma_f64 v[102:103], -v[91:92], v[100:101], 1.0
	v_fma_f64 v[100:101], v[100:101], v[102:103], v[100:101]
	v_div_scale_f64 v[102:103], vcc_lo, 1.0, v[0:1], 1.0
	v_mul_f64 v[104:105], v[102:103], v[100:101]
	v_fma_f64 v[91:92], -v[91:92], v[104:105], v[102:103]
	v_div_fmas_f64 v[91:92], v[91:92], v[100:101], v[104:105]
	v_div_fixup_f64 v[0:1], v[91:92], v[0:1], 1.0
.LBB82_580:
	s_or_b32 exec_lo, exec_lo, s0
	s_mov_b32 s0, exec_lo
	v_cmpx_ne_u32_e64 v99, v90
	s_xor_b32 s0, exec_lo, s0
	s_cbranch_execz .LBB82_586
; %bb.581:
	s_mov_b32 s1, exec_lo
	v_cmpx_eq_u32_e32 34, v99
	s_cbranch_execz .LBB82_585
; %bb.582:
	v_cmp_ne_u32_e32 vcc_lo, 34, v90
	s_xor_b32 s2, s6, -1
	s_and_b32 s3, s2, vcc_lo
	s_and_saveexec_b32 s2, s3
	s_cbranch_execz .LBB82_584
; %bb.583:
	v_ashrrev_i32_e32 v91, 31, v90
	v_lshlrev_b64 v[91:92], 2, v[90:91]
	v_add_co_u32 v91, vcc_lo, v4, v91
	v_add_co_ci_u32_e64 v92, null, v5, v92, vcc_lo
	s_clause 0x1
	global_load_dword v98, v[91:92], off
	global_load_dword v99, v[4:5], off offset:136
	s_waitcnt vmcnt(1)
	global_store_dword v[4:5], v98, off offset:136
	s_waitcnt vmcnt(0)
	global_store_dword v[91:92], v99, off
.LBB82_584:
	s_or_b32 exec_lo, exec_lo, s2
	v_mov_b32_e32 v98, v90
	v_mov_b32_e32 v99, v90
.LBB82_585:
	s_or_b32 exec_lo, exec_lo, s1
.LBB82_586:
	s_andn2_saveexec_b32 s0, s0
	s_cbranch_execz .LBB82_588
; %bb.587:
	v_mov_b32_e32 v99, 34
	ds_write2_b64 v96, v[16:17], v[14:15] offset0:35 offset1:36
	ds_write2_b64 v96, v[8:9], v[12:13] offset0:37 offset1:38
	ds_write2_b64 v96, v[6:7], v[10:11] offset0:39 offset1:40
	ds_write_b64 v96, v[88:89] offset:328
.LBB82_588:
	s_or_b32 exec_lo, exec_lo, s0
	s_mov_b32 s0, exec_lo
	s_waitcnt lgkmcnt(0)
	s_waitcnt_vscnt null, 0x0
	s_barrier
	buffer_gl0_inv
	v_cmpx_lt_i32_e32 34, v99
	s_cbranch_execz .LBB82_590
; %bb.589:
	v_mul_f64 v[20:21], v[0:1], v[20:21]
	ds_read2_b64 v[100:103], v96 offset0:35 offset1:36
	ds_read2_b64 v[104:107], v96 offset0:37 offset1:38
	;; [unrolled: 1-line block ×3, first 2 shown]
	ds_read_b64 v[0:1], v96 offset:328
	s_waitcnt lgkmcnt(3)
	v_fma_f64 v[16:17], -v[20:21], v[100:101], v[16:17]
	v_fma_f64 v[14:15], -v[20:21], v[102:103], v[14:15]
	s_waitcnt lgkmcnt(2)
	v_fma_f64 v[8:9], -v[20:21], v[104:105], v[8:9]
	v_fma_f64 v[12:13], -v[20:21], v[106:107], v[12:13]
	s_waitcnt lgkmcnt(1)
	v_fma_f64 v[6:7], -v[20:21], v[108:109], v[6:7]
	v_fma_f64 v[10:11], -v[20:21], v[110:111], v[10:11]
	s_waitcnt lgkmcnt(0)
	v_fma_f64 v[88:89], -v[20:21], v[0:1], v[88:89]
.LBB82_590:
	s_or_b32 exec_lo, exec_lo, s0
	v_lshl_add_u32 v0, v99, 3, v96
	s_barrier
	buffer_gl0_inv
	v_mov_b32_e32 v90, 35
	ds_write_b64 v0, v[16:17]
	s_waitcnt lgkmcnt(0)
	s_barrier
	buffer_gl0_inv
	ds_read_b64 v[0:1], v96 offset:280
	s_cmp_lt_i32 s7, 37
	s_cbranch_scc1 .LBB82_593
; %bb.591:
	v_add3_u32 v91, v97, 0, 0x120
	v_mov_b32_e32 v90, 35
	s_mov_b32 s0, 36
.LBB82_592:                             ; =>This Inner Loop Header: Depth=1
	ds_read_b64 v[100:101], v91
	v_add_nc_u32_e32 v91, 8, v91
	s_waitcnt lgkmcnt(0)
	v_cmp_lt_f64_e64 vcc_lo, |v[0:1]|, |v[100:101]|
	v_cndmask_b32_e32 v1, v1, v101, vcc_lo
	v_cndmask_b32_e32 v0, v0, v100, vcc_lo
	v_cndmask_b32_e64 v90, v90, s0, vcc_lo
	s_add_i32 s0, s0, 1
	s_cmp_lg_u32 s7, s0
	s_cbranch_scc1 .LBB82_592
.LBB82_593:
	s_mov_b32 s0, exec_lo
	s_waitcnt lgkmcnt(0)
	v_cmpx_eq_f64_e32 0, v[0:1]
	s_xor_b32 s0, exec_lo, s0
; %bb.594:
	v_cmp_ne_u32_e32 vcc_lo, 0, v93
	v_cndmask_b32_e32 v93, 36, v93, vcc_lo
; %bb.595:
	s_andn2_saveexec_b32 s0, s0
	s_cbranch_execz .LBB82_597
; %bb.596:
	v_div_scale_f64 v[91:92], null, v[0:1], v[0:1], 1.0
	v_rcp_f64_e32 v[100:101], v[91:92]
	v_fma_f64 v[102:103], -v[91:92], v[100:101], 1.0
	v_fma_f64 v[100:101], v[100:101], v[102:103], v[100:101]
	v_fma_f64 v[102:103], -v[91:92], v[100:101], 1.0
	v_fma_f64 v[100:101], v[100:101], v[102:103], v[100:101]
	v_div_scale_f64 v[102:103], vcc_lo, 1.0, v[0:1], 1.0
	v_mul_f64 v[104:105], v[102:103], v[100:101]
	v_fma_f64 v[91:92], -v[91:92], v[104:105], v[102:103]
	v_div_fmas_f64 v[91:92], v[91:92], v[100:101], v[104:105]
	v_div_fixup_f64 v[0:1], v[91:92], v[0:1], 1.0
.LBB82_597:
	s_or_b32 exec_lo, exec_lo, s0
	s_mov_b32 s0, exec_lo
	v_cmpx_ne_u32_e64 v99, v90
	s_xor_b32 s0, exec_lo, s0
	s_cbranch_execz .LBB82_603
; %bb.598:
	s_mov_b32 s1, exec_lo
	v_cmpx_eq_u32_e32 35, v99
	s_cbranch_execz .LBB82_602
; %bb.599:
	v_cmp_ne_u32_e32 vcc_lo, 35, v90
	s_xor_b32 s2, s6, -1
	s_and_b32 s3, s2, vcc_lo
	s_and_saveexec_b32 s2, s3
	s_cbranch_execz .LBB82_601
; %bb.600:
	v_ashrrev_i32_e32 v91, 31, v90
	v_lshlrev_b64 v[91:92], 2, v[90:91]
	v_add_co_u32 v91, vcc_lo, v4, v91
	v_add_co_ci_u32_e64 v92, null, v5, v92, vcc_lo
	s_clause 0x1
	global_load_dword v98, v[91:92], off
	global_load_dword v99, v[4:5], off offset:140
	s_waitcnt vmcnt(1)
	global_store_dword v[4:5], v98, off offset:140
	s_waitcnt vmcnt(0)
	global_store_dword v[91:92], v99, off
.LBB82_601:
	s_or_b32 exec_lo, exec_lo, s2
	v_mov_b32_e32 v98, v90
	v_mov_b32_e32 v99, v90
.LBB82_602:
	s_or_b32 exec_lo, exec_lo, s1
.LBB82_603:
	s_andn2_saveexec_b32 s0, s0
	s_cbranch_execz .LBB82_605
; %bb.604:
	v_mov_b32_e32 v90, v14
	v_mov_b32_e32 v91, v15
	;; [unrolled: 1-line block ×11, first 2 shown]
	ds_write2_b64 v96, v[90:91], v[100:101] offset0:36 offset1:37
	ds_write2_b64 v96, v[102:103], v[104:105] offset0:38 offset1:39
	;; [unrolled: 1-line block ×3, first 2 shown]
.LBB82_605:
	s_or_b32 exec_lo, exec_lo, s0
	s_mov_b32 s0, exec_lo
	s_waitcnt lgkmcnt(0)
	s_waitcnt_vscnt null, 0x0
	s_barrier
	buffer_gl0_inv
	v_cmpx_lt_i32_e32 35, v99
	s_cbranch_execz .LBB82_607
; %bb.606:
	v_mul_f64 v[16:17], v[0:1], v[16:17]
	ds_read2_b64 v[100:103], v96 offset0:36 offset1:37
	ds_read2_b64 v[104:107], v96 offset0:38 offset1:39
	ds_read2_b64 v[108:111], v96 offset0:40 offset1:41
	s_waitcnt lgkmcnt(2)
	v_fma_f64 v[14:15], -v[16:17], v[100:101], v[14:15]
	v_fma_f64 v[8:9], -v[16:17], v[102:103], v[8:9]
	s_waitcnt lgkmcnt(1)
	v_fma_f64 v[12:13], -v[16:17], v[104:105], v[12:13]
	v_fma_f64 v[6:7], -v[16:17], v[106:107], v[6:7]
	s_waitcnt lgkmcnt(0)
	v_fma_f64 v[10:11], -v[16:17], v[108:109], v[10:11]
	v_fma_f64 v[88:89], -v[16:17], v[110:111], v[88:89]
.LBB82_607:
	s_or_b32 exec_lo, exec_lo, s0
	v_lshl_add_u32 v0, v99, 3, v96
	s_barrier
	buffer_gl0_inv
	v_mov_b32_e32 v90, 36
	ds_write_b64 v0, v[14:15]
	s_waitcnt lgkmcnt(0)
	s_barrier
	buffer_gl0_inv
	ds_read_b64 v[0:1], v96 offset:288
	s_cmp_lt_i32 s7, 38
	s_cbranch_scc1 .LBB82_610
; %bb.608:
	v_add3_u32 v91, v97, 0, 0x128
	v_mov_b32_e32 v90, 36
	s_mov_b32 s0, 37
.LBB82_609:                             ; =>This Inner Loop Header: Depth=1
	ds_read_b64 v[100:101], v91
	v_add_nc_u32_e32 v91, 8, v91
	s_waitcnt lgkmcnt(0)
	v_cmp_lt_f64_e64 vcc_lo, |v[0:1]|, |v[100:101]|
	v_cndmask_b32_e32 v1, v1, v101, vcc_lo
	v_cndmask_b32_e32 v0, v0, v100, vcc_lo
	v_cndmask_b32_e64 v90, v90, s0, vcc_lo
	s_add_i32 s0, s0, 1
	s_cmp_lg_u32 s7, s0
	s_cbranch_scc1 .LBB82_609
.LBB82_610:
	s_mov_b32 s0, exec_lo
	s_waitcnt lgkmcnt(0)
	v_cmpx_eq_f64_e32 0, v[0:1]
	s_xor_b32 s0, exec_lo, s0
; %bb.611:
	v_cmp_ne_u32_e32 vcc_lo, 0, v93
	v_cndmask_b32_e32 v93, 37, v93, vcc_lo
; %bb.612:
	s_andn2_saveexec_b32 s0, s0
	s_cbranch_execz .LBB82_614
; %bb.613:
	v_div_scale_f64 v[91:92], null, v[0:1], v[0:1], 1.0
	v_rcp_f64_e32 v[100:101], v[91:92]
	v_fma_f64 v[102:103], -v[91:92], v[100:101], 1.0
	v_fma_f64 v[100:101], v[100:101], v[102:103], v[100:101]
	v_fma_f64 v[102:103], -v[91:92], v[100:101], 1.0
	v_fma_f64 v[100:101], v[100:101], v[102:103], v[100:101]
	v_div_scale_f64 v[102:103], vcc_lo, 1.0, v[0:1], 1.0
	v_mul_f64 v[104:105], v[102:103], v[100:101]
	v_fma_f64 v[91:92], -v[91:92], v[104:105], v[102:103]
	v_div_fmas_f64 v[91:92], v[91:92], v[100:101], v[104:105]
	v_div_fixup_f64 v[0:1], v[91:92], v[0:1], 1.0
.LBB82_614:
	s_or_b32 exec_lo, exec_lo, s0
	s_mov_b32 s0, exec_lo
	v_cmpx_ne_u32_e64 v99, v90
	s_xor_b32 s0, exec_lo, s0
	s_cbranch_execz .LBB82_620
; %bb.615:
	s_mov_b32 s1, exec_lo
	v_cmpx_eq_u32_e32 36, v99
	s_cbranch_execz .LBB82_619
; %bb.616:
	v_cmp_ne_u32_e32 vcc_lo, 36, v90
	s_xor_b32 s2, s6, -1
	s_and_b32 s3, s2, vcc_lo
	s_and_saveexec_b32 s2, s3
	s_cbranch_execz .LBB82_618
; %bb.617:
	v_ashrrev_i32_e32 v91, 31, v90
	v_lshlrev_b64 v[91:92], 2, v[90:91]
	v_add_co_u32 v91, vcc_lo, v4, v91
	v_add_co_ci_u32_e64 v92, null, v5, v92, vcc_lo
	s_clause 0x1
	global_load_dword v98, v[91:92], off
	global_load_dword v99, v[4:5], off offset:144
	s_waitcnt vmcnt(1)
	global_store_dword v[4:5], v98, off offset:144
	s_waitcnt vmcnt(0)
	global_store_dword v[91:92], v99, off
.LBB82_618:
	s_or_b32 exec_lo, exec_lo, s2
	v_mov_b32_e32 v98, v90
	v_mov_b32_e32 v99, v90
.LBB82_619:
	s_or_b32 exec_lo, exec_lo, s1
.LBB82_620:
	s_andn2_saveexec_b32 s0, s0
	s_cbranch_execz .LBB82_622
; %bb.621:
	v_mov_b32_e32 v99, 36
	ds_write2_b64 v96, v[8:9], v[12:13] offset0:37 offset1:38
	ds_write2_b64 v96, v[6:7], v[10:11] offset0:39 offset1:40
	ds_write_b64 v96, v[88:89] offset:328
.LBB82_622:
	s_or_b32 exec_lo, exec_lo, s0
	s_mov_b32 s0, exec_lo
	s_waitcnt lgkmcnt(0)
	s_waitcnt_vscnt null, 0x0
	s_barrier
	buffer_gl0_inv
	v_cmpx_lt_i32_e32 36, v99
	s_cbranch_execz .LBB82_624
; %bb.623:
	v_mul_f64 v[14:15], v[0:1], v[14:15]
	ds_read2_b64 v[100:103], v96 offset0:37 offset1:38
	ds_read2_b64 v[104:107], v96 offset0:39 offset1:40
	ds_read_b64 v[0:1], v96 offset:328
	s_waitcnt lgkmcnt(2)
	v_fma_f64 v[8:9], -v[14:15], v[100:101], v[8:9]
	v_fma_f64 v[12:13], -v[14:15], v[102:103], v[12:13]
	s_waitcnt lgkmcnt(1)
	v_fma_f64 v[6:7], -v[14:15], v[104:105], v[6:7]
	v_fma_f64 v[10:11], -v[14:15], v[106:107], v[10:11]
	s_waitcnt lgkmcnt(0)
	v_fma_f64 v[88:89], -v[14:15], v[0:1], v[88:89]
.LBB82_624:
	s_or_b32 exec_lo, exec_lo, s0
	v_lshl_add_u32 v0, v99, 3, v96
	s_barrier
	buffer_gl0_inv
	v_mov_b32_e32 v90, 37
	ds_write_b64 v0, v[8:9]
	s_waitcnt lgkmcnt(0)
	s_barrier
	buffer_gl0_inv
	ds_read_b64 v[0:1], v96 offset:296
	s_cmp_lt_i32 s7, 39
	s_cbranch_scc1 .LBB82_627
; %bb.625:
	v_add3_u32 v91, v97, 0, 0x130
	v_mov_b32_e32 v90, 37
	s_mov_b32 s0, 38
.LBB82_626:                             ; =>This Inner Loop Header: Depth=1
	ds_read_b64 v[100:101], v91
	v_add_nc_u32_e32 v91, 8, v91
	s_waitcnt lgkmcnt(0)
	v_cmp_lt_f64_e64 vcc_lo, |v[0:1]|, |v[100:101]|
	v_cndmask_b32_e32 v1, v1, v101, vcc_lo
	v_cndmask_b32_e32 v0, v0, v100, vcc_lo
	v_cndmask_b32_e64 v90, v90, s0, vcc_lo
	s_add_i32 s0, s0, 1
	s_cmp_lg_u32 s7, s0
	s_cbranch_scc1 .LBB82_626
.LBB82_627:
	s_mov_b32 s0, exec_lo
	s_waitcnt lgkmcnt(0)
	v_cmpx_eq_f64_e32 0, v[0:1]
	s_xor_b32 s0, exec_lo, s0
; %bb.628:
	v_cmp_ne_u32_e32 vcc_lo, 0, v93
	v_cndmask_b32_e32 v93, 38, v93, vcc_lo
; %bb.629:
	s_andn2_saveexec_b32 s0, s0
	s_cbranch_execz .LBB82_631
; %bb.630:
	v_div_scale_f64 v[91:92], null, v[0:1], v[0:1], 1.0
	v_rcp_f64_e32 v[100:101], v[91:92]
	v_fma_f64 v[102:103], -v[91:92], v[100:101], 1.0
	v_fma_f64 v[100:101], v[100:101], v[102:103], v[100:101]
	v_fma_f64 v[102:103], -v[91:92], v[100:101], 1.0
	v_fma_f64 v[100:101], v[100:101], v[102:103], v[100:101]
	v_div_scale_f64 v[102:103], vcc_lo, 1.0, v[0:1], 1.0
	v_mul_f64 v[104:105], v[102:103], v[100:101]
	v_fma_f64 v[91:92], -v[91:92], v[104:105], v[102:103]
	v_div_fmas_f64 v[91:92], v[91:92], v[100:101], v[104:105]
	v_div_fixup_f64 v[0:1], v[91:92], v[0:1], 1.0
.LBB82_631:
	s_or_b32 exec_lo, exec_lo, s0
	s_mov_b32 s0, exec_lo
	v_cmpx_ne_u32_e64 v99, v90
	s_xor_b32 s0, exec_lo, s0
	s_cbranch_execz .LBB82_637
; %bb.632:
	s_mov_b32 s1, exec_lo
	v_cmpx_eq_u32_e32 37, v99
	s_cbranch_execz .LBB82_636
; %bb.633:
	v_cmp_ne_u32_e32 vcc_lo, 37, v90
	s_xor_b32 s2, s6, -1
	s_and_b32 s3, s2, vcc_lo
	s_and_saveexec_b32 s2, s3
	s_cbranch_execz .LBB82_635
; %bb.634:
	v_ashrrev_i32_e32 v91, 31, v90
	v_lshlrev_b64 v[91:92], 2, v[90:91]
	v_add_co_u32 v91, vcc_lo, v4, v91
	v_add_co_ci_u32_e64 v92, null, v5, v92, vcc_lo
	s_clause 0x1
	global_load_dword v98, v[91:92], off
	global_load_dword v99, v[4:5], off offset:148
	s_waitcnt vmcnt(1)
	global_store_dword v[4:5], v98, off offset:148
	s_waitcnt vmcnt(0)
	global_store_dword v[91:92], v99, off
.LBB82_635:
	s_or_b32 exec_lo, exec_lo, s2
	v_mov_b32_e32 v98, v90
	v_mov_b32_e32 v99, v90
.LBB82_636:
	s_or_b32 exec_lo, exec_lo, s1
.LBB82_637:
	s_andn2_saveexec_b32 s0, s0
	s_cbranch_execz .LBB82_639
; %bb.638:
	v_mov_b32_e32 v90, v12
	v_mov_b32_e32 v91, v13
	;; [unrolled: 1-line block ×7, first 2 shown]
	ds_write2_b64 v96, v[90:91], v[100:101] offset0:38 offset1:39
	ds_write2_b64 v96, v[102:103], v[88:89] offset0:40 offset1:41
.LBB82_639:
	s_or_b32 exec_lo, exec_lo, s0
	s_mov_b32 s0, exec_lo
	s_waitcnt lgkmcnt(0)
	s_waitcnt_vscnt null, 0x0
	s_barrier
	buffer_gl0_inv
	v_cmpx_lt_i32_e32 37, v99
	s_cbranch_execz .LBB82_641
; %bb.640:
	v_mul_f64 v[8:9], v[0:1], v[8:9]
	ds_read2_b64 v[100:103], v96 offset0:38 offset1:39
	ds_read2_b64 v[104:107], v96 offset0:40 offset1:41
	s_waitcnt lgkmcnt(1)
	v_fma_f64 v[12:13], -v[8:9], v[100:101], v[12:13]
	v_fma_f64 v[6:7], -v[8:9], v[102:103], v[6:7]
	s_waitcnt lgkmcnt(0)
	v_fma_f64 v[10:11], -v[8:9], v[104:105], v[10:11]
	v_fma_f64 v[88:89], -v[8:9], v[106:107], v[88:89]
.LBB82_641:
	s_or_b32 exec_lo, exec_lo, s0
	v_lshl_add_u32 v0, v99, 3, v96
	s_barrier
	buffer_gl0_inv
	v_mov_b32_e32 v90, 38
	ds_write_b64 v0, v[12:13]
	s_waitcnt lgkmcnt(0)
	s_barrier
	buffer_gl0_inv
	ds_read_b64 v[0:1], v96 offset:304
	s_cmp_lt_i32 s7, 40
	s_cbranch_scc1 .LBB82_644
; %bb.642:
	v_add3_u32 v91, v97, 0, 0x138
	v_mov_b32_e32 v90, 38
	s_mov_b32 s0, 39
.LBB82_643:                             ; =>This Inner Loop Header: Depth=1
	ds_read_b64 v[100:101], v91
	v_add_nc_u32_e32 v91, 8, v91
	s_waitcnt lgkmcnt(0)
	v_cmp_lt_f64_e64 vcc_lo, |v[0:1]|, |v[100:101]|
	v_cndmask_b32_e32 v1, v1, v101, vcc_lo
	v_cndmask_b32_e32 v0, v0, v100, vcc_lo
	v_cndmask_b32_e64 v90, v90, s0, vcc_lo
	s_add_i32 s0, s0, 1
	s_cmp_lg_u32 s7, s0
	s_cbranch_scc1 .LBB82_643
.LBB82_644:
	s_mov_b32 s0, exec_lo
	s_waitcnt lgkmcnt(0)
	v_cmpx_eq_f64_e32 0, v[0:1]
	s_xor_b32 s0, exec_lo, s0
; %bb.645:
	v_cmp_ne_u32_e32 vcc_lo, 0, v93
	v_cndmask_b32_e32 v93, 39, v93, vcc_lo
; %bb.646:
	s_andn2_saveexec_b32 s0, s0
	s_cbranch_execz .LBB82_648
; %bb.647:
	v_div_scale_f64 v[91:92], null, v[0:1], v[0:1], 1.0
	v_rcp_f64_e32 v[100:101], v[91:92]
	v_fma_f64 v[102:103], -v[91:92], v[100:101], 1.0
	v_fma_f64 v[100:101], v[100:101], v[102:103], v[100:101]
	v_fma_f64 v[102:103], -v[91:92], v[100:101], 1.0
	v_fma_f64 v[100:101], v[100:101], v[102:103], v[100:101]
	v_div_scale_f64 v[102:103], vcc_lo, 1.0, v[0:1], 1.0
	v_mul_f64 v[104:105], v[102:103], v[100:101]
	v_fma_f64 v[91:92], -v[91:92], v[104:105], v[102:103]
	v_div_fmas_f64 v[91:92], v[91:92], v[100:101], v[104:105]
	v_div_fixup_f64 v[0:1], v[91:92], v[0:1], 1.0
.LBB82_648:
	s_or_b32 exec_lo, exec_lo, s0
	s_mov_b32 s0, exec_lo
	v_cmpx_ne_u32_e64 v99, v90
	s_xor_b32 s0, exec_lo, s0
	s_cbranch_execz .LBB82_654
; %bb.649:
	s_mov_b32 s1, exec_lo
	v_cmpx_eq_u32_e32 38, v99
	s_cbranch_execz .LBB82_653
; %bb.650:
	v_cmp_ne_u32_e32 vcc_lo, 38, v90
	s_xor_b32 s2, s6, -1
	s_and_b32 s3, s2, vcc_lo
	s_and_saveexec_b32 s2, s3
	s_cbranch_execz .LBB82_652
; %bb.651:
	v_ashrrev_i32_e32 v91, 31, v90
	v_lshlrev_b64 v[91:92], 2, v[90:91]
	v_add_co_u32 v91, vcc_lo, v4, v91
	v_add_co_ci_u32_e64 v92, null, v5, v92, vcc_lo
	s_clause 0x1
	global_load_dword v98, v[91:92], off
	global_load_dword v99, v[4:5], off offset:152
	s_waitcnt vmcnt(1)
	global_store_dword v[4:5], v98, off offset:152
	s_waitcnt vmcnt(0)
	global_store_dword v[91:92], v99, off
.LBB82_652:
	s_or_b32 exec_lo, exec_lo, s2
	v_mov_b32_e32 v98, v90
	v_mov_b32_e32 v99, v90
.LBB82_653:
	s_or_b32 exec_lo, exec_lo, s1
.LBB82_654:
	s_andn2_saveexec_b32 s0, s0
	s_cbranch_execz .LBB82_656
; %bb.655:
	v_mov_b32_e32 v99, 38
	ds_write2_b64 v96, v[6:7], v[10:11] offset0:39 offset1:40
	ds_write_b64 v96, v[88:89] offset:328
.LBB82_656:
	s_or_b32 exec_lo, exec_lo, s0
	s_mov_b32 s0, exec_lo
	s_waitcnt lgkmcnt(0)
	s_waitcnt_vscnt null, 0x0
	s_barrier
	buffer_gl0_inv
	v_cmpx_lt_i32_e32 38, v99
	s_cbranch_execz .LBB82_658
; %bb.657:
	v_mul_f64 v[12:13], v[0:1], v[12:13]
	ds_read2_b64 v[100:103], v96 offset0:39 offset1:40
	ds_read_b64 v[0:1], v96 offset:328
	s_waitcnt lgkmcnt(1)
	v_fma_f64 v[6:7], -v[12:13], v[100:101], v[6:7]
	v_fma_f64 v[10:11], -v[12:13], v[102:103], v[10:11]
	s_waitcnt lgkmcnt(0)
	v_fma_f64 v[88:89], -v[12:13], v[0:1], v[88:89]
.LBB82_658:
	s_or_b32 exec_lo, exec_lo, s0
	v_lshl_add_u32 v0, v99, 3, v96
	s_barrier
	buffer_gl0_inv
	v_mov_b32_e32 v90, 39
	ds_write_b64 v0, v[6:7]
	s_waitcnt lgkmcnt(0)
	s_barrier
	buffer_gl0_inv
	ds_read_b64 v[0:1], v96 offset:312
	s_cmp_lt_i32 s7, 41
	s_cbranch_scc1 .LBB82_661
; %bb.659:
	v_add3_u32 v91, v97, 0, 0x140
	v_mov_b32_e32 v90, 39
	s_mov_b32 s0, 40
.LBB82_660:                             ; =>This Inner Loop Header: Depth=1
	ds_read_b64 v[100:101], v91
	v_add_nc_u32_e32 v91, 8, v91
	s_waitcnt lgkmcnt(0)
	v_cmp_lt_f64_e64 vcc_lo, |v[0:1]|, |v[100:101]|
	v_cndmask_b32_e32 v1, v1, v101, vcc_lo
	v_cndmask_b32_e32 v0, v0, v100, vcc_lo
	v_cndmask_b32_e64 v90, v90, s0, vcc_lo
	s_add_i32 s0, s0, 1
	s_cmp_lg_u32 s7, s0
	s_cbranch_scc1 .LBB82_660
.LBB82_661:
	s_mov_b32 s0, exec_lo
	s_waitcnt lgkmcnt(0)
	v_cmpx_eq_f64_e32 0, v[0:1]
	s_xor_b32 s0, exec_lo, s0
; %bb.662:
	v_cmp_ne_u32_e32 vcc_lo, 0, v93
	v_cndmask_b32_e32 v93, 40, v93, vcc_lo
; %bb.663:
	s_andn2_saveexec_b32 s0, s0
	s_cbranch_execz .LBB82_665
; %bb.664:
	v_div_scale_f64 v[91:92], null, v[0:1], v[0:1], 1.0
	v_rcp_f64_e32 v[100:101], v[91:92]
	v_fma_f64 v[102:103], -v[91:92], v[100:101], 1.0
	v_fma_f64 v[100:101], v[100:101], v[102:103], v[100:101]
	v_fma_f64 v[102:103], -v[91:92], v[100:101], 1.0
	v_fma_f64 v[100:101], v[100:101], v[102:103], v[100:101]
	v_div_scale_f64 v[102:103], vcc_lo, 1.0, v[0:1], 1.0
	v_mul_f64 v[104:105], v[102:103], v[100:101]
	v_fma_f64 v[91:92], -v[91:92], v[104:105], v[102:103]
	v_div_fmas_f64 v[91:92], v[91:92], v[100:101], v[104:105]
	v_div_fixup_f64 v[0:1], v[91:92], v[0:1], 1.0
.LBB82_665:
	s_or_b32 exec_lo, exec_lo, s0
	s_mov_b32 s0, exec_lo
	v_cmpx_ne_u32_e64 v99, v90
	s_xor_b32 s0, exec_lo, s0
	s_cbranch_execz .LBB82_671
; %bb.666:
	s_mov_b32 s1, exec_lo
	v_cmpx_eq_u32_e32 39, v99
	s_cbranch_execz .LBB82_670
; %bb.667:
	v_cmp_ne_u32_e32 vcc_lo, 39, v90
	s_xor_b32 s2, s6, -1
	s_and_b32 s3, s2, vcc_lo
	s_and_saveexec_b32 s2, s3
	s_cbranch_execz .LBB82_669
; %bb.668:
	v_ashrrev_i32_e32 v91, 31, v90
	v_lshlrev_b64 v[91:92], 2, v[90:91]
	v_add_co_u32 v91, vcc_lo, v4, v91
	v_add_co_ci_u32_e64 v92, null, v5, v92, vcc_lo
	s_clause 0x1
	global_load_dword v98, v[91:92], off
	global_load_dword v99, v[4:5], off offset:156
	s_waitcnt vmcnt(1)
	global_store_dword v[4:5], v98, off offset:156
	s_waitcnt vmcnt(0)
	global_store_dword v[91:92], v99, off
.LBB82_669:
	s_or_b32 exec_lo, exec_lo, s2
	v_mov_b32_e32 v98, v90
	v_mov_b32_e32 v99, v90
.LBB82_670:
	s_or_b32 exec_lo, exec_lo, s1
.LBB82_671:
	s_andn2_saveexec_b32 s0, s0
	s_cbranch_execz .LBB82_673
; %bb.672:
	v_mov_b32_e32 v90, v10
	v_mov_b32_e32 v91, v11
	;; [unrolled: 1-line block ×3, first 2 shown]
	ds_write2_b64 v96, v[90:91], v[88:89] offset0:40 offset1:41
.LBB82_673:
	s_or_b32 exec_lo, exec_lo, s0
	s_mov_b32 s0, exec_lo
	s_waitcnt lgkmcnt(0)
	s_waitcnt_vscnt null, 0x0
	s_barrier
	buffer_gl0_inv
	v_cmpx_lt_i32_e32 39, v99
	s_cbranch_execz .LBB82_675
; %bb.674:
	v_mul_f64 v[6:7], v[0:1], v[6:7]
	ds_read2_b64 v[100:103], v96 offset0:40 offset1:41
	s_waitcnt lgkmcnt(0)
	v_fma_f64 v[10:11], -v[6:7], v[100:101], v[10:11]
	v_fma_f64 v[88:89], -v[6:7], v[102:103], v[88:89]
.LBB82_675:
	s_or_b32 exec_lo, exec_lo, s0
	v_lshl_add_u32 v0, v99, 3, v96
	s_barrier
	buffer_gl0_inv
	v_mov_b32_e32 v90, 40
	ds_write_b64 v0, v[10:11]
	s_waitcnt lgkmcnt(0)
	s_barrier
	buffer_gl0_inv
	ds_read_b64 v[0:1], v96 offset:320
	s_cmp_lt_i32 s7, 42
	s_cbranch_scc1 .LBB82_678
; %bb.676:
	v_add3_u32 v91, v97, 0, 0x148
	v_mov_b32_e32 v90, 40
	s_mov_b32 s0, 41
.LBB82_677:                             ; =>This Inner Loop Header: Depth=1
	ds_read_b64 v[100:101], v91
	v_add_nc_u32_e32 v91, 8, v91
	s_waitcnt lgkmcnt(0)
	v_cmp_lt_f64_e64 vcc_lo, |v[0:1]|, |v[100:101]|
	v_cndmask_b32_e32 v1, v1, v101, vcc_lo
	v_cndmask_b32_e32 v0, v0, v100, vcc_lo
	v_cndmask_b32_e64 v90, v90, s0, vcc_lo
	s_add_i32 s0, s0, 1
	s_cmp_lg_u32 s7, s0
	s_cbranch_scc1 .LBB82_677
.LBB82_678:
	s_mov_b32 s0, exec_lo
	s_waitcnt lgkmcnt(0)
	v_cmpx_eq_f64_e32 0, v[0:1]
	s_xor_b32 s0, exec_lo, s0
; %bb.679:
	v_cmp_ne_u32_e32 vcc_lo, 0, v93
	v_cndmask_b32_e32 v93, 41, v93, vcc_lo
; %bb.680:
	s_andn2_saveexec_b32 s0, s0
	s_cbranch_execz .LBB82_682
; %bb.681:
	v_div_scale_f64 v[91:92], null, v[0:1], v[0:1], 1.0
	v_rcp_f64_e32 v[100:101], v[91:92]
	v_fma_f64 v[102:103], -v[91:92], v[100:101], 1.0
	v_fma_f64 v[100:101], v[100:101], v[102:103], v[100:101]
	v_fma_f64 v[102:103], -v[91:92], v[100:101], 1.0
	v_fma_f64 v[100:101], v[100:101], v[102:103], v[100:101]
	v_div_scale_f64 v[102:103], vcc_lo, 1.0, v[0:1], 1.0
	v_mul_f64 v[104:105], v[102:103], v[100:101]
	v_fma_f64 v[91:92], -v[91:92], v[104:105], v[102:103]
	v_div_fmas_f64 v[91:92], v[91:92], v[100:101], v[104:105]
	v_div_fixup_f64 v[0:1], v[91:92], v[0:1], 1.0
.LBB82_682:
	s_or_b32 exec_lo, exec_lo, s0
	s_mov_b32 s0, exec_lo
	v_cmpx_ne_u32_e64 v99, v90
	s_xor_b32 s0, exec_lo, s0
	s_cbranch_execz .LBB82_688
; %bb.683:
	s_mov_b32 s1, exec_lo
	v_cmpx_eq_u32_e32 40, v99
	s_cbranch_execz .LBB82_687
; %bb.684:
	v_cmp_ne_u32_e32 vcc_lo, 40, v90
	s_xor_b32 s2, s6, -1
	s_and_b32 s3, s2, vcc_lo
	s_and_saveexec_b32 s2, s3
	s_cbranch_execz .LBB82_686
; %bb.685:
	v_ashrrev_i32_e32 v91, 31, v90
	v_lshlrev_b64 v[91:92], 2, v[90:91]
	v_add_co_u32 v91, vcc_lo, v4, v91
	v_add_co_ci_u32_e64 v92, null, v5, v92, vcc_lo
	s_clause 0x1
	global_load_dword v98, v[91:92], off
	global_load_dword v99, v[4:5], off offset:160
	s_waitcnt vmcnt(1)
	global_store_dword v[4:5], v98, off offset:160
	s_waitcnt vmcnt(0)
	global_store_dword v[91:92], v99, off
.LBB82_686:
	s_or_b32 exec_lo, exec_lo, s2
	v_mov_b32_e32 v98, v90
	v_mov_b32_e32 v99, v90
.LBB82_687:
	s_or_b32 exec_lo, exec_lo, s1
.LBB82_688:
	s_andn2_saveexec_b32 s0, s0
; %bb.689:
	v_mov_b32_e32 v99, 40
	ds_write_b64 v96, v[88:89] offset:328
; %bb.690:
	s_or_b32 exec_lo, exec_lo, s0
	s_mov_b32 s0, exec_lo
	s_waitcnt lgkmcnt(0)
	s_waitcnt_vscnt null, 0x0
	s_barrier
	buffer_gl0_inv
	v_cmpx_lt_i32_e32 40, v99
	s_cbranch_execz .LBB82_692
; %bb.691:
	v_mul_f64 v[10:11], v[0:1], v[10:11]
	ds_read_b64 v[0:1], v96 offset:328
	s_waitcnt lgkmcnt(0)
	v_fma_f64 v[88:89], -v[10:11], v[0:1], v[88:89]
.LBB82_692:
	s_or_b32 exec_lo, exec_lo, s0
	v_lshl_add_u32 v0, v99, 3, v96
	s_barrier
	buffer_gl0_inv
	v_mov_b32_e32 v90, 41
	ds_write_b64 v0, v[88:89]
	s_waitcnt lgkmcnt(0)
	s_barrier
	buffer_gl0_inv
	ds_read_b64 v[0:1], v96 offset:328
	s_cmp_lt_i32 s7, 43
	s_cbranch_scc1 .LBB82_695
; %bb.693:
	v_add3_u32 v91, v97, 0, 0x150
	v_mov_b32_e32 v90, 41
	s_mov_b32 s0, 42
.LBB82_694:                             ; =>This Inner Loop Header: Depth=1
	ds_read_b64 v[96:97], v91
	v_add_nc_u32_e32 v91, 8, v91
	s_waitcnt lgkmcnt(0)
	v_cmp_lt_f64_e64 vcc_lo, |v[0:1]|, |v[96:97]|
	v_cndmask_b32_e32 v1, v1, v97, vcc_lo
	v_cndmask_b32_e32 v0, v0, v96, vcc_lo
	v_cndmask_b32_e64 v90, v90, s0, vcc_lo
	s_add_i32 s0, s0, 1
	s_cmp_lg_u32 s7, s0
	s_cbranch_scc1 .LBB82_694
.LBB82_695:
	s_mov_b32 s0, exec_lo
	s_waitcnt lgkmcnt(0)
	v_cmpx_eq_f64_e32 0, v[0:1]
	s_xor_b32 s0, exec_lo, s0
; %bb.696:
	v_cmp_ne_u32_e32 vcc_lo, 0, v93
	v_cndmask_b32_e32 v93, 42, v93, vcc_lo
; %bb.697:
	s_andn2_saveexec_b32 s0, s0
	s_cbranch_execz .LBB82_699
; %bb.698:
	v_div_scale_f64 v[91:92], null, v[0:1], v[0:1], 1.0
	v_rcp_f64_e32 v[96:97], v[91:92]
	v_fma_f64 v[100:101], -v[91:92], v[96:97], 1.0
	v_fma_f64 v[96:97], v[96:97], v[100:101], v[96:97]
	v_fma_f64 v[100:101], -v[91:92], v[96:97], 1.0
	v_fma_f64 v[96:97], v[96:97], v[100:101], v[96:97]
	v_div_scale_f64 v[100:101], vcc_lo, 1.0, v[0:1], 1.0
	v_mul_f64 v[102:103], v[100:101], v[96:97]
	v_fma_f64 v[91:92], -v[91:92], v[102:103], v[100:101]
	v_div_fmas_f64 v[91:92], v[91:92], v[96:97], v[102:103]
	v_div_fixup_f64 v[0:1], v[91:92], v[0:1], 1.0
.LBB82_699:
	s_or_b32 exec_lo, exec_lo, s0
	v_mov_b32_e32 v91, 41
	s_mov_b32 s0, exec_lo
	v_cmpx_ne_u32_e64 v99, v90
	s_cbranch_execz .LBB82_705
; %bb.700:
	s_mov_b32 s1, exec_lo
	v_cmpx_eq_u32_e32 41, v99
	s_cbranch_execz .LBB82_704
; %bb.701:
	v_cmp_ne_u32_e32 vcc_lo, 41, v90
	s_xor_b32 s2, s6, -1
	s_and_b32 s3, s2, vcc_lo
	s_and_saveexec_b32 s2, s3
	s_cbranch_execz .LBB82_703
; %bb.702:
	v_ashrrev_i32_e32 v91, 31, v90
	v_lshlrev_b64 v[91:92], 2, v[90:91]
	v_add_co_u32 v91, vcc_lo, v4, v91
	v_add_co_ci_u32_e64 v92, null, v5, v92, vcc_lo
	s_clause 0x1
	global_load_dword v96, v[91:92], off
	global_load_dword v97, v[4:5], off offset:164
	s_waitcnt vmcnt(1)
	global_store_dword v[4:5], v96, off offset:164
	s_waitcnt vmcnt(0)
	global_store_dword v[91:92], v97, off
.LBB82_703:
	s_or_b32 exec_lo, exec_lo, s2
	v_mov_b32_e32 v98, v90
	v_mov_b32_e32 v99, v90
.LBB82_704:
	s_or_b32 exec_lo, exec_lo, s1
	v_mov_b32_e32 v91, v99
.LBB82_705:
	s_or_b32 exec_lo, exec_lo, s0
	s_load_dwordx8 s[0:7], s[4:5], 0x28
	v_ashrrev_i32_e32 v92, 31, v91
	s_mov_b32 s9, exec_lo
	s_waitcnt lgkmcnt(0)
	s_waitcnt_vscnt null, 0x0
	s_barrier
	buffer_gl0_inv
	s_barrier
	buffer_gl0_inv
	v_cmpx_gt_i32_e32 42, v91
	s_cbranch_execz .LBB82_707
; %bb.706:
	v_mul_lo_u32 v90, s5, v2
	v_mul_lo_u32 v96, s4, v3
	v_mad_u64_u32 v[4:5], null, s4, v2, 0
	s_lshl_b64 s[2:3], s[2:3], 2
	v_add3_u32 v5, v5, v96, v90
	v_lshlrev_b64 v[4:5], 2, v[4:5]
	v_add_co_u32 v90, vcc_lo, s0, v4
	v_add_co_ci_u32_e64 v96, null, s1, v5, vcc_lo
	v_lshlrev_b64 v[4:5], 2, v[91:92]
	v_add_co_u32 v90, vcc_lo, v90, s2
	v_add_co_ci_u32_e64 v96, null, s3, v96, vcc_lo
	v_add_co_u32 v4, vcc_lo, v90, v4
	v_add_co_ci_u32_e64 v5, null, v96, v5, vcc_lo
	v_add3_u32 v90, v98, s13, 1
	global_store_dword v[4:5], v90, off
.LBB82_707:
	s_or_b32 exec_lo, exec_lo, s9
	s_mov_b32 s1, exec_lo
	v_cmpx_eq_u32_e32 0, v91
	s_cbranch_execz .LBB82_710
; %bb.708:
	v_lshlrev_b64 v[2:3], 2, v[2:3]
	v_cmp_ne_u32_e64 s0, 0, v93
	v_add_co_u32 v2, vcc_lo, s6, v2
	v_add_co_ci_u32_e64 v3, null, s7, v3, vcc_lo
	global_load_dword v4, v[2:3], off
	s_waitcnt vmcnt(0)
	v_cmp_eq_u32_e32 vcc_lo, 0, v4
	s_and_b32 s0, vcc_lo, s0
	s_and_b32 exec_lo, exec_lo, s0
	s_cbranch_execz .LBB82_710
; %bb.709:
	v_add_nc_u32_e32 v4, s13, v93
	global_store_dword v[2:3], v4, off
.LBB82_710:
	s_or_b32 exec_lo, exec_lo, s1
	v_mul_f64 v[0:1], v[0:1], v[88:89]
	v_add3_u32 v2, s8, s8, v91
	v_lshlrev_b64 v[4:5], 3, v[91:92]
	v_cmp_lt_i32_e32 vcc_lo, 41, v91
	v_add_nc_u32_e32 v90, s8, v2
	v_ashrrev_i32_e32 v3, 31, v2
	v_add_co_u32 v4, s0, v94, v4
	v_add_co_ci_u32_e64 v5, null, v95, v5, s0
	v_add_nc_u32_e32 v92, s8, v90
	v_ashrrev_i32_e32 v91, 31, v90
	v_add_co_u32 v96, s0, v4, s10
	v_add_co_ci_u32_e64 v97, null, s11, v5, s0
	v_ashrrev_i32_e32 v93, 31, v92
	v_lshlrev_b64 v[2:3], 3, v[2:3]
	flat_store_dwordx2 v[4:5], v[86:87]
	v_lshlrev_b64 v[4:5], 3, v[90:91]
	flat_store_dwordx2 v[96:97], v[84:85]
	v_lshlrev_b64 v[84:85], 3, v[92:93]
	v_cndmask_b32_e32 v1, v89, v1, vcc_lo
	v_cndmask_b32_e32 v0, v88, v0, vcc_lo
	v_add_co_u32 v2, vcc_lo, v94, v2
	v_add_nc_u32_e32 v86, s8, v92
	v_add_co_ci_u32_e64 v3, null, v95, v3, vcc_lo
	v_add_co_u32 v4, vcc_lo, v94, v4
	v_add_co_ci_u32_e64 v5, null, v95, v5, vcc_lo
	v_add_co_u32 v84, vcc_lo, v94, v84
	v_add_nc_u32_e32 v88, s8, v86
	v_add_co_ci_u32_e64 v85, null, v95, v85, vcc_lo
	v_ashrrev_i32_e32 v87, 31, v86
	flat_store_dwordx2 v[2:3], v[82:83]
	flat_store_dwordx2 v[4:5], v[78:79]
	flat_store_dwordx2 v[84:85], v[80:81]
	v_add_nc_u32_e32 v78, s8, v88
	v_ashrrev_i32_e32 v89, 31, v88
	v_lshlrev_b64 v[2:3], 3, v[86:87]
	v_add_nc_u32_e32 v80, s8, v78
	v_lshlrev_b64 v[4:5], 3, v[88:89]
	v_ashrrev_i32_e32 v79, 31, v78
	v_add_co_u32 v2, vcc_lo, v94, v2
	v_add_nc_u32_e32 v82, s8, v80
	v_add_co_ci_u32_e64 v3, null, v95, v3, vcc_lo
	v_add_co_u32 v4, vcc_lo, v94, v4
	v_ashrrev_i32_e32 v81, 31, v80
	v_add_co_ci_u32_e64 v5, null, v95, v5, vcc_lo
	v_ashrrev_i32_e32 v83, 31, v82
	v_lshlrev_b64 v[78:79], 3, v[78:79]
	flat_store_dwordx2 v[2:3], v[74:75]
	flat_store_dwordx2 v[4:5], v[76:77]
	v_lshlrev_b64 v[2:3], 3, v[80:81]
	v_add_nc_u32_e32 v76, s8, v82
	v_lshlrev_b64 v[74:75], 3, v[82:83]
	v_add_co_u32 v4, vcc_lo, v94, v78
	v_add_co_ci_u32_e64 v5, null, v95, v79, vcc_lo
	v_add_co_u32 v2, vcc_lo, v94, v2
	v_add_co_ci_u32_e64 v3, null, v95, v3, vcc_lo
	v_add_co_u32 v74, vcc_lo, v94, v74
	v_add_nc_u32_e32 v78, s8, v76
	v_add_co_ci_u32_e64 v75, null, v95, v75, vcc_lo
	v_ashrrev_i32_e32 v77, 31, v76
	flat_store_dwordx2 v[4:5], v[72:73]
	flat_store_dwordx2 v[2:3], v[70:71]
	flat_store_dwordx2 v[74:75], v[68:69]
	v_add_nc_u32_e32 v68, s8, v78
	v_ashrrev_i32_e32 v79, 31, v78
	v_lshlrev_b64 v[4:5], 3, v[76:77]
	v_add_nc_u32_e32 v70, s8, v68
	v_lshlrev_b64 v[2:3], 3, v[78:79]
	v_ashrrev_i32_e32 v69, 31, v68
	v_add_co_u32 v4, vcc_lo, v94, v4
	v_add_nc_u32_e32 v72, s8, v70
	v_add_co_ci_u32_e64 v5, null, v95, v5, vcc_lo
	v_add_co_u32 v2, vcc_lo, v94, v2
	v_ashrrev_i32_e32 v71, 31, v70
	v_add_co_ci_u32_e64 v3, null, v95, v3, vcc_lo
	v_ashrrev_i32_e32 v73, 31, v72
	v_lshlrev_b64 v[68:69], 3, v[68:69]
	flat_store_dwordx2 v[4:5], v[66:67]
	flat_store_dwordx2 v[2:3], v[64:65]
	v_lshlrev_b64 v[2:3], 3, v[70:71]
	v_add_nc_u32_e32 v66, s8, v72
	v_lshlrev_b64 v[64:65], 3, v[72:73]
	v_add_co_u32 v4, vcc_lo, v94, v68
	;; [unrolled: 30-line block ×6, first 2 shown]
	v_add_co_ci_u32_e64 v5, null, v95, v29, vcc_lo
	v_add_co_u32 v2, vcc_lo, v94, v2
	v_add_nc_u32_e32 v28, s8, v26
	v_add_co_ci_u32_e64 v3, null, v95, v3, vcc_lo
	v_add_co_u32 v24, vcc_lo, v94, v24
	v_ashrrev_i32_e32 v27, 31, v26
	v_add_co_ci_u32_e64 v25, null, v95, v25, vcc_lo
	v_ashrrev_i32_e32 v29, 31, v28
	flat_store_dwordx2 v[4:5], v[22:23]
	v_lshlrev_b64 v[4:5], 3, v[26:27]
	flat_store_dwordx2 v[2:3], v[18:19]
	flat_store_dwordx2 v[24:25], v[20:21]
	v_add_nc_u32_e32 v18, s8, v28
	v_lshlrev_b64 v[2:3], 3, v[28:29]
	v_add_co_u32 v4, vcc_lo, v94, v4
	v_add_nc_u32_e32 v20, s8, v18
	v_add_co_ci_u32_e64 v5, null, v95, v5, vcc_lo
	v_add_co_u32 v2, vcc_lo, v94, v2
	v_add_co_ci_u32_e64 v3, null, v95, v3, vcc_lo
	v_add_nc_u32_e32 v22, s8, v20
	v_ashrrev_i32_e32 v19, 31, v18
	flat_store_dwordx2 v[4:5], v[16:17]
	flat_store_dwordx2 v[2:3], v[14:15]
	v_ashrrev_i32_e32 v21, 31, v20
	v_add_nc_u32_e32 v14, s8, v22
	v_lshlrev_b64 v[4:5], 3, v[18:19]
	v_ashrrev_i32_e32 v23, 31, v22
	v_lshlrev_b64 v[2:3], 3, v[20:21]
	v_add_nc_u32_e32 v18, s8, v14
	v_ashrrev_i32_e32 v15, 31, v14
	v_lshlrev_b64 v[16:17], 3, v[22:23]
	v_add_co_u32 v4, vcc_lo, v94, v4
	v_ashrrev_i32_e32 v19, 31, v18
	v_lshlrev_b64 v[14:15], 3, v[14:15]
	v_add_co_ci_u32_e64 v5, null, v95, v5, vcc_lo
	v_add_co_u32 v2, vcc_lo, v94, v2
	v_lshlrev_b64 v[18:19], 3, v[18:19]
	v_add_co_ci_u32_e64 v3, null, v95, v3, vcc_lo
	v_add_co_u32 v16, vcc_lo, v94, v16
	v_add_co_ci_u32_e64 v17, null, v95, v17, vcc_lo
	v_add_co_u32 v14, vcc_lo, v94, v14
	;; [unrolled: 2-line block ×3, first 2 shown]
	v_add_co_ci_u32_e64 v19, null, v95, v19, vcc_lo
	flat_store_dwordx2 v[4:5], v[8:9]
	flat_store_dwordx2 v[2:3], v[12:13]
	;; [unrolled: 1-line block ×5, first 2 shown]
.LBB82_711:
	s_endpgm
	.section	.rodata,"a",@progbits
	.p2align	6, 0x0
	.amdhsa_kernel _ZN9rocsolver6v33100L18getf2_small_kernelILi42EdiiPKPdEEvT1_T3_lS5_lPS5_llPT2_S5_S5_S7_l
		.amdhsa_group_segment_fixed_size 0
		.amdhsa_private_segment_fixed_size 0
		.amdhsa_kernarg_size 352
		.amdhsa_user_sgpr_count 6
		.amdhsa_user_sgpr_private_segment_buffer 1
		.amdhsa_user_sgpr_dispatch_ptr 0
		.amdhsa_user_sgpr_queue_ptr 0
		.amdhsa_user_sgpr_kernarg_segment_ptr 1
		.amdhsa_user_sgpr_dispatch_id 0
		.amdhsa_user_sgpr_flat_scratch_init 0
		.amdhsa_user_sgpr_private_segment_size 0
		.amdhsa_wavefront_size32 1
		.amdhsa_uses_dynamic_stack 0
		.amdhsa_system_sgpr_private_segment_wavefront_offset 0
		.amdhsa_system_sgpr_workgroup_id_x 1
		.amdhsa_system_sgpr_workgroup_id_y 1
		.amdhsa_system_sgpr_workgroup_id_z 0
		.amdhsa_system_sgpr_workgroup_info 0
		.amdhsa_system_vgpr_workitem_id 1
		.amdhsa_next_free_vgpr 176
		.amdhsa_next_free_sgpr 14
		.amdhsa_reserve_vcc 1
		.amdhsa_reserve_flat_scratch 1
		.amdhsa_float_round_mode_32 0
		.amdhsa_float_round_mode_16_64 0
		.amdhsa_float_denorm_mode_32 3
		.amdhsa_float_denorm_mode_16_64 3
		.amdhsa_dx10_clamp 1
		.amdhsa_ieee_mode 1
		.amdhsa_fp16_overflow 0
		.amdhsa_workgroup_processor_mode 1
		.amdhsa_memory_ordered 1
		.amdhsa_forward_progress 1
		.amdhsa_shared_vgpr_count 0
		.amdhsa_exception_fp_ieee_invalid_op 0
		.amdhsa_exception_fp_denorm_src 0
		.amdhsa_exception_fp_ieee_div_zero 0
		.amdhsa_exception_fp_ieee_overflow 0
		.amdhsa_exception_fp_ieee_underflow 0
		.amdhsa_exception_fp_ieee_inexact 0
		.amdhsa_exception_int_div_zero 0
	.end_amdhsa_kernel
	.section	.text._ZN9rocsolver6v33100L18getf2_small_kernelILi42EdiiPKPdEEvT1_T3_lS5_lPS5_llPT2_S5_S5_S7_l,"axG",@progbits,_ZN9rocsolver6v33100L18getf2_small_kernelILi42EdiiPKPdEEvT1_T3_lS5_lPS5_llPT2_S5_S5_S7_l,comdat
.Lfunc_end82:
	.size	_ZN9rocsolver6v33100L18getf2_small_kernelILi42EdiiPKPdEEvT1_T3_lS5_lPS5_llPT2_S5_S5_S7_l, .Lfunc_end82-_ZN9rocsolver6v33100L18getf2_small_kernelILi42EdiiPKPdEEvT1_T3_lS5_lPS5_llPT2_S5_S5_S7_l
                                        ; -- End function
	.set _ZN9rocsolver6v33100L18getf2_small_kernelILi42EdiiPKPdEEvT1_T3_lS5_lPS5_llPT2_S5_S5_S7_l.num_vgpr, 176
	.set _ZN9rocsolver6v33100L18getf2_small_kernelILi42EdiiPKPdEEvT1_T3_lS5_lPS5_llPT2_S5_S5_S7_l.num_agpr, 0
	.set _ZN9rocsolver6v33100L18getf2_small_kernelILi42EdiiPKPdEEvT1_T3_lS5_lPS5_llPT2_S5_S5_S7_l.numbered_sgpr, 14
	.set _ZN9rocsolver6v33100L18getf2_small_kernelILi42EdiiPKPdEEvT1_T3_lS5_lPS5_llPT2_S5_S5_S7_l.num_named_barrier, 0
	.set _ZN9rocsolver6v33100L18getf2_small_kernelILi42EdiiPKPdEEvT1_T3_lS5_lPS5_llPT2_S5_S5_S7_l.private_seg_size, 0
	.set _ZN9rocsolver6v33100L18getf2_small_kernelILi42EdiiPKPdEEvT1_T3_lS5_lPS5_llPT2_S5_S5_S7_l.uses_vcc, 1
	.set _ZN9rocsolver6v33100L18getf2_small_kernelILi42EdiiPKPdEEvT1_T3_lS5_lPS5_llPT2_S5_S5_S7_l.uses_flat_scratch, 1
	.set _ZN9rocsolver6v33100L18getf2_small_kernelILi42EdiiPKPdEEvT1_T3_lS5_lPS5_llPT2_S5_S5_S7_l.has_dyn_sized_stack, 0
	.set _ZN9rocsolver6v33100L18getf2_small_kernelILi42EdiiPKPdEEvT1_T3_lS5_lPS5_llPT2_S5_S5_S7_l.has_recursion, 0
	.set _ZN9rocsolver6v33100L18getf2_small_kernelILi42EdiiPKPdEEvT1_T3_lS5_lPS5_llPT2_S5_S5_S7_l.has_indirect_call, 0
	.section	.AMDGPU.csdata,"",@progbits
; Kernel info:
; codeLenInByte = 41844
; TotalNumSgprs: 16
; NumVgprs: 176
; ScratchSize: 0
; MemoryBound: 0
; FloatMode: 240
; IeeeMode: 1
; LDSByteSize: 0 bytes/workgroup (compile time only)
; SGPRBlocks: 0
; VGPRBlocks: 21
; NumSGPRsForWavesPerEU: 16
; NumVGPRsForWavesPerEU: 176
; Occupancy: 5
; WaveLimiterHint : 1
; COMPUTE_PGM_RSRC2:SCRATCH_EN: 0
; COMPUTE_PGM_RSRC2:USER_SGPR: 6
; COMPUTE_PGM_RSRC2:TRAP_HANDLER: 0
; COMPUTE_PGM_RSRC2:TGID_X_EN: 1
; COMPUTE_PGM_RSRC2:TGID_Y_EN: 1
; COMPUTE_PGM_RSRC2:TGID_Z_EN: 0
; COMPUTE_PGM_RSRC2:TIDIG_COMP_CNT: 1
	.section	.text._ZN9rocsolver6v33100L23getf2_npvt_small_kernelILi42EdiiPKPdEEvT1_T3_lS5_lPT2_S5_S5_,"axG",@progbits,_ZN9rocsolver6v33100L23getf2_npvt_small_kernelILi42EdiiPKPdEEvT1_T3_lS5_lPT2_S5_S5_,comdat
	.globl	_ZN9rocsolver6v33100L23getf2_npvt_small_kernelILi42EdiiPKPdEEvT1_T3_lS5_lPT2_S5_S5_ ; -- Begin function _ZN9rocsolver6v33100L23getf2_npvt_small_kernelILi42EdiiPKPdEEvT1_T3_lS5_lPT2_S5_S5_
	.p2align	8
	.type	_ZN9rocsolver6v33100L23getf2_npvt_small_kernelILi42EdiiPKPdEEvT1_T3_lS5_lPT2_S5_S5_,@function
_ZN9rocsolver6v33100L23getf2_npvt_small_kernelILi42EdiiPKPdEEvT1_T3_lS5_lPT2_S5_S5_: ; @_ZN9rocsolver6v33100L23getf2_npvt_small_kernelILi42EdiiPKPdEEvT1_T3_lS5_lPT2_S5_S5_
; %bb.0:
	s_mov_b64 s[14:15], s[2:3]
	s_mov_b64 s[12:13], s[0:1]
	s_add_u32 s12, s12, s8
	s_clause 0x1
	s_load_dword s0, s[4:5], 0x44
	s_load_dwordx2 s[8:9], s[4:5], 0x30
	s_addc_u32 s13, s13, 0
	s_waitcnt lgkmcnt(0)
	s_lshr_b32 s10, s0, 16
	s_mov_b32 s0, exec_lo
	v_mad_u64_u32 v[2:3], null, s7, s10, v[1:2]
	v_cmpx_gt_i32_e64 s8, v2
	s_cbranch_execz .LBB83_213
; %bb.1:
	s_clause 0x1
	s_load_dwordx4 s[0:3], s[4:5], 0x8
	s_load_dword s6, s[4:5], 0x18
	v_ashrrev_i32_e32 v3, 31, v2
	v_lshlrev_b32_e32 v88, 3, v0
	v_lshlrev_b32_e32 v172, 3, v1
	s_mulk_i32 s10, 0x150
	v_mad_u32_u24 v254, 0x150, v1, 0
	v_lshlrev_b64 v[4:5], 3, v[2:3]
	v_add3_u32 v1, 0, s10, v172
	s_waitcnt lgkmcnt(0)
	v_add_co_u32 v4, vcc_lo, s0, v4
	v_add_co_ci_u32_e64 v5, null, s1, v5, vcc_lo
	v_add3_u32 v6, s6, s6, v0
	s_lshl_b64 s[2:3], s[2:3], 3
	s_ashr_i32 s7, s6, 31
	global_load_dwordx2 v[4:5], v[4:5], off
	s_lshl_b64 s[0:1], s[6:7], 3
	v_add_nc_u32_e32 v8, s6, v6
	v_ashrrev_i32_e32 v7, 31, v6
	v_add_nc_u32_e32 v10, s6, v8
	v_ashrrev_i32_e32 v9, 31, v8
	v_lshlrev_b64 v[6:7], 3, v[6:7]
	v_add_nc_u32_e32 v12, s6, v10
	v_ashrrev_i32_e32 v11, 31, v10
	v_lshlrev_b64 v[8:9], 3, v[8:9]
	;; [unrolled: 3-line block ×15, first 2 shown]
	v_ashrrev_i32_e32 v39, 31, v38
	v_lshlrev_b64 v[36:37], 3, v[36:37]
	v_add_nc_u32_e32 v40, s6, v38
	v_lshlrev_b64 v[38:39], 3, v[38:39]
	v_add_nc_u32_e32 v42, s6, v40
	v_ashrrev_i32_e32 v41, 31, v40
	v_add_nc_u32_e32 v44, s6, v42
	v_ashrrev_i32_e32 v43, 31, v42
	v_lshlrev_b64 v[40:41], 3, v[40:41]
	v_add_nc_u32_e32 v46, s6, v44
	v_ashrrev_i32_e32 v45, 31, v44
	v_lshlrev_b64 v[42:43], 3, v[42:43]
	;; [unrolled: 3-line block ×20, first 2 shown]
	v_ashrrev_i32_e32 v83, 31, v82
	v_add_nc_u32_e32 v84, s6, v82
	v_lshlrev_b64 v[80:81], 3, v[80:81]
	v_lshlrev_b64 v[82:83], 3, v[82:83]
	v_ashrrev_i32_e32 v85, 31, v84
	v_lshlrev_b64 v[86:87], 3, v[84:85]
	s_waitcnt vmcnt(0)
	v_add_co_u32 v89, vcc_lo, v4, s2
	v_add_co_ci_u32_e64 v90, null, s3, v5, vcc_lo
	v_add_co_u32 v4, vcc_lo, v89, v6
	v_add_co_ci_u32_e64 v5, null, v90, v7, vcc_lo
	;; [unrolled: 2-line block ×18, first 2 shown]
	s_clause 0xd
	flat_load_dwordx2 v[156:157], v[8:9]
	flat_load_dwordx2 v[140:141], v[10:11]
	flat_load_dwordx2 v[154:155], v[12:13]
	flat_load_dwordx2 v[138:139], v[14:15]
	flat_load_dwordx2 v[152:153], v[16:17]
	flat_load_dwordx2 v[136:137], v[18:19]
	flat_load_dwordx2 v[150:151], v[20:21]
	flat_load_dwordx2 v[134:135], v[22:23]
	flat_load_dwordx2 v[148:149], v[24:25]
	flat_load_dwordx2 v[132:133], v[26:27]
	flat_load_dwordx2 v[146:147], v[28:29]
	flat_load_dwordx2 v[130:131], v[30:31]
	flat_load_dwordx2 v[144:145], v[32:33]
	flat_load_dwordx2 v[128:129], v[34:35]
	buffer_store_dword v38, off, s[12:15], 0 offset:16 ; 4-byte Folded Spill
	buffer_store_dword v39, off, s[12:15], 0 offset:20 ; 4-byte Folded Spill
	v_add_co_u32 v36, vcc_lo, v89, v40
	v_add_co_ci_u32_e64 v37, null, v90, v41, vcc_lo
	v_add_co_u32 v40, vcc_lo, v89, v42
	v_add_co_ci_u32_e64 v41, null, v90, v43, vcc_lo
	;; [unrolled: 2-line block ×25, first 2 shown]
	v_cmp_ne_u32_e64 s1, 0, v0
	v_cmp_eq_u32_e64 s0, 0, v0
	s_clause 0x1b
	flat_load_dwordx2 v[142:143], v[38:39]
	flat_load_dwordx2 v[106:107], v[36:37]
	;; [unrolled: 1-line block ×28, first 2 shown]
	s_and_saveexec_b32 s2, s0
	s_cbranch_execz .LBB83_4
; %bb.2:
	s_waitcnt vmcnt(5) lgkmcnt(5)
	ds_write_b64 v1, v[164:165]
	s_waitcnt vmcnt(3) lgkmcnt(4)
	ds_write2_b64 v254, v[168:169], v[170:171] offset0:1 offset1:2
	s_waitcnt vmcnt(2) lgkmcnt(4)
	ds_write2_b64 v254, v[166:167], v[156:157] offset0:3 offset1:4
	ds_write2_b64 v254, v[140:141], v[154:155] offset0:5 offset1:6
	;; [unrolled: 1-line block ×18, first 2 shown]
	s_waitcnt vmcnt(1) lgkmcnt(21)
	ds_write2_b64 v254, v[86:87], v[160:161] offset0:39 offset1:40
	s_waitcnt vmcnt(0) lgkmcnt(21)
	ds_write_b64 v254, v[162:163] offset:328
	ds_read_b64 v[172:173], v1
	s_waitcnt lgkmcnt(0)
	v_cmp_neq_f64_e32 vcc_lo, 0, v[172:173]
	s_and_b32 exec_lo, exec_lo, vcc_lo
	s_cbranch_execz .LBB83_4
; %bb.3:
	v_div_scale_f64 v[174:175], null, v[172:173], v[172:173], 1.0
	v_rcp_f64_e32 v[176:177], v[174:175]
	v_fma_f64 v[178:179], -v[174:175], v[176:177], 1.0
	v_fma_f64 v[176:177], v[176:177], v[178:179], v[176:177]
	v_fma_f64 v[178:179], -v[174:175], v[176:177], 1.0
	v_fma_f64 v[176:177], v[176:177], v[178:179], v[176:177]
	v_div_scale_f64 v[178:179], vcc_lo, 1.0, v[172:173], 1.0
	v_mul_f64 v[180:181], v[178:179], v[176:177]
	v_fma_f64 v[174:175], -v[174:175], v[180:181], v[178:179]
	v_div_fmas_f64 v[174:175], v[174:175], v[176:177], v[180:181]
	v_div_fixup_f64 v[172:173], v[174:175], v[172:173], 1.0
	ds_write_b64 v1, v[172:173]
.LBB83_4:
	s_or_b32 exec_lo, exec_lo, s2
	s_waitcnt vmcnt(0) lgkmcnt(0)
	s_waitcnt_vscnt null, 0x0
	s_barrier
	buffer_gl0_inv
	ds_read_b64 v[172:173], v1
	s_waitcnt lgkmcnt(0)
	buffer_store_dword v172, off, s[12:15], 0 ; 4-byte Folded Spill
	buffer_store_dword v173, off, s[12:15], 0 offset:4 ; 4-byte Folded Spill
	s_and_saveexec_b32 s2, s1
	s_cbranch_execz .LBB83_6
; %bb.5:
	s_clause 0x1
	buffer_load_dword v172, off, s[12:15], 0
	buffer_load_dword v173, off, s[12:15], 0 offset:4
	ds_read2_b64 v[174:177], v254 offset0:1 offset1:2
	ds_read2_b64 v[178:181], v254 offset0:3 offset1:4
	;; [unrolled: 1-line block ×11, first 2 shown]
	s_waitcnt vmcnt(0)
	v_mul_f64 v[164:165], v[172:173], v[164:165]
	ds_read_b64 v[172:173], v254 offset:328
	s_waitcnt lgkmcnt(11)
	v_fma_f64 v[168:169], -v[164:165], v[174:175], v[168:169]
	v_fma_f64 v[170:171], -v[164:165], v[176:177], v[170:171]
	s_waitcnt lgkmcnt(10)
	v_fma_f64 v[166:167], -v[164:165], v[178:179], v[166:167]
	v_fma_f64 v[156:157], -v[164:165], v[180:181], v[156:157]
	;; [unrolled: 3-line block ×6, first 2 shown]
	ds_read2_b64 v[174:177], v254 offset0:23 offset1:24
	ds_read2_b64 v[178:181], v254 offset0:25 offset1:26
	s_waitcnt lgkmcnt(7)
	v_fma_f64 v[132:133], -v[164:165], v[198:199], v[132:133]
	v_fma_f64 v[146:147], -v[164:165], v[200:201], v[146:147]
	ds_read2_b64 v[182:185], v254 offset0:27 offset1:28
	ds_read2_b64 v[186:189], v254 offset0:29 offset1:30
	s_waitcnt lgkmcnt(8)
	v_fma_f64 v[130:131], -v[164:165], v[202:203], v[130:131]
	v_fma_f64 v[144:145], -v[164:165], v[204:205], v[144:145]
	;; [unrolled: 5-line block ×3, first 2 shown]
	ds_read2_b64 v[198:201], v254 offset0:35 offset1:36
	ds_read2_b64 v[202:205], v254 offset0:37 offset1:38
	;; [unrolled: 1-line block ×3, first 2 shown]
	s_waitcnt lgkmcnt(11)
	v_fma_f64 v[106:107], -v[164:165], v[210:211], v[106:107]
	v_fma_f64 v[126:127], -v[164:165], v[212:213], v[126:127]
	s_waitcnt lgkmcnt(10)
	v_fma_f64 v[104:105], -v[164:165], v[214:215], v[104:105]
	v_fma_f64 v[124:125], -v[164:165], v[216:217], v[124:125]
	s_waitcnt lgkmcnt(9)
	v_fma_f64 v[162:163], -v[164:165], v[172:173], v[162:163]
	s_waitcnt lgkmcnt(8)
	v_fma_f64 v[102:103], -v[164:165], v[174:175], v[102:103]
	v_fma_f64 v[122:123], -v[164:165], v[176:177], v[122:123]
	s_waitcnt lgkmcnt(7)
	v_fma_f64 v[100:101], -v[164:165], v[178:179], v[100:101]
	;; [unrolled: 3-line block ×9, first 2 shown]
	v_fma_f64 v[160:161], -v[164:165], v[208:209], v[160:161]
.LBB83_6:
	s_or_b32 exec_lo, exec_lo, s2
	s_mov_b32 s1, exec_lo
	s_waitcnt_vscnt null, 0x0
	s_barrier
	buffer_gl0_inv
	v_cmpx_eq_u32_e32 1, v0
	s_cbranch_execz .LBB83_9
; %bb.7:
	v_mov_b32_e32 v172, v170
	v_mov_b32_e32 v173, v171
	;; [unrolled: 1-line block ×20, first 2 shown]
	ds_write_b64 v1, v[168:169]
	ds_write2_b64 v254, v[172:173], v[174:175] offset0:2 offset1:3
	ds_write2_b64 v254, v[176:177], v[178:179] offset0:4 offset1:5
	ds_write2_b64 v254, v[180:181], v[182:183] offset0:6 offset1:7
	ds_write2_b64 v254, v[184:185], v[186:187] offset0:8 offset1:9
	ds_write2_b64 v254, v[188:189], v[190:191] offset0:10 offset1:11
	v_mov_b32_e32 v172, v148
	v_mov_b32_e32 v173, v149
	;; [unrolled: 1-line block ×20, first 2 shown]
	ds_write2_b64 v254, v[172:173], v[174:175] offset0:12 offset1:13
	ds_write2_b64 v254, v[176:177], v[178:179] offset0:14 offset1:15
	;; [unrolled: 1-line block ×5, first 2 shown]
	v_mov_b32_e32 v172, v124
	v_mov_b32_e32 v173, v125
	;; [unrolled: 1-line block ×20, first 2 shown]
	ds_write2_b64 v254, v[172:173], v[174:175] offset0:22 offset1:23
	ds_write2_b64 v254, v[176:177], v[178:179] offset0:24 offset1:25
	;; [unrolled: 1-line block ×5, first 2 shown]
	v_mov_b32_e32 v172, v114
	v_mov_b32_e32 v173, v115
	;; [unrolled: 1-line block ×18, first 2 shown]
	ds_write2_b64 v254, v[172:173], v[174:175] offset0:32 offset1:33
	ds_write2_b64 v254, v[176:177], v[178:179] offset0:34 offset1:35
	ds_write2_b64 v254, v[180:181], v[182:183] offset0:36 offset1:37
	ds_write2_b64 v254, v[184:185], v[186:187] offset0:38 offset1:39
	ds_write2_b64 v254, v[188:189], v[162:163] offset0:40 offset1:41
	ds_read_b64 v[174:175], v1
	s_waitcnt lgkmcnt(0)
	v_cmp_neq_f64_e32 vcc_lo, 0, v[174:175]
	s_and_b32 exec_lo, exec_lo, vcc_lo
	s_cbranch_execz .LBB83_9
; %bb.8:
	v_div_scale_f64 v[172:173], null, v[174:175], v[174:175], 1.0
	v_rcp_f64_e32 v[176:177], v[172:173]
	v_fma_f64 v[178:179], -v[172:173], v[176:177], 1.0
	v_fma_f64 v[176:177], v[176:177], v[178:179], v[176:177]
	v_fma_f64 v[178:179], -v[172:173], v[176:177], 1.0
	v_fma_f64 v[176:177], v[176:177], v[178:179], v[176:177]
	v_div_scale_f64 v[178:179], vcc_lo, 1.0, v[174:175], 1.0
	v_mul_f64 v[180:181], v[178:179], v[176:177]
	v_fma_f64 v[172:173], -v[172:173], v[180:181], v[178:179]
	v_div_fmas_f64 v[172:173], v[172:173], v[176:177], v[180:181]
	v_div_fixup_f64 v[172:173], v[172:173], v[174:175], 1.0
	ds_write_b64 v1, v[172:173]
.LBB83_9:
	s_or_b32 exec_lo, exec_lo, s1
	s_waitcnt lgkmcnt(0)
	s_barrier
	buffer_gl0_inv
	ds_read_b64 v[172:173], v1
	s_mov_b32 s1, exec_lo
	s_waitcnt lgkmcnt(0)
	buffer_store_dword v172, off, s[12:15], 0 offset:8 ; 4-byte Folded Spill
	buffer_store_dword v173, off, s[12:15], 0 offset:12 ; 4-byte Folded Spill
	v_cmpx_lt_u32_e32 1, v0
	s_cbranch_execz .LBB83_11
; %bb.10:
	s_clause 0x1
	buffer_load_dword v172, off, s[12:15], 0 offset:8
	buffer_load_dword v173, off, s[12:15], 0 offset:12
	ds_read2_b64 v[176:179], v254 offset0:2 offset1:3
	ds_read2_b64 v[180:183], v254 offset0:4 offset1:5
	;; [unrolled: 1-line block ×11, first 2 shown]
	s_waitcnt vmcnt(0)
	v_mul_f64 v[168:169], v[172:173], v[168:169]
	s_waitcnt lgkmcnt(10)
	v_fma_f64 v[170:171], -v[168:169], v[176:177], v[170:171]
	v_fma_f64 v[166:167], -v[168:169], v[178:179], v[166:167]
	s_waitcnt lgkmcnt(9)
	v_fma_f64 v[156:157], -v[168:169], v[180:181], v[156:157]
	v_fma_f64 v[140:141], -v[168:169], v[182:183], v[140:141]
	;; [unrolled: 3-line block ×5, first 2 shown]
	s_waitcnt lgkmcnt(5)
	v_fma_f64 v[148:149], -v[168:169], v[196:197], v[148:149]
	ds_read2_b64 v[176:179], v254 offset0:24 offset1:25
	ds_read2_b64 v[180:183], v254 offset0:26 offset1:27
	v_fma_f64 v[132:133], -v[168:169], v[198:199], v[132:133]
	s_waitcnt lgkmcnt(6)
	v_fma_f64 v[146:147], -v[168:169], v[200:201], v[146:147]
	ds_read2_b64 v[184:187], v254 offset0:28 offset1:29
	ds_read2_b64 v[188:191], v254 offset0:30 offset1:31
	v_fma_f64 v[130:131], -v[168:169], v[202:203], v[130:131]
	;; [unrolled: 5-line block ×4, first 2 shown]
	ds_read2_b64 v[208:211], v254 offset0:40 offset1:41
	s_waitcnt lgkmcnt(10)
	v_fma_f64 v[126:127], -v[168:169], v[212:213], v[126:127]
	v_fma_f64 v[104:105], -v[168:169], v[214:215], v[104:105]
	s_waitcnt lgkmcnt(9)
	v_fma_f64 v[124:125], -v[168:169], v[216:217], v[124:125]
	v_fma_f64 v[102:103], -v[168:169], v[218:219], v[102:103]
	;; [unrolled: 3-line block ×11, first 2 shown]
.LBB83_11:
	s_or_b32 exec_lo, exec_lo, s1
	s_mov_b32 s1, exec_lo
	s_waitcnt_vscnt null, 0x0
	s_barrier
	buffer_gl0_inv
	v_cmpx_eq_u32_e32 2, v0
	s_cbranch_execz .LBB83_14
; %bb.12:
	ds_write_b64 v1, v[170:171]
	ds_write2_b64 v254, v[166:167], v[156:157] offset0:3 offset1:4
	ds_write2_b64 v254, v[140:141], v[154:155] offset0:5 offset1:6
	;; [unrolled: 1-line block ×19, first 2 shown]
	ds_write_b64 v254, v[162:163] offset:328
	ds_read_b64 v[176:177], v1
	s_waitcnt lgkmcnt(0)
	v_cmp_neq_f64_e32 vcc_lo, 0, v[176:177]
	s_and_b32 exec_lo, exec_lo, vcc_lo
	s_cbranch_execz .LBB83_14
; %bb.13:
	v_div_scale_f64 v[172:173], null, v[176:177], v[176:177], 1.0
	v_rcp_f64_e32 v[174:175], v[172:173]
	v_fma_f64 v[178:179], -v[172:173], v[174:175], 1.0
	v_fma_f64 v[174:175], v[174:175], v[178:179], v[174:175]
	v_fma_f64 v[178:179], -v[172:173], v[174:175], 1.0
	v_fma_f64 v[174:175], v[174:175], v[178:179], v[174:175]
	v_div_scale_f64 v[178:179], vcc_lo, 1.0, v[176:177], 1.0
	v_mul_f64 v[180:181], v[178:179], v[174:175]
	v_fma_f64 v[172:173], -v[172:173], v[180:181], v[178:179]
	v_div_fmas_f64 v[172:173], v[172:173], v[174:175], v[180:181]
	v_div_fixup_f64 v[172:173], v[172:173], v[176:177], 1.0
	ds_write_b64 v1, v[172:173]
.LBB83_14:
	s_or_b32 exec_lo, exec_lo, s1
	s_waitcnt lgkmcnt(0)
	s_barrier
	buffer_gl0_inv
	ds_read_b64 v[176:177], v1
	s_mov_b32 s1, exec_lo
	v_cmpx_lt_u32_e32 2, v0
	s_cbranch_execz .LBB83_16
; %bb.15:
	s_waitcnt lgkmcnt(0)
	v_mul_f64 v[170:171], v[176:177], v[170:171]
	ds_read2_b64 v[178:181], v254 offset0:3 offset1:4
	ds_read2_b64 v[182:185], v254 offset0:5 offset1:6
	;; [unrolled: 1-line block ×11, first 2 shown]
	ds_read_b64 v[172:173], v254 offset:328
	s_waitcnt lgkmcnt(11)
	v_fma_f64 v[166:167], -v[170:171], v[178:179], v[166:167]
	v_fma_f64 v[156:157], -v[170:171], v[180:181], v[156:157]
	s_waitcnt lgkmcnt(10)
	v_fma_f64 v[140:141], -v[170:171], v[182:183], v[140:141]
	v_fma_f64 v[154:155], -v[170:171], v[184:185], v[154:155]
	;; [unrolled: 3-line block ×5, first 2 shown]
	s_waitcnt lgkmcnt(6)
	v_fma_f64 v[132:133], -v[170:171], v[198:199], v[132:133]
	ds_read2_b64 v[178:181], v254 offset0:25 offset1:26
	ds_read2_b64 v[182:185], v254 offset0:27 offset1:28
	v_fma_f64 v[146:147], -v[170:171], v[200:201], v[146:147]
	s_waitcnt lgkmcnt(7)
	v_fma_f64 v[130:131], -v[170:171], v[202:203], v[130:131]
	ds_read2_b64 v[186:189], v254 offset0:29 offset1:30
	ds_read2_b64 v[190:193], v254 offset0:31 offset1:32
	v_fma_f64 v[144:145], -v[170:171], v[204:205], v[144:145]
	;; [unrolled: 5-line block ×3, first 2 shown]
	ds_read2_b64 v[202:205], v254 offset0:37 offset1:38
	ds_read2_b64 v[206:209], v254 offset0:39 offset1:40
	s_waitcnt lgkmcnt(11)
	v_fma_f64 v[106:107], -v[170:171], v[210:211], v[106:107]
	v_fma_f64 v[126:127], -v[170:171], v[212:213], v[126:127]
	s_waitcnt lgkmcnt(10)
	v_fma_f64 v[104:105], -v[170:171], v[214:215], v[104:105]
	v_fma_f64 v[124:125], -v[170:171], v[216:217], v[124:125]
	;; [unrolled: 3-line block ×3, first 2 shown]
	s_waitcnt lgkmcnt(8)
	v_fma_f64 v[162:163], -v[170:171], v[172:173], v[162:163]
	s_waitcnt lgkmcnt(7)
	v_fma_f64 v[100:101], -v[170:171], v[178:179], v[100:101]
	v_fma_f64 v[120:121], -v[170:171], v[180:181], v[120:121]
	s_waitcnt lgkmcnt(6)
	v_fma_f64 v[98:99], -v[170:171], v[182:183], v[98:99]
	;; [unrolled: 3-line block ×8, first 2 shown]
	v_fma_f64 v[160:161], -v[170:171], v[208:209], v[160:161]
.LBB83_16:
	s_or_b32 exec_lo, exec_lo, s1
	s_mov_b32 s1, exec_lo
	s_waitcnt lgkmcnt(0)
	s_barrier
	buffer_gl0_inv
	v_cmpx_eq_u32_e32 3, v0
	s_cbranch_execz .LBB83_19
; %bb.17:
	v_mov_b32_e32 v172, v156
	v_mov_b32_e32 v173, v157
	;; [unrolled: 1-line block ×16, first 2 shown]
	ds_write_b64 v1, v[166:167]
	ds_write2_b64 v254, v[172:173], v[174:175] offset0:4 offset1:5
	ds_write2_b64 v254, v[178:179], v[180:181] offset0:6 offset1:7
	;; [unrolled: 1-line block ×4, first 2 shown]
	v_mov_b32_e32 v172, v148
	v_mov_b32_e32 v173, v149
	;; [unrolled: 1-line block ×20, first 2 shown]
	ds_write2_b64 v254, v[172:173], v[174:175] offset0:12 offset1:13
	ds_write2_b64 v254, v[178:179], v[180:181] offset0:14 offset1:15
	;; [unrolled: 1-line block ×5, first 2 shown]
	v_mov_b32_e32 v172, v124
	v_mov_b32_e32 v173, v125
	;; [unrolled: 1-line block ×20, first 2 shown]
	ds_write2_b64 v254, v[172:173], v[174:175] offset0:22 offset1:23
	ds_write2_b64 v254, v[178:179], v[180:181] offset0:24 offset1:25
	ds_write2_b64 v254, v[182:183], v[184:185] offset0:26 offset1:27
	ds_write2_b64 v254, v[186:187], v[188:189] offset0:28 offset1:29
	ds_write2_b64 v254, v[190:191], v[192:193] offset0:30 offset1:31
	v_mov_b32_e32 v172, v114
	v_mov_b32_e32 v173, v115
	;; [unrolled: 1-line block ×18, first 2 shown]
	ds_write2_b64 v254, v[172:173], v[174:175] offset0:32 offset1:33
	ds_write2_b64 v254, v[178:179], v[180:181] offset0:34 offset1:35
	;; [unrolled: 1-line block ×5, first 2 shown]
	ds_read_b64 v[178:179], v1
	s_waitcnt lgkmcnt(0)
	v_cmp_neq_f64_e32 vcc_lo, 0, v[178:179]
	s_and_b32 exec_lo, exec_lo, vcc_lo
	s_cbranch_execz .LBB83_19
; %bb.18:
	v_div_scale_f64 v[172:173], null, v[178:179], v[178:179], 1.0
	v_rcp_f64_e32 v[174:175], v[172:173]
	v_fma_f64 v[180:181], -v[172:173], v[174:175], 1.0
	v_fma_f64 v[174:175], v[174:175], v[180:181], v[174:175]
	v_fma_f64 v[180:181], -v[172:173], v[174:175], 1.0
	v_fma_f64 v[174:175], v[174:175], v[180:181], v[174:175]
	v_div_scale_f64 v[180:181], vcc_lo, 1.0, v[178:179], 1.0
	v_mul_f64 v[182:183], v[180:181], v[174:175]
	v_fma_f64 v[172:173], -v[172:173], v[182:183], v[180:181]
	v_div_fmas_f64 v[172:173], v[172:173], v[174:175], v[182:183]
	v_div_fixup_f64 v[172:173], v[172:173], v[178:179], 1.0
	ds_write_b64 v1, v[172:173]
.LBB83_19:
	s_or_b32 exec_lo, exec_lo, s1
	s_waitcnt lgkmcnt(0)
	s_barrier
	buffer_gl0_inv
	ds_read_b64 v[178:179], v1
	s_mov_b32 s1, exec_lo
	v_cmpx_lt_u32_e32 3, v0
	s_cbranch_execz .LBB83_21
; %bb.20:
	s_waitcnt lgkmcnt(0)
	v_mul_f64 v[166:167], v[178:179], v[166:167]
	ds_read2_b64 v[180:183], v254 offset0:4 offset1:5
	ds_read2_b64 v[184:187], v254 offset0:6 offset1:7
	;; [unrolled: 1-line block ×12, first 2 shown]
	s_waitcnt lgkmcnt(11)
	v_fma_f64 v[156:157], -v[166:167], v[180:181], v[156:157]
	v_fma_f64 v[140:141], -v[166:167], v[182:183], v[140:141]
	s_waitcnt lgkmcnt(10)
	v_fma_f64 v[154:155], -v[166:167], v[184:185], v[154:155]
	v_fma_f64 v[138:139], -v[166:167], v[186:187], v[138:139]
	;; [unrolled: 3-line block ×5, first 2 shown]
	s_waitcnt lgkmcnt(6)
	v_fma_f64 v[146:147], -v[166:167], v[200:201], v[146:147]
	ds_read2_b64 v[180:183], v254 offset0:28 offset1:29
	ds_read2_b64 v[184:187], v254 offset0:30 offset1:31
	v_fma_f64 v[130:131], -v[166:167], v[202:203], v[130:131]
	s_waitcnt lgkmcnt(7)
	v_fma_f64 v[144:145], -v[166:167], v[204:205], v[144:145]
	ds_read2_b64 v[188:191], v254 offset0:32 offset1:33
	ds_read2_b64 v[192:195], v254 offset0:34 offset1:35
	v_fma_f64 v[128:129], -v[166:167], v[206:207], v[128:129]
	ds_read2_b64 v[196:199], v254 offset0:36 offset1:37
	ds_read2_b64 v[200:203], v254 offset0:38 offset1:39
	;; [unrolled: 1-line block ×3, first 2 shown]
	s_waitcnt lgkmcnt(11)
	v_fma_f64 v[142:143], -v[166:167], v[208:209], v[142:143]
	v_fma_f64 v[106:107], -v[166:167], v[210:211], v[106:107]
	s_waitcnt lgkmcnt(10)
	v_fma_f64 v[126:127], -v[166:167], v[212:213], v[126:127]
	v_fma_f64 v[104:105], -v[166:167], v[214:215], v[104:105]
	;; [unrolled: 3-line block ×12, first 2 shown]
.LBB83_21:
	s_or_b32 exec_lo, exec_lo, s1
	s_mov_b32 s1, exec_lo
	s_waitcnt lgkmcnt(0)
	s_barrier
	buffer_gl0_inv
	v_cmpx_eq_u32_e32 4, v0
	s_cbranch_execz .LBB83_24
; %bb.22:
	ds_write_b64 v1, v[156:157]
	ds_write2_b64 v254, v[140:141], v[154:155] offset0:5 offset1:6
	ds_write2_b64 v254, v[138:139], v[152:153] offset0:7 offset1:8
	;; [unrolled: 1-line block ×18, first 2 shown]
	ds_write_b64 v254, v[162:163] offset:328
	ds_read_b64 v[180:181], v1
	s_waitcnt lgkmcnt(0)
	v_cmp_neq_f64_e32 vcc_lo, 0, v[180:181]
	s_and_b32 exec_lo, exec_lo, vcc_lo
	s_cbranch_execz .LBB83_24
; %bb.23:
	v_div_scale_f64 v[172:173], null, v[180:181], v[180:181], 1.0
	v_rcp_f64_e32 v[174:175], v[172:173]
	v_fma_f64 v[182:183], -v[172:173], v[174:175], 1.0
	v_fma_f64 v[174:175], v[174:175], v[182:183], v[174:175]
	v_fma_f64 v[182:183], -v[172:173], v[174:175], 1.0
	v_fma_f64 v[174:175], v[174:175], v[182:183], v[174:175]
	v_div_scale_f64 v[182:183], vcc_lo, 1.0, v[180:181], 1.0
	v_mul_f64 v[184:185], v[182:183], v[174:175]
	v_fma_f64 v[172:173], -v[172:173], v[184:185], v[182:183]
	v_div_fmas_f64 v[172:173], v[172:173], v[174:175], v[184:185]
	v_div_fixup_f64 v[172:173], v[172:173], v[180:181], 1.0
	ds_write_b64 v1, v[172:173]
.LBB83_24:
	s_or_b32 exec_lo, exec_lo, s1
	s_waitcnt lgkmcnt(0)
	s_barrier
	buffer_gl0_inv
	ds_read_b64 v[180:181], v1
	s_mov_b32 s1, exec_lo
	v_cmpx_lt_u32_e32 4, v0
	s_cbranch_execz .LBB83_26
; %bb.25:
	s_waitcnt lgkmcnt(0)
	v_mul_f64 v[156:157], v[180:181], v[156:157]
	ds_read2_b64 v[182:185], v254 offset0:5 offset1:6
	ds_read2_b64 v[186:189], v254 offset0:7 offset1:8
	;; [unrolled: 1-line block ×12, first 2 shown]
	ds_read_b64 v[172:173], v254 offset:328
	s_waitcnt lgkmcnt(12)
	v_fma_f64 v[140:141], -v[156:157], v[182:183], v[140:141]
	v_fma_f64 v[154:155], -v[156:157], v[184:185], v[154:155]
	s_waitcnt lgkmcnt(11)
	v_fma_f64 v[138:139], -v[156:157], v[186:187], v[138:139]
	v_fma_f64 v[152:153], -v[156:157], v[188:189], v[152:153]
	;; [unrolled: 3-line block ×5, first 2 shown]
	s_waitcnt lgkmcnt(7)
	v_fma_f64 v[130:131], -v[156:157], v[202:203], v[130:131]
	ds_read2_b64 v[182:185], v254 offset0:29 offset1:30
	ds_read2_b64 v[186:189], v254 offset0:31 offset1:32
	v_fma_f64 v[144:145], -v[156:157], v[204:205], v[144:145]
	ds_read2_b64 v[190:193], v254 offset0:33 offset1:34
	ds_read2_b64 v[194:197], v254 offset0:35 offset1:36
	;; [unrolled: 1-line block ×4, first 2 shown]
	s_waitcnt lgkmcnt(12)
	v_fma_f64 v[128:129], -v[156:157], v[206:207], v[128:129]
	v_fma_f64 v[142:143], -v[156:157], v[208:209], v[142:143]
	s_waitcnt lgkmcnt(11)
	v_fma_f64 v[106:107], -v[156:157], v[210:211], v[106:107]
	v_fma_f64 v[126:127], -v[156:157], v[212:213], v[126:127]
	;; [unrolled: 3-line block ×6, first 2 shown]
	s_waitcnt lgkmcnt(6)
	v_fma_f64 v[162:163], -v[156:157], v[172:173], v[162:163]
	s_waitcnt lgkmcnt(5)
	v_fma_f64 v[96:97], -v[156:157], v[182:183], v[96:97]
	v_fma_f64 v[116:117], -v[156:157], v[184:185], v[116:117]
	s_waitcnt lgkmcnt(4)
	v_fma_f64 v[94:95], -v[156:157], v[186:187], v[94:95]
	;; [unrolled: 3-line block ×6, first 2 shown]
	v_fma_f64 v[160:161], -v[156:157], v[204:205], v[160:161]
.LBB83_26:
	s_or_b32 exec_lo, exec_lo, s1
	s_mov_b32 s1, exec_lo
	s_waitcnt lgkmcnt(0)
	s_barrier
	buffer_gl0_inv
	v_cmpx_eq_u32_e32 5, v0
	s_cbranch_execz .LBB83_29
; %bb.27:
	v_mov_b32_e32 v172, v154
	v_mov_b32_e32 v173, v155
	;; [unrolled: 1-line block ×12, first 2 shown]
	ds_write_b64 v1, v[140:141]
	ds_write2_b64 v254, v[172:173], v[174:175] offset0:6 offset1:7
	ds_write2_b64 v254, v[182:183], v[184:185] offset0:8 offset1:9
	;; [unrolled: 1-line block ×3, first 2 shown]
	v_mov_b32_e32 v172, v148
	v_mov_b32_e32 v173, v149
	;; [unrolled: 1-line block ×20, first 2 shown]
	ds_write2_b64 v254, v[172:173], v[174:175] offset0:12 offset1:13
	ds_write2_b64 v254, v[182:183], v[184:185] offset0:14 offset1:15
	;; [unrolled: 1-line block ×5, first 2 shown]
	v_mov_b32_e32 v172, v124
	v_mov_b32_e32 v173, v125
	;; [unrolled: 1-line block ×20, first 2 shown]
	ds_write2_b64 v254, v[172:173], v[174:175] offset0:22 offset1:23
	ds_write2_b64 v254, v[182:183], v[184:185] offset0:24 offset1:25
	;; [unrolled: 1-line block ×5, first 2 shown]
	v_mov_b32_e32 v172, v114
	v_mov_b32_e32 v173, v115
	;; [unrolled: 1-line block ×18, first 2 shown]
	ds_write2_b64 v254, v[172:173], v[174:175] offset0:32 offset1:33
	ds_write2_b64 v254, v[182:183], v[184:185] offset0:34 offset1:35
	;; [unrolled: 1-line block ×5, first 2 shown]
	ds_read_b64 v[182:183], v1
	s_waitcnt lgkmcnt(0)
	v_cmp_neq_f64_e32 vcc_lo, 0, v[182:183]
	s_and_b32 exec_lo, exec_lo, vcc_lo
	s_cbranch_execz .LBB83_29
; %bb.28:
	v_div_scale_f64 v[172:173], null, v[182:183], v[182:183], 1.0
	v_rcp_f64_e32 v[174:175], v[172:173]
	v_fma_f64 v[184:185], -v[172:173], v[174:175], 1.0
	v_fma_f64 v[174:175], v[174:175], v[184:185], v[174:175]
	v_fma_f64 v[184:185], -v[172:173], v[174:175], 1.0
	v_fma_f64 v[174:175], v[174:175], v[184:185], v[174:175]
	v_div_scale_f64 v[184:185], vcc_lo, 1.0, v[182:183], 1.0
	v_mul_f64 v[186:187], v[184:185], v[174:175]
	v_fma_f64 v[172:173], -v[172:173], v[186:187], v[184:185]
	v_div_fmas_f64 v[172:173], v[172:173], v[174:175], v[186:187]
	v_div_fixup_f64 v[172:173], v[172:173], v[182:183], 1.0
	ds_write_b64 v1, v[172:173]
.LBB83_29:
	s_or_b32 exec_lo, exec_lo, s1
	s_waitcnt lgkmcnt(0)
	s_barrier
	buffer_gl0_inv
	ds_read_b64 v[182:183], v1
	s_mov_b32 s1, exec_lo
	v_cmpx_lt_u32_e32 5, v0
	s_cbranch_execz .LBB83_31
; %bb.30:
	s_waitcnt lgkmcnt(0)
	v_mul_f64 v[140:141], v[182:183], v[140:141]
	ds_read2_b64 v[184:187], v254 offset0:6 offset1:7
	ds_read2_b64 v[188:191], v254 offset0:8 offset1:9
	ds_read2_b64 v[192:195], v254 offset0:10 offset1:11
	ds_read2_b64 v[196:199], v254 offset0:12 offset1:13
	ds_read2_b64 v[200:203], v254 offset0:14 offset1:15
	ds_read2_b64 v[204:207], v254 offset0:16 offset1:17
	ds_read2_b64 v[208:211], v254 offset0:18 offset1:19
	ds_read2_b64 v[212:215], v254 offset0:20 offset1:21
	ds_read2_b64 v[216:219], v254 offset0:22 offset1:23
	ds_read2_b64 v[220:223], v254 offset0:24 offset1:25
	ds_read2_b64 v[224:227], v254 offset0:26 offset1:27
	ds_read2_b64 v[228:231], v254 offset0:28 offset1:29
	s_waitcnt lgkmcnt(11)
	v_fma_f64 v[154:155], -v[140:141], v[184:185], v[154:155]
	v_fma_f64 v[138:139], -v[140:141], v[186:187], v[138:139]
	s_waitcnt lgkmcnt(10)
	v_fma_f64 v[152:153], -v[140:141], v[188:189], v[152:153]
	v_fma_f64 v[136:137], -v[140:141], v[190:191], v[136:137]
	;; [unrolled: 3-line block ×5, first 2 shown]
	ds_read2_b64 v[184:187], v254 offset0:30 offset1:31
	ds_read2_b64 v[188:191], v254 offset0:32 offset1:33
	s_waitcnt lgkmcnt(8)
	v_fma_f64 v[144:145], -v[140:141], v[204:205], v[144:145]
	v_fma_f64 v[128:129], -v[140:141], v[206:207], v[128:129]
	ds_read2_b64 v[192:195], v254 offset0:34 offset1:35
	ds_read2_b64 v[196:199], v254 offset0:36 offset1:37
	;; [unrolled: 1-line block ×4, first 2 shown]
	s_waitcnt lgkmcnt(11)
	v_fma_f64 v[142:143], -v[140:141], v[208:209], v[142:143]
	v_fma_f64 v[106:107], -v[140:141], v[210:211], v[106:107]
	s_waitcnt lgkmcnt(10)
	v_fma_f64 v[126:127], -v[140:141], v[212:213], v[126:127]
	v_fma_f64 v[104:105], -v[140:141], v[214:215], v[104:105]
	;; [unrolled: 3-line block ×12, first 2 shown]
.LBB83_31:
	s_or_b32 exec_lo, exec_lo, s1
	s_mov_b32 s1, exec_lo
	s_waitcnt lgkmcnt(0)
	s_barrier
	buffer_gl0_inv
	v_cmpx_eq_u32_e32 6, v0
	s_cbranch_execz .LBB83_34
; %bb.32:
	ds_write_b64 v1, v[154:155]
	ds_write2_b64 v254, v[138:139], v[152:153] offset0:7 offset1:8
	ds_write2_b64 v254, v[136:137], v[150:151] offset0:9 offset1:10
	;; [unrolled: 1-line block ×17, first 2 shown]
	ds_write_b64 v254, v[162:163] offset:328
	ds_read_b64 v[184:185], v1
	s_waitcnt lgkmcnt(0)
	v_cmp_neq_f64_e32 vcc_lo, 0, v[184:185]
	s_and_b32 exec_lo, exec_lo, vcc_lo
	s_cbranch_execz .LBB83_34
; %bb.33:
	v_div_scale_f64 v[172:173], null, v[184:185], v[184:185], 1.0
	v_rcp_f64_e32 v[174:175], v[172:173]
	v_fma_f64 v[186:187], -v[172:173], v[174:175], 1.0
	v_fma_f64 v[174:175], v[174:175], v[186:187], v[174:175]
	v_fma_f64 v[186:187], -v[172:173], v[174:175], 1.0
	v_fma_f64 v[174:175], v[174:175], v[186:187], v[174:175]
	v_div_scale_f64 v[186:187], vcc_lo, 1.0, v[184:185], 1.0
	v_mul_f64 v[188:189], v[186:187], v[174:175]
	v_fma_f64 v[172:173], -v[172:173], v[188:189], v[186:187]
	v_div_fmas_f64 v[172:173], v[172:173], v[174:175], v[188:189]
	v_div_fixup_f64 v[172:173], v[172:173], v[184:185], 1.0
	ds_write_b64 v1, v[172:173]
.LBB83_34:
	s_or_b32 exec_lo, exec_lo, s1
	s_waitcnt lgkmcnt(0)
	s_barrier
	buffer_gl0_inv
	ds_read_b64 v[184:185], v1
	s_mov_b32 s1, exec_lo
	v_cmpx_lt_u32_e32 6, v0
	s_cbranch_execz .LBB83_36
; %bb.35:
	s_waitcnt lgkmcnt(0)
	v_mul_f64 v[154:155], v[184:185], v[154:155]
	ds_read2_b64 v[186:189], v254 offset0:7 offset1:8
	ds_read2_b64 v[190:193], v254 offset0:9 offset1:10
	;; [unrolled: 1-line block ×12, first 2 shown]
	ds_read_b64 v[172:173], v254 offset:328
	s_waitcnt lgkmcnt(12)
	v_fma_f64 v[138:139], -v[154:155], v[186:187], v[138:139]
	v_fma_f64 v[152:153], -v[154:155], v[188:189], v[152:153]
	s_waitcnt lgkmcnt(11)
	v_fma_f64 v[136:137], -v[154:155], v[190:191], v[136:137]
	v_fma_f64 v[150:151], -v[154:155], v[192:193], v[150:151]
	;; [unrolled: 3-line block ×5, first 2 shown]
	ds_read2_b64 v[186:189], v254 offset0:31 offset1:32
	ds_read2_b64 v[190:193], v254 offset0:33 offset1:34
	;; [unrolled: 1-line block ×5, first 2 shown]
	s_waitcnt lgkmcnt(12)
	v_fma_f64 v[128:129], -v[154:155], v[206:207], v[128:129]
	v_fma_f64 v[142:143], -v[154:155], v[208:209], v[142:143]
	s_waitcnt lgkmcnt(11)
	v_fma_f64 v[106:107], -v[154:155], v[210:211], v[106:107]
	v_fma_f64 v[126:127], -v[154:155], v[212:213], v[126:127]
	;; [unrolled: 3-line block ×7, first 2 shown]
	s_waitcnt lgkmcnt(5)
	v_fma_f64 v[162:163], -v[154:155], v[172:173], v[162:163]
	s_waitcnt lgkmcnt(4)
	v_fma_f64 v[94:95], -v[154:155], v[186:187], v[94:95]
	v_fma_f64 v[114:115], -v[154:155], v[188:189], v[114:115]
	s_waitcnt lgkmcnt(3)
	v_fma_f64 v[92:93], -v[154:155], v[190:191], v[92:93]
	;; [unrolled: 3-line block ×5, first 2 shown]
	v_fma_f64 v[160:161], -v[154:155], v[204:205], v[160:161]
.LBB83_36:
	s_or_b32 exec_lo, exec_lo, s1
	s_mov_b32 s1, exec_lo
	s_waitcnt lgkmcnt(0)
	s_barrier
	buffer_gl0_inv
	v_cmpx_eq_u32_e32 7, v0
	s_cbranch_execz .LBB83_39
; %bb.37:
	v_mov_b32_e32 v172, v152
	v_mov_b32_e32 v173, v153
	;; [unrolled: 1-line block ×8, first 2 shown]
	ds_write_b64 v1, v[138:139]
	ds_write2_b64 v254, v[172:173], v[174:175] offset0:8 offset1:9
	ds_write2_b64 v254, v[186:187], v[188:189] offset0:10 offset1:11
	v_mov_b32_e32 v172, v148
	v_mov_b32_e32 v173, v149
	;; [unrolled: 1-line block ×20, first 2 shown]
	ds_write2_b64 v254, v[172:173], v[174:175] offset0:12 offset1:13
	ds_write2_b64 v254, v[186:187], v[188:189] offset0:14 offset1:15
	;; [unrolled: 1-line block ×5, first 2 shown]
	v_mov_b32_e32 v172, v124
	v_mov_b32_e32 v173, v125
	;; [unrolled: 1-line block ×20, first 2 shown]
	ds_write2_b64 v254, v[172:173], v[174:175] offset0:22 offset1:23
	ds_write2_b64 v254, v[186:187], v[188:189] offset0:24 offset1:25
	;; [unrolled: 1-line block ×5, first 2 shown]
	v_mov_b32_e32 v172, v114
	v_mov_b32_e32 v173, v115
	;; [unrolled: 1-line block ×18, first 2 shown]
	ds_write2_b64 v254, v[172:173], v[174:175] offset0:32 offset1:33
	ds_write2_b64 v254, v[186:187], v[188:189] offset0:34 offset1:35
	;; [unrolled: 1-line block ×5, first 2 shown]
	ds_read_b64 v[186:187], v1
	s_waitcnt lgkmcnt(0)
	v_cmp_neq_f64_e32 vcc_lo, 0, v[186:187]
	s_and_b32 exec_lo, exec_lo, vcc_lo
	s_cbranch_execz .LBB83_39
; %bb.38:
	v_div_scale_f64 v[172:173], null, v[186:187], v[186:187], 1.0
	v_rcp_f64_e32 v[174:175], v[172:173]
	v_fma_f64 v[188:189], -v[172:173], v[174:175], 1.0
	v_fma_f64 v[174:175], v[174:175], v[188:189], v[174:175]
	v_fma_f64 v[188:189], -v[172:173], v[174:175], 1.0
	v_fma_f64 v[174:175], v[174:175], v[188:189], v[174:175]
	v_div_scale_f64 v[188:189], vcc_lo, 1.0, v[186:187], 1.0
	v_mul_f64 v[190:191], v[188:189], v[174:175]
	v_fma_f64 v[172:173], -v[172:173], v[190:191], v[188:189]
	v_div_fmas_f64 v[172:173], v[172:173], v[174:175], v[190:191]
	v_div_fixup_f64 v[172:173], v[172:173], v[186:187], 1.0
	ds_write_b64 v1, v[172:173]
.LBB83_39:
	s_or_b32 exec_lo, exec_lo, s1
	s_waitcnt lgkmcnt(0)
	s_barrier
	buffer_gl0_inv
	ds_read_b64 v[186:187], v1
	s_mov_b32 s1, exec_lo
	v_cmpx_lt_u32_e32 7, v0
	s_cbranch_execz .LBB83_41
; %bb.40:
	s_waitcnt lgkmcnt(0)
	v_mul_f64 v[138:139], v[186:187], v[138:139]
	ds_read2_b64 v[188:191], v254 offset0:8 offset1:9
	ds_read2_b64 v[192:195], v254 offset0:10 offset1:11
	;; [unrolled: 1-line block ×13, first 2 shown]
	s_waitcnt lgkmcnt(12)
	v_fma_f64 v[152:153], -v[138:139], v[188:189], v[152:153]
	v_fma_f64 v[136:137], -v[138:139], v[190:191], v[136:137]
	s_waitcnt lgkmcnt(11)
	v_fma_f64 v[150:151], -v[138:139], v[192:193], v[150:151]
	v_fma_f64 v[134:135], -v[138:139], v[194:195], v[134:135]
	;; [unrolled: 3-line block ×4, first 2 shown]
	ds_read2_b64 v[188:191], v254 offset0:34 offset1:35
	ds_read2_b64 v[192:195], v254 offset0:36 offset1:37
	ds_read2_b64 v[196:199], v254 offset0:38 offset1:39
	ds_read2_b64 v[200:203], v254 offset0:40 offset1:41
	s_waitcnt lgkmcnt(12)
	v_fma_f64 v[144:145], -v[138:139], v[204:205], v[144:145]
	v_fma_f64 v[128:129], -v[138:139], v[206:207], v[128:129]
	s_waitcnt lgkmcnt(11)
	v_fma_f64 v[142:143], -v[138:139], v[208:209], v[142:143]
	v_fma_f64 v[106:107], -v[138:139], v[210:211], v[106:107]
	;; [unrolled: 3-line block ×13, first 2 shown]
.LBB83_41:
	s_or_b32 exec_lo, exec_lo, s1
	s_mov_b32 s1, exec_lo
	s_waitcnt lgkmcnt(0)
	s_barrier
	buffer_gl0_inv
	v_cmpx_eq_u32_e32 8, v0
	s_cbranch_execz .LBB83_44
; %bb.42:
	ds_write_b64 v1, v[152:153]
	ds_write2_b64 v254, v[136:137], v[150:151] offset0:9 offset1:10
	ds_write2_b64 v254, v[134:135], v[148:149] offset0:11 offset1:12
	;; [unrolled: 1-line block ×16, first 2 shown]
	ds_write_b64 v254, v[162:163] offset:328
	ds_read_b64 v[188:189], v1
	s_waitcnt lgkmcnt(0)
	v_cmp_neq_f64_e32 vcc_lo, 0, v[188:189]
	s_and_b32 exec_lo, exec_lo, vcc_lo
	s_cbranch_execz .LBB83_44
; %bb.43:
	v_div_scale_f64 v[172:173], null, v[188:189], v[188:189], 1.0
	v_rcp_f64_e32 v[174:175], v[172:173]
	v_fma_f64 v[190:191], -v[172:173], v[174:175], 1.0
	v_fma_f64 v[174:175], v[174:175], v[190:191], v[174:175]
	v_fma_f64 v[190:191], -v[172:173], v[174:175], 1.0
	v_fma_f64 v[174:175], v[174:175], v[190:191], v[174:175]
	v_div_scale_f64 v[190:191], vcc_lo, 1.0, v[188:189], 1.0
	v_mul_f64 v[192:193], v[190:191], v[174:175]
	v_fma_f64 v[172:173], -v[172:173], v[192:193], v[190:191]
	v_div_fmas_f64 v[172:173], v[172:173], v[174:175], v[192:193]
	v_div_fixup_f64 v[172:173], v[172:173], v[188:189], 1.0
	ds_write_b64 v1, v[172:173]
.LBB83_44:
	s_or_b32 exec_lo, exec_lo, s1
	s_waitcnt lgkmcnt(0)
	s_barrier
	buffer_gl0_inv
	ds_read_b64 v[188:189], v1
	s_mov_b32 s1, exec_lo
	v_cmpx_lt_u32_e32 8, v0
	s_cbranch_execz .LBB83_46
; %bb.45:
	s_waitcnt lgkmcnt(0)
	v_mul_f64 v[152:153], v[188:189], v[152:153]
	ds_read2_b64 v[190:193], v254 offset0:9 offset1:10
	ds_read2_b64 v[194:197], v254 offset0:11 offset1:12
	;; [unrolled: 1-line block ×13, first 2 shown]
	ds_read_b64 v[172:173], v254 offset:328
	s_waitcnt lgkmcnt(13)
	v_fma_f64 v[136:137], -v[152:153], v[190:191], v[136:137]
	v_fma_f64 v[150:151], -v[152:153], v[192:193], v[150:151]
	s_waitcnt lgkmcnt(12)
	v_fma_f64 v[134:135], -v[152:153], v[194:195], v[134:135]
	v_fma_f64 v[148:149], -v[152:153], v[196:197], v[148:149]
	;; [unrolled: 3-line block ×3, first 2 shown]
	ds_read2_b64 v[190:193], v254 offset0:35 offset1:36
	ds_read2_b64 v[194:197], v254 offset0:37 offset1:38
	;; [unrolled: 1-line block ×3, first 2 shown]
	s_waitcnt lgkmcnt(13)
	v_fma_f64 v[130:131], -v[152:153], v[202:203], v[130:131]
	v_fma_f64 v[144:145], -v[152:153], v[204:205], v[144:145]
	s_waitcnt lgkmcnt(12)
	v_fma_f64 v[128:129], -v[152:153], v[206:207], v[128:129]
	v_fma_f64 v[142:143], -v[152:153], v[208:209], v[142:143]
	;; [unrolled: 3-line block ×13, first 2 shown]
	v_fma_f64 v[162:163], -v[152:153], v[172:173], v[162:163]
.LBB83_46:
	s_or_b32 exec_lo, exec_lo, s1
	s_mov_b32 s1, exec_lo
	s_waitcnt lgkmcnt(0)
	s_barrier
	buffer_gl0_inv
	v_cmpx_eq_u32_e32 9, v0
	s_cbranch_execz .LBB83_49
; %bb.47:
	v_mov_b32_e32 v172, v150
	v_mov_b32_e32 v173, v151
	;; [unrolled: 1-line block ×4, first 2 shown]
	ds_write_b64 v1, v[136:137]
	ds_write2_b64 v254, v[172:173], v[174:175] offset0:10 offset1:11
	v_mov_b32_e32 v172, v148
	v_mov_b32_e32 v173, v149
	;; [unrolled: 1-line block ×20, first 2 shown]
	ds_write2_b64 v254, v[172:173], v[174:175] offset0:12 offset1:13
	ds_write2_b64 v254, v[190:191], v[192:193] offset0:14 offset1:15
	;; [unrolled: 1-line block ×5, first 2 shown]
	v_mov_b32_e32 v172, v124
	v_mov_b32_e32 v173, v125
	;; [unrolled: 1-line block ×20, first 2 shown]
	ds_write2_b64 v254, v[172:173], v[174:175] offset0:22 offset1:23
	ds_write2_b64 v254, v[190:191], v[192:193] offset0:24 offset1:25
	;; [unrolled: 1-line block ×5, first 2 shown]
	v_mov_b32_e32 v172, v114
	v_mov_b32_e32 v173, v115
	;; [unrolled: 1-line block ×18, first 2 shown]
	ds_write2_b64 v254, v[172:173], v[174:175] offset0:32 offset1:33
	ds_write2_b64 v254, v[190:191], v[192:193] offset0:34 offset1:35
	;; [unrolled: 1-line block ×5, first 2 shown]
	ds_read_b64 v[190:191], v1
	s_waitcnt lgkmcnt(0)
	v_cmp_neq_f64_e32 vcc_lo, 0, v[190:191]
	s_and_b32 exec_lo, exec_lo, vcc_lo
	s_cbranch_execz .LBB83_49
; %bb.48:
	v_div_scale_f64 v[172:173], null, v[190:191], v[190:191], 1.0
	v_rcp_f64_e32 v[174:175], v[172:173]
	v_fma_f64 v[192:193], -v[172:173], v[174:175], 1.0
	v_fma_f64 v[174:175], v[174:175], v[192:193], v[174:175]
	v_fma_f64 v[192:193], -v[172:173], v[174:175], 1.0
	v_fma_f64 v[174:175], v[174:175], v[192:193], v[174:175]
	v_div_scale_f64 v[192:193], vcc_lo, 1.0, v[190:191], 1.0
	v_mul_f64 v[194:195], v[192:193], v[174:175]
	v_fma_f64 v[172:173], -v[172:173], v[194:195], v[192:193]
	v_div_fmas_f64 v[172:173], v[172:173], v[174:175], v[194:195]
	v_div_fixup_f64 v[172:173], v[172:173], v[190:191], 1.0
	ds_write_b64 v1, v[172:173]
.LBB83_49:
	s_or_b32 exec_lo, exec_lo, s1
	s_waitcnt lgkmcnt(0)
	s_barrier
	buffer_gl0_inv
	ds_read_b64 v[190:191], v1
	s_mov_b32 s1, exec_lo
	v_cmpx_lt_u32_e32 9, v0
	s_cbranch_execz .LBB83_51
; %bb.50:
	s_waitcnt lgkmcnt(0)
	v_mul_f64 v[136:137], v[190:191], v[136:137]
	ds_read2_b64 v[192:195], v254 offset0:10 offset1:11
	ds_read2_b64 v[196:199], v254 offset0:12 offset1:13
	;; [unrolled: 1-line block ×13, first 2 shown]
	s_waitcnt lgkmcnt(12)
	v_fma_f64 v[150:151], -v[136:137], v[192:193], v[150:151]
	v_fma_f64 v[134:135], -v[136:137], v[194:195], v[134:135]
	s_waitcnt lgkmcnt(11)
	v_fma_f64 v[148:149], -v[136:137], v[196:197], v[148:149]
	v_fma_f64 v[132:133], -v[136:137], v[198:199], v[132:133]
	;; [unrolled: 3-line block ×3, first 2 shown]
	ds_read2_b64 v[192:195], v254 offset0:36 offset1:37
	ds_read2_b64 v[196:199], v254 offset0:38 offset1:39
	;; [unrolled: 1-line block ×3, first 2 shown]
	s_waitcnt lgkmcnt(12)
	v_fma_f64 v[144:145], -v[136:137], v[204:205], v[144:145]
	v_fma_f64 v[128:129], -v[136:137], v[206:207], v[128:129]
	s_waitcnt lgkmcnt(11)
	v_fma_f64 v[142:143], -v[136:137], v[208:209], v[142:143]
	v_fma_f64 v[106:107], -v[136:137], v[210:211], v[106:107]
	;; [unrolled: 3-line block ×13, first 2 shown]
.LBB83_51:
	s_or_b32 exec_lo, exec_lo, s1
	s_mov_b32 s1, exec_lo
	s_waitcnt lgkmcnt(0)
	s_barrier
	buffer_gl0_inv
	v_cmpx_eq_u32_e32 10, v0
	s_cbranch_execz .LBB83_54
; %bb.52:
	ds_write_b64 v1, v[150:151]
	ds_write2_b64 v254, v[134:135], v[148:149] offset0:11 offset1:12
	ds_write2_b64 v254, v[132:133], v[146:147] offset0:13 offset1:14
	;; [unrolled: 1-line block ×15, first 2 shown]
	ds_write_b64 v254, v[162:163] offset:328
	ds_read_b64 v[192:193], v1
	s_waitcnt lgkmcnt(0)
	v_cmp_neq_f64_e32 vcc_lo, 0, v[192:193]
	s_and_b32 exec_lo, exec_lo, vcc_lo
	s_cbranch_execz .LBB83_54
; %bb.53:
	v_div_scale_f64 v[172:173], null, v[192:193], v[192:193], 1.0
	v_rcp_f64_e32 v[174:175], v[172:173]
	v_fma_f64 v[194:195], -v[172:173], v[174:175], 1.0
	v_fma_f64 v[174:175], v[174:175], v[194:195], v[174:175]
	v_fma_f64 v[194:195], -v[172:173], v[174:175], 1.0
	v_fma_f64 v[174:175], v[174:175], v[194:195], v[174:175]
	v_div_scale_f64 v[194:195], vcc_lo, 1.0, v[192:193], 1.0
	v_mul_f64 v[196:197], v[194:195], v[174:175]
	v_fma_f64 v[172:173], -v[172:173], v[196:197], v[194:195]
	v_div_fmas_f64 v[172:173], v[172:173], v[174:175], v[196:197]
	v_div_fixup_f64 v[172:173], v[172:173], v[192:193], 1.0
	ds_write_b64 v1, v[172:173]
.LBB83_54:
	s_or_b32 exec_lo, exec_lo, s1
	s_waitcnt lgkmcnt(0)
	s_barrier
	buffer_gl0_inv
	ds_read_b64 v[192:193], v1
	s_mov_b32 s1, exec_lo
	v_cmpx_lt_u32_e32 10, v0
	s_cbranch_execz .LBB83_56
; %bb.55:
	s_waitcnt lgkmcnt(0)
	v_mul_f64 v[150:151], v[192:193], v[150:151]
	ds_read2_b64 v[194:197], v254 offset0:11 offset1:12
	ds_read2_b64 v[198:201], v254 offset0:13 offset1:14
	;; [unrolled: 1-line block ×13, first 2 shown]
	ds_read_b64 v[172:173], v254 offset:328
	s_waitcnt lgkmcnt(13)
	v_fma_f64 v[134:135], -v[150:151], v[194:195], v[134:135]
	v_fma_f64 v[148:149], -v[150:151], v[196:197], v[148:149]
	s_waitcnt lgkmcnt(12)
	v_fma_f64 v[132:133], -v[150:151], v[198:199], v[132:133]
	v_fma_f64 v[146:147], -v[150:151], v[200:201], v[146:147]
	ds_read2_b64 v[194:197], v254 offset0:37 offset1:38
	ds_read2_b64 v[198:201], v254 offset0:39 offset1:40
	s_waitcnt lgkmcnt(13)
	v_fma_f64 v[130:131], -v[150:151], v[202:203], v[130:131]
	v_fma_f64 v[144:145], -v[150:151], v[204:205], v[144:145]
	s_waitcnt lgkmcnt(12)
	v_fma_f64 v[128:129], -v[150:151], v[206:207], v[128:129]
	v_fma_f64 v[142:143], -v[150:151], v[208:209], v[142:143]
	;; [unrolled: 3-line block ×13, first 2 shown]
	v_fma_f64 v[162:163], -v[150:151], v[172:173], v[162:163]
.LBB83_56:
	s_or_b32 exec_lo, exec_lo, s1
	s_mov_b32 s1, exec_lo
	s_waitcnt lgkmcnt(0)
	s_barrier
	buffer_gl0_inv
	v_cmpx_eq_u32_e32 11, v0
	s_cbranch_execz .LBB83_59
; %bb.57:
	v_mov_b32_e32 v172, v148
	v_mov_b32_e32 v173, v149
	;; [unrolled: 1-line block ×20, first 2 shown]
	ds_write_b64 v1, v[134:135]
	ds_write2_b64 v254, v[172:173], v[174:175] offset0:12 offset1:13
	ds_write2_b64 v254, v[194:195], v[196:197] offset0:14 offset1:15
	;; [unrolled: 1-line block ×5, first 2 shown]
	v_mov_b32_e32 v172, v124
	v_mov_b32_e32 v173, v125
	v_mov_b32_e32 v174, v102
	v_mov_b32_e32 v175, v103
	v_mov_b32_e32 v194, v122
	v_mov_b32_e32 v195, v123
	v_mov_b32_e32 v196, v100
	v_mov_b32_e32 v197, v101
	v_mov_b32_e32 v198, v120
	v_mov_b32_e32 v199, v121
	v_mov_b32_e32 v200, v98
	v_mov_b32_e32 v201, v99
	v_mov_b32_e32 v202, v118
	v_mov_b32_e32 v203, v119
	v_mov_b32_e32 v204, v96
	v_mov_b32_e32 v205, v97
	v_mov_b32_e32 v206, v116
	v_mov_b32_e32 v207, v117
	v_mov_b32_e32 v208, v94
	v_mov_b32_e32 v209, v95
	ds_write2_b64 v254, v[172:173], v[174:175] offset0:22 offset1:23
	ds_write2_b64 v254, v[194:195], v[196:197] offset0:24 offset1:25
	;; [unrolled: 1-line block ×5, first 2 shown]
	v_mov_b32_e32 v172, v114
	v_mov_b32_e32 v173, v115
	;; [unrolled: 1-line block ×18, first 2 shown]
	ds_write2_b64 v254, v[172:173], v[174:175] offset0:32 offset1:33
	ds_write2_b64 v254, v[194:195], v[196:197] offset0:34 offset1:35
	;; [unrolled: 1-line block ×5, first 2 shown]
	ds_read_b64 v[194:195], v1
	s_waitcnt lgkmcnt(0)
	v_cmp_neq_f64_e32 vcc_lo, 0, v[194:195]
	s_and_b32 exec_lo, exec_lo, vcc_lo
	s_cbranch_execz .LBB83_59
; %bb.58:
	v_div_scale_f64 v[172:173], null, v[194:195], v[194:195], 1.0
	v_rcp_f64_e32 v[174:175], v[172:173]
	v_fma_f64 v[196:197], -v[172:173], v[174:175], 1.0
	v_fma_f64 v[174:175], v[174:175], v[196:197], v[174:175]
	v_fma_f64 v[196:197], -v[172:173], v[174:175], 1.0
	v_fma_f64 v[174:175], v[174:175], v[196:197], v[174:175]
	v_div_scale_f64 v[196:197], vcc_lo, 1.0, v[194:195], 1.0
	v_mul_f64 v[198:199], v[196:197], v[174:175]
	v_fma_f64 v[172:173], -v[172:173], v[198:199], v[196:197]
	v_div_fmas_f64 v[172:173], v[172:173], v[174:175], v[198:199]
	v_div_fixup_f64 v[172:173], v[172:173], v[194:195], 1.0
	ds_write_b64 v1, v[172:173]
.LBB83_59:
	s_or_b32 exec_lo, exec_lo, s1
	s_waitcnt lgkmcnt(0)
	s_barrier
	buffer_gl0_inv
	ds_read_b64 v[194:195], v1
	s_mov_b32 s1, exec_lo
	v_cmpx_lt_u32_e32 11, v0
	s_cbranch_execz .LBB83_61
; %bb.60:
	s_waitcnt lgkmcnt(0)
	v_mul_f64 v[134:135], v[194:195], v[134:135]
	ds_read2_b64 v[196:199], v254 offset0:12 offset1:13
	ds_read2_b64 v[200:203], v254 offset0:14 offset1:15
	;; [unrolled: 1-line block ×14, first 2 shown]
	s_waitcnt lgkmcnt(13)
	v_fma_f64 v[148:149], -v[134:135], v[196:197], v[148:149]
	v_fma_f64 v[132:133], -v[134:135], v[198:199], v[132:133]
	ds_read2_b64 v[196:199], v254 offset0:40 offset1:41
	s_waitcnt lgkmcnt(13)
	v_fma_f64 v[146:147], -v[134:135], v[200:201], v[146:147]
	v_fma_f64 v[130:131], -v[134:135], v[202:203], v[130:131]
	s_waitcnt lgkmcnt(12)
	v_fma_f64 v[144:145], -v[134:135], v[204:205], v[144:145]
	v_fma_f64 v[128:129], -v[134:135], v[206:207], v[128:129]
	;; [unrolled: 3-line block ×14, first 2 shown]
.LBB83_61:
	s_or_b32 exec_lo, exec_lo, s1
	s_mov_b32 s1, exec_lo
	s_waitcnt lgkmcnt(0)
	s_barrier
	buffer_gl0_inv
	v_cmpx_eq_u32_e32 12, v0
	s_cbranch_execz .LBB83_64
; %bb.62:
	ds_write_b64 v1, v[148:149]
	ds_write2_b64 v254, v[132:133], v[146:147] offset0:13 offset1:14
	ds_write2_b64 v254, v[130:131], v[144:145] offset0:15 offset1:16
	;; [unrolled: 1-line block ×14, first 2 shown]
	ds_write_b64 v254, v[162:163] offset:328
	ds_read_b64 v[196:197], v1
	s_waitcnt lgkmcnt(0)
	v_cmp_neq_f64_e32 vcc_lo, 0, v[196:197]
	s_and_b32 exec_lo, exec_lo, vcc_lo
	s_cbranch_execz .LBB83_64
; %bb.63:
	v_div_scale_f64 v[172:173], null, v[196:197], v[196:197], 1.0
	v_rcp_f64_e32 v[174:175], v[172:173]
	v_fma_f64 v[198:199], -v[172:173], v[174:175], 1.0
	v_fma_f64 v[174:175], v[174:175], v[198:199], v[174:175]
	v_fma_f64 v[198:199], -v[172:173], v[174:175], 1.0
	v_fma_f64 v[174:175], v[174:175], v[198:199], v[174:175]
	v_div_scale_f64 v[198:199], vcc_lo, 1.0, v[196:197], 1.0
	v_mul_f64 v[200:201], v[198:199], v[174:175]
	v_fma_f64 v[172:173], -v[172:173], v[200:201], v[198:199]
	v_div_fmas_f64 v[172:173], v[172:173], v[174:175], v[200:201]
	v_div_fixup_f64 v[172:173], v[172:173], v[196:197], 1.0
	ds_write_b64 v1, v[172:173]
.LBB83_64:
	s_or_b32 exec_lo, exec_lo, s1
	s_waitcnt lgkmcnt(0)
	s_barrier
	buffer_gl0_inv
	ds_read_b64 v[196:197], v1
	s_mov_b32 s1, exec_lo
	v_cmpx_lt_u32_e32 12, v0
	s_cbranch_execz .LBB83_66
; %bb.65:
	s_waitcnt lgkmcnt(0)
	v_mul_f64 v[148:149], v[196:197], v[148:149]
	ds_read2_b64 v[198:201], v254 offset0:13 offset1:14
	ds_read2_b64 v[202:205], v254 offset0:15 offset1:16
	;; [unrolled: 1-line block ×14, first 2 shown]
	ds_read_b64 v[172:173], v254 offset:328
	s_waitcnt lgkmcnt(14)
	v_fma_f64 v[132:133], -v[148:149], v[198:199], v[132:133]
	v_fma_f64 v[146:147], -v[148:149], v[200:201], v[146:147]
	s_waitcnt lgkmcnt(13)
	v_fma_f64 v[130:131], -v[148:149], v[202:203], v[130:131]
	v_fma_f64 v[144:145], -v[148:149], v[204:205], v[144:145]
	;; [unrolled: 3-line block ×14, first 2 shown]
	s_waitcnt lgkmcnt(0)
	v_fma_f64 v[162:163], -v[148:149], v[172:173], v[162:163]
.LBB83_66:
	s_or_b32 exec_lo, exec_lo, s1
	s_mov_b32 s1, exec_lo
	s_waitcnt lgkmcnt(0)
	s_barrier
	buffer_gl0_inv
	v_cmpx_eq_u32_e32 13, v0
	s_cbranch_execz .LBB83_69
; %bb.67:
	v_mov_b32_e32 v172, v146
	v_mov_b32_e32 v173, v147
	;; [unrolled: 1-line block ×16, first 2 shown]
	ds_write_b64 v1, v[132:133]
	ds_write2_b64 v254, v[172:173], v[174:175] offset0:14 offset1:15
	ds_write2_b64 v254, v[198:199], v[200:201] offset0:16 offset1:17
	ds_write2_b64 v254, v[202:203], v[204:205] offset0:18 offset1:19
	ds_write2_b64 v254, v[206:207], v[208:209] offset0:20 offset1:21
	v_mov_b32_e32 v172, v124
	v_mov_b32_e32 v173, v125
	;; [unrolled: 1-line block ×20, first 2 shown]
	ds_write2_b64 v254, v[172:173], v[174:175] offset0:22 offset1:23
	ds_write2_b64 v254, v[198:199], v[200:201] offset0:24 offset1:25
	ds_write2_b64 v254, v[202:203], v[204:205] offset0:26 offset1:27
	ds_write2_b64 v254, v[206:207], v[208:209] offset0:28 offset1:29
	ds_write2_b64 v254, v[210:211], v[212:213] offset0:30 offset1:31
	v_mov_b32_e32 v172, v114
	v_mov_b32_e32 v173, v115
	;; [unrolled: 1-line block ×18, first 2 shown]
	ds_write2_b64 v254, v[172:173], v[174:175] offset0:32 offset1:33
	ds_write2_b64 v254, v[198:199], v[200:201] offset0:34 offset1:35
	;; [unrolled: 1-line block ×5, first 2 shown]
	ds_read_b64 v[198:199], v1
	s_waitcnt lgkmcnt(0)
	v_cmp_neq_f64_e32 vcc_lo, 0, v[198:199]
	s_and_b32 exec_lo, exec_lo, vcc_lo
	s_cbranch_execz .LBB83_69
; %bb.68:
	v_div_scale_f64 v[172:173], null, v[198:199], v[198:199], 1.0
	v_rcp_f64_e32 v[174:175], v[172:173]
	v_fma_f64 v[200:201], -v[172:173], v[174:175], 1.0
	v_fma_f64 v[174:175], v[174:175], v[200:201], v[174:175]
	v_fma_f64 v[200:201], -v[172:173], v[174:175], 1.0
	v_fma_f64 v[174:175], v[174:175], v[200:201], v[174:175]
	v_div_scale_f64 v[200:201], vcc_lo, 1.0, v[198:199], 1.0
	v_mul_f64 v[202:203], v[200:201], v[174:175]
	v_fma_f64 v[172:173], -v[172:173], v[202:203], v[200:201]
	v_div_fmas_f64 v[172:173], v[172:173], v[174:175], v[202:203]
	v_div_fixup_f64 v[172:173], v[172:173], v[198:199], 1.0
	ds_write_b64 v1, v[172:173]
.LBB83_69:
	s_or_b32 exec_lo, exec_lo, s1
	s_waitcnt lgkmcnt(0)
	s_barrier
	buffer_gl0_inv
	ds_read_b64 v[198:199], v1
	s_mov_b32 s1, exec_lo
	v_cmpx_lt_u32_e32 13, v0
	s_cbranch_execz .LBB83_71
; %bb.70:
	s_waitcnt lgkmcnt(0)
	v_mul_f64 v[132:133], v[198:199], v[132:133]
	ds_read2_b64 v[200:203], v254 offset0:14 offset1:15
	s_waitcnt lgkmcnt(0)
	v_fma_f64 v[146:147], -v[132:133], v[200:201], v[146:147]
	v_fma_f64 v[130:131], -v[132:133], v[202:203], v[130:131]
	ds_read2_b64 v[200:203], v254 offset0:16 offset1:17
	s_waitcnt lgkmcnt(0)
	v_fma_f64 v[144:145], -v[132:133], v[200:201], v[144:145]
	v_fma_f64 v[128:129], -v[132:133], v[202:203], v[128:129]
	;; [unrolled: 4-line block ×14, first 2 shown]
.LBB83_71:
	s_or_b32 exec_lo, exec_lo, s1
	s_mov_b32 s1, exec_lo
	s_waitcnt lgkmcnt(0)
	s_barrier
	buffer_gl0_inv
	v_cmpx_eq_u32_e32 14, v0
	s_cbranch_execz .LBB83_74
; %bb.72:
	ds_write_b64 v1, v[146:147]
	ds_write2_b64 v254, v[130:131], v[144:145] offset0:15 offset1:16
	ds_write2_b64 v254, v[128:129], v[142:143] offset0:17 offset1:18
	;; [unrolled: 1-line block ×13, first 2 shown]
	ds_write_b64 v254, v[162:163] offset:328
	ds_read_b64 v[200:201], v1
	s_waitcnt lgkmcnt(0)
	v_cmp_neq_f64_e32 vcc_lo, 0, v[200:201]
	s_and_b32 exec_lo, exec_lo, vcc_lo
	s_cbranch_execz .LBB83_74
; %bb.73:
	v_div_scale_f64 v[172:173], null, v[200:201], v[200:201], 1.0
	v_rcp_f64_e32 v[174:175], v[172:173]
	v_fma_f64 v[202:203], -v[172:173], v[174:175], 1.0
	v_fma_f64 v[174:175], v[174:175], v[202:203], v[174:175]
	v_fma_f64 v[202:203], -v[172:173], v[174:175], 1.0
	v_fma_f64 v[174:175], v[174:175], v[202:203], v[174:175]
	v_div_scale_f64 v[202:203], vcc_lo, 1.0, v[200:201], 1.0
	v_mul_f64 v[204:205], v[202:203], v[174:175]
	v_fma_f64 v[172:173], -v[172:173], v[204:205], v[202:203]
	v_div_fmas_f64 v[172:173], v[172:173], v[174:175], v[204:205]
	v_div_fixup_f64 v[172:173], v[172:173], v[200:201], 1.0
	ds_write_b64 v1, v[172:173]
.LBB83_74:
	s_or_b32 exec_lo, exec_lo, s1
	s_waitcnt lgkmcnt(0)
	s_barrier
	buffer_gl0_inv
	ds_read_b64 v[200:201], v1
	s_mov_b32 s1, exec_lo
	v_cmpx_lt_u32_e32 14, v0
	s_cbranch_execz .LBB83_76
; %bb.75:
	s_waitcnt lgkmcnt(0)
	v_mul_f64 v[146:147], v[200:201], v[146:147]
	ds_read2_b64 v[202:205], v254 offset0:15 offset1:16
	ds_read_b64 v[172:173], v254 offset:328
	s_waitcnt lgkmcnt(1)
	v_fma_f64 v[130:131], -v[146:147], v[202:203], v[130:131]
	v_fma_f64 v[144:145], -v[146:147], v[204:205], v[144:145]
	ds_read2_b64 v[202:205], v254 offset0:17 offset1:18
	s_waitcnt lgkmcnt(1)
	v_fma_f64 v[162:163], -v[146:147], v[172:173], v[162:163]
	s_waitcnt lgkmcnt(0)
	v_fma_f64 v[128:129], -v[146:147], v[202:203], v[128:129]
	v_fma_f64 v[142:143], -v[146:147], v[204:205], v[142:143]
	ds_read2_b64 v[202:205], v254 offset0:19 offset1:20
	s_waitcnt lgkmcnt(0)
	v_fma_f64 v[106:107], -v[146:147], v[202:203], v[106:107]
	v_fma_f64 v[126:127], -v[146:147], v[204:205], v[126:127]
	ds_read2_b64 v[202:205], v254 offset0:21 offset1:22
	;; [unrolled: 4-line block ×11, first 2 shown]
	s_waitcnt lgkmcnt(0)
	v_fma_f64 v[86:87], -v[146:147], v[202:203], v[86:87]
	v_fma_f64 v[160:161], -v[146:147], v[204:205], v[160:161]
.LBB83_76:
	s_or_b32 exec_lo, exec_lo, s1
	s_mov_b32 s1, exec_lo
	s_waitcnt lgkmcnt(0)
	s_barrier
	buffer_gl0_inv
	v_cmpx_eq_u32_e32 15, v0
	s_cbranch_execz .LBB83_79
; %bb.77:
	v_mov_b32_e32 v172, v144
	v_mov_b32_e32 v173, v145
	;; [unrolled: 1-line block ×12, first 2 shown]
	ds_write_b64 v1, v[130:131]
	ds_write2_b64 v254, v[172:173], v[174:175] offset0:16 offset1:17
	ds_write2_b64 v254, v[202:203], v[204:205] offset0:18 offset1:19
	;; [unrolled: 1-line block ×3, first 2 shown]
	v_mov_b32_e32 v172, v124
	v_mov_b32_e32 v173, v125
	;; [unrolled: 1-line block ×20, first 2 shown]
	ds_write2_b64 v254, v[172:173], v[174:175] offset0:22 offset1:23
	ds_write2_b64 v254, v[202:203], v[204:205] offset0:24 offset1:25
	;; [unrolled: 1-line block ×5, first 2 shown]
	v_mov_b32_e32 v172, v114
	v_mov_b32_e32 v173, v115
	;; [unrolled: 1-line block ×18, first 2 shown]
	ds_write2_b64 v254, v[172:173], v[174:175] offset0:32 offset1:33
	ds_write2_b64 v254, v[202:203], v[204:205] offset0:34 offset1:35
	;; [unrolled: 1-line block ×5, first 2 shown]
	ds_read_b64 v[202:203], v1
	s_waitcnt lgkmcnt(0)
	v_cmp_neq_f64_e32 vcc_lo, 0, v[202:203]
	s_and_b32 exec_lo, exec_lo, vcc_lo
	s_cbranch_execz .LBB83_79
; %bb.78:
	v_div_scale_f64 v[172:173], null, v[202:203], v[202:203], 1.0
	v_rcp_f64_e32 v[174:175], v[172:173]
	v_fma_f64 v[204:205], -v[172:173], v[174:175], 1.0
	v_fma_f64 v[174:175], v[174:175], v[204:205], v[174:175]
	v_fma_f64 v[204:205], -v[172:173], v[174:175], 1.0
	v_fma_f64 v[174:175], v[174:175], v[204:205], v[174:175]
	v_div_scale_f64 v[204:205], vcc_lo, 1.0, v[202:203], 1.0
	v_mul_f64 v[206:207], v[204:205], v[174:175]
	v_fma_f64 v[172:173], -v[172:173], v[206:207], v[204:205]
	v_div_fmas_f64 v[172:173], v[172:173], v[174:175], v[206:207]
	v_div_fixup_f64 v[172:173], v[172:173], v[202:203], 1.0
	ds_write_b64 v1, v[172:173]
.LBB83_79:
	s_or_b32 exec_lo, exec_lo, s1
	s_waitcnt lgkmcnt(0)
	s_barrier
	buffer_gl0_inv
	ds_read_b64 v[202:203], v1
	s_mov_b32 s1, exec_lo
	v_cmpx_lt_u32_e32 15, v0
	s_cbranch_execz .LBB83_81
; %bb.80:
	s_waitcnt lgkmcnt(0)
	v_mul_f64 v[130:131], v[202:203], v[130:131]
	ds_read2_b64 v[204:207], v254 offset0:16 offset1:17
	s_waitcnt lgkmcnt(0)
	v_fma_f64 v[144:145], -v[130:131], v[204:205], v[144:145]
	v_fma_f64 v[128:129], -v[130:131], v[206:207], v[128:129]
	ds_read2_b64 v[204:207], v254 offset0:18 offset1:19
	s_waitcnt lgkmcnt(0)
	v_fma_f64 v[142:143], -v[130:131], v[204:205], v[142:143]
	v_fma_f64 v[106:107], -v[130:131], v[206:207], v[106:107]
	;; [unrolled: 4-line block ×13, first 2 shown]
.LBB83_81:
	s_or_b32 exec_lo, exec_lo, s1
	s_mov_b32 s1, exec_lo
	s_waitcnt lgkmcnt(0)
	s_barrier
	buffer_gl0_inv
	v_cmpx_eq_u32_e32 16, v0
	s_cbranch_execz .LBB83_84
; %bb.82:
	ds_write_b64 v1, v[144:145]
	ds_write2_b64 v254, v[128:129], v[142:143] offset0:17 offset1:18
	ds_write2_b64 v254, v[106:107], v[126:127] offset0:19 offset1:20
	;; [unrolled: 1-line block ×12, first 2 shown]
	ds_write_b64 v254, v[162:163] offset:328
	ds_read_b64 v[204:205], v1
	s_waitcnt lgkmcnt(0)
	v_cmp_neq_f64_e32 vcc_lo, 0, v[204:205]
	s_and_b32 exec_lo, exec_lo, vcc_lo
	s_cbranch_execz .LBB83_84
; %bb.83:
	v_div_scale_f64 v[172:173], null, v[204:205], v[204:205], 1.0
	v_rcp_f64_e32 v[174:175], v[172:173]
	v_fma_f64 v[206:207], -v[172:173], v[174:175], 1.0
	v_fma_f64 v[174:175], v[174:175], v[206:207], v[174:175]
	v_fma_f64 v[206:207], -v[172:173], v[174:175], 1.0
	v_fma_f64 v[174:175], v[174:175], v[206:207], v[174:175]
	v_div_scale_f64 v[206:207], vcc_lo, 1.0, v[204:205], 1.0
	v_mul_f64 v[208:209], v[206:207], v[174:175]
	v_fma_f64 v[172:173], -v[172:173], v[208:209], v[206:207]
	v_div_fmas_f64 v[172:173], v[172:173], v[174:175], v[208:209]
	v_div_fixup_f64 v[172:173], v[172:173], v[204:205], 1.0
	ds_write_b64 v1, v[172:173]
.LBB83_84:
	s_or_b32 exec_lo, exec_lo, s1
	s_waitcnt lgkmcnt(0)
	s_barrier
	buffer_gl0_inv
	ds_read_b64 v[204:205], v1
	s_mov_b32 s1, exec_lo
	v_cmpx_lt_u32_e32 16, v0
	s_cbranch_execz .LBB83_86
; %bb.85:
	s_waitcnt lgkmcnt(0)
	v_mul_f64 v[144:145], v[204:205], v[144:145]
	ds_read2_b64 v[206:209], v254 offset0:17 offset1:18
	ds_read_b64 v[172:173], v254 offset:328
	s_waitcnt lgkmcnt(1)
	v_fma_f64 v[128:129], -v[144:145], v[206:207], v[128:129]
	v_fma_f64 v[142:143], -v[144:145], v[208:209], v[142:143]
	ds_read2_b64 v[206:209], v254 offset0:19 offset1:20
	s_waitcnt lgkmcnt(1)
	v_fma_f64 v[162:163], -v[144:145], v[172:173], v[162:163]
	s_waitcnt lgkmcnt(0)
	v_fma_f64 v[106:107], -v[144:145], v[206:207], v[106:107]
	v_fma_f64 v[126:127], -v[144:145], v[208:209], v[126:127]
	ds_read2_b64 v[206:209], v254 offset0:21 offset1:22
	s_waitcnt lgkmcnt(0)
	v_fma_f64 v[104:105], -v[144:145], v[206:207], v[104:105]
	v_fma_f64 v[124:125], -v[144:145], v[208:209], v[124:125]
	ds_read2_b64 v[206:209], v254 offset0:23 offset1:24
	;; [unrolled: 4-line block ×10, first 2 shown]
	s_waitcnt lgkmcnt(0)
	v_fma_f64 v[86:87], -v[144:145], v[206:207], v[86:87]
	v_fma_f64 v[160:161], -v[144:145], v[208:209], v[160:161]
.LBB83_86:
	s_or_b32 exec_lo, exec_lo, s1
	s_mov_b32 s1, exec_lo
	s_waitcnt lgkmcnt(0)
	s_barrier
	buffer_gl0_inv
	v_cmpx_eq_u32_e32 17, v0
	s_cbranch_execz .LBB83_89
; %bb.87:
	v_mov_b32_e32 v172, v142
	v_mov_b32_e32 v173, v143
	;; [unrolled: 1-line block ×8, first 2 shown]
	ds_write_b64 v1, v[128:129]
	ds_write2_b64 v254, v[172:173], v[174:175] offset0:18 offset1:19
	ds_write2_b64 v254, v[206:207], v[208:209] offset0:20 offset1:21
	v_mov_b32_e32 v172, v124
	v_mov_b32_e32 v173, v125
	;; [unrolled: 1-line block ×20, first 2 shown]
	ds_write2_b64 v254, v[172:173], v[174:175] offset0:22 offset1:23
	ds_write2_b64 v254, v[206:207], v[208:209] offset0:24 offset1:25
	;; [unrolled: 1-line block ×5, first 2 shown]
	v_mov_b32_e32 v172, v114
	v_mov_b32_e32 v173, v115
	v_mov_b32_e32 v174, v92
	v_mov_b32_e32 v175, v93
	v_mov_b32_e32 v206, v112
	v_mov_b32_e32 v207, v113
	v_mov_b32_e32 v208, v90
	v_mov_b32_e32 v209, v91
	v_mov_b32_e32 v210, v110
	v_mov_b32_e32 v211, v111
	v_mov_b32_e32 v212, v88
	v_mov_b32_e32 v213, v89
	v_mov_b32_e32 v214, v108
	v_mov_b32_e32 v215, v109
	v_mov_b32_e32 v216, v86
	v_mov_b32_e32 v217, v87
	v_mov_b32_e32 v218, v160
	v_mov_b32_e32 v219, v161
	ds_write2_b64 v254, v[172:173], v[174:175] offset0:32 offset1:33
	ds_write2_b64 v254, v[206:207], v[208:209] offset0:34 offset1:35
	;; [unrolled: 1-line block ×5, first 2 shown]
	ds_read_b64 v[206:207], v1
	s_waitcnt lgkmcnt(0)
	v_cmp_neq_f64_e32 vcc_lo, 0, v[206:207]
	s_and_b32 exec_lo, exec_lo, vcc_lo
	s_cbranch_execz .LBB83_89
; %bb.88:
	v_div_scale_f64 v[172:173], null, v[206:207], v[206:207], 1.0
	v_rcp_f64_e32 v[174:175], v[172:173]
	v_fma_f64 v[208:209], -v[172:173], v[174:175], 1.0
	v_fma_f64 v[174:175], v[174:175], v[208:209], v[174:175]
	v_fma_f64 v[208:209], -v[172:173], v[174:175], 1.0
	v_fma_f64 v[174:175], v[174:175], v[208:209], v[174:175]
	v_div_scale_f64 v[208:209], vcc_lo, 1.0, v[206:207], 1.0
	v_mul_f64 v[210:211], v[208:209], v[174:175]
	v_fma_f64 v[172:173], -v[172:173], v[210:211], v[208:209]
	v_div_fmas_f64 v[172:173], v[172:173], v[174:175], v[210:211]
	v_div_fixup_f64 v[172:173], v[172:173], v[206:207], 1.0
	ds_write_b64 v1, v[172:173]
.LBB83_89:
	s_or_b32 exec_lo, exec_lo, s1
	s_waitcnt lgkmcnt(0)
	s_barrier
	buffer_gl0_inv
	ds_read_b64 v[206:207], v1
	s_mov_b32 s1, exec_lo
	v_cmpx_lt_u32_e32 17, v0
	s_cbranch_execz .LBB83_91
; %bb.90:
	s_waitcnt lgkmcnt(0)
	v_mul_f64 v[128:129], v[206:207], v[128:129]
	ds_read2_b64 v[208:211], v254 offset0:18 offset1:19
	s_waitcnt lgkmcnt(0)
	v_fma_f64 v[142:143], -v[128:129], v[208:209], v[142:143]
	v_fma_f64 v[106:107], -v[128:129], v[210:211], v[106:107]
	ds_read2_b64 v[208:211], v254 offset0:20 offset1:21
	s_waitcnt lgkmcnt(0)
	v_fma_f64 v[126:127], -v[128:129], v[208:209], v[126:127]
	v_fma_f64 v[104:105], -v[128:129], v[210:211], v[104:105]
	;; [unrolled: 4-line block ×12, first 2 shown]
.LBB83_91:
	s_or_b32 exec_lo, exec_lo, s1
	s_mov_b32 s1, exec_lo
	s_waitcnt lgkmcnt(0)
	s_barrier
	buffer_gl0_inv
	v_cmpx_eq_u32_e32 18, v0
	s_cbranch_execz .LBB83_94
; %bb.92:
	ds_write_b64 v1, v[142:143]
	ds_write2_b64 v254, v[106:107], v[126:127] offset0:19 offset1:20
	ds_write2_b64 v254, v[104:105], v[124:125] offset0:21 offset1:22
	;; [unrolled: 1-line block ×11, first 2 shown]
	ds_write_b64 v254, v[162:163] offset:328
	ds_read_b64 v[208:209], v1
	s_waitcnt lgkmcnt(0)
	v_cmp_neq_f64_e32 vcc_lo, 0, v[208:209]
	s_and_b32 exec_lo, exec_lo, vcc_lo
	s_cbranch_execz .LBB83_94
; %bb.93:
	v_div_scale_f64 v[172:173], null, v[208:209], v[208:209], 1.0
	v_rcp_f64_e32 v[174:175], v[172:173]
	v_fma_f64 v[210:211], -v[172:173], v[174:175], 1.0
	v_fma_f64 v[174:175], v[174:175], v[210:211], v[174:175]
	v_fma_f64 v[210:211], -v[172:173], v[174:175], 1.0
	v_fma_f64 v[174:175], v[174:175], v[210:211], v[174:175]
	v_div_scale_f64 v[210:211], vcc_lo, 1.0, v[208:209], 1.0
	v_mul_f64 v[212:213], v[210:211], v[174:175]
	v_fma_f64 v[172:173], -v[172:173], v[212:213], v[210:211]
	v_div_fmas_f64 v[172:173], v[172:173], v[174:175], v[212:213]
	v_div_fixup_f64 v[172:173], v[172:173], v[208:209], 1.0
	ds_write_b64 v1, v[172:173]
.LBB83_94:
	s_or_b32 exec_lo, exec_lo, s1
	s_waitcnt lgkmcnt(0)
	s_barrier
	buffer_gl0_inv
	ds_read_b64 v[38:39], v1
	s_mov_b32 s1, exec_lo
	v_cmpx_lt_u32_e32 18, v0
	s_cbranch_execz .LBB83_96
; %bb.95:
	s_waitcnt lgkmcnt(0)
	v_mul_f64 v[142:143], v[38:39], v[142:143]
	ds_read2_b64 v[210:213], v254 offset0:19 offset1:20
	ds_read_b64 v[172:173], v254 offset:328
	s_waitcnt lgkmcnt(1)
	v_fma_f64 v[106:107], -v[142:143], v[210:211], v[106:107]
	v_fma_f64 v[126:127], -v[142:143], v[212:213], v[126:127]
	ds_read2_b64 v[210:213], v254 offset0:21 offset1:22
	s_waitcnt lgkmcnt(1)
	v_fma_f64 v[162:163], -v[142:143], v[172:173], v[162:163]
	s_waitcnt lgkmcnt(0)
	v_fma_f64 v[104:105], -v[142:143], v[210:211], v[104:105]
	v_fma_f64 v[124:125], -v[142:143], v[212:213], v[124:125]
	ds_read2_b64 v[210:213], v254 offset0:23 offset1:24
	s_waitcnt lgkmcnt(0)
	v_fma_f64 v[102:103], -v[142:143], v[210:211], v[102:103]
	v_fma_f64 v[122:123], -v[142:143], v[212:213], v[122:123]
	ds_read2_b64 v[210:213], v254 offset0:25 offset1:26
	;; [unrolled: 4-line block ×9, first 2 shown]
	s_waitcnt lgkmcnt(0)
	v_fma_f64 v[86:87], -v[142:143], v[210:211], v[86:87]
	v_fma_f64 v[160:161], -v[142:143], v[212:213], v[160:161]
.LBB83_96:
	s_or_b32 exec_lo, exec_lo, s1
	s_mov_b32 s1, exec_lo
	s_waitcnt lgkmcnt(0)
	s_barrier
	buffer_gl0_inv
	v_cmpx_eq_u32_e32 19, v0
	s_cbranch_execz .LBB83_99
; %bb.97:
	v_mov_b32_e32 v172, v126
	v_mov_b32_e32 v173, v127
	;; [unrolled: 1-line block ×4, first 2 shown]
	ds_write_b64 v1, v[106:107]
	ds_write2_b64 v254, v[172:173], v[174:175] offset0:20 offset1:21
	v_mov_b32_e32 v172, v124
	v_mov_b32_e32 v173, v125
	;; [unrolled: 1-line block ×20, first 2 shown]
	ds_write2_b64 v254, v[172:173], v[174:175] offset0:22 offset1:23
	ds_write2_b64 v254, v[210:211], v[212:213] offset0:24 offset1:25
	;; [unrolled: 1-line block ×5, first 2 shown]
	v_mov_b32_e32 v172, v114
	v_mov_b32_e32 v173, v115
	;; [unrolled: 1-line block ×18, first 2 shown]
	ds_write2_b64 v254, v[172:173], v[174:175] offset0:32 offset1:33
	ds_write2_b64 v254, v[210:211], v[212:213] offset0:34 offset1:35
	;; [unrolled: 1-line block ×5, first 2 shown]
	ds_read_b64 v[210:211], v1
	s_waitcnt lgkmcnt(0)
	v_cmp_neq_f64_e32 vcc_lo, 0, v[210:211]
	s_and_b32 exec_lo, exec_lo, vcc_lo
	s_cbranch_execz .LBB83_99
; %bb.98:
	v_div_scale_f64 v[172:173], null, v[210:211], v[210:211], 1.0
	v_rcp_f64_e32 v[174:175], v[172:173]
	v_fma_f64 v[212:213], -v[172:173], v[174:175], 1.0
	v_fma_f64 v[174:175], v[174:175], v[212:213], v[174:175]
	v_fma_f64 v[212:213], -v[172:173], v[174:175], 1.0
	v_fma_f64 v[174:175], v[174:175], v[212:213], v[174:175]
	v_div_scale_f64 v[212:213], vcc_lo, 1.0, v[210:211], 1.0
	v_mul_f64 v[214:215], v[212:213], v[174:175]
	v_fma_f64 v[172:173], -v[172:173], v[214:215], v[212:213]
	v_div_fmas_f64 v[172:173], v[172:173], v[174:175], v[214:215]
	v_div_fixup_f64 v[172:173], v[172:173], v[210:211], 1.0
	ds_write_b64 v1, v[172:173]
.LBB83_99:
	s_or_b32 exec_lo, exec_lo, s1
	s_waitcnt lgkmcnt(0)
	s_barrier
	buffer_gl0_inv
	ds_read_b64 v[210:211], v1
	s_mov_b32 s1, exec_lo
	v_cmpx_lt_u32_e32 19, v0
	s_cbranch_execz .LBB83_101
; %bb.100:
	s_waitcnt lgkmcnt(0)
	v_mul_f64 v[106:107], v[210:211], v[106:107]
	ds_read2_b64 v[212:215], v254 offset0:20 offset1:21
	s_waitcnt lgkmcnt(0)
	v_fma_f64 v[126:127], -v[106:107], v[212:213], v[126:127]
	v_fma_f64 v[104:105], -v[106:107], v[214:215], v[104:105]
	ds_read2_b64 v[212:215], v254 offset0:22 offset1:23
	s_waitcnt lgkmcnt(0)
	v_fma_f64 v[124:125], -v[106:107], v[212:213], v[124:125]
	v_fma_f64 v[102:103], -v[106:107], v[214:215], v[102:103]
	;; [unrolled: 4-line block ×11, first 2 shown]
.LBB83_101:
	s_or_b32 exec_lo, exec_lo, s1
	s_mov_b32 s1, exec_lo
	s_waitcnt lgkmcnt(0)
	s_barrier
	buffer_gl0_inv
	v_cmpx_eq_u32_e32 20, v0
	s_cbranch_execz .LBB83_104
; %bb.102:
	ds_write_b64 v1, v[126:127]
	ds_write2_b64 v254, v[104:105], v[124:125] offset0:21 offset1:22
	ds_write2_b64 v254, v[102:103], v[122:123] offset0:23 offset1:24
	;; [unrolled: 1-line block ×10, first 2 shown]
	ds_write_b64 v254, v[162:163] offset:328
	ds_read_b64 v[212:213], v1
	s_waitcnt lgkmcnt(0)
	v_cmp_neq_f64_e32 vcc_lo, 0, v[212:213]
	s_and_b32 exec_lo, exec_lo, vcc_lo
	s_cbranch_execz .LBB83_104
; %bb.103:
	v_div_scale_f64 v[172:173], null, v[212:213], v[212:213], 1.0
	v_rcp_f64_e32 v[174:175], v[172:173]
	v_fma_f64 v[214:215], -v[172:173], v[174:175], 1.0
	v_fma_f64 v[174:175], v[174:175], v[214:215], v[174:175]
	v_fma_f64 v[214:215], -v[172:173], v[174:175], 1.0
	v_fma_f64 v[174:175], v[174:175], v[214:215], v[174:175]
	v_div_scale_f64 v[214:215], vcc_lo, 1.0, v[212:213], 1.0
	v_mul_f64 v[216:217], v[214:215], v[174:175]
	v_fma_f64 v[172:173], -v[172:173], v[216:217], v[214:215]
	v_div_fmas_f64 v[172:173], v[172:173], v[174:175], v[216:217]
	v_div_fixup_f64 v[172:173], v[172:173], v[212:213], 1.0
	ds_write_b64 v1, v[172:173]
.LBB83_104:
	s_or_b32 exec_lo, exec_lo, s1
	s_waitcnt lgkmcnt(0)
	s_barrier
	buffer_gl0_inv
	ds_read_b64 v[212:213], v1
	s_mov_b32 s1, exec_lo
	v_cmpx_lt_u32_e32 20, v0
	s_cbranch_execz .LBB83_106
; %bb.105:
	s_waitcnt lgkmcnt(0)
	v_mul_f64 v[126:127], v[212:213], v[126:127]
	ds_read2_b64 v[214:217], v254 offset0:21 offset1:22
	ds_read_b64 v[172:173], v254 offset:328
	s_waitcnt lgkmcnt(1)
	v_fma_f64 v[104:105], -v[126:127], v[214:215], v[104:105]
	v_fma_f64 v[124:125], -v[126:127], v[216:217], v[124:125]
	ds_read2_b64 v[214:217], v254 offset0:23 offset1:24
	s_waitcnt lgkmcnt(1)
	v_fma_f64 v[162:163], -v[126:127], v[172:173], v[162:163]
	s_waitcnt lgkmcnt(0)
	v_fma_f64 v[102:103], -v[126:127], v[214:215], v[102:103]
	v_fma_f64 v[122:123], -v[126:127], v[216:217], v[122:123]
	ds_read2_b64 v[214:217], v254 offset0:25 offset1:26
	s_waitcnt lgkmcnt(0)
	v_fma_f64 v[100:101], -v[126:127], v[214:215], v[100:101]
	v_fma_f64 v[120:121], -v[126:127], v[216:217], v[120:121]
	ds_read2_b64 v[214:217], v254 offset0:27 offset1:28
	;; [unrolled: 4-line block ×8, first 2 shown]
	s_waitcnt lgkmcnt(0)
	v_fma_f64 v[86:87], -v[126:127], v[214:215], v[86:87]
	v_fma_f64 v[160:161], -v[126:127], v[216:217], v[160:161]
.LBB83_106:
	s_or_b32 exec_lo, exec_lo, s1
	s_mov_b32 s1, exec_lo
	s_waitcnt lgkmcnt(0)
	s_barrier
	buffer_gl0_inv
	v_cmpx_eq_u32_e32 21, v0
	s_cbranch_execz .LBB83_109
; %bb.107:
	v_mov_b32_e32 v172, v124
	v_mov_b32_e32 v173, v125
	;; [unrolled: 1-line block ×20, first 2 shown]
	ds_write_b64 v1, v[104:105]
	ds_write2_b64 v254, v[172:173], v[174:175] offset0:22 offset1:23
	ds_write2_b64 v254, v[214:215], v[216:217] offset0:24 offset1:25
	;; [unrolled: 1-line block ×5, first 2 shown]
	v_mov_b32_e32 v172, v114
	v_mov_b32_e32 v173, v115
	;; [unrolled: 1-line block ×18, first 2 shown]
	ds_write2_b64 v254, v[172:173], v[174:175] offset0:32 offset1:33
	ds_write2_b64 v254, v[214:215], v[216:217] offset0:34 offset1:35
	;; [unrolled: 1-line block ×5, first 2 shown]
	ds_read_b64 v[214:215], v1
	s_waitcnt lgkmcnt(0)
	v_cmp_neq_f64_e32 vcc_lo, 0, v[214:215]
	s_and_b32 exec_lo, exec_lo, vcc_lo
	s_cbranch_execz .LBB83_109
; %bb.108:
	v_div_scale_f64 v[172:173], null, v[214:215], v[214:215], 1.0
	v_rcp_f64_e32 v[174:175], v[172:173]
	v_fma_f64 v[216:217], -v[172:173], v[174:175], 1.0
	v_fma_f64 v[174:175], v[174:175], v[216:217], v[174:175]
	v_fma_f64 v[216:217], -v[172:173], v[174:175], 1.0
	v_fma_f64 v[174:175], v[174:175], v[216:217], v[174:175]
	v_div_scale_f64 v[216:217], vcc_lo, 1.0, v[214:215], 1.0
	v_mul_f64 v[218:219], v[216:217], v[174:175]
	v_fma_f64 v[172:173], -v[172:173], v[218:219], v[216:217]
	v_div_fmas_f64 v[172:173], v[172:173], v[174:175], v[218:219]
	v_div_fixup_f64 v[172:173], v[172:173], v[214:215], 1.0
	ds_write_b64 v1, v[172:173]
.LBB83_109:
	s_or_b32 exec_lo, exec_lo, s1
	s_waitcnt lgkmcnt(0)
	s_barrier
	buffer_gl0_inv
	ds_read_b64 v[214:215], v1
	s_mov_b32 s1, exec_lo
	v_cmpx_lt_u32_e32 21, v0
	s_cbranch_execz .LBB83_111
; %bb.110:
	s_waitcnt lgkmcnt(0)
	v_mul_f64 v[104:105], v[214:215], v[104:105]
	ds_read2_b64 v[216:219], v254 offset0:22 offset1:23
	s_waitcnt lgkmcnt(0)
	v_fma_f64 v[124:125], -v[104:105], v[216:217], v[124:125]
	v_fma_f64 v[102:103], -v[104:105], v[218:219], v[102:103]
	ds_read2_b64 v[216:219], v254 offset0:24 offset1:25
	s_waitcnt lgkmcnt(0)
	v_fma_f64 v[122:123], -v[104:105], v[216:217], v[122:123]
	v_fma_f64 v[100:101], -v[104:105], v[218:219], v[100:101]
	;; [unrolled: 4-line block ×10, first 2 shown]
.LBB83_111:
	s_or_b32 exec_lo, exec_lo, s1
	s_mov_b32 s1, exec_lo
	s_waitcnt lgkmcnt(0)
	s_barrier
	buffer_gl0_inv
	v_cmpx_eq_u32_e32 22, v0
	s_cbranch_execz .LBB83_114
; %bb.112:
	ds_write_b64 v1, v[124:125]
	ds_write2_b64 v254, v[102:103], v[122:123] offset0:23 offset1:24
	ds_write2_b64 v254, v[100:101], v[120:121] offset0:25 offset1:26
	;; [unrolled: 1-line block ×9, first 2 shown]
	ds_write_b64 v254, v[162:163] offset:328
	ds_read_b64 v[216:217], v1
	s_waitcnt lgkmcnt(0)
	v_cmp_neq_f64_e32 vcc_lo, 0, v[216:217]
	s_and_b32 exec_lo, exec_lo, vcc_lo
	s_cbranch_execz .LBB83_114
; %bb.113:
	v_div_scale_f64 v[172:173], null, v[216:217], v[216:217], 1.0
	v_rcp_f64_e32 v[174:175], v[172:173]
	v_fma_f64 v[218:219], -v[172:173], v[174:175], 1.0
	v_fma_f64 v[174:175], v[174:175], v[218:219], v[174:175]
	v_fma_f64 v[218:219], -v[172:173], v[174:175], 1.0
	v_fma_f64 v[174:175], v[174:175], v[218:219], v[174:175]
	v_div_scale_f64 v[218:219], vcc_lo, 1.0, v[216:217], 1.0
	v_mul_f64 v[220:221], v[218:219], v[174:175]
	v_fma_f64 v[172:173], -v[172:173], v[220:221], v[218:219]
	v_div_fmas_f64 v[172:173], v[172:173], v[174:175], v[220:221]
	v_div_fixup_f64 v[172:173], v[172:173], v[216:217], 1.0
	ds_write_b64 v1, v[172:173]
.LBB83_114:
	s_or_b32 exec_lo, exec_lo, s1
	s_waitcnt lgkmcnt(0)
	s_barrier
	buffer_gl0_inv
	ds_read_b64 v[216:217], v1
	s_mov_b32 s1, exec_lo
	v_cmpx_lt_u32_e32 22, v0
	s_cbranch_execz .LBB83_116
; %bb.115:
	s_waitcnt lgkmcnt(0)
	v_mul_f64 v[124:125], v[216:217], v[124:125]
	ds_read2_b64 v[218:221], v254 offset0:23 offset1:24
	ds_read_b64 v[172:173], v254 offset:328
	s_waitcnt lgkmcnt(1)
	v_fma_f64 v[102:103], -v[124:125], v[218:219], v[102:103]
	v_fma_f64 v[122:123], -v[124:125], v[220:221], v[122:123]
	ds_read2_b64 v[218:221], v254 offset0:25 offset1:26
	s_waitcnt lgkmcnt(1)
	v_fma_f64 v[162:163], -v[124:125], v[172:173], v[162:163]
	s_waitcnt lgkmcnt(0)
	v_fma_f64 v[100:101], -v[124:125], v[218:219], v[100:101]
	v_fma_f64 v[120:121], -v[124:125], v[220:221], v[120:121]
	ds_read2_b64 v[218:221], v254 offset0:27 offset1:28
	s_waitcnt lgkmcnt(0)
	v_fma_f64 v[98:99], -v[124:125], v[218:219], v[98:99]
	v_fma_f64 v[118:119], -v[124:125], v[220:221], v[118:119]
	ds_read2_b64 v[218:221], v254 offset0:29 offset1:30
	;; [unrolled: 4-line block ×7, first 2 shown]
	s_waitcnt lgkmcnt(0)
	v_fma_f64 v[86:87], -v[124:125], v[218:219], v[86:87]
	v_fma_f64 v[160:161], -v[124:125], v[220:221], v[160:161]
.LBB83_116:
	s_or_b32 exec_lo, exec_lo, s1
	s_mov_b32 s1, exec_lo
	s_waitcnt lgkmcnt(0)
	s_barrier
	buffer_gl0_inv
	v_cmpx_eq_u32_e32 23, v0
	s_cbranch_execz .LBB83_119
; %bb.117:
	v_mov_b32_e32 v172, v122
	v_mov_b32_e32 v173, v123
	;; [unrolled: 1-line block ×16, first 2 shown]
	ds_write_b64 v1, v[102:103]
	ds_write2_b64 v254, v[172:173], v[174:175] offset0:24 offset1:25
	ds_write2_b64 v254, v[218:219], v[220:221] offset0:26 offset1:27
	;; [unrolled: 1-line block ×4, first 2 shown]
	v_mov_b32_e32 v172, v114
	v_mov_b32_e32 v173, v115
	;; [unrolled: 1-line block ×18, first 2 shown]
	ds_write2_b64 v254, v[172:173], v[174:175] offset0:32 offset1:33
	ds_write2_b64 v254, v[218:219], v[220:221] offset0:34 offset1:35
	;; [unrolled: 1-line block ×5, first 2 shown]
	ds_read_b64 v[218:219], v1
	s_waitcnt lgkmcnt(0)
	v_cmp_neq_f64_e32 vcc_lo, 0, v[218:219]
	s_and_b32 exec_lo, exec_lo, vcc_lo
	s_cbranch_execz .LBB83_119
; %bb.118:
	v_div_scale_f64 v[172:173], null, v[218:219], v[218:219], 1.0
	v_rcp_f64_e32 v[174:175], v[172:173]
	v_fma_f64 v[220:221], -v[172:173], v[174:175], 1.0
	v_fma_f64 v[174:175], v[174:175], v[220:221], v[174:175]
	v_fma_f64 v[220:221], -v[172:173], v[174:175], 1.0
	v_fma_f64 v[174:175], v[174:175], v[220:221], v[174:175]
	v_div_scale_f64 v[220:221], vcc_lo, 1.0, v[218:219], 1.0
	v_mul_f64 v[222:223], v[220:221], v[174:175]
	v_fma_f64 v[172:173], -v[172:173], v[222:223], v[220:221]
	v_div_fmas_f64 v[172:173], v[172:173], v[174:175], v[222:223]
	v_div_fixup_f64 v[172:173], v[172:173], v[218:219], 1.0
	ds_write_b64 v1, v[172:173]
.LBB83_119:
	s_or_b32 exec_lo, exec_lo, s1
	s_waitcnt lgkmcnt(0)
	s_barrier
	buffer_gl0_inv
	ds_read_b64 v[218:219], v1
	s_mov_b32 s1, exec_lo
	v_cmpx_lt_u32_e32 23, v0
	s_cbranch_execz .LBB83_121
; %bb.120:
	s_waitcnt lgkmcnt(0)
	v_mul_f64 v[102:103], v[218:219], v[102:103]
	ds_read2_b64 v[220:223], v254 offset0:24 offset1:25
	s_waitcnt lgkmcnt(0)
	v_fma_f64 v[122:123], -v[102:103], v[220:221], v[122:123]
	v_fma_f64 v[100:101], -v[102:103], v[222:223], v[100:101]
	ds_read2_b64 v[220:223], v254 offset0:26 offset1:27
	s_waitcnt lgkmcnt(0)
	v_fma_f64 v[120:121], -v[102:103], v[220:221], v[120:121]
	v_fma_f64 v[98:99], -v[102:103], v[222:223], v[98:99]
	;; [unrolled: 4-line block ×9, first 2 shown]
.LBB83_121:
	s_or_b32 exec_lo, exec_lo, s1
	s_mov_b32 s1, exec_lo
	s_waitcnt lgkmcnt(0)
	s_barrier
	buffer_gl0_inv
	v_cmpx_eq_u32_e32 24, v0
	s_cbranch_execz .LBB83_124
; %bb.122:
	ds_write_b64 v1, v[122:123]
	ds_write2_b64 v254, v[100:101], v[120:121] offset0:25 offset1:26
	ds_write2_b64 v254, v[98:99], v[118:119] offset0:27 offset1:28
	;; [unrolled: 1-line block ×8, first 2 shown]
	ds_write_b64 v254, v[162:163] offset:328
	ds_read_b64 v[220:221], v1
	s_waitcnt lgkmcnt(0)
	v_cmp_neq_f64_e32 vcc_lo, 0, v[220:221]
	s_and_b32 exec_lo, exec_lo, vcc_lo
	s_cbranch_execz .LBB83_124
; %bb.123:
	v_div_scale_f64 v[172:173], null, v[220:221], v[220:221], 1.0
	v_rcp_f64_e32 v[174:175], v[172:173]
	v_fma_f64 v[222:223], -v[172:173], v[174:175], 1.0
	v_fma_f64 v[174:175], v[174:175], v[222:223], v[174:175]
	v_fma_f64 v[222:223], -v[172:173], v[174:175], 1.0
	v_fma_f64 v[174:175], v[174:175], v[222:223], v[174:175]
	v_div_scale_f64 v[222:223], vcc_lo, 1.0, v[220:221], 1.0
	v_mul_f64 v[224:225], v[222:223], v[174:175]
	v_fma_f64 v[172:173], -v[172:173], v[224:225], v[222:223]
	v_div_fmas_f64 v[172:173], v[172:173], v[174:175], v[224:225]
	v_div_fixup_f64 v[172:173], v[172:173], v[220:221], 1.0
	ds_write_b64 v1, v[172:173]
.LBB83_124:
	s_or_b32 exec_lo, exec_lo, s1
	s_waitcnt lgkmcnt(0)
	s_barrier
	buffer_gl0_inv
	ds_read_b64 v[220:221], v1
	s_mov_b32 s1, exec_lo
	v_cmpx_lt_u32_e32 24, v0
	s_cbranch_execz .LBB83_126
; %bb.125:
	s_waitcnt lgkmcnt(0)
	v_mul_f64 v[122:123], v[220:221], v[122:123]
	ds_read2_b64 v[222:225], v254 offset0:25 offset1:26
	ds_read_b64 v[172:173], v254 offset:328
	s_waitcnt lgkmcnt(1)
	v_fma_f64 v[100:101], -v[122:123], v[222:223], v[100:101]
	v_fma_f64 v[120:121], -v[122:123], v[224:225], v[120:121]
	ds_read2_b64 v[222:225], v254 offset0:27 offset1:28
	s_waitcnt lgkmcnt(1)
	v_fma_f64 v[162:163], -v[122:123], v[172:173], v[162:163]
	s_waitcnt lgkmcnt(0)
	v_fma_f64 v[98:99], -v[122:123], v[222:223], v[98:99]
	v_fma_f64 v[118:119], -v[122:123], v[224:225], v[118:119]
	ds_read2_b64 v[222:225], v254 offset0:29 offset1:30
	s_waitcnt lgkmcnt(0)
	v_fma_f64 v[96:97], -v[122:123], v[222:223], v[96:97]
	v_fma_f64 v[116:117], -v[122:123], v[224:225], v[116:117]
	ds_read2_b64 v[222:225], v254 offset0:31 offset1:32
	;; [unrolled: 4-line block ×6, first 2 shown]
	s_waitcnt lgkmcnt(0)
	v_fma_f64 v[86:87], -v[122:123], v[222:223], v[86:87]
	v_fma_f64 v[160:161], -v[122:123], v[224:225], v[160:161]
.LBB83_126:
	s_or_b32 exec_lo, exec_lo, s1
	s_mov_b32 s1, exec_lo
	s_waitcnt lgkmcnt(0)
	s_barrier
	buffer_gl0_inv
	v_cmpx_eq_u32_e32 25, v0
	s_cbranch_execz .LBB83_129
; %bb.127:
	v_mov_b32_e32 v172, v120
	v_mov_b32_e32 v173, v121
	;; [unrolled: 1-line block ×12, first 2 shown]
	ds_write_b64 v1, v[100:101]
	ds_write2_b64 v254, v[172:173], v[174:175] offset0:26 offset1:27
	ds_write2_b64 v254, v[222:223], v[224:225] offset0:28 offset1:29
	;; [unrolled: 1-line block ×3, first 2 shown]
	v_mov_b32_e32 v172, v114
	v_mov_b32_e32 v173, v115
	;; [unrolled: 1-line block ×18, first 2 shown]
	ds_write2_b64 v254, v[172:173], v[174:175] offset0:32 offset1:33
	ds_write2_b64 v254, v[222:223], v[224:225] offset0:34 offset1:35
	ds_write2_b64 v254, v[226:227], v[228:229] offset0:36 offset1:37
	ds_write2_b64 v254, v[230:231], v[232:233] offset0:38 offset1:39
	ds_write2_b64 v254, v[234:235], v[162:163] offset0:40 offset1:41
	ds_read_b64 v[222:223], v1
	s_waitcnt lgkmcnt(0)
	v_cmp_neq_f64_e32 vcc_lo, 0, v[222:223]
	s_and_b32 exec_lo, exec_lo, vcc_lo
	s_cbranch_execz .LBB83_129
; %bb.128:
	v_div_scale_f64 v[172:173], null, v[222:223], v[222:223], 1.0
	v_rcp_f64_e32 v[174:175], v[172:173]
	v_fma_f64 v[224:225], -v[172:173], v[174:175], 1.0
	v_fma_f64 v[174:175], v[174:175], v[224:225], v[174:175]
	v_fma_f64 v[224:225], -v[172:173], v[174:175], 1.0
	v_fma_f64 v[174:175], v[174:175], v[224:225], v[174:175]
	v_div_scale_f64 v[224:225], vcc_lo, 1.0, v[222:223], 1.0
	v_mul_f64 v[226:227], v[224:225], v[174:175]
	v_fma_f64 v[172:173], -v[172:173], v[226:227], v[224:225]
	v_div_fmas_f64 v[172:173], v[172:173], v[174:175], v[226:227]
	v_div_fixup_f64 v[172:173], v[172:173], v[222:223], 1.0
	ds_write_b64 v1, v[172:173]
.LBB83_129:
	s_or_b32 exec_lo, exec_lo, s1
	s_waitcnt lgkmcnt(0)
	s_barrier
	buffer_gl0_inv
	ds_read_b64 v[222:223], v1
	s_mov_b32 s1, exec_lo
	v_cmpx_lt_u32_e32 25, v0
	s_cbranch_execz .LBB83_131
; %bb.130:
	s_waitcnt lgkmcnt(0)
	v_mul_f64 v[100:101], v[222:223], v[100:101]
	ds_read2_b64 v[224:227], v254 offset0:26 offset1:27
	s_waitcnt lgkmcnt(0)
	v_fma_f64 v[120:121], -v[100:101], v[224:225], v[120:121]
	v_fma_f64 v[98:99], -v[100:101], v[226:227], v[98:99]
	ds_read2_b64 v[224:227], v254 offset0:28 offset1:29
	s_waitcnt lgkmcnt(0)
	v_fma_f64 v[118:119], -v[100:101], v[224:225], v[118:119]
	v_fma_f64 v[96:97], -v[100:101], v[226:227], v[96:97]
	;; [unrolled: 4-line block ×8, first 2 shown]
.LBB83_131:
	s_or_b32 exec_lo, exec_lo, s1
	s_mov_b32 s1, exec_lo
	s_waitcnt lgkmcnt(0)
	s_barrier
	buffer_gl0_inv
	v_cmpx_eq_u32_e32 26, v0
	s_cbranch_execz .LBB83_134
; %bb.132:
	ds_write_b64 v1, v[120:121]
	ds_write2_b64 v254, v[98:99], v[118:119] offset0:27 offset1:28
	ds_write2_b64 v254, v[96:97], v[116:117] offset0:29 offset1:30
	;; [unrolled: 1-line block ×7, first 2 shown]
	ds_write_b64 v254, v[162:163] offset:328
	ds_read_b64 v[224:225], v1
	s_waitcnt lgkmcnt(0)
	v_cmp_neq_f64_e32 vcc_lo, 0, v[224:225]
	s_and_b32 exec_lo, exec_lo, vcc_lo
	s_cbranch_execz .LBB83_134
; %bb.133:
	v_div_scale_f64 v[172:173], null, v[224:225], v[224:225], 1.0
	v_rcp_f64_e32 v[174:175], v[172:173]
	v_fma_f64 v[226:227], -v[172:173], v[174:175], 1.0
	v_fma_f64 v[174:175], v[174:175], v[226:227], v[174:175]
	v_fma_f64 v[226:227], -v[172:173], v[174:175], 1.0
	v_fma_f64 v[174:175], v[174:175], v[226:227], v[174:175]
	v_div_scale_f64 v[226:227], vcc_lo, 1.0, v[224:225], 1.0
	v_mul_f64 v[228:229], v[226:227], v[174:175]
	v_fma_f64 v[172:173], -v[172:173], v[228:229], v[226:227]
	v_div_fmas_f64 v[172:173], v[172:173], v[174:175], v[228:229]
	v_div_fixup_f64 v[172:173], v[172:173], v[224:225], 1.0
	ds_write_b64 v1, v[172:173]
.LBB83_134:
	s_or_b32 exec_lo, exec_lo, s1
	s_waitcnt lgkmcnt(0)
	s_barrier
	buffer_gl0_inv
	ds_read_b64 v[224:225], v1
	s_mov_b32 s1, exec_lo
	v_cmpx_lt_u32_e32 26, v0
	s_cbranch_execz .LBB83_136
; %bb.135:
	s_waitcnt lgkmcnt(0)
	v_mul_f64 v[120:121], v[224:225], v[120:121]
	ds_read2_b64 v[226:229], v254 offset0:27 offset1:28
	ds_read_b64 v[172:173], v254 offset:328
	s_waitcnt lgkmcnt(1)
	v_fma_f64 v[98:99], -v[120:121], v[226:227], v[98:99]
	v_fma_f64 v[118:119], -v[120:121], v[228:229], v[118:119]
	ds_read2_b64 v[226:229], v254 offset0:29 offset1:30
	s_waitcnt lgkmcnt(1)
	v_fma_f64 v[162:163], -v[120:121], v[172:173], v[162:163]
	s_waitcnt lgkmcnt(0)
	v_fma_f64 v[96:97], -v[120:121], v[226:227], v[96:97]
	v_fma_f64 v[116:117], -v[120:121], v[228:229], v[116:117]
	ds_read2_b64 v[226:229], v254 offset0:31 offset1:32
	s_waitcnt lgkmcnt(0)
	v_fma_f64 v[94:95], -v[120:121], v[226:227], v[94:95]
	v_fma_f64 v[114:115], -v[120:121], v[228:229], v[114:115]
	ds_read2_b64 v[226:229], v254 offset0:33 offset1:34
	;; [unrolled: 4-line block ×5, first 2 shown]
	s_waitcnt lgkmcnt(0)
	v_fma_f64 v[86:87], -v[120:121], v[226:227], v[86:87]
	v_fma_f64 v[160:161], -v[120:121], v[228:229], v[160:161]
.LBB83_136:
	s_or_b32 exec_lo, exec_lo, s1
	s_mov_b32 s1, exec_lo
	s_waitcnt lgkmcnt(0)
	s_barrier
	buffer_gl0_inv
	v_cmpx_eq_u32_e32 27, v0
	s_cbranch_execz .LBB83_139
; %bb.137:
	v_mov_b32_e32 v172, v118
	v_mov_b32_e32 v173, v119
	;; [unrolled: 1-line block ×8, first 2 shown]
	ds_write_b64 v1, v[98:99]
	ds_write2_b64 v254, v[172:173], v[174:175] offset0:28 offset1:29
	ds_write2_b64 v254, v[226:227], v[228:229] offset0:30 offset1:31
	v_mov_b32_e32 v172, v114
	v_mov_b32_e32 v173, v115
	;; [unrolled: 1-line block ×18, first 2 shown]
	ds_write2_b64 v254, v[172:173], v[174:175] offset0:32 offset1:33
	ds_write2_b64 v254, v[226:227], v[228:229] offset0:34 offset1:35
	;; [unrolled: 1-line block ×5, first 2 shown]
	ds_read_b64 v[226:227], v1
	s_waitcnt lgkmcnt(0)
	v_cmp_neq_f64_e32 vcc_lo, 0, v[226:227]
	s_and_b32 exec_lo, exec_lo, vcc_lo
	s_cbranch_execz .LBB83_139
; %bb.138:
	v_div_scale_f64 v[172:173], null, v[226:227], v[226:227], 1.0
	v_rcp_f64_e32 v[174:175], v[172:173]
	v_fma_f64 v[228:229], -v[172:173], v[174:175], 1.0
	v_fma_f64 v[174:175], v[174:175], v[228:229], v[174:175]
	v_fma_f64 v[228:229], -v[172:173], v[174:175], 1.0
	v_fma_f64 v[174:175], v[174:175], v[228:229], v[174:175]
	v_div_scale_f64 v[228:229], vcc_lo, 1.0, v[226:227], 1.0
	v_mul_f64 v[230:231], v[228:229], v[174:175]
	v_fma_f64 v[172:173], -v[172:173], v[230:231], v[228:229]
	v_div_fmas_f64 v[172:173], v[172:173], v[174:175], v[230:231]
	v_div_fixup_f64 v[172:173], v[172:173], v[226:227], 1.0
	ds_write_b64 v1, v[172:173]
.LBB83_139:
	s_or_b32 exec_lo, exec_lo, s1
	s_waitcnt lgkmcnt(0)
	s_barrier
	buffer_gl0_inv
	ds_read_b64 v[226:227], v1
	s_mov_b32 s1, exec_lo
	v_cmpx_lt_u32_e32 27, v0
	s_cbranch_execz .LBB83_141
; %bb.140:
	s_waitcnt lgkmcnt(0)
	v_mul_f64 v[98:99], v[226:227], v[98:99]
	ds_read2_b64 v[228:231], v254 offset0:28 offset1:29
	s_waitcnt lgkmcnt(0)
	v_fma_f64 v[118:119], -v[98:99], v[228:229], v[118:119]
	v_fma_f64 v[96:97], -v[98:99], v[230:231], v[96:97]
	ds_read2_b64 v[228:231], v254 offset0:30 offset1:31
	s_waitcnt lgkmcnt(0)
	v_fma_f64 v[116:117], -v[98:99], v[228:229], v[116:117]
	v_fma_f64 v[94:95], -v[98:99], v[230:231], v[94:95]
	;; [unrolled: 4-line block ×7, first 2 shown]
.LBB83_141:
	s_or_b32 exec_lo, exec_lo, s1
	s_mov_b32 s1, exec_lo
	s_waitcnt lgkmcnt(0)
	s_barrier
	buffer_gl0_inv
	v_cmpx_eq_u32_e32 28, v0
	s_cbranch_execz .LBB83_144
; %bb.142:
	ds_write_b64 v1, v[118:119]
	ds_write2_b64 v254, v[96:97], v[116:117] offset0:29 offset1:30
	ds_write2_b64 v254, v[94:95], v[114:115] offset0:31 offset1:32
	;; [unrolled: 1-line block ×6, first 2 shown]
	ds_write_b64 v254, v[162:163] offset:328
	ds_read_b64 v[228:229], v1
	s_waitcnt lgkmcnt(0)
	v_cmp_neq_f64_e32 vcc_lo, 0, v[228:229]
	s_and_b32 exec_lo, exec_lo, vcc_lo
	s_cbranch_execz .LBB83_144
; %bb.143:
	v_div_scale_f64 v[172:173], null, v[228:229], v[228:229], 1.0
	v_rcp_f64_e32 v[174:175], v[172:173]
	v_fma_f64 v[230:231], -v[172:173], v[174:175], 1.0
	v_fma_f64 v[174:175], v[174:175], v[230:231], v[174:175]
	v_fma_f64 v[230:231], -v[172:173], v[174:175], 1.0
	v_fma_f64 v[174:175], v[174:175], v[230:231], v[174:175]
	v_div_scale_f64 v[230:231], vcc_lo, 1.0, v[228:229], 1.0
	v_mul_f64 v[232:233], v[230:231], v[174:175]
	v_fma_f64 v[172:173], -v[172:173], v[232:233], v[230:231]
	v_div_fmas_f64 v[172:173], v[172:173], v[174:175], v[232:233]
	v_div_fixup_f64 v[172:173], v[172:173], v[228:229], 1.0
	ds_write_b64 v1, v[172:173]
.LBB83_144:
	s_or_b32 exec_lo, exec_lo, s1
	s_waitcnt lgkmcnt(0)
	s_barrier
	buffer_gl0_inv
	ds_read_b64 v[228:229], v1
	s_mov_b32 s1, exec_lo
	v_cmpx_lt_u32_e32 28, v0
	s_cbranch_execz .LBB83_146
; %bb.145:
	s_waitcnt lgkmcnt(0)
	v_mul_f64 v[118:119], v[228:229], v[118:119]
	ds_read2_b64 v[230:233], v254 offset0:29 offset1:30
	ds_read_b64 v[172:173], v254 offset:328
	s_waitcnt lgkmcnt(1)
	v_fma_f64 v[96:97], -v[118:119], v[230:231], v[96:97]
	v_fma_f64 v[116:117], -v[118:119], v[232:233], v[116:117]
	ds_read2_b64 v[230:233], v254 offset0:31 offset1:32
	s_waitcnt lgkmcnt(1)
	v_fma_f64 v[162:163], -v[118:119], v[172:173], v[162:163]
	s_waitcnt lgkmcnt(0)
	v_fma_f64 v[94:95], -v[118:119], v[230:231], v[94:95]
	v_fma_f64 v[114:115], -v[118:119], v[232:233], v[114:115]
	ds_read2_b64 v[230:233], v254 offset0:33 offset1:34
	s_waitcnt lgkmcnt(0)
	v_fma_f64 v[92:93], -v[118:119], v[230:231], v[92:93]
	v_fma_f64 v[112:113], -v[118:119], v[232:233], v[112:113]
	ds_read2_b64 v[230:233], v254 offset0:35 offset1:36
	;; [unrolled: 4-line block ×4, first 2 shown]
	s_waitcnt lgkmcnt(0)
	v_fma_f64 v[86:87], -v[118:119], v[230:231], v[86:87]
	v_fma_f64 v[160:161], -v[118:119], v[232:233], v[160:161]
.LBB83_146:
	s_or_b32 exec_lo, exec_lo, s1
	s_mov_b32 s1, exec_lo
	s_waitcnt lgkmcnt(0)
	s_barrier
	buffer_gl0_inv
	v_cmpx_eq_u32_e32 29, v0
	s_cbranch_execz .LBB83_149
; %bb.147:
	v_mov_b32_e32 v172, v116
	v_mov_b32_e32 v173, v117
	;; [unrolled: 1-line block ×4, first 2 shown]
	ds_write_b64 v1, v[96:97]
	ds_write2_b64 v254, v[172:173], v[174:175] offset0:30 offset1:31
	v_mov_b32_e32 v172, v114
	v_mov_b32_e32 v173, v115
	;; [unrolled: 1-line block ×18, first 2 shown]
	ds_write2_b64 v254, v[172:173], v[174:175] offset0:32 offset1:33
	ds_write2_b64 v254, v[230:231], v[232:233] offset0:34 offset1:35
	;; [unrolled: 1-line block ×5, first 2 shown]
	ds_read_b64 v[230:231], v1
	s_waitcnt lgkmcnt(0)
	v_cmp_neq_f64_e32 vcc_lo, 0, v[230:231]
	s_and_b32 exec_lo, exec_lo, vcc_lo
	s_cbranch_execz .LBB83_149
; %bb.148:
	v_div_scale_f64 v[172:173], null, v[230:231], v[230:231], 1.0
	v_rcp_f64_e32 v[174:175], v[172:173]
	v_fma_f64 v[232:233], -v[172:173], v[174:175], 1.0
	v_fma_f64 v[174:175], v[174:175], v[232:233], v[174:175]
	v_fma_f64 v[232:233], -v[172:173], v[174:175], 1.0
	v_fma_f64 v[174:175], v[174:175], v[232:233], v[174:175]
	v_div_scale_f64 v[232:233], vcc_lo, 1.0, v[230:231], 1.0
	v_mul_f64 v[234:235], v[232:233], v[174:175]
	v_fma_f64 v[172:173], -v[172:173], v[234:235], v[232:233]
	v_div_fmas_f64 v[172:173], v[172:173], v[174:175], v[234:235]
	v_div_fixup_f64 v[172:173], v[172:173], v[230:231], 1.0
	ds_write_b64 v1, v[172:173]
.LBB83_149:
	s_or_b32 exec_lo, exec_lo, s1
	s_waitcnt lgkmcnt(0)
	s_barrier
	buffer_gl0_inv
	ds_read_b64 v[230:231], v1
	s_mov_b32 s1, exec_lo
	v_cmpx_lt_u32_e32 29, v0
	s_cbranch_execz .LBB83_151
; %bb.150:
	s_waitcnt lgkmcnt(0)
	v_mul_f64 v[96:97], v[230:231], v[96:97]
	ds_read2_b64 v[232:235], v254 offset0:30 offset1:31
	s_waitcnt lgkmcnt(0)
	v_fma_f64 v[116:117], -v[96:97], v[232:233], v[116:117]
	v_fma_f64 v[94:95], -v[96:97], v[234:235], v[94:95]
	ds_read2_b64 v[232:235], v254 offset0:32 offset1:33
	s_waitcnt lgkmcnt(0)
	v_fma_f64 v[114:115], -v[96:97], v[232:233], v[114:115]
	v_fma_f64 v[92:93], -v[96:97], v[234:235], v[92:93]
	;; [unrolled: 4-line block ×6, first 2 shown]
.LBB83_151:
	s_or_b32 exec_lo, exec_lo, s1
	s_mov_b32 s1, exec_lo
	s_waitcnt lgkmcnt(0)
	s_barrier
	buffer_gl0_inv
	v_cmpx_eq_u32_e32 30, v0
	s_cbranch_execz .LBB83_154
; %bb.152:
	ds_write_b64 v1, v[116:117]
	ds_write2_b64 v254, v[94:95], v[114:115] offset0:31 offset1:32
	ds_write2_b64 v254, v[92:93], v[112:113] offset0:33 offset1:34
	;; [unrolled: 1-line block ×5, first 2 shown]
	ds_write_b64 v254, v[162:163] offset:328
	ds_read_b64 v[232:233], v1
	s_waitcnt lgkmcnt(0)
	v_cmp_neq_f64_e32 vcc_lo, 0, v[232:233]
	s_and_b32 exec_lo, exec_lo, vcc_lo
	s_cbranch_execz .LBB83_154
; %bb.153:
	v_div_scale_f64 v[172:173], null, v[232:233], v[232:233], 1.0
	v_rcp_f64_e32 v[174:175], v[172:173]
	v_fma_f64 v[234:235], -v[172:173], v[174:175], 1.0
	v_fma_f64 v[174:175], v[174:175], v[234:235], v[174:175]
	v_fma_f64 v[234:235], -v[172:173], v[174:175], 1.0
	v_fma_f64 v[174:175], v[174:175], v[234:235], v[174:175]
	v_div_scale_f64 v[234:235], vcc_lo, 1.0, v[232:233], 1.0
	v_mul_f64 v[236:237], v[234:235], v[174:175]
	v_fma_f64 v[172:173], -v[172:173], v[236:237], v[234:235]
	v_div_fmas_f64 v[172:173], v[172:173], v[174:175], v[236:237]
	v_div_fixup_f64 v[172:173], v[172:173], v[232:233], 1.0
	ds_write_b64 v1, v[172:173]
.LBB83_154:
	s_or_b32 exec_lo, exec_lo, s1
	s_waitcnt lgkmcnt(0)
	s_barrier
	buffer_gl0_inv
	ds_read_b64 v[232:233], v1
	s_mov_b32 s1, exec_lo
	v_cmpx_lt_u32_e32 30, v0
	s_cbranch_execz .LBB83_156
; %bb.155:
	s_waitcnt lgkmcnt(0)
	v_mul_f64 v[116:117], v[232:233], v[116:117]
	ds_read2_b64 v[234:237], v254 offset0:31 offset1:32
	ds_read_b64 v[172:173], v254 offset:328
	s_waitcnt lgkmcnt(1)
	v_fma_f64 v[94:95], -v[116:117], v[234:235], v[94:95]
	v_fma_f64 v[114:115], -v[116:117], v[236:237], v[114:115]
	ds_read2_b64 v[234:237], v254 offset0:33 offset1:34
	s_waitcnt lgkmcnt(1)
	v_fma_f64 v[162:163], -v[116:117], v[172:173], v[162:163]
	s_waitcnt lgkmcnt(0)
	v_fma_f64 v[92:93], -v[116:117], v[234:235], v[92:93]
	v_fma_f64 v[112:113], -v[116:117], v[236:237], v[112:113]
	ds_read2_b64 v[234:237], v254 offset0:35 offset1:36
	s_waitcnt lgkmcnt(0)
	v_fma_f64 v[90:91], -v[116:117], v[234:235], v[90:91]
	v_fma_f64 v[110:111], -v[116:117], v[236:237], v[110:111]
	ds_read2_b64 v[234:237], v254 offset0:37 offset1:38
	;; [unrolled: 4-line block ×3, first 2 shown]
	s_waitcnt lgkmcnt(0)
	v_fma_f64 v[86:87], -v[116:117], v[234:235], v[86:87]
	v_fma_f64 v[160:161], -v[116:117], v[236:237], v[160:161]
.LBB83_156:
	s_or_b32 exec_lo, exec_lo, s1
	s_mov_b32 s1, exec_lo
	s_waitcnt lgkmcnt(0)
	s_barrier
	buffer_gl0_inv
	v_cmpx_eq_u32_e32 31, v0
	s_cbranch_execz .LBB83_159
; %bb.157:
	v_mov_b32_e32 v172, v114
	v_mov_b32_e32 v173, v115
	;; [unrolled: 1-line block ×18, first 2 shown]
	ds_write_b64 v1, v[94:95]
	ds_write2_b64 v254, v[172:173], v[174:175] offset0:32 offset1:33
	ds_write2_b64 v254, v[234:235], v[236:237] offset0:34 offset1:35
	;; [unrolled: 1-line block ×5, first 2 shown]
	ds_read_b64 v[234:235], v1
	s_waitcnt lgkmcnt(0)
	v_cmp_neq_f64_e32 vcc_lo, 0, v[234:235]
	s_and_b32 exec_lo, exec_lo, vcc_lo
	s_cbranch_execz .LBB83_159
; %bb.158:
	v_div_scale_f64 v[172:173], null, v[234:235], v[234:235], 1.0
	v_rcp_f64_e32 v[174:175], v[172:173]
	v_fma_f64 v[236:237], -v[172:173], v[174:175], 1.0
	v_fma_f64 v[174:175], v[174:175], v[236:237], v[174:175]
	v_fma_f64 v[236:237], -v[172:173], v[174:175], 1.0
	v_fma_f64 v[174:175], v[174:175], v[236:237], v[174:175]
	v_div_scale_f64 v[236:237], vcc_lo, 1.0, v[234:235], 1.0
	v_mul_f64 v[238:239], v[236:237], v[174:175]
	v_fma_f64 v[172:173], -v[172:173], v[238:239], v[236:237]
	v_div_fmas_f64 v[172:173], v[172:173], v[174:175], v[238:239]
	v_div_fixup_f64 v[172:173], v[172:173], v[234:235], 1.0
	ds_write_b64 v1, v[172:173]
.LBB83_159:
	s_or_b32 exec_lo, exec_lo, s1
	s_waitcnt lgkmcnt(0)
	s_barrier
	buffer_gl0_inv
	ds_read_b64 v[234:235], v1
	s_mov_b32 s1, exec_lo
	v_cmpx_lt_u32_e32 31, v0
	s_cbranch_execz .LBB83_161
; %bb.160:
	s_waitcnt lgkmcnt(0)
	v_mul_f64 v[94:95], v[234:235], v[94:95]
	ds_read2_b64 v[236:239], v254 offset0:32 offset1:33
	s_waitcnt lgkmcnt(0)
	v_fma_f64 v[114:115], -v[94:95], v[236:237], v[114:115]
	v_fma_f64 v[92:93], -v[94:95], v[238:239], v[92:93]
	ds_read2_b64 v[236:239], v254 offset0:34 offset1:35
	s_waitcnt lgkmcnt(0)
	v_fma_f64 v[112:113], -v[94:95], v[236:237], v[112:113]
	v_fma_f64 v[90:91], -v[94:95], v[238:239], v[90:91]
	;; [unrolled: 4-line block ×5, first 2 shown]
.LBB83_161:
	s_or_b32 exec_lo, exec_lo, s1
	s_mov_b32 s1, exec_lo
	s_waitcnt lgkmcnt(0)
	s_barrier
	buffer_gl0_inv
	v_cmpx_eq_u32_e32 32, v0
	s_cbranch_execz .LBB83_164
; %bb.162:
	ds_write_b64 v1, v[114:115]
	ds_write2_b64 v254, v[92:93], v[112:113] offset0:33 offset1:34
	ds_write2_b64 v254, v[90:91], v[110:111] offset0:35 offset1:36
	;; [unrolled: 1-line block ×4, first 2 shown]
	ds_write_b64 v254, v[162:163] offset:328
	ds_read_b64 v[236:237], v1
	s_waitcnt lgkmcnt(0)
	v_cmp_neq_f64_e32 vcc_lo, 0, v[236:237]
	s_and_b32 exec_lo, exec_lo, vcc_lo
	s_cbranch_execz .LBB83_164
; %bb.163:
	v_div_scale_f64 v[172:173], null, v[236:237], v[236:237], 1.0
	v_rcp_f64_e32 v[174:175], v[172:173]
	v_fma_f64 v[238:239], -v[172:173], v[174:175], 1.0
	v_fma_f64 v[174:175], v[174:175], v[238:239], v[174:175]
	v_fma_f64 v[238:239], -v[172:173], v[174:175], 1.0
	v_fma_f64 v[174:175], v[174:175], v[238:239], v[174:175]
	v_div_scale_f64 v[238:239], vcc_lo, 1.0, v[236:237], 1.0
	v_mul_f64 v[240:241], v[238:239], v[174:175]
	v_fma_f64 v[172:173], -v[172:173], v[240:241], v[238:239]
	v_div_fmas_f64 v[172:173], v[172:173], v[174:175], v[240:241]
	v_div_fixup_f64 v[172:173], v[172:173], v[236:237], 1.0
	ds_write_b64 v1, v[172:173]
.LBB83_164:
	s_or_b32 exec_lo, exec_lo, s1
	s_waitcnt lgkmcnt(0)
	s_barrier
	buffer_gl0_inv
	ds_read_b64 v[236:237], v1
	s_mov_b32 s1, exec_lo
	v_cmpx_lt_u32_e32 32, v0
	s_cbranch_execz .LBB83_166
; %bb.165:
	s_waitcnt lgkmcnt(0)
	v_mul_f64 v[114:115], v[236:237], v[114:115]
	ds_read2_b64 v[238:241], v254 offset0:33 offset1:34
	ds_read_b64 v[172:173], v254 offset:328
	s_waitcnt lgkmcnt(1)
	v_fma_f64 v[92:93], -v[114:115], v[238:239], v[92:93]
	v_fma_f64 v[112:113], -v[114:115], v[240:241], v[112:113]
	ds_read2_b64 v[238:241], v254 offset0:35 offset1:36
	s_waitcnt lgkmcnt(1)
	v_fma_f64 v[162:163], -v[114:115], v[172:173], v[162:163]
	s_waitcnt lgkmcnt(0)
	v_fma_f64 v[90:91], -v[114:115], v[238:239], v[90:91]
	v_fma_f64 v[110:111], -v[114:115], v[240:241], v[110:111]
	ds_read2_b64 v[238:241], v254 offset0:37 offset1:38
	s_waitcnt lgkmcnt(0)
	v_fma_f64 v[88:89], -v[114:115], v[238:239], v[88:89]
	v_fma_f64 v[108:109], -v[114:115], v[240:241], v[108:109]
	ds_read2_b64 v[238:241], v254 offset0:39 offset1:40
	s_waitcnt lgkmcnt(0)
	v_fma_f64 v[86:87], -v[114:115], v[238:239], v[86:87]
	v_fma_f64 v[160:161], -v[114:115], v[240:241], v[160:161]
.LBB83_166:
	s_or_b32 exec_lo, exec_lo, s1
	s_mov_b32 s1, exec_lo
	s_waitcnt lgkmcnt(0)
	s_barrier
	buffer_gl0_inv
	v_cmpx_eq_u32_e32 33, v0
	s_cbranch_execz .LBB83_169
; %bb.167:
	v_mov_b32_e32 v172, v112
	v_mov_b32_e32 v173, v113
	;; [unrolled: 1-line block ×14, first 2 shown]
	ds_write_b64 v1, v[92:93]
	ds_write2_b64 v254, v[172:173], v[174:175] offset0:34 offset1:35
	ds_write2_b64 v254, v[238:239], v[240:241] offset0:36 offset1:37
	;; [unrolled: 1-line block ×4, first 2 shown]
	ds_read_b64 v[238:239], v1
	s_waitcnt lgkmcnt(0)
	v_cmp_neq_f64_e32 vcc_lo, 0, v[238:239]
	s_and_b32 exec_lo, exec_lo, vcc_lo
	s_cbranch_execz .LBB83_169
; %bb.168:
	v_div_scale_f64 v[172:173], null, v[238:239], v[238:239], 1.0
	v_rcp_f64_e32 v[174:175], v[172:173]
	v_fma_f64 v[240:241], -v[172:173], v[174:175], 1.0
	v_fma_f64 v[174:175], v[174:175], v[240:241], v[174:175]
	v_fma_f64 v[240:241], -v[172:173], v[174:175], 1.0
	v_fma_f64 v[174:175], v[174:175], v[240:241], v[174:175]
	v_div_scale_f64 v[240:241], vcc_lo, 1.0, v[238:239], 1.0
	v_mul_f64 v[242:243], v[240:241], v[174:175]
	v_fma_f64 v[172:173], -v[172:173], v[242:243], v[240:241]
	v_div_fmas_f64 v[172:173], v[172:173], v[174:175], v[242:243]
	v_div_fixup_f64 v[172:173], v[172:173], v[238:239], 1.0
	ds_write_b64 v1, v[172:173]
.LBB83_169:
	s_or_b32 exec_lo, exec_lo, s1
	s_waitcnt lgkmcnt(0)
	s_barrier
	buffer_gl0_inv
	ds_read_b64 v[238:239], v1
	s_mov_b32 s1, exec_lo
	v_cmpx_lt_u32_e32 33, v0
	s_cbranch_execz .LBB83_171
; %bb.170:
	s_waitcnt lgkmcnt(0)
	v_mul_f64 v[92:93], v[238:239], v[92:93]
	ds_read2_b64 v[240:243], v254 offset0:34 offset1:35
	s_waitcnt lgkmcnt(0)
	v_fma_f64 v[112:113], -v[92:93], v[240:241], v[112:113]
	v_fma_f64 v[90:91], -v[92:93], v[242:243], v[90:91]
	ds_read2_b64 v[240:243], v254 offset0:36 offset1:37
	s_waitcnt lgkmcnt(0)
	v_fma_f64 v[110:111], -v[92:93], v[240:241], v[110:111]
	v_fma_f64 v[88:89], -v[92:93], v[242:243], v[88:89]
	ds_read2_b64 v[240:243], v254 offset0:38 offset1:39
	s_waitcnt lgkmcnt(0)
	v_fma_f64 v[108:109], -v[92:93], v[240:241], v[108:109]
	v_fma_f64 v[86:87], -v[92:93], v[242:243], v[86:87]
	ds_read2_b64 v[240:243], v254 offset0:40 offset1:41
	s_waitcnt lgkmcnt(0)
	v_fma_f64 v[160:161], -v[92:93], v[240:241], v[160:161]
	v_fma_f64 v[162:163], -v[92:93], v[242:243], v[162:163]
.LBB83_171:
	s_or_b32 exec_lo, exec_lo, s1
	s_mov_b32 s1, exec_lo
	s_waitcnt lgkmcnt(0)
	s_barrier
	buffer_gl0_inv
	v_cmpx_eq_u32_e32 34, v0
	s_cbranch_execz .LBB83_174
; %bb.172:
	ds_write_b64 v1, v[112:113]
	ds_write2_b64 v254, v[90:91], v[110:111] offset0:35 offset1:36
	ds_write2_b64 v254, v[88:89], v[108:109] offset0:37 offset1:38
	ds_write2_b64 v254, v[86:87], v[160:161] offset0:39 offset1:40
	ds_write_b64 v254, v[162:163] offset:328
	ds_read_b64 v[240:241], v1
	s_waitcnt lgkmcnt(0)
	v_cmp_neq_f64_e32 vcc_lo, 0, v[240:241]
	s_and_b32 exec_lo, exec_lo, vcc_lo
	s_cbranch_execz .LBB83_174
; %bb.173:
	v_div_scale_f64 v[172:173], null, v[240:241], v[240:241], 1.0
	v_rcp_f64_e32 v[174:175], v[172:173]
	v_fma_f64 v[242:243], -v[172:173], v[174:175], 1.0
	v_fma_f64 v[174:175], v[174:175], v[242:243], v[174:175]
	v_fma_f64 v[242:243], -v[172:173], v[174:175], 1.0
	v_fma_f64 v[174:175], v[174:175], v[242:243], v[174:175]
	v_div_scale_f64 v[242:243], vcc_lo, 1.0, v[240:241], 1.0
	v_mul_f64 v[244:245], v[242:243], v[174:175]
	v_fma_f64 v[172:173], -v[172:173], v[244:245], v[242:243]
	v_div_fmas_f64 v[172:173], v[172:173], v[174:175], v[244:245]
	v_div_fixup_f64 v[172:173], v[172:173], v[240:241], 1.0
	ds_write_b64 v1, v[172:173]
.LBB83_174:
	s_or_b32 exec_lo, exec_lo, s1
	s_waitcnt lgkmcnt(0)
	s_barrier
	buffer_gl0_inv
	ds_read_b64 v[240:241], v1
	s_mov_b32 s1, exec_lo
	v_cmpx_lt_u32_e32 34, v0
	s_cbranch_execz .LBB83_176
; %bb.175:
	s_waitcnt lgkmcnt(0)
	v_mul_f64 v[112:113], v[240:241], v[112:113]
	ds_read2_b64 v[242:245], v254 offset0:35 offset1:36
	ds_read_b64 v[172:173], v254 offset:328
	s_waitcnt lgkmcnt(1)
	v_fma_f64 v[90:91], -v[112:113], v[242:243], v[90:91]
	v_fma_f64 v[110:111], -v[112:113], v[244:245], v[110:111]
	ds_read2_b64 v[242:245], v254 offset0:37 offset1:38
	s_waitcnt lgkmcnt(1)
	v_fma_f64 v[162:163], -v[112:113], v[172:173], v[162:163]
	s_waitcnt lgkmcnt(0)
	v_fma_f64 v[88:89], -v[112:113], v[242:243], v[88:89]
	v_fma_f64 v[108:109], -v[112:113], v[244:245], v[108:109]
	ds_read2_b64 v[242:245], v254 offset0:39 offset1:40
	s_waitcnt lgkmcnt(0)
	v_fma_f64 v[86:87], -v[112:113], v[242:243], v[86:87]
	v_fma_f64 v[160:161], -v[112:113], v[244:245], v[160:161]
.LBB83_176:
	s_or_b32 exec_lo, exec_lo, s1
	s_mov_b32 s1, exec_lo
	s_waitcnt lgkmcnt(0)
	s_barrier
	buffer_gl0_inv
	v_cmpx_eq_u32_e32 35, v0
	s_cbranch_execz .LBB83_179
; %bb.177:
	v_mov_b32_e32 v172, v110
	v_mov_b32_e32 v173, v111
	;; [unrolled: 1-line block ×10, first 2 shown]
	ds_write_b64 v1, v[90:91]
	ds_write2_b64 v254, v[172:173], v[174:175] offset0:36 offset1:37
	ds_write2_b64 v254, v[242:243], v[244:245] offset0:38 offset1:39
	;; [unrolled: 1-line block ×3, first 2 shown]
	ds_read_b64 v[242:243], v1
	s_waitcnt lgkmcnt(0)
	v_cmp_neq_f64_e32 vcc_lo, 0, v[242:243]
	s_and_b32 exec_lo, exec_lo, vcc_lo
	s_cbranch_execz .LBB83_179
; %bb.178:
	v_div_scale_f64 v[172:173], null, v[242:243], v[242:243], 1.0
	v_rcp_f64_e32 v[174:175], v[172:173]
	v_fma_f64 v[244:245], -v[172:173], v[174:175], 1.0
	v_fma_f64 v[174:175], v[174:175], v[244:245], v[174:175]
	v_fma_f64 v[244:245], -v[172:173], v[174:175], 1.0
	v_fma_f64 v[174:175], v[174:175], v[244:245], v[174:175]
	v_div_scale_f64 v[244:245], vcc_lo, 1.0, v[242:243], 1.0
	v_mul_f64 v[246:247], v[244:245], v[174:175]
	v_fma_f64 v[172:173], -v[172:173], v[246:247], v[244:245]
	v_div_fmas_f64 v[172:173], v[172:173], v[174:175], v[246:247]
	v_div_fixup_f64 v[172:173], v[172:173], v[242:243], 1.0
	ds_write_b64 v1, v[172:173]
.LBB83_179:
	s_or_b32 exec_lo, exec_lo, s1
	s_waitcnt lgkmcnt(0)
	s_barrier
	buffer_gl0_inv
	ds_read_b64 v[242:243], v1
	s_mov_b32 s1, exec_lo
	v_cmpx_lt_u32_e32 35, v0
	s_cbranch_execz .LBB83_181
; %bb.180:
	s_waitcnt lgkmcnt(0)
	v_mul_f64 v[90:91], v[242:243], v[90:91]
	ds_read2_b64 v[244:247], v254 offset0:36 offset1:37
	s_waitcnt lgkmcnt(0)
	v_fma_f64 v[110:111], -v[90:91], v[244:245], v[110:111]
	v_fma_f64 v[88:89], -v[90:91], v[246:247], v[88:89]
	ds_read2_b64 v[244:247], v254 offset0:38 offset1:39
	s_waitcnt lgkmcnt(0)
	v_fma_f64 v[108:109], -v[90:91], v[244:245], v[108:109]
	v_fma_f64 v[86:87], -v[90:91], v[246:247], v[86:87]
	;; [unrolled: 4-line block ×3, first 2 shown]
.LBB83_181:
	s_or_b32 exec_lo, exec_lo, s1
	s_mov_b32 s1, exec_lo
	s_waitcnt lgkmcnt(0)
	s_barrier
	buffer_gl0_inv
	v_cmpx_eq_u32_e32 36, v0
	s_cbranch_execz .LBB83_184
; %bb.182:
	ds_write_b64 v1, v[110:111]
	ds_write2_b64 v254, v[88:89], v[108:109] offset0:37 offset1:38
	ds_write2_b64 v254, v[86:87], v[160:161] offset0:39 offset1:40
	ds_write_b64 v254, v[162:163] offset:328
	ds_read_b64 v[244:245], v1
	s_waitcnt lgkmcnt(0)
	v_cmp_neq_f64_e32 vcc_lo, 0, v[244:245]
	s_and_b32 exec_lo, exec_lo, vcc_lo
	s_cbranch_execz .LBB83_184
; %bb.183:
	v_div_scale_f64 v[172:173], null, v[244:245], v[244:245], 1.0
	v_rcp_f64_e32 v[174:175], v[172:173]
	v_fma_f64 v[246:247], -v[172:173], v[174:175], 1.0
	v_fma_f64 v[174:175], v[174:175], v[246:247], v[174:175]
	v_fma_f64 v[246:247], -v[172:173], v[174:175], 1.0
	v_fma_f64 v[174:175], v[174:175], v[246:247], v[174:175]
	v_div_scale_f64 v[246:247], vcc_lo, 1.0, v[244:245], 1.0
	v_mul_f64 v[248:249], v[246:247], v[174:175]
	v_fma_f64 v[172:173], -v[172:173], v[248:249], v[246:247]
	v_div_fmas_f64 v[172:173], v[172:173], v[174:175], v[248:249]
	v_div_fixup_f64 v[172:173], v[172:173], v[244:245], 1.0
	ds_write_b64 v1, v[172:173]
.LBB83_184:
	s_or_b32 exec_lo, exec_lo, s1
	s_waitcnt lgkmcnt(0)
	s_barrier
	buffer_gl0_inv
	ds_read_b64 v[244:245], v1
	s_mov_b32 s1, exec_lo
	v_cmpx_lt_u32_e32 36, v0
	s_cbranch_execz .LBB83_186
; %bb.185:
	s_waitcnt lgkmcnt(0)
	v_mul_f64 v[110:111], v[244:245], v[110:111]
	ds_read2_b64 v[246:249], v254 offset0:37 offset1:38
	ds_read_b64 v[172:173], v254 offset:328
	s_waitcnt lgkmcnt(1)
	v_fma_f64 v[88:89], -v[110:111], v[246:247], v[88:89]
	v_fma_f64 v[108:109], -v[110:111], v[248:249], v[108:109]
	ds_read2_b64 v[246:249], v254 offset0:39 offset1:40
	s_waitcnt lgkmcnt(1)
	v_fma_f64 v[162:163], -v[110:111], v[172:173], v[162:163]
	s_waitcnt lgkmcnt(0)
	v_fma_f64 v[86:87], -v[110:111], v[246:247], v[86:87]
	v_fma_f64 v[160:161], -v[110:111], v[248:249], v[160:161]
.LBB83_186:
	s_or_b32 exec_lo, exec_lo, s1
	s_mov_b32 s1, exec_lo
	s_waitcnt lgkmcnt(0)
	s_barrier
	buffer_gl0_inv
	v_cmpx_eq_u32_e32 37, v0
	s_cbranch_execz .LBB83_189
; %bb.187:
	v_mov_b32_e32 v172, v108
	v_mov_b32_e32 v173, v109
	;; [unrolled: 1-line block ×6, first 2 shown]
	ds_write_b64 v1, v[88:89]
	ds_write2_b64 v254, v[172:173], v[174:175] offset0:38 offset1:39
	ds_write2_b64 v254, v[246:247], v[162:163] offset0:40 offset1:41
	ds_read_b64 v[246:247], v1
	s_waitcnt lgkmcnt(0)
	v_cmp_neq_f64_e32 vcc_lo, 0, v[246:247]
	s_and_b32 exec_lo, exec_lo, vcc_lo
	s_cbranch_execz .LBB83_189
; %bb.188:
	v_div_scale_f64 v[172:173], null, v[246:247], v[246:247], 1.0
	v_rcp_f64_e32 v[174:175], v[172:173]
	v_fma_f64 v[248:249], -v[172:173], v[174:175], 1.0
	v_fma_f64 v[174:175], v[174:175], v[248:249], v[174:175]
	v_fma_f64 v[248:249], -v[172:173], v[174:175], 1.0
	v_fma_f64 v[174:175], v[174:175], v[248:249], v[174:175]
	v_div_scale_f64 v[248:249], vcc_lo, 1.0, v[246:247], 1.0
	v_mul_f64 v[250:251], v[248:249], v[174:175]
	v_fma_f64 v[172:173], -v[172:173], v[250:251], v[248:249]
	v_div_fmas_f64 v[172:173], v[172:173], v[174:175], v[250:251]
	v_div_fixup_f64 v[172:173], v[172:173], v[246:247], 1.0
	ds_write_b64 v1, v[172:173]
.LBB83_189:
	s_or_b32 exec_lo, exec_lo, s1
	s_waitcnt lgkmcnt(0)
	s_barrier
	buffer_gl0_inv
	ds_read_b64 v[246:247], v1
	s_mov_b32 s1, exec_lo
	v_cmpx_lt_u32_e32 37, v0
	s_cbranch_execz .LBB83_191
; %bb.190:
	s_waitcnt lgkmcnt(0)
	v_mul_f64 v[88:89], v[246:247], v[88:89]
	ds_read2_b64 v[248:251], v254 offset0:38 offset1:39
	s_waitcnt lgkmcnt(0)
	v_fma_f64 v[108:109], -v[88:89], v[248:249], v[108:109]
	v_fma_f64 v[86:87], -v[88:89], v[250:251], v[86:87]
	ds_read2_b64 v[248:251], v254 offset0:40 offset1:41
	s_waitcnt lgkmcnt(0)
	v_fma_f64 v[160:161], -v[88:89], v[248:249], v[160:161]
	v_fma_f64 v[162:163], -v[88:89], v[250:251], v[162:163]
.LBB83_191:
	s_or_b32 exec_lo, exec_lo, s1
	s_mov_b32 s1, exec_lo
	s_waitcnt lgkmcnt(0)
	s_barrier
	buffer_gl0_inv
	v_cmpx_eq_u32_e32 38, v0
	s_cbranch_execz .LBB83_194
; %bb.192:
	ds_write_b64 v1, v[108:109]
	ds_write2_b64 v254, v[86:87], v[160:161] offset0:39 offset1:40
	ds_write_b64 v254, v[162:163] offset:328
	ds_read_b64 v[248:249], v1
	s_waitcnt lgkmcnt(0)
	v_cmp_neq_f64_e32 vcc_lo, 0, v[248:249]
	s_and_b32 exec_lo, exec_lo, vcc_lo
	s_cbranch_execz .LBB83_194
; %bb.193:
	v_div_scale_f64 v[172:173], null, v[248:249], v[248:249], 1.0
	v_rcp_f64_e32 v[174:175], v[172:173]
	v_fma_f64 v[250:251], -v[172:173], v[174:175], 1.0
	v_fma_f64 v[174:175], v[174:175], v[250:251], v[174:175]
	v_fma_f64 v[250:251], -v[172:173], v[174:175], 1.0
	v_fma_f64 v[174:175], v[174:175], v[250:251], v[174:175]
	v_div_scale_f64 v[250:251], vcc_lo, 1.0, v[248:249], 1.0
	v_mul_f64 v[252:253], v[250:251], v[174:175]
	v_fma_f64 v[172:173], -v[172:173], v[252:253], v[250:251]
	v_div_fmas_f64 v[172:173], v[172:173], v[174:175], v[252:253]
	v_div_fixup_f64 v[172:173], v[172:173], v[248:249], 1.0
	ds_write_b64 v1, v[172:173]
.LBB83_194:
	s_or_b32 exec_lo, exec_lo, s1
	s_waitcnt lgkmcnt(0)
	s_barrier
	buffer_gl0_inv
	ds_read_b64 v[248:249], v1
	s_mov_b32 s1, exec_lo
	v_cmpx_lt_u32_e32 38, v0
	s_cbranch_execz .LBB83_196
; %bb.195:
	s_waitcnt lgkmcnt(0)
	v_mul_f64 v[108:109], v[248:249], v[108:109]
	ds_read2_b64 v[250:253], v254 offset0:39 offset1:40
	ds_read_b64 v[172:173], v254 offset:328
	s_waitcnt lgkmcnt(1)
	v_fma_f64 v[86:87], -v[108:109], v[250:251], v[86:87]
	v_fma_f64 v[160:161], -v[108:109], v[252:253], v[160:161]
	s_waitcnt lgkmcnt(0)
	v_fma_f64 v[162:163], -v[108:109], v[172:173], v[162:163]
.LBB83_196:
	s_or_b32 exec_lo, exec_lo, s1
	s_mov_b32 s1, exec_lo
	s_waitcnt lgkmcnt(0)
	s_barrier
	buffer_gl0_inv
	v_cmpx_eq_u32_e32 39, v0
	s_cbranch_execz .LBB83_199
; %bb.197:
	v_mov_b32_e32 v172, v160
	v_mov_b32_e32 v173, v161
	ds_write_b64 v1, v[86:87]
	ds_write2_b64 v254, v[172:173], v[162:163] offset0:40 offset1:41
	ds_read_b64 v[250:251], v1
	s_waitcnt lgkmcnt(0)
	v_cmp_neq_f64_e32 vcc_lo, 0, v[250:251]
	s_and_b32 exec_lo, exec_lo, vcc_lo
	s_cbranch_execz .LBB83_199
; %bb.198:
	v_div_scale_f64 v[172:173], null, v[250:251], v[250:251], 1.0
	v_mov_b32_e32 v209, v207
	v_mov_b32_e32 v208, v206
	;; [unrolled: 1-line block ×20, first 2 shown]
	v_rcp_f64_e32 v[174:175], v[172:173]
	v_mov_b32_e32 v189, v187
	v_mov_b32_e32 v188, v186
	;; [unrolled: 1-line block ×12, first 2 shown]
	v_fma_f64 v[252:253], -v[172:173], v[174:175], 1.0
	v_fma_f64 v[174:175], v[174:175], v[252:253], v[174:175]
	v_fma_f64 v[252:253], -v[172:173], v[174:175], 1.0
	v_fma_f64 v[174:175], v[174:175], v[252:253], v[174:175]
	v_div_scale_f64 v[252:253], vcc_lo, 1.0, v[250:251], 1.0
	v_mul_f64 v[176:177], v[252:253], v[174:175]
	v_fma_f64 v[172:173], -v[172:173], v[176:177], v[252:253]
	v_div_fmas_f64 v[172:173], v[172:173], v[174:175], v[176:177]
	v_mov_b32_e32 v176, v178
	v_mov_b32_e32 v177, v179
	;; [unrolled: 1-line block ×21, first 2 shown]
	v_div_fixup_f64 v[172:173], v[172:173], v[250:251], 1.0
	v_mov_b32_e32 v197, v199
	v_mov_b32_e32 v198, v200
	;; [unrolled: 1-line block ×11, first 2 shown]
	ds_write_b64 v1, v[172:173]
.LBB83_199:
	s_or_b32 exec_lo, exec_lo, s1
	s_waitcnt lgkmcnt(0)
	s_barrier
	buffer_gl0_inv
	ds_read_b64 v[250:251], v1
	s_mov_b32 s1, exec_lo
	v_cmpx_lt_u32_e32 39, v0
	s_cbranch_execz .LBB83_201
; %bb.200:
	s_waitcnt lgkmcnt(0)
	v_mul_f64 v[86:87], v[250:251], v[86:87]
	ds_read2_b64 v[172:175], v254 offset0:40 offset1:41
	s_waitcnt lgkmcnt(0)
	v_fma_f64 v[160:161], -v[86:87], v[172:173], v[160:161]
	v_fma_f64 v[162:163], -v[86:87], v[174:175], v[162:163]
.LBB83_201:
	s_or_b32 exec_lo, exec_lo, s1
	s_mov_b32 s1, exec_lo
	s_waitcnt lgkmcnt(0)
	s_barrier
	buffer_gl0_inv
	v_cmpx_eq_u32_e32 40, v0
	s_cbranch_execz .LBB83_204
; %bb.202:
	ds_write_b64 v1, v[160:161]
	ds_write_b64 v254, v[162:163] offset:328
	ds_read_b64 v[252:253], v1
	s_waitcnt lgkmcnt(0)
	v_cmp_neq_f64_e32 vcc_lo, 0, v[252:253]
	s_and_b32 exec_lo, exec_lo, vcc_lo
	s_cbranch_execz .LBB83_204
; %bb.203:
	v_div_scale_f64 v[172:173], null, v[252:253], v[252:253], 1.0
	v_mov_b32_e32 v209, v205
	v_mov_b32_e32 v208, v204
	;; [unrolled: 1-line block ×5, first 2 shown]
	buffer_store_dword v124, off, s[12:15], 0 offset:24 ; 4-byte Folded Spill
	buffer_store_dword v125, off, s[12:15], 0 offset:28 ; 4-byte Folded Spill
	v_mov_b32_e32 v200, v196
	v_mov_b32_e32 v197, v193
	;; [unrolled: 1-line block ×14, first 2 shown]
	v_rcp_f64_e32 v[174:175], v[172:173]
	v_mov_b32_e32 v106, v142
	v_mov_b32_e32 v184, v180
	;; [unrolled: 1-line block ×23, first 2 shown]
	v_fma_f64 v[176:177], -v[172:173], v[174:175], 1.0
	v_mov_b32_e32 v134, v150
	v_mov_b32_e32 v135, v151
	;; [unrolled: 1-line block ×27, first 2 shown]
	v_fma_f64 v[174:175], v[174:175], v[176:177], v[174:175]
	v_mov_b32_e32 v240, v164
	v_mov_b32_e32 v164, v238
	;; [unrolled: 1-line block ×44, first 2 shown]
	v_fma_f64 v[176:177], -v[172:173], v[174:175], 1.0
	v_mov_b32_e32 v78, v76
	v_mov_b32_e32 v77, v75
	;; [unrolled: 1-line block ×44, first 2 shown]
	v_fma_f64 v[174:175], v[174:175], v[176:177], v[174:175]
	v_div_scale_f64 v[176:177], vcc_lo, 1.0, v[252:253], 1.0
	v_mov_b32_e32 v34, v32
	v_mov_b32_e32 v33, v31
	;; [unrolled: 1-line block ×45, first 2 shown]
	v_mul_f64 v[178:179], v[176:177], v[174:175]
	v_fma_f64 v[172:173], -v[172:173], v[178:179], v[176:177]
	v_mov_b32_e32 v176, v180
	v_mov_b32_e32 v177, v181
	v_mov_b32_e32 v180, v184
	v_mov_b32_e32 v181, v185
	v_mov_b32_e32 v184, v188
	v_mov_b32_e32 v185, v189
	v_mov_b32_e32 v188, v192
	v_mov_b32_e32 v189, v193
	v_mov_b32_e32 v192, v196
	v_mov_b32_e32 v193, v197
	v_mov_b32_e32 v196, v200
	v_mov_b32_e32 v197, v201
	v_mov_b32_e32 v200, v204
	v_mov_b32_e32 v201, v205
	v_mov_b32_e32 v204, v208
	v_mov_b32_e32 v205, v209
	v_div_fmas_f64 v[172:173], v[172:173], v[174:175], v[178:179]
	v_mov_b32_e32 v178, v182
	v_mov_b32_e32 v179, v183
	;; [unrolled: 1-line block ×186, first 2 shown]
	s_clause 0x1
	buffer_load_dword v124, off, s[12:15], 0 offset:24
	buffer_load_dword v125, off, s[12:15], 0 offset:28
	v_div_fixup_f64 v[172:173], v[172:173], v[252:253], 1.0
	ds_write_b64 v1, v[172:173]
.LBB83_204:
	s_or_b32 exec_lo, exec_lo, s1
	s_waitcnt vmcnt(0) lgkmcnt(0)
	s_waitcnt_vscnt null, 0x0
	s_barrier
	buffer_gl0_inv
	ds_read_b64 v[252:253], v1
	s_mov_b32 s1, exec_lo
	v_cmpx_lt_u32_e32 40, v0
	s_cbranch_execz .LBB83_206
; %bb.205:
	s_waitcnt lgkmcnt(0)
	v_mul_f64 v[160:161], v[252:253], v[160:161]
	ds_read_b64 v[172:173], v254 offset:328
	s_waitcnt lgkmcnt(0)
	v_fma_f64 v[162:163], -v[160:161], v[172:173], v[162:163]
.LBB83_206:
	s_or_b32 exec_lo, exec_lo, s1
	s_mov_b32 s1, exec_lo
	s_waitcnt lgkmcnt(0)
	s_barrier
	buffer_gl0_inv
	v_cmpx_eq_u32_e32 41, v0
	s_cbranch_execz .LBB83_209
; %bb.207:
	v_cmp_neq_f64_e32 vcc_lo, 0, v[162:163]
	ds_write_b64 v1, v[162:163]
	s_and_b32 exec_lo, exec_lo, vcc_lo
	s_cbranch_execz .LBB83_209
; %bb.208:
	v_div_scale_f64 v[172:173], null, v[162:163], v[162:163], 1.0
	v_mov_b32_e32 v209, v205
	v_mov_b32_e32 v208, v204
	;; [unrolled: 1-line block ×20, first 2 shown]
	v_rcp_f64_e32 v[174:175], v[172:173]
	v_mov_b32_e32 v126, v106
	v_mov_b32_e32 v106, v142
	;; [unrolled: 1-line block ×23, first 2 shown]
	v_fma_f64 v[176:177], -v[172:173], v[174:175], 1.0
	v_mov_b32_e32 v148, v134
	v_mov_b32_e32 v134, v150
	;; [unrolled: 1-line block ×28, first 2 shown]
	v_fma_f64 v[174:175], v[174:175], v[176:177], v[174:175]
	v_mov_b32_e32 v240, v164
	v_mov_b32_e32 v164, v238
	;; [unrolled: 1-line block ×44, first 2 shown]
	v_fma_f64 v[176:177], -v[172:173], v[174:175], 1.0
	v_mov_b32_e32 v78, v76
	v_mov_b32_e32 v77, v75
	v_mov_b32_e32 v76, v74
	v_mov_b32_e32 v75, v73
	v_mov_b32_e32 v74, v72
	v_mov_b32_e32 v73, v71
	v_mov_b32_e32 v72, v70
	v_mov_b32_e32 v71, v69
	v_mov_b32_e32 v70, v68
	v_mov_b32_e32 v69, v67
	v_mov_b32_e32 v68, v66
	v_mov_b32_e32 v67, v65
	v_mov_b32_e32 v66, v64
	v_mov_b32_e32 v65, v63
	v_mov_b32_e32 v64, v62
	v_mov_b32_e32 v63, v61
	v_mov_b32_e32 v62, v60
	v_mov_b32_e32 v61, v59
	v_mov_b32_e32 v60, v58
	v_mov_b32_e32 v59, v57
	v_mov_b32_e32 v58, v56
	v_mov_b32_e32 v57, v55
	v_mov_b32_e32 v56, v54
	v_mov_b32_e32 v55, v53
	v_mov_b32_e32 v54, v52
	v_mov_b32_e32 v53, v51
	v_mov_b32_e32 v52, v50
	v_mov_b32_e32 v51, v49
	v_mov_b32_e32 v50, v48
	v_mov_b32_e32 v49, v47
	v_mov_b32_e32 v48, v46
	v_mov_b32_e32 v47, v45
	v_mov_b32_e32 v46, v44
	v_mov_b32_e32 v45, v43
	v_mov_b32_e32 v44, v42
	v_mov_b32_e32 v43, v41
	v_mov_b32_e32 v42, v40
	v_mov_b32_e32 v41, v39
	v_mov_b32_e32 v40, v38
	v_mov_b32_e32 v39, v37
	v_mov_b32_e32 v38, v36
	v_mov_b32_e32 v37, v35
	v_mov_b32_e32 v36, v34
	v_mov_b32_e32 v35, v33
	v_fma_f64 v[174:175], v[174:175], v[176:177], v[174:175]
	v_div_scale_f64 v[176:177], vcc_lo, 1.0, v[162:163], 1.0
	v_mov_b32_e32 v34, v32
	v_mov_b32_e32 v33, v31
	;; [unrolled: 1-line block ×45, first 2 shown]
	v_mul_f64 v[178:179], v[176:177], v[174:175]
	v_fma_f64 v[172:173], -v[172:173], v[178:179], v[176:177]
	v_mov_b32_e32 v176, v180
	v_mov_b32_e32 v177, v181
	;; [unrolled: 1-line block ×16, first 2 shown]
	v_div_fmas_f64 v[172:173], v[172:173], v[174:175], v[178:179]
	v_mov_b32_e32 v178, v182
	v_mov_b32_e32 v179, v183
	;; [unrolled: 1-line block ×155, first 2 shown]
	v_div_fixup_f64 v[172:173], v[172:173], v[162:163], 1.0
	v_mov_b32_e32 v152, v136
	v_mov_b32_e32 v136, v150
	;; [unrolled: 1-line block ×33, first 2 shown]
	ds_write_b64 v1, v[172:173]
.LBB83_209:
	s_or_b32 exec_lo, exec_lo, s1
	s_waitcnt lgkmcnt(0)
	s_barrier
	buffer_gl0_inv
	ds_read_b64 v[254:255], v1
	s_waitcnt lgkmcnt(0)
	s_barrier
	buffer_gl0_inv
	s_and_saveexec_b32 s6, s0
	s_cbranch_execz .LBB83_212
; %bb.210:
	s_clause 0x1
	buffer_load_dword v172, off, s[12:15], 0
	buffer_load_dword v173, off, s[12:15], 0 offset:4
	v_cmp_eq_f64_e64 s1, 0, v[176:177]
	v_cmp_eq_f64_e64 s2, 0, v[178:179]
	s_load_dwordx2 s[4:5], s[4:5], 0x28
	s_waitcnt vmcnt(0)
	v_cmp_eq_f64_e32 vcc_lo, 0, v[172:173]
	s_clause 0x1
	buffer_load_dword v172, off, s[12:15], 0 offset:8
	buffer_load_dword v173, off, s[12:15], 0 offset:12
	v_cndmask_b32_e64 v1, 0, 1, vcc_lo
	s_waitcnt vmcnt(0)
	v_cmp_neq_f64_e64 s0, 0, v[172:173]
	s_or_b32 vcc_lo, s0, vcc_lo
	v_cmp_eq_f64_e64 s0, 0, v[180:181]
	v_cndmask_b32_e32 v1, 2, v1, vcc_lo
	v_cmp_eq_u32_e32 vcc_lo, 0, v1
	s_and_b32 s1, s1, vcc_lo
	v_cndmask_b32_e64 v1, v1, 3, s1
	v_cmp_eq_f64_e64 s1, 0, v[182:183]
	v_cmp_eq_u32_e32 vcc_lo, 0, v1
	s_and_b32 s2, s2, vcc_lo
	v_cndmask_b32_e64 v1, v1, 4, s2
	v_cmp_eq_f64_e64 s2, 0, v[184:185]
	;; [unrolled: 4-line block ×9, first 2 shown]
	v_cmp_eq_u32_e32 vcc_lo, 0, v1
	s_and_b32 s1, s1, vcc_lo
	v_cmp_eq_f64_e32 vcc_lo, 0, v[200:201]
	v_cndmask_b32_e64 v172, v1, 12, s1
	v_lshlrev_b64 v[1:2], 2, v[2:3]
	v_cmp_eq_u32_e64 s1, 0, v172
	s_waitcnt lgkmcnt(0)
	v_add_co_u32 v1, s3, s4, v1
	v_add_co_ci_u32_e64 v2, null, s5, v2, s3
	s_and_b32 s1, s2, s1
	v_cmp_eq_f64_e64 s2, 0, v[202:203]
	v_cndmask_b32_e64 v3, v172, 13, s1
	global_load_dword v172, v[1:2], off
	v_cmp_eq_u32_e64 s1, 0, v3
	s_and_b32 s0, s0, s1
	v_cmp_eq_f64_e64 s1, 0, v[204:205]
	v_cndmask_b32_e64 v3, v3, 14, s0
	v_cmp_eq_u32_e64 s0, 0, v3
	s_and_b32 s0, vcc_lo, s0
	v_cndmask_b32_e64 v3, v3, 15, s0
	v_cmp_eq_f64_e64 s0, 0, v[206:207]
	v_cmp_eq_u32_e32 vcc_lo, 0, v3
	s_and_b32 s2, s2, vcc_lo
	v_cndmask_b32_e64 v3, v3, 16, s2
	v_cmp_eq_f64_e64 s2, 0, v[38:39]
	v_cmp_eq_u32_e32 vcc_lo, 0, v3
	s_and_b32 s1, s1, vcc_lo
	v_cndmask_b32_e64 v3, v3, 17, s1
	v_cmp_eq_f64_e64 s1, 0, v[210:211]
	v_cmp_eq_u32_e32 vcc_lo, 0, v3
	s_and_b32 s0, s0, vcc_lo
	v_cndmask_b32_e64 v3, v3, 18, s0
	v_cmp_eq_f64_e64 s0, 0, v[212:213]
	v_cmp_eq_u32_e32 vcc_lo, 0, v3
	s_and_b32 s2, s2, vcc_lo
	v_cndmask_b32_e64 v3, v3, 19, s2
	v_cmp_eq_f64_e64 s2, 0, v[214:215]
	v_cmp_eq_u32_e32 vcc_lo, 0, v3
	s_and_b32 s1, s1, vcc_lo
	v_cndmask_b32_e64 v3, v3, 20, s1
	v_cmp_eq_f64_e64 s1, 0, v[216:217]
	v_cmp_eq_u32_e32 vcc_lo, 0, v3
	s_and_b32 s0, s0, vcc_lo
	v_cndmask_b32_e64 v3, v3, 21, s0
	v_cmp_eq_f64_e64 s0, 0, v[218:219]
	v_cmp_eq_u32_e32 vcc_lo, 0, v3
	s_and_b32 s2, s2, vcc_lo
	v_cndmask_b32_e64 v3, v3, 22, s2
	v_cmp_eq_f64_e64 s2, 0, v[220:221]
	v_cmp_eq_u32_e32 vcc_lo, 0, v3
	s_and_b32 s1, s1, vcc_lo
	v_cndmask_b32_e64 v3, v3, 23, s1
	v_cmp_eq_f64_e64 s1, 0, v[222:223]
	v_cmp_eq_u32_e32 vcc_lo, 0, v3
	s_and_b32 s0, s0, vcc_lo
	v_cndmask_b32_e64 v3, v3, 24, s0
	v_cmp_eq_f64_e64 s0, 0, v[224:225]
	v_cmp_eq_u32_e32 vcc_lo, 0, v3
	s_and_b32 s2, s2, vcc_lo
	v_cndmask_b32_e64 v3, v3, 25, s2
	v_cmp_eq_f64_e64 s2, 0, v[226:227]
	v_cmp_eq_u32_e32 vcc_lo, 0, v3
	s_and_b32 s1, s1, vcc_lo
	v_cndmask_b32_e64 v3, v3, 26, s1
	v_cmp_eq_f64_e64 s1, 0, v[228:229]
	v_cmp_eq_u32_e32 vcc_lo, 0, v3
	s_and_b32 s0, s0, vcc_lo
	v_cndmask_b32_e64 v3, v3, 27, s0
	v_cmp_eq_f64_e64 s0, 0, v[230:231]
	v_cmp_eq_u32_e32 vcc_lo, 0, v3
	s_and_b32 s2, s2, vcc_lo
	v_cndmask_b32_e64 v3, v3, 28, s2
	v_cmp_eq_f64_e64 s2, 0, v[232:233]
	v_cmp_eq_u32_e32 vcc_lo, 0, v3
	s_and_b32 s1, s1, vcc_lo
	v_cndmask_b32_e64 v3, v3, 29, s1
	v_cmp_eq_f64_e64 s1, 0, v[234:235]
	v_cmp_eq_u32_e32 vcc_lo, 0, v3
	s_and_b32 s0, s0, vcc_lo
	v_cndmask_b32_e64 v3, v3, 30, s0
	v_cmp_eq_f64_e64 s0, 0, v[236:237]
	v_cmp_eq_u32_e32 vcc_lo, 0, v3
	s_and_b32 s2, s2, vcc_lo
	v_cndmask_b32_e64 v3, v3, 31, s2
	v_cmp_eq_f64_e64 s2, 0, v[238:239]
	v_cmp_eq_u32_e32 vcc_lo, 0, v3
	s_and_b32 s1, s1, vcc_lo
	v_cndmask_b32_e64 v3, v3, 32, s1
	v_cmp_eq_f64_e64 s1, 0, v[240:241]
	v_cmp_eq_u32_e32 vcc_lo, 0, v3
	s_and_b32 s0, s0, vcc_lo
	v_cndmask_b32_e64 v3, v3, 33, s0
	v_cmp_eq_f64_e64 s0, 0, v[242:243]
	v_cmp_eq_u32_e32 vcc_lo, 0, v3
	s_and_b32 s2, s2, vcc_lo
	v_cndmask_b32_e64 v3, v3, 34, s2
	v_cmp_eq_f64_e64 s2, 0, v[244:245]
	v_cmp_eq_u32_e32 vcc_lo, 0, v3
	s_and_b32 s1, s1, vcc_lo
	v_cndmask_b32_e64 v3, v3, 35, s1
	v_cmp_eq_f64_e64 s1, 0, v[246:247]
	v_cmp_eq_u32_e32 vcc_lo, 0, v3
	s_and_b32 s0, s0, vcc_lo
	v_cndmask_b32_e64 v3, v3, 36, s0
	v_cmp_eq_f64_e64 s0, 0, v[248:249]
	v_cmp_eq_u32_e32 vcc_lo, 0, v3
	s_and_b32 s2, s2, vcc_lo
	v_cndmask_b32_e64 v3, v3, 37, s2
	v_cmp_eq_f64_e64 s2, 0, v[250:251]
	v_cmp_eq_u32_e32 vcc_lo, 0, v3
	s_and_b32 s1, s1, vcc_lo
	v_cndmask_b32_e64 v3, v3, 38, s1
	v_cmp_eq_f64_e64 s1, 0, v[252:253]
	v_cmp_eq_u32_e32 vcc_lo, 0, v3
	s_and_b32 s0, s0, vcc_lo
	v_cndmask_b32_e64 v3, v3, 39, s0
	v_cmp_eq_f64_e64 s0, 0, v[254:255]
	v_cmp_eq_u32_e32 vcc_lo, 0, v3
	s_and_b32 s2, s2, vcc_lo
	v_cndmask_b32_e64 v3, v3, 40, s2
	v_cmp_eq_u32_e32 vcc_lo, 0, v3
	s_and_b32 s1, s1, vcc_lo
	v_cndmask_b32_e64 v3, v3, 41, s1
	v_cmp_eq_u32_e32 vcc_lo, 0, v3
	s_and_b32 s0, s0, vcc_lo
	s_waitcnt vmcnt(0)
	v_cmp_eq_u32_e32 vcc_lo, 0, v172
	v_cndmask_b32_e64 v3, v3, 42, s0
	v_cmp_ne_u32_e64 s0, 0, v3
	s_and_b32 s0, vcc_lo, s0
	s_and_b32 exec_lo, exec_lo, s0
	s_cbranch_execz .LBB83_212
; %bb.211:
	v_add_nc_u32_e32 v3, s9, v3
	global_store_dword v[1:2], v3, off
.LBB83_212:
	s_or_b32 exec_lo, exec_lo, s6
	flat_store_dwordx2 v[84:85], v[164:165]
	flat_store_dwordx2 v[158:159], v[168:169]
	;; [unrolled: 1-line block ×18, first 2 shown]
	s_clause 0x1
	buffer_load_dword v3, off, s[12:15], 0 offset:16
	buffer_load_dword v4, off, s[12:15], 0 offset:20
	v_mul_f64 v[1:2], v[254:255], v[162:163]
	v_cmp_lt_u32_e32 vcc_lo, 41, v0
	v_cndmask_b32_e32 v2, v163, v2, vcc_lo
	v_cndmask_b32_e32 v1, v162, v1, vcc_lo
	s_waitcnt vmcnt(0)
	flat_store_dwordx2 v[3:4], v[142:143]
	flat_store_dwordx2 v[36:37], v[106:107]
	;; [unrolled: 1-line block ×24, first 2 shown]
.LBB83_213:
	s_endpgm
	.section	.rodata,"a",@progbits
	.p2align	6, 0x0
	.amdhsa_kernel _ZN9rocsolver6v33100L23getf2_npvt_small_kernelILi42EdiiPKPdEEvT1_T3_lS5_lPT2_S5_S5_
		.amdhsa_group_segment_fixed_size 0
		.amdhsa_private_segment_fixed_size 36
		.amdhsa_kernarg_size 312
		.amdhsa_user_sgpr_count 6
		.amdhsa_user_sgpr_private_segment_buffer 1
		.amdhsa_user_sgpr_dispatch_ptr 0
		.amdhsa_user_sgpr_queue_ptr 0
		.amdhsa_user_sgpr_kernarg_segment_ptr 1
		.amdhsa_user_sgpr_dispatch_id 0
		.amdhsa_user_sgpr_flat_scratch_init 0
		.amdhsa_user_sgpr_private_segment_size 0
		.amdhsa_wavefront_size32 1
		.amdhsa_uses_dynamic_stack 0
		.amdhsa_system_sgpr_private_segment_wavefront_offset 1
		.amdhsa_system_sgpr_workgroup_id_x 1
		.amdhsa_system_sgpr_workgroup_id_y 1
		.amdhsa_system_sgpr_workgroup_id_z 0
		.amdhsa_system_sgpr_workgroup_info 0
		.amdhsa_system_vgpr_workitem_id 1
		.amdhsa_next_free_vgpr 256
		.amdhsa_next_free_sgpr 16
		.amdhsa_reserve_vcc 1
		.amdhsa_reserve_flat_scratch 1
		.amdhsa_float_round_mode_32 0
		.amdhsa_float_round_mode_16_64 0
		.amdhsa_float_denorm_mode_32 3
		.amdhsa_float_denorm_mode_16_64 3
		.amdhsa_dx10_clamp 1
		.amdhsa_ieee_mode 1
		.amdhsa_fp16_overflow 0
		.amdhsa_workgroup_processor_mode 1
		.amdhsa_memory_ordered 1
		.amdhsa_forward_progress 1
		.amdhsa_shared_vgpr_count 0
		.amdhsa_exception_fp_ieee_invalid_op 0
		.amdhsa_exception_fp_denorm_src 0
		.amdhsa_exception_fp_ieee_div_zero 0
		.amdhsa_exception_fp_ieee_overflow 0
		.amdhsa_exception_fp_ieee_underflow 0
		.amdhsa_exception_fp_ieee_inexact 0
		.amdhsa_exception_int_div_zero 0
	.end_amdhsa_kernel
	.section	.text._ZN9rocsolver6v33100L23getf2_npvt_small_kernelILi42EdiiPKPdEEvT1_T3_lS5_lPT2_S5_S5_,"axG",@progbits,_ZN9rocsolver6v33100L23getf2_npvt_small_kernelILi42EdiiPKPdEEvT1_T3_lS5_lPT2_S5_S5_,comdat
.Lfunc_end83:
	.size	_ZN9rocsolver6v33100L23getf2_npvt_small_kernelILi42EdiiPKPdEEvT1_T3_lS5_lPT2_S5_S5_, .Lfunc_end83-_ZN9rocsolver6v33100L23getf2_npvt_small_kernelILi42EdiiPKPdEEvT1_T3_lS5_lPT2_S5_S5_
                                        ; -- End function
	.set _ZN9rocsolver6v33100L23getf2_npvt_small_kernelILi42EdiiPKPdEEvT1_T3_lS5_lPT2_S5_S5_.num_vgpr, 256
	.set _ZN9rocsolver6v33100L23getf2_npvt_small_kernelILi42EdiiPKPdEEvT1_T3_lS5_lPT2_S5_S5_.num_agpr, 0
	.set _ZN9rocsolver6v33100L23getf2_npvt_small_kernelILi42EdiiPKPdEEvT1_T3_lS5_lPT2_S5_S5_.numbered_sgpr, 16
	.set _ZN9rocsolver6v33100L23getf2_npvt_small_kernelILi42EdiiPKPdEEvT1_T3_lS5_lPT2_S5_S5_.num_named_barrier, 0
	.set _ZN9rocsolver6v33100L23getf2_npvt_small_kernelILi42EdiiPKPdEEvT1_T3_lS5_lPT2_S5_S5_.private_seg_size, 36
	.set _ZN9rocsolver6v33100L23getf2_npvt_small_kernelILi42EdiiPKPdEEvT1_T3_lS5_lPT2_S5_S5_.uses_vcc, 1
	.set _ZN9rocsolver6v33100L23getf2_npvt_small_kernelILi42EdiiPKPdEEvT1_T3_lS5_lPT2_S5_S5_.uses_flat_scratch, 1
	.set _ZN9rocsolver6v33100L23getf2_npvt_small_kernelILi42EdiiPKPdEEvT1_T3_lS5_lPT2_S5_S5_.has_dyn_sized_stack, 0
	.set _ZN9rocsolver6v33100L23getf2_npvt_small_kernelILi42EdiiPKPdEEvT1_T3_lS5_lPT2_S5_S5_.has_recursion, 0
	.set _ZN9rocsolver6v33100L23getf2_npvt_small_kernelILi42EdiiPKPdEEvT1_T3_lS5_lPT2_S5_S5_.has_indirect_call, 0
	.section	.AMDGPU.csdata,"",@progbits
; Kernel info:
; codeLenInByte = 34644
; TotalNumSgprs: 18
; NumVgprs: 256
; ScratchSize: 36
; MemoryBound: 0
; FloatMode: 240
; IeeeMode: 1
; LDSByteSize: 0 bytes/workgroup (compile time only)
; SGPRBlocks: 0
; VGPRBlocks: 31
; NumSGPRsForWavesPerEU: 18
; NumVGPRsForWavesPerEU: 256
; Occupancy: 4
; WaveLimiterHint : 1
; COMPUTE_PGM_RSRC2:SCRATCH_EN: 1
; COMPUTE_PGM_RSRC2:USER_SGPR: 6
; COMPUTE_PGM_RSRC2:TRAP_HANDLER: 0
; COMPUTE_PGM_RSRC2:TGID_X_EN: 1
; COMPUTE_PGM_RSRC2:TGID_Y_EN: 1
; COMPUTE_PGM_RSRC2:TGID_Z_EN: 0
; COMPUTE_PGM_RSRC2:TIDIG_COMP_CNT: 1
	.section	.text._ZN9rocsolver6v33100L18getf2_small_kernelILi43EdiiPKPdEEvT1_T3_lS5_lPS5_llPT2_S5_S5_S7_l,"axG",@progbits,_ZN9rocsolver6v33100L18getf2_small_kernelILi43EdiiPKPdEEvT1_T3_lS5_lPS5_llPT2_S5_S5_S7_l,comdat
	.globl	_ZN9rocsolver6v33100L18getf2_small_kernelILi43EdiiPKPdEEvT1_T3_lS5_lPS5_llPT2_S5_S5_S7_l ; -- Begin function _ZN9rocsolver6v33100L18getf2_small_kernelILi43EdiiPKPdEEvT1_T3_lS5_lPS5_llPT2_S5_S5_S7_l
	.p2align	8
	.type	_ZN9rocsolver6v33100L18getf2_small_kernelILi43EdiiPKPdEEvT1_T3_lS5_lPS5_llPT2_S5_S5_S7_l,@function
_ZN9rocsolver6v33100L18getf2_small_kernelILi43EdiiPKPdEEvT1_T3_lS5_lPS5_llPT2_S5_S5_S7_l: ; @_ZN9rocsolver6v33100L18getf2_small_kernelILi43EdiiPKPdEEvT1_T3_lS5_lPS5_llPT2_S5_S5_S7_l
; %bb.0:
	s_clause 0x1
	s_load_dword s0, s[4:5], 0x6c
	s_load_dwordx2 s[12:13], s[4:5], 0x48
	s_waitcnt lgkmcnt(0)
	s_lshr_b32 s0, s0, 16
	v_mad_u64_u32 v[2:3], null, s7, s0, v[1:2]
	s_mov_b32 s0, exec_lo
	v_cmpx_gt_i32_e64 s12, v2
	s_cbranch_execz .LBB84_728
; %bb.1:
	s_clause 0x1
	s_load_dwordx4 s[0:3], s[4:5], 0x8
	s_load_dwordx4 s[8:11], s[4:5], 0x50
	v_ashrrev_i32_e32 v3, 31, v2
	v_lshlrev_b64 v[4:5], 3, v[2:3]
	s_waitcnt lgkmcnt(0)
	v_add_co_u32 v4, vcc_lo, s0, v4
	v_add_co_ci_u32_e64 v5, null, s1, v5, vcc_lo
	s_cmp_eq_u64 s[8:9], 0
	s_cselect_b32 s6, -1, 0
	global_load_dwordx2 v[6:7], v[4:5], off
	v_mov_b32_e32 v4, 0
	v_mov_b32_e32 v5, 0
	s_and_b32 vcc_lo, exec_lo, s6
	s_cbranch_vccnz .LBB84_3
; %bb.2:
	v_mul_lo_u32 v8, s11, v2
	v_mul_lo_u32 v9, s10, v3
	v_mad_u64_u32 v[4:5], null, s10, v2, 0
	v_add3_u32 v5, v5, v9, v8
	v_lshlrev_b64 v[4:5], 2, v[4:5]
	v_add_co_u32 v4, vcc_lo, s8, v4
	v_add_co_ci_u32_e64 v5, null, s9, v5, vcc_lo
.LBB84_3:
	s_clause 0x1
	s_load_dword s8, s[4:5], 0x18
	s_load_dword s7, s[4:5], 0x0
	s_lshl_b64 s[0:1], s[2:3], 3
	v_lshlrev_b32_e32 v132, 3, v0
	s_waitcnt vmcnt(0)
	v_add_co_u32 v96, vcc_lo, v6, s0
	v_add_co_ci_u32_e64 v97, null, s1, v7, vcc_lo
	s_waitcnt lgkmcnt(0)
	v_add3_u32 v8, s8, s8, v0
	s_ashr_i32 s9, s8, 31
	s_max_i32 s0, s7, 43
	s_lshl_b64 s[10:11], s[8:9], 3
	v_mul_lo_u32 v1, s0, v1
	v_add_nc_u32_e32 v10, s8, v8
	v_ashrrev_i32_e32 v9, 31, v8
	s_cmp_lt_i32 s7, 2
	v_ashrrev_i32_e32 v11, 31, v10
	v_add_nc_u32_e32 v12, s8, v10
	v_lshlrev_b64 v[8:9], 3, v[8:9]
	v_lshlrev_b64 v[6:7], 3, v[10:11]
	v_add_nc_u32_e32 v10, s8, v12
	v_ashrrev_i32_e32 v13, 31, v12
	v_add_co_u32 v8, vcc_lo, v96, v8
	v_add_co_ci_u32_e64 v9, null, v97, v9, vcc_lo
	v_add_nc_u32_e32 v14, s8, v10
	v_ashrrev_i32_e32 v11, 31, v10
	v_lshlrev_b64 v[12:13], 3, v[12:13]
	v_add_co_u32 v6, vcc_lo, v96, v6
	v_add_nc_u32_e32 v16, s8, v14
	v_ashrrev_i32_e32 v15, 31, v14
	v_lshlrev_b64 v[10:11], 3, v[10:11]
	v_add_co_ci_u32_e64 v7, null, v97, v7, vcc_lo
	v_add_nc_u32_e32 v18, s8, v16
	v_ashrrev_i32_e32 v17, 31, v16
	v_lshlrev_b64 v[14:15], 3, v[14:15]
	v_add_co_u32 v12, vcc_lo, v96, v12
	v_add_nc_u32_e32 v20, s8, v18
	v_ashrrev_i32_e32 v19, 31, v18
	v_lshlrev_b64 v[16:17], 3, v[16:17]
	v_add_co_ci_u32_e64 v13, null, v97, v13, vcc_lo
	v_add_nc_u32_e32 v22, s8, v20
	v_ashrrev_i32_e32 v21, 31, v20
	v_add_co_u32 v10, vcc_lo, v96, v10
	v_lshlrev_b64 v[18:19], 3, v[18:19]
	v_add_nc_u32_e32 v24, s8, v22
	v_ashrrev_i32_e32 v23, 31, v22
	v_add_co_ci_u32_e64 v11, null, v97, v11, vcc_lo
	v_add_co_u32 v14, vcc_lo, v96, v14
	v_add_nc_u32_e32 v26, s8, v24
	v_ashrrev_i32_e32 v25, 31, v24
	v_lshlrev_b64 v[20:21], 3, v[20:21]
	v_add_co_ci_u32_e64 v15, null, v97, v15, vcc_lo
	v_add_nc_u32_e32 v28, s8, v26
	v_ashrrev_i32_e32 v27, 31, v26
	v_add_co_u32 v16, vcc_lo, v96, v16
	v_lshlrev_b64 v[22:23], 3, v[22:23]
	v_add_nc_u32_e32 v30, s8, v28
	v_ashrrev_i32_e32 v29, 31, v28
	v_add_co_ci_u32_e64 v17, null, v97, v17, vcc_lo
	v_add_co_u32 v18, vcc_lo, v96, v18
	v_add_nc_u32_e32 v32, s8, v30
	v_lshlrev_b64 v[24:25], 3, v[24:25]
	v_ashrrev_i32_e32 v31, 31, v30
	v_add_co_ci_u32_e64 v19, null, v97, v19, vcc_lo
	v_add_nc_u32_e32 v34, s8, v32
	v_add_co_u32 v20, vcc_lo, v96, v20
	v_lshlrev_b64 v[26:27], 3, v[26:27]
	v_ashrrev_i32_e32 v33, 31, v32
	v_add_nc_u32_e32 v36, s8, v34
	v_add_co_ci_u32_e64 v21, null, v97, v21, vcc_lo
	v_add_co_u32 v22, vcc_lo, v96, v22
	v_add_nc_u32_e32 v38, s8, v36
	v_lshlrev_b64 v[28:29], 3, v[28:29]
	v_ashrrev_i32_e32 v35, 31, v34
	v_add_co_ci_u32_e64 v23, null, v97, v23, vcc_lo
	v_add_nc_u32_e32 v40, s8, v38
	v_add_co_u32 v24, vcc_lo, v96, v24
	v_lshlrev_b64 v[30:31], 3, v[30:31]
	v_ashrrev_i32_e32 v37, 31, v36
	v_add_nc_u32_e32 v42, s8, v40
	v_add_co_ci_u32_e64 v25, null, v97, v25, vcc_lo
	v_add_co_u32 v26, vcc_lo, v96, v26
	v_add_nc_u32_e32 v44, s8, v42
	v_lshlrev_b64 v[32:33], 3, v[32:33]
	v_ashrrev_i32_e32 v39, 31, v38
	v_add_co_ci_u32_e64 v27, null, v97, v27, vcc_lo
	v_add_nc_u32_e32 v46, s8, v44
	v_add_co_u32 v28, vcc_lo, v96, v28
	v_lshlrev_b64 v[34:35], 3, v[34:35]
	v_ashrrev_i32_e32 v41, 31, v40
	v_add_co_ci_u32_e64 v29, null, v97, v29, vcc_lo
	v_add_co_u32 v30, vcc_lo, v96, v30
	v_lshlrev_b64 v[36:37], 3, v[36:37]
	v_add_nc_u32_e32 v48, s8, v46
	v_ashrrev_i32_e32 v43, 31, v42
	v_add_co_ci_u32_e64 v31, null, v97, v31, vcc_lo
	v_add_co_u32 v32, vcc_lo, v96, v32
	v_lshlrev_b64 v[38:39], 3, v[38:39]
	v_ashrrev_i32_e32 v45, 31, v44
	v_add_co_ci_u32_e64 v33, null, v97, v33, vcc_lo
	v_add_co_u32 v34, vcc_lo, v96, v34
	v_lshlrev_b64 v[40:41], 3, v[40:41]
	v_ashrrev_i32_e32 v47, 31, v46
	v_add_nc_u32_e32 v50, s8, v48
	v_add_co_ci_u32_e64 v35, null, v97, v35, vcc_lo
	v_add_co_u32 v36, vcc_lo, v96, v36
	v_lshlrev_b64 v[42:43], 3, v[42:43]
	v_ashrrev_i32_e32 v49, 31, v48
	v_add_co_ci_u32_e64 v37, null, v97, v37, vcc_lo
	v_add_co_u32 v38, vcc_lo, v96, v38
	v_lshlrev_b64 v[44:45], 3, v[44:45]
	v_add_co_ci_u32_e64 v39, null, v97, v39, vcc_lo
	v_add_co_u32 v40, vcc_lo, v96, v40
	v_lshlrev_b64 v[46:47], 3, v[46:47]
	v_add_nc_u32_e32 v52, s8, v50
	v_add_co_ci_u32_e64 v41, null, v97, v41, vcc_lo
	v_add_co_u32 v42, vcc_lo, v96, v42
	v_lshlrev_b64 v[48:49], 3, v[48:49]
	v_ashrrev_i32_e32 v51, 31, v50
	v_add_co_ci_u32_e64 v43, null, v97, v43, vcc_lo
	v_add_co_u32 v44, vcc_lo, v96, v44
	v_ashrrev_i32_e32 v53, 31, v52
	v_add_nc_u32_e32 v54, s8, v52
	v_add_co_ci_u32_e64 v45, null, v97, v45, vcc_lo
	v_add_co_u32 v46, vcc_lo, v96, v46
	v_lshlrev_b64 v[50:51], 3, v[50:51]
	v_add_co_ci_u32_e64 v47, null, v97, v47, vcc_lo
	v_add_co_u32 v90, vcc_lo, v96, v48
	v_add_co_ci_u32_e64 v91, null, v97, v49, vcc_lo
	v_lshlrev_b64 v[48:49], 3, v[52:53]
	v_ashrrev_i32_e32 v55, 31, v54
	v_add_nc_u32_e32 v52, s8, v54
	v_add_co_u32 v92, vcc_lo, v96, v50
	v_add_co_ci_u32_e64 v93, null, v97, v51, vcc_lo
	v_lshlrev_b64 v[50:51], 3, v[54:55]
	v_ashrrev_i32_e32 v53, 31, v52
	v_add_nc_u32_e32 v54, s8, v52
	;; [unrolled: 5-line block ×14, first 2 shown]
	v_add_co_u32 v120, vcc_lo, v96, v48
	v_add_co_ci_u32_e64 v121, null, v97, v49, vcc_lo
	v_lshlrev_b64 v[48:49], 3, v[52:53]
	v_add_nc_u32_e32 v52, s8, v54
	v_ashrrev_i32_e32 v55, 31, v54
	v_add_co_u32 v122, vcc_lo, v96, v50
	v_add_co_ci_u32_e64 v123, null, v97, v51, vcc_lo
	v_ashrrev_i32_e32 v53, 31, v52
	v_lshlrev_b64 v[50:51], 3, v[54:55]
	v_add_co_u32 v124, vcc_lo, v96, v48
	v_add_co_ci_u32_e64 v125, null, v97, v49, vcc_lo
	v_lshlrev_b64 v[48:49], 3, v[52:53]
	v_add_nc_u32_e32 v52, s8, v52
	v_add_co_u32 v126, vcc_lo, v96, v50
	v_add_co_ci_u32_e64 v127, null, v97, v51, vcc_lo
	v_ashrrev_i32_e32 v53, 31, v52
	v_add_co_u32 v128, vcc_lo, v96, v48
	v_add_co_ci_u32_e64 v129, null, v97, v49, vcc_lo
	v_add_co_u32 v50, vcc_lo, v96, v132
	v_add_co_ci_u32_e64 v51, null, 0, v97, vcc_lo
	v_lshlrev_b64 v[48:49], 3, v[52:53]
	v_add_co_u32 v52, vcc_lo, v50, s10
	v_add_co_ci_u32_e64 v53, null, s11, v51, vcc_lo
	v_add_co_u32 v130, vcc_lo, v96, v48
	v_add_co_ci_u32_e64 v131, null, v97, v49, vcc_lo
	s_clause 0x2a
	flat_load_dwordx2 v[88:89], v[50:51]
	flat_load_dwordx2 v[84:85], v[52:53]
	;; [unrolled: 1-line block ×43, first 2 shown]
	v_lshl_add_u32 v98, v1, 3, 0
	v_lshlrev_b32_e32 v99, 3, v1
	v_mov_b32_e32 v94, 0
	v_add_nc_u32_e32 v92, v98, v132
	s_waitcnt vmcnt(42) lgkmcnt(42)
	ds_write_b64 v92, v[88:89]
	s_waitcnt vmcnt(0) lgkmcnt(0)
	s_barrier
	buffer_gl0_inv
	ds_read_b64 v[92:93], v98
	s_cbranch_scc1 .LBB84_6
; %bb.4:
	v_add3_u32 v1, v99, 0, 8
	v_mov_b32_e32 v94, 0
	s_mov_b32 s0, 1
.LBB84_5:                               ; =>This Inner Loop Header: Depth=1
	ds_read_b64 v[100:101], v1
	v_add_nc_u32_e32 v1, 8, v1
	s_waitcnt lgkmcnt(0)
	v_cmp_lt_f64_e64 vcc_lo, |v[92:93]|, |v[100:101]|
	v_cndmask_b32_e32 v93, v93, v101, vcc_lo
	v_cndmask_b32_e32 v92, v92, v100, vcc_lo
	v_cndmask_b32_e64 v94, v94, s0, vcc_lo
	s_add_i32 s0, s0, 1
	s_cmp_eq_u32 s7, s0
	s_cbranch_scc0 .LBB84_5
.LBB84_6:
	s_mov_b32 s0, exec_lo
                                        ; implicit-def: $vgpr101
	v_cmpx_ne_u32_e64 v0, v94
	s_xor_b32 s0, exec_lo, s0
	s_cbranch_execz .LBB84_12
; %bb.7:
	s_mov_b32 s1, exec_lo
	v_cmpx_eq_u32_e32 0, v0
	s_cbranch_execz .LBB84_11
; %bb.8:
	v_cmp_ne_u32_e32 vcc_lo, 0, v94
	s_xor_b32 s2, s6, -1
	s_and_b32 s3, s2, vcc_lo
	s_and_saveexec_b32 s2, s3
	s_cbranch_execz .LBB84_10
; %bb.9:
	v_ashrrev_i32_e32 v95, 31, v94
	v_lshlrev_b64 v[0:1], 2, v[94:95]
	v_add_co_u32 v0, vcc_lo, v4, v0
	v_add_co_ci_u32_e64 v1, null, v5, v1, vcc_lo
	s_clause 0x1
	global_load_dword v95, v[0:1], off
	global_load_dword v100, v[4:5], off
	s_waitcnt vmcnt(1)
	global_store_dword v[4:5], v95, off
	s_waitcnt vmcnt(0)
	global_store_dword v[0:1], v100, off
.LBB84_10:
	s_or_b32 exec_lo, exec_lo, s2
	v_mov_b32_e32 v0, v94
.LBB84_11:
	s_or_b32 exec_lo, exec_lo, s1
	v_mov_b32_e32 v101, v0
                                        ; implicit-def: $vgpr0
.LBB84_12:
	s_or_saveexec_b32 s0, s0
	v_mov_b32_e32 v100, v101
	s_xor_b32 exec_lo, exec_lo, s0
	s_cbranch_execz .LBB84_14
; %bb.13:
	v_mov_b32_e32 v101, 0
	v_mov_b32_e32 v100, v0
	ds_write2_b64 v98, v[84:85], v[86:87] offset0:1 offset1:2
	ds_write2_b64 v98, v[82:83], v[80:81] offset0:3 offset1:4
	;; [unrolled: 1-line block ×21, first 2 shown]
.LBB84_14:
	s_or_b32 exec_lo, exec_lo, s0
	s_waitcnt lgkmcnt(0)
	v_cmp_eq_f64_e64 s0, 0, v[92:93]
	s_mov_b32 s1, exec_lo
	s_waitcnt_vscnt null, 0x0
	s_barrier
	buffer_gl0_inv
	v_cmpx_lt_i32_e32 0, v101
	s_cbranch_execz .LBB84_16
; %bb.15:
	v_div_scale_f64 v[0:1], null, v[92:93], v[92:93], 1.0
	v_div_scale_f64 v[104:105], vcc_lo, 1.0, v[92:93], 1.0
	v_rcp_f64_e32 v[94:95], v[0:1]
	v_fma_f64 v[102:103], -v[0:1], v[94:95], 1.0
	v_fma_f64 v[94:95], v[94:95], v[102:103], v[94:95]
	v_fma_f64 v[102:103], -v[0:1], v[94:95], 1.0
	v_fma_f64 v[94:95], v[94:95], v[102:103], v[94:95]
	v_mul_f64 v[102:103], v[104:105], v[94:95]
	v_fma_f64 v[0:1], -v[0:1], v[102:103], v[104:105]
	v_div_fmas_f64 v[0:1], v[0:1], v[94:95], v[102:103]
	v_div_fixup_f64 v[0:1], v[0:1], v[92:93], 1.0
	v_cndmask_b32_e64 v1, v1, v93, s0
	v_cndmask_b32_e64 v0, v0, v92, s0
	ds_read2_b64 v[92:95], v98 offset0:1 offset1:2
	ds_read2_b64 v[102:105], v98 offset0:3 offset1:4
	;; [unrolled: 1-line block ×16, first 2 shown]
	v_mul_f64 v[88:89], v[0:1], v[88:89]
	s_waitcnt lgkmcnt(15)
	v_fma_f64 v[84:85], -v[88:89], v[92:93], v[84:85]
	v_fma_f64 v[86:87], -v[88:89], v[94:95], v[86:87]
	ds_read2_b64 v[92:95], v98 offset0:33 offset1:34
	ds_read2_b64 v[162:165], v98 offset0:35 offset1:36
	s_waitcnt lgkmcnt(16)
	v_fma_f64 v[82:83], -v[88:89], v[102:103], v[82:83]
	v_fma_f64 v[80:81], -v[88:89], v[104:105], v[80:81]
	s_waitcnt lgkmcnt(15)
	v_fma_f64 v[78:79], -v[88:89], v[106:107], v[78:79]
	v_fma_f64 v[76:77], -v[88:89], v[108:109], v[76:77]
	ds_read2_b64 v[102:105], v98 offset0:37 offset1:38
	ds_read2_b64 v[106:109], v98 offset0:39 offset1:40
	s_waitcnt lgkmcnt(16)
	v_fma_f64 v[74:75], -v[88:89], v[110:111], v[74:75]
	v_fma_f64 v[72:73], -v[88:89], v[112:113], v[72:73]
	ds_read2_b64 v[110:113], v98 offset0:41 offset1:42
	s_waitcnt lgkmcnt(16)
	v_fma_f64 v[68:69], -v[88:89], v[114:115], v[68:69]
	v_fma_f64 v[70:71], -v[88:89], v[116:117], v[70:71]
	s_waitcnt lgkmcnt(15)
	v_fma_f64 v[64:65], -v[88:89], v[118:119], v[64:65]
	v_fma_f64 v[66:67], -v[88:89], v[120:121], v[66:67]
	;; [unrolled: 3-line block ×17, first 2 shown]
.LBB84_16:
	s_or_b32 exec_lo, exec_lo, s1
	v_lshl_add_u32 v0, v101, 3, v98
	s_barrier
	buffer_gl0_inv
	v_mov_b32_e32 v92, 1
	ds_write_b64 v0, v[84:85]
	s_waitcnt lgkmcnt(0)
	s_barrier
	buffer_gl0_inv
	ds_read_b64 v[0:1], v98 offset:8
	s_cmp_lt_i32 s7, 3
	s_cbranch_scc1 .LBB84_19
; %bb.17:
	v_add3_u32 v93, v99, 0, 16
	v_mov_b32_e32 v92, 1
	s_mov_b32 s1, 2
.LBB84_18:                              ; =>This Inner Loop Header: Depth=1
	ds_read_b64 v[94:95], v93
	v_add_nc_u32_e32 v93, 8, v93
	s_waitcnt lgkmcnt(0)
	v_cmp_lt_f64_e64 vcc_lo, |v[0:1]|, |v[94:95]|
	v_cndmask_b32_e32 v1, v1, v95, vcc_lo
	v_cndmask_b32_e32 v0, v0, v94, vcc_lo
	v_cndmask_b32_e64 v92, v92, s1, vcc_lo
	s_add_i32 s1, s1, 1
	s_cmp_lg_u32 s7, s1
	s_cbranch_scc1 .LBB84_18
.LBB84_19:
	s_mov_b32 s1, exec_lo
	v_cmpx_ne_u32_e64 v101, v92
	s_xor_b32 s1, exec_lo, s1
	s_cbranch_execz .LBB84_25
; %bb.20:
	s_mov_b32 s2, exec_lo
	v_cmpx_eq_u32_e32 1, v101
	s_cbranch_execz .LBB84_24
; %bb.21:
	v_cmp_ne_u32_e32 vcc_lo, 1, v92
	s_xor_b32 s3, s6, -1
	s_and_b32 s9, s3, vcc_lo
	s_and_saveexec_b32 s3, s9
	s_cbranch_execz .LBB84_23
; %bb.22:
	v_ashrrev_i32_e32 v93, 31, v92
	v_lshlrev_b64 v[93:94], 2, v[92:93]
	v_add_co_u32 v93, vcc_lo, v4, v93
	v_add_co_ci_u32_e64 v94, null, v5, v94, vcc_lo
	s_clause 0x1
	global_load_dword v95, v[93:94], off
	global_load_dword v100, v[4:5], off offset:4
	s_waitcnt vmcnt(1)
	global_store_dword v[4:5], v95, off offset:4
	s_waitcnt vmcnt(0)
	global_store_dword v[93:94], v100, off
.LBB84_23:
	s_or_b32 exec_lo, exec_lo, s3
	v_mov_b32_e32 v100, v92
	v_mov_b32_e32 v101, v92
.LBB84_24:
	s_or_b32 exec_lo, exec_lo, s2
.LBB84_25:
	s_andn2_saveexec_b32 s1, s1
	s_cbranch_execz .LBB84_27
; %bb.26:
	v_mov_b32_e32 v92, v86
	v_mov_b32_e32 v93, v87
	;; [unrolled: 1-line block ×8, first 2 shown]
	ds_write2_b64 v98, v[92:93], v[94:95] offset0:2 offset1:3
	v_mov_b32_e32 v92, v78
	v_mov_b32_e32 v93, v79
	v_mov_b32_e32 v94, v76
	v_mov_b32_e32 v95, v77
	v_mov_b32_e32 v105, v72
	v_mov_b32_e32 v106, v73
	v_mov_b32_e32 v107, v68
	v_mov_b32_e32 v108, v69
	v_mov_b32_e32 v109, v70
	v_mov_b32_e32 v110, v71
	v_mov_b32_e32 v111, v64
	v_mov_b32_e32 v112, v65
	v_mov_b32_e32 v113, v66
	v_mov_b32_e32 v114, v67
	v_mov_b32_e32 v115, v62
	v_mov_b32_e32 v116, v63
	ds_write2_b64 v98, v[101:102], v[92:93] offset0:4 offset1:5
	ds_write2_b64 v98, v[94:95], v[103:104] offset0:6 offset1:7
	ds_write2_b64 v98, v[105:106], v[107:108] offset0:8 offset1:9
	ds_write2_b64 v98, v[109:110], v[111:112] offset0:10 offset1:11
	ds_write2_b64 v98, v[113:114], v[115:116] offset0:12 offset1:13
	v_mov_b32_e32 v92, v60
	v_mov_b32_e32 v93, v61
	v_mov_b32_e32 v94, v58
	v_mov_b32_e32 v95, v59
	v_mov_b32_e32 v101, v56
	v_mov_b32_e32 v102, v57
	v_mov_b32_e32 v103, v54
	v_mov_b32_e32 v104, v55
	v_mov_b32_e32 v105, v52
	v_mov_b32_e32 v106, v53
	v_mov_b32_e32 v107, v48
	v_mov_b32_e32 v108, v49
	v_mov_b32_e32 v109, v50
	v_mov_b32_e32 v110, v51
	v_mov_b32_e32 v111, v44
	v_mov_b32_e32 v112, v45
	v_mov_b32_e32 v113, v46
	v_mov_b32_e32 v114, v47
	v_mov_b32_e32 v115, v42
	v_mov_b32_e32 v116, v43
	ds_write2_b64 v98, v[92:93], v[94:95] offset0:14 offset1:15
	ds_write2_b64 v98, v[101:102], v[103:104] offset0:16 offset1:17
	ds_write2_b64 v98, v[105:106], v[107:108] offset0:18 offset1:19
	ds_write2_b64 v98, v[109:110], v[111:112] offset0:20 offset1:21
	ds_write2_b64 v98, v[113:114], v[115:116] offset0:22 offset1:23
	v_mov_b32_e32 v92, v40
	v_mov_b32_e32 v93, v41
	v_mov_b32_e32 v94, v38
	v_mov_b32_e32 v95, v39
	;; [unrolled: 25-line block ×3, first 2 shown]
	v_mov_b32_e32 v102, v16
	v_mov_b32_e32 v103, v17
	v_mov_b32_e32 v104, v14
	v_mov_b32_e32 v105, v15
	v_mov_b32_e32 v101, 1
	v_mov_b32_e32 v106, v12
	v_mov_b32_e32 v107, v13
	v_mov_b32_e32 v108, v8
	v_mov_b32_e32 v109, v9
	v_mov_b32_e32 v110, v10
	v_mov_b32_e32 v111, v11
	v_mov_b32_e32 v112, v6
	v_mov_b32_e32 v113, v7
	ds_write2_b64 v98, v[92:93], v[94:95] offset0:34 offset1:35
	ds_write2_b64 v98, v[102:103], v[104:105] offset0:36 offset1:37
	;; [unrolled: 1-line block ×4, first 2 shown]
	ds_write_b64 v98, v[90:91] offset:336
.LBB84_27:
	s_or_b32 exec_lo, exec_lo, s1
	s_waitcnt lgkmcnt(0)
	v_cmp_neq_f64_e64 s1, 0, v[0:1]
	s_mov_b32 s2, exec_lo
	s_waitcnt_vscnt null, 0x0
	s_barrier
	buffer_gl0_inv
	v_cmpx_lt_i32_e32 1, v101
	s_cbranch_execz .LBB84_29
; %bb.28:
	v_div_scale_f64 v[92:93], null, v[0:1], v[0:1], 1.0
	v_div_scale_f64 v[104:105], vcc_lo, 1.0, v[0:1], 1.0
	v_rcp_f64_e32 v[94:95], v[92:93]
	v_fma_f64 v[102:103], -v[92:93], v[94:95], 1.0
	v_fma_f64 v[94:95], v[94:95], v[102:103], v[94:95]
	v_fma_f64 v[102:103], -v[92:93], v[94:95], 1.0
	v_fma_f64 v[94:95], v[94:95], v[102:103], v[94:95]
	v_mul_f64 v[102:103], v[104:105], v[94:95]
	v_fma_f64 v[92:93], -v[92:93], v[102:103], v[104:105]
	v_div_fmas_f64 v[92:93], v[92:93], v[94:95], v[102:103]
	v_div_fixup_f64 v[92:93], v[92:93], v[0:1], 1.0
	v_cndmask_b32_e64 v1, v1, v93, s1
	v_cndmask_b32_e64 v0, v0, v92, s1
	v_mul_f64 v[84:85], v[0:1], v[84:85]
	ds_read2_b64 v[92:95], v98 offset0:2 offset1:3
	ds_read2_b64 v[102:105], v98 offset0:4 offset1:5
	;; [unrolled: 1-line block ×20, first 2 shown]
	ds_read_b64 v[0:1], v98 offset:336
	s_waitcnt lgkmcnt(20)
	v_fma_f64 v[86:87], -v[84:85], v[92:93], v[86:87]
	v_fma_f64 v[82:83], -v[84:85], v[94:95], v[82:83]
	s_waitcnt lgkmcnt(19)
	v_fma_f64 v[80:81], -v[84:85], v[102:103], v[80:81]
	v_fma_f64 v[78:79], -v[84:85], v[104:105], v[78:79]
	;; [unrolled: 3-line block ×20, first 2 shown]
	s_waitcnt lgkmcnt(0)
	v_fma_f64 v[90:91], -v[84:85], v[0:1], v[90:91]
.LBB84_29:
	s_or_b32 exec_lo, exec_lo, s2
	v_lshl_add_u32 v0, v101, 3, v98
	s_barrier
	buffer_gl0_inv
	v_mov_b32_e32 v92, 2
	ds_write_b64 v0, v[86:87]
	s_waitcnt lgkmcnt(0)
	s_barrier
	buffer_gl0_inv
	ds_read_b64 v[0:1], v98 offset:16
	s_cmp_lt_i32 s7, 4
	s_mov_b32 s2, 3
	s_cbranch_scc1 .LBB84_32
; %bb.30:
	v_add3_u32 v93, v99, 0, 24
	v_mov_b32_e32 v92, 2
.LBB84_31:                              ; =>This Inner Loop Header: Depth=1
	ds_read_b64 v[94:95], v93
	v_add_nc_u32_e32 v93, 8, v93
	s_waitcnt lgkmcnt(0)
	v_cmp_lt_f64_e64 vcc_lo, |v[0:1]|, |v[94:95]|
	v_cndmask_b32_e32 v1, v1, v95, vcc_lo
	v_cndmask_b32_e32 v0, v0, v94, vcc_lo
	v_cndmask_b32_e64 v92, v92, s2, vcc_lo
	s_add_i32 s2, s2, 1
	s_cmp_lg_u32 s7, s2
	s_cbranch_scc1 .LBB84_31
.LBB84_32:
	v_cndmask_b32_e64 v93, 2, 1, s0
	v_cndmask_b32_e64 v94, 0, 1, s0
	s_mov_b32 s0, exec_lo
	v_cndmask_b32_e64 v95, v93, v94, s1
	s_waitcnt lgkmcnt(0)
	v_cmpx_eq_f64_e32 0, v[0:1]
	s_xor_b32 s0, exec_lo, s0
; %bb.33:
	v_cmp_ne_u32_e32 vcc_lo, 0, v95
	v_cndmask_b32_e32 v95, 3, v95, vcc_lo
; %bb.34:
	s_andn2_saveexec_b32 s0, s0
	s_cbranch_execz .LBB84_36
; %bb.35:
	v_div_scale_f64 v[93:94], null, v[0:1], v[0:1], 1.0
	v_rcp_f64_e32 v[102:103], v[93:94]
	v_fma_f64 v[104:105], -v[93:94], v[102:103], 1.0
	v_fma_f64 v[102:103], v[102:103], v[104:105], v[102:103]
	v_fma_f64 v[104:105], -v[93:94], v[102:103], 1.0
	v_fma_f64 v[102:103], v[102:103], v[104:105], v[102:103]
	v_div_scale_f64 v[104:105], vcc_lo, 1.0, v[0:1], 1.0
	v_mul_f64 v[106:107], v[104:105], v[102:103]
	v_fma_f64 v[93:94], -v[93:94], v[106:107], v[104:105]
	v_div_fmas_f64 v[93:94], v[93:94], v[102:103], v[106:107]
	v_div_fixup_f64 v[0:1], v[93:94], v[0:1], 1.0
.LBB84_36:
	s_or_b32 exec_lo, exec_lo, s0
	s_mov_b32 s0, exec_lo
	v_cmpx_ne_u32_e64 v101, v92
	s_xor_b32 s0, exec_lo, s0
	s_cbranch_execz .LBB84_42
; %bb.37:
	s_mov_b32 s1, exec_lo
	v_cmpx_eq_u32_e32 2, v101
	s_cbranch_execz .LBB84_41
; %bb.38:
	v_cmp_ne_u32_e32 vcc_lo, 2, v92
	s_xor_b32 s2, s6, -1
	s_and_b32 s3, s2, vcc_lo
	s_and_saveexec_b32 s2, s3
	s_cbranch_execz .LBB84_40
; %bb.39:
	v_ashrrev_i32_e32 v93, 31, v92
	v_lshlrev_b64 v[93:94], 2, v[92:93]
	v_add_co_u32 v93, vcc_lo, v4, v93
	v_add_co_ci_u32_e64 v94, null, v5, v94, vcc_lo
	s_clause 0x1
	global_load_dword v100, v[93:94], off
	global_load_dword v101, v[4:5], off offset:8
	s_waitcnt vmcnt(1)
	global_store_dword v[4:5], v100, off offset:8
	s_waitcnt vmcnt(0)
	global_store_dword v[93:94], v101, off
.LBB84_40:
	s_or_b32 exec_lo, exec_lo, s2
	v_mov_b32_e32 v100, v92
	v_mov_b32_e32 v101, v92
.LBB84_41:
	s_or_b32 exec_lo, exec_lo, s1
.LBB84_42:
	s_andn2_saveexec_b32 s0, s0
	s_cbranch_execz .LBB84_44
; %bb.43:
	v_mov_b32_e32 v101, 2
	ds_write2_b64 v98, v[82:83], v[80:81] offset0:3 offset1:4
	ds_write2_b64 v98, v[78:79], v[76:77] offset0:5 offset1:6
	;; [unrolled: 1-line block ×20, first 2 shown]
.LBB84_44:
	s_or_b32 exec_lo, exec_lo, s0
	s_mov_b32 s0, exec_lo
	s_waitcnt lgkmcnt(0)
	s_waitcnt_vscnt null, 0x0
	s_barrier
	buffer_gl0_inv
	v_cmpx_lt_i32_e32 2, v101
	s_cbranch_execz .LBB84_46
; %bb.45:
	v_mul_f64 v[86:87], v[0:1], v[86:87]
	ds_read2_b64 v[102:105], v98 offset0:3 offset1:4
	ds_read2_b64 v[106:109], v98 offset0:5 offset1:6
	;; [unrolled: 1-line block ×11, first 2 shown]
	s_waitcnt lgkmcnt(10)
	v_fma_f64 v[82:83], -v[86:87], v[102:103], v[82:83]
	v_fma_f64 v[80:81], -v[86:87], v[104:105], v[80:81]
	s_waitcnt lgkmcnt(9)
	v_fma_f64 v[78:79], -v[86:87], v[106:107], v[78:79]
	v_fma_f64 v[76:77], -v[86:87], v[108:109], v[76:77]
	;; [unrolled: 3-line block ×5, first 2 shown]
	s_waitcnt lgkmcnt(5)
	v_fma_f64 v[62:63], -v[86:87], v[122:123], v[62:63]
	ds_read2_b64 v[102:105], v98 offset0:25 offset1:26
	ds_read2_b64 v[106:109], v98 offset0:27 offset1:28
	v_fma_f64 v[60:61], -v[86:87], v[124:125], v[60:61]
	s_waitcnt lgkmcnt(6)
	v_fma_f64 v[58:59], -v[86:87], v[126:127], v[58:59]
	ds_read2_b64 v[110:113], v98 offset0:29 offset1:30
	ds_read2_b64 v[114:117], v98 offset0:31 offset1:32
	v_fma_f64 v[56:57], -v[86:87], v[128:129], v[56:57]
	;; [unrolled: 5-line block ×4, first 2 shown]
	ds_read2_b64 v[134:137], v98 offset0:41 offset1:42
	s_waitcnt lgkmcnt(10)
	v_fma_f64 v[44:45], -v[86:87], v[138:139], v[44:45]
	v_fma_f64 v[46:47], -v[86:87], v[140:141], v[46:47]
	s_waitcnt lgkmcnt(9)
	v_fma_f64 v[42:43], -v[86:87], v[142:143], v[42:43]
	v_fma_f64 v[40:41], -v[86:87], v[144:145], v[40:41]
	;; [unrolled: 3-line block ×11, first 2 shown]
.LBB84_46:
	s_or_b32 exec_lo, exec_lo, s0
	v_lshl_add_u32 v0, v101, 3, v98
	s_barrier
	buffer_gl0_inv
	v_mov_b32_e32 v92, 3
	ds_write_b64 v0, v[82:83]
	s_waitcnt lgkmcnt(0)
	s_barrier
	buffer_gl0_inv
	ds_read_b64 v[0:1], v98 offset:24
	s_cmp_lt_i32 s7, 5
	s_cbranch_scc1 .LBB84_49
; %bb.47:
	v_mov_b32_e32 v92, 3
	v_add3_u32 v93, v99, 0, 32
	s_mov_b32 s0, 4
.LBB84_48:                              ; =>This Inner Loop Header: Depth=1
	ds_read_b64 v[102:103], v93
	v_add_nc_u32_e32 v93, 8, v93
	s_waitcnt lgkmcnt(0)
	v_cmp_lt_f64_e64 vcc_lo, |v[0:1]|, |v[102:103]|
	v_cndmask_b32_e32 v1, v1, v103, vcc_lo
	v_cndmask_b32_e32 v0, v0, v102, vcc_lo
	v_cndmask_b32_e64 v92, v92, s0, vcc_lo
	s_add_i32 s0, s0, 1
	s_cmp_lg_u32 s7, s0
	s_cbranch_scc1 .LBB84_48
.LBB84_49:
	s_mov_b32 s0, exec_lo
	s_waitcnt lgkmcnt(0)
	v_cmpx_eq_f64_e32 0, v[0:1]
	s_xor_b32 s0, exec_lo, s0
; %bb.50:
	v_cmp_ne_u32_e32 vcc_lo, 0, v95
	v_cndmask_b32_e32 v95, 4, v95, vcc_lo
; %bb.51:
	s_andn2_saveexec_b32 s0, s0
	s_cbranch_execz .LBB84_53
; %bb.52:
	v_div_scale_f64 v[93:94], null, v[0:1], v[0:1], 1.0
	v_rcp_f64_e32 v[102:103], v[93:94]
	v_fma_f64 v[104:105], -v[93:94], v[102:103], 1.0
	v_fma_f64 v[102:103], v[102:103], v[104:105], v[102:103]
	v_fma_f64 v[104:105], -v[93:94], v[102:103], 1.0
	v_fma_f64 v[102:103], v[102:103], v[104:105], v[102:103]
	v_div_scale_f64 v[104:105], vcc_lo, 1.0, v[0:1], 1.0
	v_mul_f64 v[106:107], v[104:105], v[102:103]
	v_fma_f64 v[93:94], -v[93:94], v[106:107], v[104:105]
	v_div_fmas_f64 v[93:94], v[93:94], v[102:103], v[106:107]
	v_div_fixup_f64 v[0:1], v[93:94], v[0:1], 1.0
.LBB84_53:
	s_or_b32 exec_lo, exec_lo, s0
	s_mov_b32 s0, exec_lo
	v_cmpx_ne_u32_e64 v101, v92
	s_xor_b32 s0, exec_lo, s0
	s_cbranch_execz .LBB84_59
; %bb.54:
	s_mov_b32 s1, exec_lo
	v_cmpx_eq_u32_e32 3, v101
	s_cbranch_execz .LBB84_58
; %bb.55:
	v_cmp_ne_u32_e32 vcc_lo, 3, v92
	s_xor_b32 s2, s6, -1
	s_and_b32 s3, s2, vcc_lo
	s_and_saveexec_b32 s2, s3
	s_cbranch_execz .LBB84_57
; %bb.56:
	v_ashrrev_i32_e32 v93, 31, v92
	v_lshlrev_b64 v[93:94], 2, v[92:93]
	v_add_co_u32 v93, vcc_lo, v4, v93
	v_add_co_ci_u32_e64 v94, null, v5, v94, vcc_lo
	s_clause 0x1
	global_load_dword v100, v[93:94], off
	global_load_dword v101, v[4:5], off offset:12
	s_waitcnt vmcnt(1)
	global_store_dword v[4:5], v100, off offset:12
	s_waitcnt vmcnt(0)
	global_store_dword v[93:94], v101, off
.LBB84_57:
	s_or_b32 exec_lo, exec_lo, s2
	v_mov_b32_e32 v100, v92
	v_mov_b32_e32 v101, v92
.LBB84_58:
	s_or_b32 exec_lo, exec_lo, s1
.LBB84_59:
	s_andn2_saveexec_b32 s0, s0
	s_cbranch_execz .LBB84_61
; %bb.60:
	v_mov_b32_e32 v92, v80
	v_mov_b32_e32 v93, v81
	v_mov_b32_e32 v101, v78
	v_mov_b32_e32 v102, v79
	v_mov_b32_e32 v103, v76
	v_mov_b32_e32 v104, v77
	v_mov_b32_e32 v105, v74
	v_mov_b32_e32 v106, v75
	v_mov_b32_e32 v107, v72
	v_mov_b32_e32 v108, v73
	v_mov_b32_e32 v109, v68
	v_mov_b32_e32 v110, v69
	v_mov_b32_e32 v111, v70
	v_mov_b32_e32 v112, v71
	v_mov_b32_e32 v113, v64
	v_mov_b32_e32 v114, v65
	v_mov_b32_e32 v115, v66
	v_mov_b32_e32 v116, v67
	v_mov_b32_e32 v117, v62
	v_mov_b32_e32 v118, v63
	ds_write2_b64 v98, v[92:93], v[101:102] offset0:4 offset1:5
	ds_write2_b64 v98, v[103:104], v[105:106] offset0:6 offset1:7
	ds_write2_b64 v98, v[107:108], v[109:110] offset0:8 offset1:9
	ds_write2_b64 v98, v[111:112], v[113:114] offset0:10 offset1:11
	ds_write2_b64 v98, v[115:116], v[117:118] offset0:12 offset1:13
	v_mov_b32_e32 v92, v60
	v_mov_b32_e32 v93, v61
	v_mov_b32_e32 v101, v58
	v_mov_b32_e32 v102, v59
	v_mov_b32_e32 v103, v56
	v_mov_b32_e32 v104, v57
	v_mov_b32_e32 v105, v54
	v_mov_b32_e32 v106, v55
	v_mov_b32_e32 v107, v52
	v_mov_b32_e32 v108, v53
	v_mov_b32_e32 v109, v48
	v_mov_b32_e32 v110, v49
	v_mov_b32_e32 v111, v50
	v_mov_b32_e32 v112, v51
	v_mov_b32_e32 v113, v44
	v_mov_b32_e32 v114, v45
	v_mov_b32_e32 v115, v46
	v_mov_b32_e32 v116, v47
	v_mov_b32_e32 v117, v42
	v_mov_b32_e32 v118, v43
	ds_write2_b64 v98, v[92:93], v[101:102] offset0:14 offset1:15
	ds_write2_b64 v98, v[103:104], v[105:106] offset0:16 offset1:17
	ds_write2_b64 v98, v[107:108], v[109:110] offset0:18 offset1:19
	ds_write2_b64 v98, v[111:112], v[113:114] offset0:20 offset1:21
	ds_write2_b64 v98, v[115:116], v[117:118] offset0:22 offset1:23
	;; [unrolled: 25-line block ×3, first 2 shown]
	v_mov_b32_e32 v92, v20
	v_mov_b32_e32 v93, v21
	v_mov_b32_e32 v101, v18
	v_mov_b32_e32 v102, v19
	v_mov_b32_e32 v103, v16
	v_mov_b32_e32 v104, v17
	v_mov_b32_e32 v105, v14
	v_mov_b32_e32 v106, v15
	ds_write2_b64 v98, v[92:93], v[101:102] offset0:34 offset1:35
	v_mov_b32_e32 v101, 3
	v_mov_b32_e32 v107, v12
	v_mov_b32_e32 v108, v13
	v_mov_b32_e32 v109, v8
	v_mov_b32_e32 v110, v9
	v_mov_b32_e32 v111, v10
	v_mov_b32_e32 v112, v11
	v_mov_b32_e32 v113, v6
	v_mov_b32_e32 v114, v7
	ds_write2_b64 v98, v[103:104], v[105:106] offset0:36 offset1:37
	ds_write2_b64 v98, v[107:108], v[109:110] offset0:38 offset1:39
	;; [unrolled: 1-line block ×3, first 2 shown]
	ds_write_b64 v98, v[90:91] offset:336
.LBB84_61:
	s_or_b32 exec_lo, exec_lo, s0
	s_mov_b32 s0, exec_lo
	s_waitcnt lgkmcnt(0)
	s_waitcnt_vscnt null, 0x0
	s_barrier
	buffer_gl0_inv
	v_cmpx_lt_i32_e32 3, v101
	s_cbranch_execz .LBB84_63
; %bb.62:
	v_mul_f64 v[82:83], v[0:1], v[82:83]
	ds_read2_b64 v[102:105], v98 offset0:4 offset1:5
	ds_read2_b64 v[106:109], v98 offset0:6 offset1:7
	;; [unrolled: 1-line block ×11, first 2 shown]
	ds_read_b64 v[0:1], v98 offset:336
	s_waitcnt lgkmcnt(11)
	v_fma_f64 v[80:81], -v[82:83], v[102:103], v[80:81]
	v_fma_f64 v[78:79], -v[82:83], v[104:105], v[78:79]
	s_waitcnt lgkmcnt(10)
	v_fma_f64 v[76:77], -v[82:83], v[106:107], v[76:77]
	v_fma_f64 v[74:75], -v[82:83], v[108:109], v[74:75]
	;; [unrolled: 3-line block ×5, first 2 shown]
	s_waitcnt lgkmcnt(6)
	v_fma_f64 v[60:61], -v[82:83], v[122:123], v[60:61]
	ds_read2_b64 v[102:105], v98 offset0:26 offset1:27
	ds_read2_b64 v[106:109], v98 offset0:28 offset1:29
	v_fma_f64 v[58:59], -v[82:83], v[124:125], v[58:59]
	s_waitcnt lgkmcnt(7)
	v_fma_f64 v[56:57], -v[82:83], v[126:127], v[56:57]
	ds_read2_b64 v[110:113], v98 offset0:30 offset1:31
	ds_read2_b64 v[114:117], v98 offset0:32 offset1:33
	v_fma_f64 v[54:55], -v[82:83], v[128:129], v[54:55]
	;; [unrolled: 5-line block ×3, first 2 shown]
	ds_read2_b64 v[126:129], v98 offset0:38 offset1:39
	ds_read2_b64 v[130:133], v98 offset0:40 offset1:41
	s_waitcnt lgkmcnt(11)
	v_fma_f64 v[50:51], -v[82:83], v[134:135], v[50:51]
	v_fma_f64 v[44:45], -v[82:83], v[136:137], v[44:45]
	s_waitcnt lgkmcnt(10)
	v_fma_f64 v[46:47], -v[82:83], v[138:139], v[46:47]
	v_fma_f64 v[42:43], -v[82:83], v[140:141], v[42:43]
	;; [unrolled: 3-line block ×3, first 2 shown]
	s_waitcnt lgkmcnt(8)
	v_fma_f64 v[90:91], -v[82:83], v[0:1], v[90:91]
	s_waitcnt lgkmcnt(7)
	v_fma_f64 v[36:37], -v[82:83], v[102:103], v[36:37]
	v_fma_f64 v[34:35], -v[82:83], v[104:105], v[34:35]
	s_waitcnt lgkmcnt(6)
	v_fma_f64 v[32:33], -v[82:83], v[106:107], v[32:33]
	;; [unrolled: 3-line block ×8, first 2 shown]
	v_fma_f64 v[6:7], -v[82:83], v[132:133], v[6:7]
.LBB84_63:
	s_or_b32 exec_lo, exec_lo, s0
	v_lshl_add_u32 v0, v101, 3, v98
	s_barrier
	buffer_gl0_inv
	v_mov_b32_e32 v92, 4
	ds_write_b64 v0, v[80:81]
	s_waitcnt lgkmcnt(0)
	s_barrier
	buffer_gl0_inv
	ds_read_b64 v[0:1], v98 offset:32
	s_cmp_lt_i32 s7, 6
	s_cbranch_scc1 .LBB84_66
; %bb.64:
	v_add3_u32 v93, v99, 0, 40
	v_mov_b32_e32 v92, 4
	s_mov_b32 s0, 5
.LBB84_65:                              ; =>This Inner Loop Header: Depth=1
	ds_read_b64 v[102:103], v93
	v_add_nc_u32_e32 v93, 8, v93
	s_waitcnt lgkmcnt(0)
	v_cmp_lt_f64_e64 vcc_lo, |v[0:1]|, |v[102:103]|
	v_cndmask_b32_e32 v1, v1, v103, vcc_lo
	v_cndmask_b32_e32 v0, v0, v102, vcc_lo
	v_cndmask_b32_e64 v92, v92, s0, vcc_lo
	s_add_i32 s0, s0, 1
	s_cmp_lg_u32 s7, s0
	s_cbranch_scc1 .LBB84_65
.LBB84_66:
	s_mov_b32 s0, exec_lo
	s_waitcnt lgkmcnt(0)
	v_cmpx_eq_f64_e32 0, v[0:1]
	s_xor_b32 s0, exec_lo, s0
; %bb.67:
	v_cmp_ne_u32_e32 vcc_lo, 0, v95
	v_cndmask_b32_e32 v95, 5, v95, vcc_lo
; %bb.68:
	s_andn2_saveexec_b32 s0, s0
	s_cbranch_execz .LBB84_70
; %bb.69:
	v_div_scale_f64 v[93:94], null, v[0:1], v[0:1], 1.0
	v_rcp_f64_e32 v[102:103], v[93:94]
	v_fma_f64 v[104:105], -v[93:94], v[102:103], 1.0
	v_fma_f64 v[102:103], v[102:103], v[104:105], v[102:103]
	v_fma_f64 v[104:105], -v[93:94], v[102:103], 1.0
	v_fma_f64 v[102:103], v[102:103], v[104:105], v[102:103]
	v_div_scale_f64 v[104:105], vcc_lo, 1.0, v[0:1], 1.0
	v_mul_f64 v[106:107], v[104:105], v[102:103]
	v_fma_f64 v[93:94], -v[93:94], v[106:107], v[104:105]
	v_div_fmas_f64 v[93:94], v[93:94], v[102:103], v[106:107]
	v_div_fixup_f64 v[0:1], v[93:94], v[0:1], 1.0
.LBB84_70:
	s_or_b32 exec_lo, exec_lo, s0
	s_mov_b32 s0, exec_lo
	v_cmpx_ne_u32_e64 v101, v92
	s_xor_b32 s0, exec_lo, s0
	s_cbranch_execz .LBB84_76
; %bb.71:
	s_mov_b32 s1, exec_lo
	v_cmpx_eq_u32_e32 4, v101
	s_cbranch_execz .LBB84_75
; %bb.72:
	v_cmp_ne_u32_e32 vcc_lo, 4, v92
	s_xor_b32 s2, s6, -1
	s_and_b32 s3, s2, vcc_lo
	s_and_saveexec_b32 s2, s3
	s_cbranch_execz .LBB84_74
; %bb.73:
	v_ashrrev_i32_e32 v93, 31, v92
	v_lshlrev_b64 v[93:94], 2, v[92:93]
	v_add_co_u32 v93, vcc_lo, v4, v93
	v_add_co_ci_u32_e64 v94, null, v5, v94, vcc_lo
	s_clause 0x1
	global_load_dword v100, v[93:94], off
	global_load_dword v101, v[4:5], off offset:16
	s_waitcnt vmcnt(1)
	global_store_dword v[4:5], v100, off offset:16
	s_waitcnt vmcnt(0)
	global_store_dword v[93:94], v101, off
.LBB84_74:
	s_or_b32 exec_lo, exec_lo, s2
	v_mov_b32_e32 v100, v92
	v_mov_b32_e32 v101, v92
.LBB84_75:
	s_or_b32 exec_lo, exec_lo, s1
.LBB84_76:
	s_andn2_saveexec_b32 s0, s0
	s_cbranch_execz .LBB84_78
; %bb.77:
	v_mov_b32_e32 v101, 4
	ds_write2_b64 v98, v[78:79], v[76:77] offset0:5 offset1:6
	ds_write2_b64 v98, v[74:75], v[72:73] offset0:7 offset1:8
	;; [unrolled: 1-line block ×19, first 2 shown]
.LBB84_78:
	s_or_b32 exec_lo, exec_lo, s0
	s_mov_b32 s0, exec_lo
	s_waitcnt lgkmcnt(0)
	s_waitcnt_vscnt null, 0x0
	s_barrier
	buffer_gl0_inv
	v_cmpx_lt_i32_e32 4, v101
	s_cbranch_execz .LBB84_80
; %bb.79:
	v_mul_f64 v[80:81], v[0:1], v[80:81]
	ds_read2_b64 v[102:105], v98 offset0:5 offset1:6
	ds_read2_b64 v[106:109], v98 offset0:7 offset1:8
	;; [unrolled: 1-line block ×12, first 2 shown]
	s_waitcnt lgkmcnt(11)
	v_fma_f64 v[78:79], -v[80:81], v[102:103], v[78:79]
	v_fma_f64 v[76:77], -v[80:81], v[104:105], v[76:77]
	s_waitcnt lgkmcnt(10)
	v_fma_f64 v[74:75], -v[80:81], v[106:107], v[74:75]
	v_fma_f64 v[72:73], -v[80:81], v[108:109], v[72:73]
	;; [unrolled: 3-line block ×5, first 2 shown]
	s_waitcnt lgkmcnt(6)
	v_fma_f64 v[58:59], -v[80:81], v[122:123], v[58:59]
	ds_read2_b64 v[102:105], v98 offset0:29 offset1:30
	ds_read2_b64 v[106:109], v98 offset0:31 offset1:32
	v_fma_f64 v[56:57], -v[80:81], v[124:125], v[56:57]
	s_waitcnt lgkmcnt(7)
	v_fma_f64 v[54:55], -v[80:81], v[126:127], v[54:55]
	ds_read2_b64 v[110:113], v98 offset0:33 offset1:34
	ds_read2_b64 v[114:117], v98 offset0:35 offset1:36
	v_fma_f64 v[52:53], -v[80:81], v[128:129], v[52:53]
	ds_read2_b64 v[118:121], v98 offset0:37 offset1:38
	ds_read2_b64 v[122:125], v98 offset0:39 offset1:40
	;; [unrolled: 1-line block ×3, first 2 shown]
	s_waitcnt lgkmcnt(11)
	v_fma_f64 v[48:49], -v[80:81], v[130:131], v[48:49]
	v_fma_f64 v[50:51], -v[80:81], v[132:133], v[50:51]
	s_waitcnt lgkmcnt(10)
	v_fma_f64 v[44:45], -v[80:81], v[134:135], v[44:45]
	v_fma_f64 v[46:47], -v[80:81], v[136:137], v[46:47]
	s_waitcnt lgkmcnt(9)
	v_fma_f64 v[42:43], -v[80:81], v[138:139], v[42:43]
	v_fma_f64 v[40:41], -v[80:81], v[140:141], v[40:41]
	s_waitcnt lgkmcnt(8)
	v_fma_f64 v[38:39], -v[80:81], v[142:143], v[38:39]
	v_fma_f64 v[36:37], -v[80:81], v[144:145], v[36:37]
	s_waitcnt lgkmcnt(7)
	v_fma_f64 v[34:35], -v[80:81], v[146:147], v[34:35]
	v_fma_f64 v[32:33], -v[80:81], v[148:149], v[32:33]
	s_waitcnt lgkmcnt(6)
	v_fma_f64 v[28:29], -v[80:81], v[102:103], v[28:29]
	v_fma_f64 v[30:31], -v[80:81], v[104:105], v[30:31]
	s_waitcnt lgkmcnt(5)
	v_fma_f64 v[24:25], -v[80:81], v[106:107], v[24:25]
	v_fma_f64 v[26:27], -v[80:81], v[108:109], v[26:27]
	s_waitcnt lgkmcnt(4)
	v_fma_f64 v[22:23], -v[80:81], v[110:111], v[22:23]
	v_fma_f64 v[20:21], -v[80:81], v[112:113], v[20:21]
	s_waitcnt lgkmcnt(3)
	v_fma_f64 v[18:19], -v[80:81], v[114:115], v[18:19]
	v_fma_f64 v[16:17], -v[80:81], v[116:117], v[16:17]
	s_waitcnt lgkmcnt(2)
	v_fma_f64 v[14:15], -v[80:81], v[118:119], v[14:15]
	v_fma_f64 v[12:13], -v[80:81], v[120:121], v[12:13]
	s_waitcnt lgkmcnt(1)
	v_fma_f64 v[8:9], -v[80:81], v[122:123], v[8:9]
	v_fma_f64 v[10:11], -v[80:81], v[124:125], v[10:11]
	s_waitcnt lgkmcnt(0)
	v_fma_f64 v[6:7], -v[80:81], v[126:127], v[6:7]
	v_fma_f64 v[90:91], -v[80:81], v[128:129], v[90:91]
.LBB84_80:
	s_or_b32 exec_lo, exec_lo, s0
	v_lshl_add_u32 v0, v101, 3, v98
	s_barrier
	buffer_gl0_inv
	v_mov_b32_e32 v92, 5
	ds_write_b64 v0, v[78:79]
	s_waitcnt lgkmcnt(0)
	s_barrier
	buffer_gl0_inv
	ds_read_b64 v[0:1], v98 offset:40
	s_cmp_lt_i32 s7, 7
	s_cbranch_scc1 .LBB84_83
; %bb.81:
	v_add3_u32 v93, v99, 0, 48
	v_mov_b32_e32 v92, 5
	s_mov_b32 s0, 6
.LBB84_82:                              ; =>This Inner Loop Header: Depth=1
	ds_read_b64 v[102:103], v93
	v_add_nc_u32_e32 v93, 8, v93
	s_waitcnt lgkmcnt(0)
	v_cmp_lt_f64_e64 vcc_lo, |v[0:1]|, |v[102:103]|
	v_cndmask_b32_e32 v1, v1, v103, vcc_lo
	v_cndmask_b32_e32 v0, v0, v102, vcc_lo
	v_cndmask_b32_e64 v92, v92, s0, vcc_lo
	s_add_i32 s0, s0, 1
	s_cmp_lg_u32 s7, s0
	s_cbranch_scc1 .LBB84_82
.LBB84_83:
	s_mov_b32 s0, exec_lo
	s_waitcnt lgkmcnt(0)
	v_cmpx_eq_f64_e32 0, v[0:1]
	s_xor_b32 s0, exec_lo, s0
; %bb.84:
	v_cmp_ne_u32_e32 vcc_lo, 0, v95
	v_cndmask_b32_e32 v95, 6, v95, vcc_lo
; %bb.85:
	s_andn2_saveexec_b32 s0, s0
	s_cbranch_execz .LBB84_87
; %bb.86:
	v_div_scale_f64 v[93:94], null, v[0:1], v[0:1], 1.0
	v_rcp_f64_e32 v[102:103], v[93:94]
	v_fma_f64 v[104:105], -v[93:94], v[102:103], 1.0
	v_fma_f64 v[102:103], v[102:103], v[104:105], v[102:103]
	v_fma_f64 v[104:105], -v[93:94], v[102:103], 1.0
	v_fma_f64 v[102:103], v[102:103], v[104:105], v[102:103]
	v_div_scale_f64 v[104:105], vcc_lo, 1.0, v[0:1], 1.0
	v_mul_f64 v[106:107], v[104:105], v[102:103]
	v_fma_f64 v[93:94], -v[93:94], v[106:107], v[104:105]
	v_div_fmas_f64 v[93:94], v[93:94], v[102:103], v[106:107]
	v_div_fixup_f64 v[0:1], v[93:94], v[0:1], 1.0
.LBB84_87:
	s_or_b32 exec_lo, exec_lo, s0
	s_mov_b32 s0, exec_lo
	v_cmpx_ne_u32_e64 v101, v92
	s_xor_b32 s0, exec_lo, s0
	s_cbranch_execz .LBB84_93
; %bb.88:
	s_mov_b32 s1, exec_lo
	v_cmpx_eq_u32_e32 5, v101
	s_cbranch_execz .LBB84_92
; %bb.89:
	v_cmp_ne_u32_e32 vcc_lo, 5, v92
	s_xor_b32 s2, s6, -1
	s_and_b32 s3, s2, vcc_lo
	s_and_saveexec_b32 s2, s3
	s_cbranch_execz .LBB84_91
; %bb.90:
	v_ashrrev_i32_e32 v93, 31, v92
	v_lshlrev_b64 v[93:94], 2, v[92:93]
	v_add_co_u32 v93, vcc_lo, v4, v93
	v_add_co_ci_u32_e64 v94, null, v5, v94, vcc_lo
	s_clause 0x1
	global_load_dword v100, v[93:94], off
	global_load_dword v101, v[4:5], off offset:20
	s_waitcnt vmcnt(1)
	global_store_dword v[4:5], v100, off offset:20
	s_waitcnt vmcnt(0)
	global_store_dword v[93:94], v101, off
.LBB84_91:
	s_or_b32 exec_lo, exec_lo, s2
	v_mov_b32_e32 v100, v92
	v_mov_b32_e32 v101, v92
.LBB84_92:
	s_or_b32 exec_lo, exec_lo, s1
.LBB84_93:
	s_andn2_saveexec_b32 s0, s0
	s_cbranch_execz .LBB84_95
; %bb.94:
	v_mov_b32_e32 v92, v76
	v_mov_b32_e32 v93, v77
	;; [unrolled: 1-line block ×16, first 2 shown]
	ds_write2_b64 v98, v[92:93], v[101:102] offset0:6 offset1:7
	ds_write2_b64 v98, v[103:104], v[105:106] offset0:8 offset1:9
	;; [unrolled: 1-line block ×4, first 2 shown]
	v_mov_b32_e32 v92, v60
	v_mov_b32_e32 v93, v61
	;; [unrolled: 1-line block ×20, first 2 shown]
	ds_write2_b64 v98, v[92:93], v[101:102] offset0:14 offset1:15
	ds_write2_b64 v98, v[103:104], v[105:106] offset0:16 offset1:17
	;; [unrolled: 1-line block ×5, first 2 shown]
	v_mov_b32_e32 v92, v40
	v_mov_b32_e32 v93, v41
	;; [unrolled: 1-line block ×20, first 2 shown]
	ds_write2_b64 v98, v[92:93], v[101:102] offset0:24 offset1:25
	ds_write2_b64 v98, v[103:104], v[105:106] offset0:26 offset1:27
	;; [unrolled: 1-line block ×5, first 2 shown]
	v_mov_b32_e32 v92, v20
	v_mov_b32_e32 v93, v21
	;; [unrolled: 1-line block ×8, first 2 shown]
	ds_write2_b64 v98, v[92:93], v[101:102] offset0:34 offset1:35
	v_mov_b32_e32 v101, 5
	v_mov_b32_e32 v107, v12
	;; [unrolled: 1-line block ×9, first 2 shown]
	ds_write2_b64 v98, v[103:104], v[105:106] offset0:36 offset1:37
	ds_write2_b64 v98, v[107:108], v[109:110] offset0:38 offset1:39
	;; [unrolled: 1-line block ×3, first 2 shown]
	ds_write_b64 v98, v[90:91] offset:336
.LBB84_95:
	s_or_b32 exec_lo, exec_lo, s0
	s_mov_b32 s0, exec_lo
	s_waitcnt lgkmcnt(0)
	s_waitcnt_vscnt null, 0x0
	s_barrier
	buffer_gl0_inv
	v_cmpx_lt_i32_e32 5, v101
	s_cbranch_execz .LBB84_97
; %bb.96:
	v_mul_f64 v[78:79], v[0:1], v[78:79]
	ds_read2_b64 v[102:105], v98 offset0:6 offset1:7
	ds_read2_b64 v[106:109], v98 offset0:8 offset1:9
	;; [unrolled: 1-line block ×12, first 2 shown]
	ds_read_b64 v[0:1], v98 offset:336
	s_waitcnt lgkmcnt(12)
	v_fma_f64 v[76:77], -v[78:79], v[102:103], v[76:77]
	v_fma_f64 v[74:75], -v[78:79], v[104:105], v[74:75]
	s_waitcnt lgkmcnt(11)
	v_fma_f64 v[72:73], -v[78:79], v[106:107], v[72:73]
	v_fma_f64 v[68:69], -v[78:79], v[108:109], v[68:69]
	;; [unrolled: 3-line block ×5, first 2 shown]
	s_waitcnt lgkmcnt(7)
	v_fma_f64 v[56:57], -v[78:79], v[122:123], v[56:57]
	ds_read2_b64 v[102:105], v98 offset0:30 offset1:31
	ds_read2_b64 v[106:109], v98 offset0:32 offset1:33
	v_fma_f64 v[54:55], -v[78:79], v[124:125], v[54:55]
	ds_read2_b64 v[110:113], v98 offset0:34 offset1:35
	ds_read2_b64 v[114:117], v98 offset0:36 offset1:37
	;; [unrolled: 1-line block ×4, first 2 shown]
	s_waitcnt lgkmcnt(12)
	v_fma_f64 v[52:53], -v[78:79], v[126:127], v[52:53]
	v_fma_f64 v[48:49], -v[78:79], v[128:129], v[48:49]
	s_waitcnt lgkmcnt(11)
	v_fma_f64 v[50:51], -v[78:79], v[130:131], v[50:51]
	v_fma_f64 v[44:45], -v[78:79], v[132:133], v[44:45]
	;; [unrolled: 3-line block ×6, first 2 shown]
	s_waitcnt lgkmcnt(6)
	v_fma_f64 v[90:91], -v[78:79], v[0:1], v[90:91]
	s_waitcnt lgkmcnt(5)
	v_fma_f64 v[30:31], -v[78:79], v[102:103], v[30:31]
	v_fma_f64 v[24:25], -v[78:79], v[104:105], v[24:25]
	s_waitcnt lgkmcnt(4)
	v_fma_f64 v[26:27], -v[78:79], v[106:107], v[26:27]
	;; [unrolled: 3-line block ×6, first 2 shown]
	v_fma_f64 v[6:7], -v[78:79], v[124:125], v[6:7]
.LBB84_97:
	s_or_b32 exec_lo, exec_lo, s0
	v_lshl_add_u32 v0, v101, 3, v98
	s_barrier
	buffer_gl0_inv
	v_mov_b32_e32 v92, 6
	ds_write_b64 v0, v[76:77]
	s_waitcnt lgkmcnt(0)
	s_barrier
	buffer_gl0_inv
	ds_read_b64 v[0:1], v98 offset:48
	s_cmp_lt_i32 s7, 8
	s_cbranch_scc1 .LBB84_100
; %bb.98:
	v_add3_u32 v93, v99, 0, 56
	v_mov_b32_e32 v92, 6
	s_mov_b32 s0, 7
.LBB84_99:                              ; =>This Inner Loop Header: Depth=1
	ds_read_b64 v[102:103], v93
	v_add_nc_u32_e32 v93, 8, v93
	s_waitcnt lgkmcnt(0)
	v_cmp_lt_f64_e64 vcc_lo, |v[0:1]|, |v[102:103]|
	v_cndmask_b32_e32 v1, v1, v103, vcc_lo
	v_cndmask_b32_e32 v0, v0, v102, vcc_lo
	v_cndmask_b32_e64 v92, v92, s0, vcc_lo
	s_add_i32 s0, s0, 1
	s_cmp_lg_u32 s7, s0
	s_cbranch_scc1 .LBB84_99
.LBB84_100:
	s_mov_b32 s0, exec_lo
	s_waitcnt lgkmcnt(0)
	v_cmpx_eq_f64_e32 0, v[0:1]
	s_xor_b32 s0, exec_lo, s0
; %bb.101:
	v_cmp_ne_u32_e32 vcc_lo, 0, v95
	v_cndmask_b32_e32 v95, 7, v95, vcc_lo
; %bb.102:
	s_andn2_saveexec_b32 s0, s0
	s_cbranch_execz .LBB84_104
; %bb.103:
	v_div_scale_f64 v[93:94], null, v[0:1], v[0:1], 1.0
	v_rcp_f64_e32 v[102:103], v[93:94]
	v_fma_f64 v[104:105], -v[93:94], v[102:103], 1.0
	v_fma_f64 v[102:103], v[102:103], v[104:105], v[102:103]
	v_fma_f64 v[104:105], -v[93:94], v[102:103], 1.0
	v_fma_f64 v[102:103], v[102:103], v[104:105], v[102:103]
	v_div_scale_f64 v[104:105], vcc_lo, 1.0, v[0:1], 1.0
	v_mul_f64 v[106:107], v[104:105], v[102:103]
	v_fma_f64 v[93:94], -v[93:94], v[106:107], v[104:105]
	v_div_fmas_f64 v[93:94], v[93:94], v[102:103], v[106:107]
	v_div_fixup_f64 v[0:1], v[93:94], v[0:1], 1.0
.LBB84_104:
	s_or_b32 exec_lo, exec_lo, s0
	s_mov_b32 s0, exec_lo
	v_cmpx_ne_u32_e64 v101, v92
	s_xor_b32 s0, exec_lo, s0
	s_cbranch_execz .LBB84_110
; %bb.105:
	s_mov_b32 s1, exec_lo
	v_cmpx_eq_u32_e32 6, v101
	s_cbranch_execz .LBB84_109
; %bb.106:
	v_cmp_ne_u32_e32 vcc_lo, 6, v92
	s_xor_b32 s2, s6, -1
	s_and_b32 s3, s2, vcc_lo
	s_and_saveexec_b32 s2, s3
	s_cbranch_execz .LBB84_108
; %bb.107:
	v_ashrrev_i32_e32 v93, 31, v92
	v_lshlrev_b64 v[93:94], 2, v[92:93]
	v_add_co_u32 v93, vcc_lo, v4, v93
	v_add_co_ci_u32_e64 v94, null, v5, v94, vcc_lo
	s_clause 0x1
	global_load_dword v100, v[93:94], off
	global_load_dword v101, v[4:5], off offset:24
	s_waitcnt vmcnt(1)
	global_store_dword v[4:5], v100, off offset:24
	s_waitcnt vmcnt(0)
	global_store_dword v[93:94], v101, off
.LBB84_108:
	s_or_b32 exec_lo, exec_lo, s2
	v_mov_b32_e32 v100, v92
	v_mov_b32_e32 v101, v92
.LBB84_109:
	s_or_b32 exec_lo, exec_lo, s1
.LBB84_110:
	s_andn2_saveexec_b32 s0, s0
	s_cbranch_execz .LBB84_112
; %bb.111:
	v_mov_b32_e32 v101, 6
	ds_write2_b64 v98, v[74:75], v[72:73] offset0:7 offset1:8
	ds_write2_b64 v98, v[68:69], v[70:71] offset0:9 offset1:10
	;; [unrolled: 1-line block ×18, first 2 shown]
.LBB84_112:
	s_or_b32 exec_lo, exec_lo, s0
	s_mov_b32 s0, exec_lo
	s_waitcnt lgkmcnt(0)
	s_waitcnt_vscnt null, 0x0
	s_barrier
	buffer_gl0_inv
	v_cmpx_lt_i32_e32 6, v101
	s_cbranch_execz .LBB84_114
; %bb.113:
	v_mul_f64 v[76:77], v[0:1], v[76:77]
	ds_read2_b64 v[102:105], v98 offset0:7 offset1:8
	ds_read2_b64 v[106:109], v98 offset0:9 offset1:10
	ds_read2_b64 v[110:113], v98 offset0:11 offset1:12
	ds_read2_b64 v[114:117], v98 offset0:13 offset1:14
	ds_read2_b64 v[118:121], v98 offset0:15 offset1:16
	ds_read2_b64 v[122:125], v98 offset0:17 offset1:18
	ds_read2_b64 v[126:129], v98 offset0:19 offset1:20
	ds_read2_b64 v[130:133], v98 offset0:21 offset1:22
	ds_read2_b64 v[134:137], v98 offset0:23 offset1:24
	ds_read2_b64 v[138:141], v98 offset0:25 offset1:26
	ds_read2_b64 v[142:145], v98 offset0:27 offset1:28
	ds_read2_b64 v[146:149], v98 offset0:29 offset1:30
	s_waitcnt lgkmcnt(11)
	v_fma_f64 v[74:75], -v[76:77], v[102:103], v[74:75]
	v_fma_f64 v[72:73], -v[76:77], v[104:105], v[72:73]
	s_waitcnt lgkmcnt(10)
	v_fma_f64 v[68:69], -v[76:77], v[106:107], v[68:69]
	v_fma_f64 v[70:71], -v[76:77], v[108:109], v[70:71]
	;; [unrolled: 3-line block ×5, first 2 shown]
	ds_read2_b64 v[102:105], v98 offset0:31 offset1:32
	ds_read2_b64 v[106:109], v98 offset0:33 offset1:34
	s_waitcnt lgkmcnt(8)
	v_fma_f64 v[54:55], -v[76:77], v[122:123], v[54:55]
	v_fma_f64 v[52:53], -v[76:77], v[124:125], v[52:53]
	ds_read2_b64 v[110:113], v98 offset0:35 offset1:36
	ds_read2_b64 v[114:117], v98 offset0:37 offset1:38
	;; [unrolled: 1-line block ×4, first 2 shown]
	s_waitcnt lgkmcnt(11)
	v_fma_f64 v[48:49], -v[76:77], v[126:127], v[48:49]
	v_fma_f64 v[50:51], -v[76:77], v[128:129], v[50:51]
	s_waitcnt lgkmcnt(10)
	v_fma_f64 v[44:45], -v[76:77], v[130:131], v[44:45]
	v_fma_f64 v[46:47], -v[76:77], v[132:133], v[46:47]
	;; [unrolled: 3-line block ×12, first 2 shown]
.LBB84_114:
	s_or_b32 exec_lo, exec_lo, s0
	v_lshl_add_u32 v0, v101, 3, v98
	s_barrier
	buffer_gl0_inv
	v_mov_b32_e32 v92, 7
	ds_write_b64 v0, v[74:75]
	s_waitcnt lgkmcnt(0)
	s_barrier
	buffer_gl0_inv
	ds_read_b64 v[0:1], v98 offset:56
	s_cmp_lt_i32 s7, 9
	s_cbranch_scc1 .LBB84_117
; %bb.115:
	v_add3_u32 v93, v99, 0, 64
	v_mov_b32_e32 v92, 7
	s_mov_b32 s0, 8
.LBB84_116:                             ; =>This Inner Loop Header: Depth=1
	ds_read_b64 v[102:103], v93
	v_add_nc_u32_e32 v93, 8, v93
	s_waitcnt lgkmcnt(0)
	v_cmp_lt_f64_e64 vcc_lo, |v[0:1]|, |v[102:103]|
	v_cndmask_b32_e32 v1, v1, v103, vcc_lo
	v_cndmask_b32_e32 v0, v0, v102, vcc_lo
	v_cndmask_b32_e64 v92, v92, s0, vcc_lo
	s_add_i32 s0, s0, 1
	s_cmp_lg_u32 s7, s0
	s_cbranch_scc1 .LBB84_116
.LBB84_117:
	s_mov_b32 s0, exec_lo
	s_waitcnt lgkmcnt(0)
	v_cmpx_eq_f64_e32 0, v[0:1]
	s_xor_b32 s0, exec_lo, s0
; %bb.118:
	v_cmp_ne_u32_e32 vcc_lo, 0, v95
	v_cndmask_b32_e32 v95, 8, v95, vcc_lo
; %bb.119:
	s_andn2_saveexec_b32 s0, s0
	s_cbranch_execz .LBB84_121
; %bb.120:
	v_div_scale_f64 v[93:94], null, v[0:1], v[0:1], 1.0
	v_rcp_f64_e32 v[102:103], v[93:94]
	v_fma_f64 v[104:105], -v[93:94], v[102:103], 1.0
	v_fma_f64 v[102:103], v[102:103], v[104:105], v[102:103]
	v_fma_f64 v[104:105], -v[93:94], v[102:103], 1.0
	v_fma_f64 v[102:103], v[102:103], v[104:105], v[102:103]
	v_div_scale_f64 v[104:105], vcc_lo, 1.0, v[0:1], 1.0
	v_mul_f64 v[106:107], v[104:105], v[102:103]
	v_fma_f64 v[93:94], -v[93:94], v[106:107], v[104:105]
	v_div_fmas_f64 v[93:94], v[93:94], v[102:103], v[106:107]
	v_div_fixup_f64 v[0:1], v[93:94], v[0:1], 1.0
.LBB84_121:
	s_or_b32 exec_lo, exec_lo, s0
	s_mov_b32 s0, exec_lo
	v_cmpx_ne_u32_e64 v101, v92
	s_xor_b32 s0, exec_lo, s0
	s_cbranch_execz .LBB84_127
; %bb.122:
	s_mov_b32 s1, exec_lo
	v_cmpx_eq_u32_e32 7, v101
	s_cbranch_execz .LBB84_126
; %bb.123:
	v_cmp_ne_u32_e32 vcc_lo, 7, v92
	s_xor_b32 s2, s6, -1
	s_and_b32 s3, s2, vcc_lo
	s_and_saveexec_b32 s2, s3
	s_cbranch_execz .LBB84_125
; %bb.124:
	v_ashrrev_i32_e32 v93, 31, v92
	v_lshlrev_b64 v[93:94], 2, v[92:93]
	v_add_co_u32 v93, vcc_lo, v4, v93
	v_add_co_ci_u32_e64 v94, null, v5, v94, vcc_lo
	s_clause 0x1
	global_load_dword v100, v[93:94], off
	global_load_dword v101, v[4:5], off offset:28
	s_waitcnt vmcnt(1)
	global_store_dword v[4:5], v100, off offset:28
	s_waitcnt vmcnt(0)
	global_store_dword v[93:94], v101, off
.LBB84_125:
	s_or_b32 exec_lo, exec_lo, s2
	v_mov_b32_e32 v100, v92
	v_mov_b32_e32 v101, v92
.LBB84_126:
	s_or_b32 exec_lo, exec_lo, s1
.LBB84_127:
	s_andn2_saveexec_b32 s0, s0
	s_cbranch_execz .LBB84_129
; %bb.128:
	v_mov_b32_e32 v92, v72
	v_mov_b32_e32 v93, v73
	v_mov_b32_e32 v101, v68
	v_mov_b32_e32 v102, v69
	v_mov_b32_e32 v103, v70
	v_mov_b32_e32 v104, v71
	v_mov_b32_e32 v105, v64
	v_mov_b32_e32 v106, v65
	v_mov_b32_e32 v107, v66
	v_mov_b32_e32 v108, v67
	v_mov_b32_e32 v109, v62
	v_mov_b32_e32 v110, v63
	ds_write2_b64 v98, v[92:93], v[101:102] offset0:8 offset1:9
	ds_write2_b64 v98, v[103:104], v[105:106] offset0:10 offset1:11
	;; [unrolled: 1-line block ×3, first 2 shown]
	v_mov_b32_e32 v92, v60
	v_mov_b32_e32 v93, v61
	;; [unrolled: 1-line block ×20, first 2 shown]
	ds_write2_b64 v98, v[92:93], v[101:102] offset0:14 offset1:15
	ds_write2_b64 v98, v[103:104], v[105:106] offset0:16 offset1:17
	ds_write2_b64 v98, v[107:108], v[109:110] offset0:18 offset1:19
	ds_write2_b64 v98, v[111:112], v[113:114] offset0:20 offset1:21
	ds_write2_b64 v98, v[115:116], v[117:118] offset0:22 offset1:23
	v_mov_b32_e32 v92, v40
	v_mov_b32_e32 v93, v41
	;; [unrolled: 1-line block ×20, first 2 shown]
	ds_write2_b64 v98, v[92:93], v[101:102] offset0:24 offset1:25
	ds_write2_b64 v98, v[103:104], v[105:106] offset0:26 offset1:27
	;; [unrolled: 1-line block ×5, first 2 shown]
	v_mov_b32_e32 v92, v20
	v_mov_b32_e32 v93, v21
	;; [unrolled: 1-line block ×8, first 2 shown]
	ds_write2_b64 v98, v[92:93], v[101:102] offset0:34 offset1:35
	v_mov_b32_e32 v101, 7
	v_mov_b32_e32 v107, v12
	;; [unrolled: 1-line block ×9, first 2 shown]
	ds_write2_b64 v98, v[103:104], v[105:106] offset0:36 offset1:37
	ds_write2_b64 v98, v[107:108], v[109:110] offset0:38 offset1:39
	;; [unrolled: 1-line block ×3, first 2 shown]
	ds_write_b64 v98, v[90:91] offset:336
.LBB84_129:
	s_or_b32 exec_lo, exec_lo, s0
	s_mov_b32 s0, exec_lo
	s_waitcnt lgkmcnt(0)
	s_waitcnt_vscnt null, 0x0
	s_barrier
	buffer_gl0_inv
	v_cmpx_lt_i32_e32 7, v101
	s_cbranch_execz .LBB84_131
; %bb.130:
	v_mul_f64 v[74:75], v[0:1], v[74:75]
	ds_read2_b64 v[102:105], v98 offset0:8 offset1:9
	ds_read2_b64 v[106:109], v98 offset0:10 offset1:11
	;; [unrolled: 1-line block ×12, first 2 shown]
	ds_read_b64 v[0:1], v98 offset:336
	s_waitcnt lgkmcnt(12)
	v_fma_f64 v[72:73], -v[74:75], v[102:103], v[72:73]
	v_fma_f64 v[68:69], -v[74:75], v[104:105], v[68:69]
	s_waitcnt lgkmcnt(11)
	v_fma_f64 v[70:71], -v[74:75], v[106:107], v[70:71]
	v_fma_f64 v[64:65], -v[74:75], v[108:109], v[64:65]
	;; [unrolled: 3-line block ×5, first 2 shown]
	ds_read2_b64 v[102:105], v98 offset0:32 offset1:33
	ds_read2_b64 v[106:109], v98 offset0:34 offset1:35
	;; [unrolled: 1-line block ×5, first 2 shown]
	s_waitcnt lgkmcnt(12)
	v_fma_f64 v[52:53], -v[74:75], v[122:123], v[52:53]
	v_fma_f64 v[48:49], -v[74:75], v[124:125], v[48:49]
	s_waitcnt lgkmcnt(11)
	v_fma_f64 v[50:51], -v[74:75], v[126:127], v[50:51]
	v_fma_f64 v[44:45], -v[74:75], v[128:129], v[44:45]
	;; [unrolled: 3-line block ×7, first 2 shown]
	s_waitcnt lgkmcnt(5)
	v_fma_f64 v[90:91], -v[74:75], v[0:1], v[90:91]
	s_waitcnt lgkmcnt(4)
	v_fma_f64 v[26:27], -v[74:75], v[102:103], v[26:27]
	v_fma_f64 v[22:23], -v[74:75], v[104:105], v[22:23]
	s_waitcnt lgkmcnt(3)
	v_fma_f64 v[20:21], -v[74:75], v[106:107], v[20:21]
	;; [unrolled: 3-line block ×5, first 2 shown]
	v_fma_f64 v[6:7], -v[74:75], v[120:121], v[6:7]
.LBB84_131:
	s_or_b32 exec_lo, exec_lo, s0
	v_lshl_add_u32 v0, v101, 3, v98
	s_barrier
	buffer_gl0_inv
	v_mov_b32_e32 v92, 8
	ds_write_b64 v0, v[72:73]
	s_waitcnt lgkmcnt(0)
	s_barrier
	buffer_gl0_inv
	ds_read_b64 v[0:1], v98 offset:64
	s_cmp_lt_i32 s7, 10
	s_cbranch_scc1 .LBB84_134
; %bb.132:
	v_add3_u32 v93, v99, 0, 0x48
	v_mov_b32_e32 v92, 8
	s_mov_b32 s0, 9
.LBB84_133:                             ; =>This Inner Loop Header: Depth=1
	ds_read_b64 v[102:103], v93
	v_add_nc_u32_e32 v93, 8, v93
	s_waitcnt lgkmcnt(0)
	v_cmp_lt_f64_e64 vcc_lo, |v[0:1]|, |v[102:103]|
	v_cndmask_b32_e32 v1, v1, v103, vcc_lo
	v_cndmask_b32_e32 v0, v0, v102, vcc_lo
	v_cndmask_b32_e64 v92, v92, s0, vcc_lo
	s_add_i32 s0, s0, 1
	s_cmp_lg_u32 s7, s0
	s_cbranch_scc1 .LBB84_133
.LBB84_134:
	s_mov_b32 s0, exec_lo
	s_waitcnt lgkmcnt(0)
	v_cmpx_eq_f64_e32 0, v[0:1]
	s_xor_b32 s0, exec_lo, s0
; %bb.135:
	v_cmp_ne_u32_e32 vcc_lo, 0, v95
	v_cndmask_b32_e32 v95, 9, v95, vcc_lo
; %bb.136:
	s_andn2_saveexec_b32 s0, s0
	s_cbranch_execz .LBB84_138
; %bb.137:
	v_div_scale_f64 v[93:94], null, v[0:1], v[0:1], 1.0
	v_rcp_f64_e32 v[102:103], v[93:94]
	v_fma_f64 v[104:105], -v[93:94], v[102:103], 1.0
	v_fma_f64 v[102:103], v[102:103], v[104:105], v[102:103]
	v_fma_f64 v[104:105], -v[93:94], v[102:103], 1.0
	v_fma_f64 v[102:103], v[102:103], v[104:105], v[102:103]
	v_div_scale_f64 v[104:105], vcc_lo, 1.0, v[0:1], 1.0
	v_mul_f64 v[106:107], v[104:105], v[102:103]
	v_fma_f64 v[93:94], -v[93:94], v[106:107], v[104:105]
	v_div_fmas_f64 v[93:94], v[93:94], v[102:103], v[106:107]
	v_div_fixup_f64 v[0:1], v[93:94], v[0:1], 1.0
.LBB84_138:
	s_or_b32 exec_lo, exec_lo, s0
	s_mov_b32 s0, exec_lo
	v_cmpx_ne_u32_e64 v101, v92
	s_xor_b32 s0, exec_lo, s0
	s_cbranch_execz .LBB84_144
; %bb.139:
	s_mov_b32 s1, exec_lo
	v_cmpx_eq_u32_e32 8, v101
	s_cbranch_execz .LBB84_143
; %bb.140:
	v_cmp_ne_u32_e32 vcc_lo, 8, v92
	s_xor_b32 s2, s6, -1
	s_and_b32 s3, s2, vcc_lo
	s_and_saveexec_b32 s2, s3
	s_cbranch_execz .LBB84_142
; %bb.141:
	v_ashrrev_i32_e32 v93, 31, v92
	v_lshlrev_b64 v[93:94], 2, v[92:93]
	v_add_co_u32 v93, vcc_lo, v4, v93
	v_add_co_ci_u32_e64 v94, null, v5, v94, vcc_lo
	s_clause 0x1
	global_load_dword v100, v[93:94], off
	global_load_dword v101, v[4:5], off offset:32
	s_waitcnt vmcnt(1)
	global_store_dword v[4:5], v100, off offset:32
	s_waitcnt vmcnt(0)
	global_store_dword v[93:94], v101, off
.LBB84_142:
	s_or_b32 exec_lo, exec_lo, s2
	v_mov_b32_e32 v100, v92
	v_mov_b32_e32 v101, v92
.LBB84_143:
	s_or_b32 exec_lo, exec_lo, s1
.LBB84_144:
	s_andn2_saveexec_b32 s0, s0
	s_cbranch_execz .LBB84_146
; %bb.145:
	v_mov_b32_e32 v101, 8
	ds_write2_b64 v98, v[68:69], v[70:71] offset0:9 offset1:10
	ds_write2_b64 v98, v[64:65], v[66:67] offset0:11 offset1:12
	;; [unrolled: 1-line block ×17, first 2 shown]
.LBB84_146:
	s_or_b32 exec_lo, exec_lo, s0
	s_mov_b32 s0, exec_lo
	s_waitcnt lgkmcnt(0)
	s_waitcnt_vscnt null, 0x0
	s_barrier
	buffer_gl0_inv
	v_cmpx_lt_i32_e32 8, v101
	s_cbranch_execz .LBB84_148
; %bb.147:
	v_mul_f64 v[72:73], v[0:1], v[72:73]
	ds_read2_b64 v[102:105], v98 offset0:9 offset1:10
	ds_read2_b64 v[106:109], v98 offset0:11 offset1:12
	;; [unrolled: 1-line block ×13, first 2 shown]
	s_waitcnt lgkmcnt(12)
	v_fma_f64 v[68:69], -v[72:73], v[102:103], v[68:69]
	v_fma_f64 v[70:71], -v[72:73], v[104:105], v[70:71]
	s_waitcnt lgkmcnt(11)
	v_fma_f64 v[64:65], -v[72:73], v[106:107], v[64:65]
	v_fma_f64 v[66:67], -v[72:73], v[108:109], v[66:67]
	;; [unrolled: 3-line block ×4, first 2 shown]
	ds_read2_b64 v[102:105], v98 offset0:35 offset1:36
	ds_read2_b64 v[106:109], v98 offset0:37 offset1:38
	;; [unrolled: 1-line block ×4, first 2 shown]
	s_waitcnt lgkmcnt(12)
	v_fma_f64 v[54:55], -v[72:73], v[118:119], v[54:55]
	v_fma_f64 v[52:53], -v[72:73], v[120:121], v[52:53]
	s_waitcnt lgkmcnt(11)
	v_fma_f64 v[48:49], -v[72:73], v[122:123], v[48:49]
	v_fma_f64 v[50:51], -v[72:73], v[124:125], v[50:51]
	;; [unrolled: 3-line block ×13, first 2 shown]
.LBB84_148:
	s_or_b32 exec_lo, exec_lo, s0
	v_lshl_add_u32 v0, v101, 3, v98
	s_barrier
	buffer_gl0_inv
	v_mov_b32_e32 v92, 9
	ds_write_b64 v0, v[68:69]
	s_waitcnt lgkmcnt(0)
	s_barrier
	buffer_gl0_inv
	ds_read_b64 v[0:1], v98 offset:72
	s_cmp_lt_i32 s7, 11
	s_cbranch_scc1 .LBB84_151
; %bb.149:
	v_add3_u32 v93, v99, 0, 0x50
	v_mov_b32_e32 v92, 9
	s_mov_b32 s0, 10
.LBB84_150:                             ; =>This Inner Loop Header: Depth=1
	ds_read_b64 v[102:103], v93
	v_add_nc_u32_e32 v93, 8, v93
	s_waitcnt lgkmcnt(0)
	v_cmp_lt_f64_e64 vcc_lo, |v[0:1]|, |v[102:103]|
	v_cndmask_b32_e32 v1, v1, v103, vcc_lo
	v_cndmask_b32_e32 v0, v0, v102, vcc_lo
	v_cndmask_b32_e64 v92, v92, s0, vcc_lo
	s_add_i32 s0, s0, 1
	s_cmp_lg_u32 s7, s0
	s_cbranch_scc1 .LBB84_150
.LBB84_151:
	s_mov_b32 s0, exec_lo
	s_waitcnt lgkmcnt(0)
	v_cmpx_eq_f64_e32 0, v[0:1]
	s_xor_b32 s0, exec_lo, s0
; %bb.152:
	v_cmp_ne_u32_e32 vcc_lo, 0, v95
	v_cndmask_b32_e32 v95, 10, v95, vcc_lo
; %bb.153:
	s_andn2_saveexec_b32 s0, s0
	s_cbranch_execz .LBB84_155
; %bb.154:
	v_div_scale_f64 v[93:94], null, v[0:1], v[0:1], 1.0
	v_rcp_f64_e32 v[102:103], v[93:94]
	v_fma_f64 v[104:105], -v[93:94], v[102:103], 1.0
	v_fma_f64 v[102:103], v[102:103], v[104:105], v[102:103]
	v_fma_f64 v[104:105], -v[93:94], v[102:103], 1.0
	v_fma_f64 v[102:103], v[102:103], v[104:105], v[102:103]
	v_div_scale_f64 v[104:105], vcc_lo, 1.0, v[0:1], 1.0
	v_mul_f64 v[106:107], v[104:105], v[102:103]
	v_fma_f64 v[93:94], -v[93:94], v[106:107], v[104:105]
	v_div_fmas_f64 v[93:94], v[93:94], v[102:103], v[106:107]
	v_div_fixup_f64 v[0:1], v[93:94], v[0:1], 1.0
.LBB84_155:
	s_or_b32 exec_lo, exec_lo, s0
	s_mov_b32 s0, exec_lo
	v_cmpx_ne_u32_e64 v101, v92
	s_xor_b32 s0, exec_lo, s0
	s_cbranch_execz .LBB84_161
; %bb.156:
	s_mov_b32 s1, exec_lo
	v_cmpx_eq_u32_e32 9, v101
	s_cbranch_execz .LBB84_160
; %bb.157:
	v_cmp_ne_u32_e32 vcc_lo, 9, v92
	s_xor_b32 s2, s6, -1
	s_and_b32 s3, s2, vcc_lo
	s_and_saveexec_b32 s2, s3
	s_cbranch_execz .LBB84_159
; %bb.158:
	v_ashrrev_i32_e32 v93, 31, v92
	v_lshlrev_b64 v[93:94], 2, v[92:93]
	v_add_co_u32 v93, vcc_lo, v4, v93
	v_add_co_ci_u32_e64 v94, null, v5, v94, vcc_lo
	s_clause 0x1
	global_load_dword v100, v[93:94], off
	global_load_dword v101, v[4:5], off offset:36
	s_waitcnt vmcnt(1)
	global_store_dword v[4:5], v100, off offset:36
	s_waitcnt vmcnt(0)
	global_store_dword v[93:94], v101, off
.LBB84_159:
	s_or_b32 exec_lo, exec_lo, s2
	v_mov_b32_e32 v100, v92
	v_mov_b32_e32 v101, v92
.LBB84_160:
	s_or_b32 exec_lo, exec_lo, s1
.LBB84_161:
	s_andn2_saveexec_b32 s0, s0
	s_cbranch_execz .LBB84_163
; %bb.162:
	v_mov_b32_e32 v92, v70
	v_mov_b32_e32 v93, v71
	;; [unrolled: 1-line block ×8, first 2 shown]
	ds_write2_b64 v98, v[92:93], v[101:102] offset0:10 offset1:11
	ds_write2_b64 v98, v[103:104], v[105:106] offset0:12 offset1:13
	v_mov_b32_e32 v92, v60
	v_mov_b32_e32 v93, v61
	;; [unrolled: 1-line block ×20, first 2 shown]
	ds_write2_b64 v98, v[92:93], v[101:102] offset0:14 offset1:15
	ds_write2_b64 v98, v[103:104], v[105:106] offset0:16 offset1:17
	;; [unrolled: 1-line block ×5, first 2 shown]
	v_mov_b32_e32 v92, v40
	v_mov_b32_e32 v93, v41
	;; [unrolled: 1-line block ×20, first 2 shown]
	ds_write2_b64 v98, v[92:93], v[101:102] offset0:24 offset1:25
	ds_write2_b64 v98, v[103:104], v[105:106] offset0:26 offset1:27
	;; [unrolled: 1-line block ×5, first 2 shown]
	v_mov_b32_e32 v92, v20
	v_mov_b32_e32 v93, v21
	;; [unrolled: 1-line block ×8, first 2 shown]
	ds_write2_b64 v98, v[92:93], v[101:102] offset0:34 offset1:35
	v_mov_b32_e32 v101, 9
	v_mov_b32_e32 v107, v12
	;; [unrolled: 1-line block ×9, first 2 shown]
	ds_write2_b64 v98, v[103:104], v[105:106] offset0:36 offset1:37
	ds_write2_b64 v98, v[107:108], v[109:110] offset0:38 offset1:39
	;; [unrolled: 1-line block ×3, first 2 shown]
	ds_write_b64 v98, v[90:91] offset:336
.LBB84_163:
	s_or_b32 exec_lo, exec_lo, s0
	s_mov_b32 s0, exec_lo
	s_waitcnt lgkmcnt(0)
	s_waitcnt_vscnt null, 0x0
	s_barrier
	buffer_gl0_inv
	v_cmpx_lt_i32_e32 9, v101
	s_cbranch_execz .LBB84_165
; %bb.164:
	v_mul_f64 v[68:69], v[0:1], v[68:69]
	ds_read2_b64 v[102:105], v98 offset0:10 offset1:11
	ds_read2_b64 v[106:109], v98 offset0:12 offset1:13
	;; [unrolled: 1-line block ×13, first 2 shown]
	ds_read_b64 v[0:1], v98 offset:336
	s_waitcnt lgkmcnt(13)
	v_fma_f64 v[70:71], -v[68:69], v[102:103], v[70:71]
	v_fma_f64 v[64:65], -v[68:69], v[104:105], v[64:65]
	s_waitcnt lgkmcnt(12)
	v_fma_f64 v[66:67], -v[68:69], v[106:107], v[66:67]
	v_fma_f64 v[62:63], -v[68:69], v[108:109], v[62:63]
	;; [unrolled: 3-line block ×3, first 2 shown]
	ds_read2_b64 v[102:105], v98 offset0:36 offset1:37
	ds_read2_b64 v[106:109], v98 offset0:38 offset1:39
	;; [unrolled: 1-line block ×3, first 2 shown]
	s_waitcnt lgkmcnt(13)
	v_fma_f64 v[56:57], -v[68:69], v[114:115], v[56:57]
	v_fma_f64 v[54:55], -v[68:69], v[116:117], v[54:55]
	s_waitcnt lgkmcnt(12)
	v_fma_f64 v[52:53], -v[68:69], v[118:119], v[52:53]
	v_fma_f64 v[48:49], -v[68:69], v[120:121], v[48:49]
	;; [unrolled: 3-line block ×13, first 2 shown]
	v_fma_f64 v[90:91], -v[68:69], v[0:1], v[90:91]
.LBB84_165:
	s_or_b32 exec_lo, exec_lo, s0
	v_lshl_add_u32 v0, v101, 3, v98
	s_barrier
	buffer_gl0_inv
	v_mov_b32_e32 v92, 10
	ds_write_b64 v0, v[70:71]
	s_waitcnt lgkmcnt(0)
	s_barrier
	buffer_gl0_inv
	ds_read_b64 v[0:1], v98 offset:80
	s_cmp_lt_i32 s7, 12
	s_cbranch_scc1 .LBB84_168
; %bb.166:
	v_add3_u32 v93, v99, 0, 0x58
	v_mov_b32_e32 v92, 10
	s_mov_b32 s0, 11
.LBB84_167:                             ; =>This Inner Loop Header: Depth=1
	ds_read_b64 v[102:103], v93
	v_add_nc_u32_e32 v93, 8, v93
	s_waitcnt lgkmcnt(0)
	v_cmp_lt_f64_e64 vcc_lo, |v[0:1]|, |v[102:103]|
	v_cndmask_b32_e32 v1, v1, v103, vcc_lo
	v_cndmask_b32_e32 v0, v0, v102, vcc_lo
	v_cndmask_b32_e64 v92, v92, s0, vcc_lo
	s_add_i32 s0, s0, 1
	s_cmp_lg_u32 s7, s0
	s_cbranch_scc1 .LBB84_167
.LBB84_168:
	s_mov_b32 s0, exec_lo
	s_waitcnt lgkmcnt(0)
	v_cmpx_eq_f64_e32 0, v[0:1]
	s_xor_b32 s0, exec_lo, s0
; %bb.169:
	v_cmp_ne_u32_e32 vcc_lo, 0, v95
	v_cndmask_b32_e32 v95, 11, v95, vcc_lo
; %bb.170:
	s_andn2_saveexec_b32 s0, s0
	s_cbranch_execz .LBB84_172
; %bb.171:
	v_div_scale_f64 v[93:94], null, v[0:1], v[0:1], 1.0
	v_rcp_f64_e32 v[102:103], v[93:94]
	v_fma_f64 v[104:105], -v[93:94], v[102:103], 1.0
	v_fma_f64 v[102:103], v[102:103], v[104:105], v[102:103]
	v_fma_f64 v[104:105], -v[93:94], v[102:103], 1.0
	v_fma_f64 v[102:103], v[102:103], v[104:105], v[102:103]
	v_div_scale_f64 v[104:105], vcc_lo, 1.0, v[0:1], 1.0
	v_mul_f64 v[106:107], v[104:105], v[102:103]
	v_fma_f64 v[93:94], -v[93:94], v[106:107], v[104:105]
	v_div_fmas_f64 v[93:94], v[93:94], v[102:103], v[106:107]
	v_div_fixup_f64 v[0:1], v[93:94], v[0:1], 1.0
.LBB84_172:
	s_or_b32 exec_lo, exec_lo, s0
	s_mov_b32 s0, exec_lo
	v_cmpx_ne_u32_e64 v101, v92
	s_xor_b32 s0, exec_lo, s0
	s_cbranch_execz .LBB84_178
; %bb.173:
	s_mov_b32 s1, exec_lo
	v_cmpx_eq_u32_e32 10, v101
	s_cbranch_execz .LBB84_177
; %bb.174:
	v_cmp_ne_u32_e32 vcc_lo, 10, v92
	s_xor_b32 s2, s6, -1
	s_and_b32 s3, s2, vcc_lo
	s_and_saveexec_b32 s2, s3
	s_cbranch_execz .LBB84_176
; %bb.175:
	v_ashrrev_i32_e32 v93, 31, v92
	v_lshlrev_b64 v[93:94], 2, v[92:93]
	v_add_co_u32 v93, vcc_lo, v4, v93
	v_add_co_ci_u32_e64 v94, null, v5, v94, vcc_lo
	s_clause 0x1
	global_load_dword v100, v[93:94], off
	global_load_dword v101, v[4:5], off offset:40
	s_waitcnt vmcnt(1)
	global_store_dword v[4:5], v100, off offset:40
	s_waitcnt vmcnt(0)
	global_store_dword v[93:94], v101, off
.LBB84_176:
	s_or_b32 exec_lo, exec_lo, s2
	v_mov_b32_e32 v100, v92
	v_mov_b32_e32 v101, v92
.LBB84_177:
	s_or_b32 exec_lo, exec_lo, s1
.LBB84_178:
	s_andn2_saveexec_b32 s0, s0
	s_cbranch_execz .LBB84_180
; %bb.179:
	v_mov_b32_e32 v101, 10
	ds_write2_b64 v98, v[64:65], v[66:67] offset0:11 offset1:12
	ds_write2_b64 v98, v[62:63], v[60:61] offset0:13 offset1:14
	;; [unrolled: 1-line block ×16, first 2 shown]
.LBB84_180:
	s_or_b32 exec_lo, exec_lo, s0
	s_mov_b32 s0, exec_lo
	s_waitcnt lgkmcnt(0)
	s_waitcnt_vscnt null, 0x0
	s_barrier
	buffer_gl0_inv
	v_cmpx_lt_i32_e32 10, v101
	s_cbranch_execz .LBB84_182
; %bb.181:
	v_mul_f64 v[70:71], v[0:1], v[70:71]
	ds_read2_b64 v[102:105], v98 offset0:11 offset1:12
	ds_read2_b64 v[106:109], v98 offset0:13 offset1:14
	;; [unrolled: 1-line block ×13, first 2 shown]
	s_waitcnt lgkmcnt(12)
	v_fma_f64 v[64:65], -v[70:71], v[102:103], v[64:65]
	v_fma_f64 v[66:67], -v[70:71], v[104:105], v[66:67]
	s_waitcnt lgkmcnt(11)
	v_fma_f64 v[62:63], -v[70:71], v[106:107], v[62:63]
	v_fma_f64 v[60:61], -v[70:71], v[108:109], v[60:61]
	;; [unrolled: 3-line block ×3, first 2 shown]
	ds_read2_b64 v[102:105], v98 offset0:37 offset1:38
	ds_read2_b64 v[106:109], v98 offset0:39 offset1:40
	;; [unrolled: 1-line block ×3, first 2 shown]
	s_waitcnt lgkmcnt(12)
	v_fma_f64 v[54:55], -v[70:71], v[114:115], v[54:55]
	v_fma_f64 v[52:53], -v[70:71], v[116:117], v[52:53]
	s_waitcnt lgkmcnt(11)
	v_fma_f64 v[48:49], -v[70:71], v[118:119], v[48:49]
	v_fma_f64 v[50:51], -v[70:71], v[120:121], v[50:51]
	;; [unrolled: 3-line block ×13, first 2 shown]
.LBB84_182:
	s_or_b32 exec_lo, exec_lo, s0
	v_lshl_add_u32 v0, v101, 3, v98
	s_barrier
	buffer_gl0_inv
	v_mov_b32_e32 v92, 11
	ds_write_b64 v0, v[64:65]
	s_waitcnt lgkmcnt(0)
	s_barrier
	buffer_gl0_inv
	ds_read_b64 v[0:1], v98 offset:88
	s_cmp_lt_i32 s7, 13
	s_cbranch_scc1 .LBB84_185
; %bb.183:
	v_add3_u32 v93, v99, 0, 0x60
	v_mov_b32_e32 v92, 11
	s_mov_b32 s0, 12
.LBB84_184:                             ; =>This Inner Loop Header: Depth=1
	ds_read_b64 v[102:103], v93
	v_add_nc_u32_e32 v93, 8, v93
	s_waitcnt lgkmcnt(0)
	v_cmp_lt_f64_e64 vcc_lo, |v[0:1]|, |v[102:103]|
	v_cndmask_b32_e32 v1, v1, v103, vcc_lo
	v_cndmask_b32_e32 v0, v0, v102, vcc_lo
	v_cndmask_b32_e64 v92, v92, s0, vcc_lo
	s_add_i32 s0, s0, 1
	s_cmp_lg_u32 s7, s0
	s_cbranch_scc1 .LBB84_184
.LBB84_185:
	s_mov_b32 s0, exec_lo
	s_waitcnt lgkmcnt(0)
	v_cmpx_eq_f64_e32 0, v[0:1]
	s_xor_b32 s0, exec_lo, s0
; %bb.186:
	v_cmp_ne_u32_e32 vcc_lo, 0, v95
	v_cndmask_b32_e32 v95, 12, v95, vcc_lo
; %bb.187:
	s_andn2_saveexec_b32 s0, s0
	s_cbranch_execz .LBB84_189
; %bb.188:
	v_div_scale_f64 v[93:94], null, v[0:1], v[0:1], 1.0
	v_rcp_f64_e32 v[102:103], v[93:94]
	v_fma_f64 v[104:105], -v[93:94], v[102:103], 1.0
	v_fma_f64 v[102:103], v[102:103], v[104:105], v[102:103]
	v_fma_f64 v[104:105], -v[93:94], v[102:103], 1.0
	v_fma_f64 v[102:103], v[102:103], v[104:105], v[102:103]
	v_div_scale_f64 v[104:105], vcc_lo, 1.0, v[0:1], 1.0
	v_mul_f64 v[106:107], v[104:105], v[102:103]
	v_fma_f64 v[93:94], -v[93:94], v[106:107], v[104:105]
	v_div_fmas_f64 v[93:94], v[93:94], v[102:103], v[106:107]
	v_div_fixup_f64 v[0:1], v[93:94], v[0:1], 1.0
.LBB84_189:
	s_or_b32 exec_lo, exec_lo, s0
	s_mov_b32 s0, exec_lo
	v_cmpx_ne_u32_e64 v101, v92
	s_xor_b32 s0, exec_lo, s0
	s_cbranch_execz .LBB84_195
; %bb.190:
	s_mov_b32 s1, exec_lo
	v_cmpx_eq_u32_e32 11, v101
	s_cbranch_execz .LBB84_194
; %bb.191:
	v_cmp_ne_u32_e32 vcc_lo, 11, v92
	s_xor_b32 s2, s6, -1
	s_and_b32 s3, s2, vcc_lo
	s_and_saveexec_b32 s2, s3
	s_cbranch_execz .LBB84_193
; %bb.192:
	v_ashrrev_i32_e32 v93, 31, v92
	v_lshlrev_b64 v[93:94], 2, v[92:93]
	v_add_co_u32 v93, vcc_lo, v4, v93
	v_add_co_ci_u32_e64 v94, null, v5, v94, vcc_lo
	s_clause 0x1
	global_load_dword v100, v[93:94], off
	global_load_dword v101, v[4:5], off offset:44
	s_waitcnt vmcnt(1)
	global_store_dword v[4:5], v100, off offset:44
	s_waitcnt vmcnt(0)
	global_store_dword v[93:94], v101, off
.LBB84_193:
	s_or_b32 exec_lo, exec_lo, s2
	v_mov_b32_e32 v100, v92
	v_mov_b32_e32 v101, v92
.LBB84_194:
	s_or_b32 exec_lo, exec_lo, s1
.LBB84_195:
	s_andn2_saveexec_b32 s0, s0
	s_cbranch_execz .LBB84_197
; %bb.196:
	v_mov_b32_e32 v92, v66
	v_mov_b32_e32 v93, v67
	v_mov_b32_e32 v101, v62
	v_mov_b32_e32 v102, v63
	v_mov_b32_e32 v103, v60
	v_mov_b32_e32 v104, v61
	v_mov_b32_e32 v105, v54
	v_mov_b32_e32 v106, v55
	ds_write2_b64 v98, v[92:93], v[101:102] offset0:12 offset1:13
	v_mov_b32_e32 v92, v58
	v_mov_b32_e32 v93, v59
	;; [unrolled: 1-line block ×16, first 2 shown]
	ds_write2_b64 v98, v[103:104], v[92:93] offset0:14 offset1:15
	ds_write2_b64 v98, v[101:102], v[105:106] offset0:16 offset1:17
	;; [unrolled: 1-line block ×5, first 2 shown]
	v_mov_b32_e32 v92, v40
	v_mov_b32_e32 v93, v41
	;; [unrolled: 1-line block ×20, first 2 shown]
	ds_write2_b64 v98, v[92:93], v[101:102] offset0:24 offset1:25
	ds_write2_b64 v98, v[103:104], v[105:106] offset0:26 offset1:27
	;; [unrolled: 1-line block ×5, first 2 shown]
	v_mov_b32_e32 v92, v20
	v_mov_b32_e32 v93, v21
	;; [unrolled: 1-line block ×8, first 2 shown]
	ds_write2_b64 v98, v[92:93], v[101:102] offset0:34 offset1:35
	v_mov_b32_e32 v101, 11
	v_mov_b32_e32 v107, v12
	;; [unrolled: 1-line block ×9, first 2 shown]
	ds_write2_b64 v98, v[103:104], v[105:106] offset0:36 offset1:37
	ds_write2_b64 v98, v[107:108], v[109:110] offset0:38 offset1:39
	;; [unrolled: 1-line block ×3, first 2 shown]
	ds_write_b64 v98, v[90:91] offset:336
.LBB84_197:
	s_or_b32 exec_lo, exec_lo, s0
	s_mov_b32 s0, exec_lo
	s_waitcnt lgkmcnt(0)
	s_waitcnt_vscnt null, 0x0
	s_barrier
	buffer_gl0_inv
	v_cmpx_lt_i32_e32 11, v101
	s_cbranch_execz .LBB84_199
; %bb.198:
	v_mul_f64 v[64:65], v[0:1], v[64:65]
	ds_read2_b64 v[102:105], v98 offset0:12 offset1:13
	ds_read2_b64 v[106:109], v98 offset0:14 offset1:15
	;; [unrolled: 1-line block ×13, first 2 shown]
	ds_read_b64 v[0:1], v98 offset:336
	s_waitcnt lgkmcnt(13)
	v_fma_f64 v[66:67], -v[64:65], v[102:103], v[66:67]
	v_fma_f64 v[62:63], -v[64:65], v[104:105], v[62:63]
	s_waitcnt lgkmcnt(12)
	v_fma_f64 v[60:61], -v[64:65], v[106:107], v[60:61]
	v_fma_f64 v[58:59], -v[64:65], v[108:109], v[58:59]
	ds_read2_b64 v[102:105], v98 offset0:38 offset1:39
	ds_read2_b64 v[106:109], v98 offset0:40 offset1:41
	s_waitcnt lgkmcnt(13)
	v_fma_f64 v[56:57], -v[64:65], v[110:111], v[56:57]
	v_fma_f64 v[54:55], -v[64:65], v[112:113], v[54:55]
	s_waitcnt lgkmcnt(12)
	v_fma_f64 v[52:53], -v[64:65], v[114:115], v[52:53]
	v_fma_f64 v[48:49], -v[64:65], v[116:117], v[48:49]
	;; [unrolled: 3-line block ×13, first 2 shown]
	v_fma_f64 v[90:91], -v[64:65], v[0:1], v[90:91]
.LBB84_199:
	s_or_b32 exec_lo, exec_lo, s0
	v_lshl_add_u32 v0, v101, 3, v98
	s_barrier
	buffer_gl0_inv
	v_mov_b32_e32 v92, 12
	ds_write_b64 v0, v[66:67]
	s_waitcnt lgkmcnt(0)
	s_barrier
	buffer_gl0_inv
	ds_read_b64 v[0:1], v98 offset:96
	s_cmp_lt_i32 s7, 14
	s_cbranch_scc1 .LBB84_202
; %bb.200:
	v_add3_u32 v93, v99, 0, 0x68
	v_mov_b32_e32 v92, 12
	s_mov_b32 s0, 13
.LBB84_201:                             ; =>This Inner Loop Header: Depth=1
	ds_read_b64 v[102:103], v93
	v_add_nc_u32_e32 v93, 8, v93
	s_waitcnt lgkmcnt(0)
	v_cmp_lt_f64_e64 vcc_lo, |v[0:1]|, |v[102:103]|
	v_cndmask_b32_e32 v1, v1, v103, vcc_lo
	v_cndmask_b32_e32 v0, v0, v102, vcc_lo
	v_cndmask_b32_e64 v92, v92, s0, vcc_lo
	s_add_i32 s0, s0, 1
	s_cmp_lg_u32 s7, s0
	s_cbranch_scc1 .LBB84_201
.LBB84_202:
	s_mov_b32 s0, exec_lo
	s_waitcnt lgkmcnt(0)
	v_cmpx_eq_f64_e32 0, v[0:1]
	s_xor_b32 s0, exec_lo, s0
; %bb.203:
	v_cmp_ne_u32_e32 vcc_lo, 0, v95
	v_cndmask_b32_e32 v95, 13, v95, vcc_lo
; %bb.204:
	s_andn2_saveexec_b32 s0, s0
	s_cbranch_execz .LBB84_206
; %bb.205:
	v_div_scale_f64 v[93:94], null, v[0:1], v[0:1], 1.0
	v_rcp_f64_e32 v[102:103], v[93:94]
	v_fma_f64 v[104:105], -v[93:94], v[102:103], 1.0
	v_fma_f64 v[102:103], v[102:103], v[104:105], v[102:103]
	v_fma_f64 v[104:105], -v[93:94], v[102:103], 1.0
	v_fma_f64 v[102:103], v[102:103], v[104:105], v[102:103]
	v_div_scale_f64 v[104:105], vcc_lo, 1.0, v[0:1], 1.0
	v_mul_f64 v[106:107], v[104:105], v[102:103]
	v_fma_f64 v[93:94], -v[93:94], v[106:107], v[104:105]
	v_div_fmas_f64 v[93:94], v[93:94], v[102:103], v[106:107]
	v_div_fixup_f64 v[0:1], v[93:94], v[0:1], 1.0
.LBB84_206:
	s_or_b32 exec_lo, exec_lo, s0
	s_mov_b32 s0, exec_lo
	v_cmpx_ne_u32_e64 v101, v92
	s_xor_b32 s0, exec_lo, s0
	s_cbranch_execz .LBB84_212
; %bb.207:
	s_mov_b32 s1, exec_lo
	v_cmpx_eq_u32_e32 12, v101
	s_cbranch_execz .LBB84_211
; %bb.208:
	v_cmp_ne_u32_e32 vcc_lo, 12, v92
	s_xor_b32 s2, s6, -1
	s_and_b32 s3, s2, vcc_lo
	s_and_saveexec_b32 s2, s3
	s_cbranch_execz .LBB84_210
; %bb.209:
	v_ashrrev_i32_e32 v93, 31, v92
	v_lshlrev_b64 v[93:94], 2, v[92:93]
	v_add_co_u32 v93, vcc_lo, v4, v93
	v_add_co_ci_u32_e64 v94, null, v5, v94, vcc_lo
	s_clause 0x1
	global_load_dword v100, v[93:94], off
	global_load_dword v101, v[4:5], off offset:48
	s_waitcnt vmcnt(1)
	global_store_dword v[4:5], v100, off offset:48
	s_waitcnt vmcnt(0)
	global_store_dword v[93:94], v101, off
.LBB84_210:
	s_or_b32 exec_lo, exec_lo, s2
	v_mov_b32_e32 v100, v92
	v_mov_b32_e32 v101, v92
.LBB84_211:
	s_or_b32 exec_lo, exec_lo, s1
.LBB84_212:
	s_andn2_saveexec_b32 s0, s0
	s_cbranch_execz .LBB84_214
; %bb.213:
	v_mov_b32_e32 v101, 12
	ds_write2_b64 v98, v[62:63], v[60:61] offset0:13 offset1:14
	ds_write2_b64 v98, v[58:59], v[56:57] offset0:15 offset1:16
	;; [unrolled: 1-line block ×15, first 2 shown]
.LBB84_214:
	s_or_b32 exec_lo, exec_lo, s0
	s_mov_b32 s0, exec_lo
	s_waitcnt lgkmcnt(0)
	s_waitcnt_vscnt null, 0x0
	s_barrier
	buffer_gl0_inv
	v_cmpx_lt_i32_e32 12, v101
	s_cbranch_execz .LBB84_216
; %bb.215:
	v_mul_f64 v[66:67], v[0:1], v[66:67]
	ds_read2_b64 v[102:105], v98 offset0:13 offset1:14
	ds_read2_b64 v[106:109], v98 offset0:15 offset1:16
	;; [unrolled: 1-line block ×14, first 2 shown]
	s_waitcnt lgkmcnt(13)
	v_fma_f64 v[62:63], -v[66:67], v[102:103], v[62:63]
	v_fma_f64 v[60:61], -v[66:67], v[104:105], v[60:61]
	ds_read2_b64 v[102:105], v98 offset0:41 offset1:42
	s_waitcnt lgkmcnt(13)
	v_fma_f64 v[58:59], -v[66:67], v[106:107], v[58:59]
	v_fma_f64 v[56:57], -v[66:67], v[108:109], v[56:57]
	s_waitcnt lgkmcnt(12)
	v_fma_f64 v[54:55], -v[66:67], v[110:111], v[54:55]
	v_fma_f64 v[52:53], -v[66:67], v[112:113], v[52:53]
	;; [unrolled: 3-line block ×14, first 2 shown]
.LBB84_216:
	s_or_b32 exec_lo, exec_lo, s0
	v_lshl_add_u32 v0, v101, 3, v98
	s_barrier
	buffer_gl0_inv
	v_mov_b32_e32 v92, 13
	ds_write_b64 v0, v[62:63]
	s_waitcnt lgkmcnt(0)
	s_barrier
	buffer_gl0_inv
	ds_read_b64 v[0:1], v98 offset:104
	s_cmp_lt_i32 s7, 15
	s_cbranch_scc1 .LBB84_219
; %bb.217:
	v_add3_u32 v93, v99, 0, 0x70
	v_mov_b32_e32 v92, 13
	s_mov_b32 s0, 14
.LBB84_218:                             ; =>This Inner Loop Header: Depth=1
	ds_read_b64 v[102:103], v93
	v_add_nc_u32_e32 v93, 8, v93
	s_waitcnt lgkmcnt(0)
	v_cmp_lt_f64_e64 vcc_lo, |v[0:1]|, |v[102:103]|
	v_cndmask_b32_e32 v1, v1, v103, vcc_lo
	v_cndmask_b32_e32 v0, v0, v102, vcc_lo
	v_cndmask_b32_e64 v92, v92, s0, vcc_lo
	s_add_i32 s0, s0, 1
	s_cmp_lg_u32 s7, s0
	s_cbranch_scc1 .LBB84_218
.LBB84_219:
	s_mov_b32 s0, exec_lo
	s_waitcnt lgkmcnt(0)
	v_cmpx_eq_f64_e32 0, v[0:1]
	s_xor_b32 s0, exec_lo, s0
; %bb.220:
	v_cmp_ne_u32_e32 vcc_lo, 0, v95
	v_cndmask_b32_e32 v95, 14, v95, vcc_lo
; %bb.221:
	s_andn2_saveexec_b32 s0, s0
	s_cbranch_execz .LBB84_223
; %bb.222:
	v_div_scale_f64 v[93:94], null, v[0:1], v[0:1], 1.0
	v_rcp_f64_e32 v[102:103], v[93:94]
	v_fma_f64 v[104:105], -v[93:94], v[102:103], 1.0
	v_fma_f64 v[102:103], v[102:103], v[104:105], v[102:103]
	v_fma_f64 v[104:105], -v[93:94], v[102:103], 1.0
	v_fma_f64 v[102:103], v[102:103], v[104:105], v[102:103]
	v_div_scale_f64 v[104:105], vcc_lo, 1.0, v[0:1], 1.0
	v_mul_f64 v[106:107], v[104:105], v[102:103]
	v_fma_f64 v[93:94], -v[93:94], v[106:107], v[104:105]
	v_div_fmas_f64 v[93:94], v[93:94], v[102:103], v[106:107]
	v_div_fixup_f64 v[0:1], v[93:94], v[0:1], 1.0
.LBB84_223:
	s_or_b32 exec_lo, exec_lo, s0
	s_mov_b32 s0, exec_lo
	v_cmpx_ne_u32_e64 v101, v92
	s_xor_b32 s0, exec_lo, s0
	s_cbranch_execz .LBB84_229
; %bb.224:
	s_mov_b32 s1, exec_lo
	v_cmpx_eq_u32_e32 13, v101
	s_cbranch_execz .LBB84_228
; %bb.225:
	v_cmp_ne_u32_e32 vcc_lo, 13, v92
	s_xor_b32 s2, s6, -1
	s_and_b32 s3, s2, vcc_lo
	s_and_saveexec_b32 s2, s3
	s_cbranch_execz .LBB84_227
; %bb.226:
	v_ashrrev_i32_e32 v93, 31, v92
	v_lshlrev_b64 v[93:94], 2, v[92:93]
	v_add_co_u32 v93, vcc_lo, v4, v93
	v_add_co_ci_u32_e64 v94, null, v5, v94, vcc_lo
	s_clause 0x1
	global_load_dword v100, v[93:94], off
	global_load_dword v101, v[4:5], off offset:52
	s_waitcnt vmcnt(1)
	global_store_dword v[4:5], v100, off offset:52
	s_waitcnt vmcnt(0)
	global_store_dword v[93:94], v101, off
.LBB84_227:
	s_or_b32 exec_lo, exec_lo, s2
	v_mov_b32_e32 v100, v92
	v_mov_b32_e32 v101, v92
.LBB84_228:
	s_or_b32 exec_lo, exec_lo, s1
.LBB84_229:
	s_andn2_saveexec_b32 s0, s0
	s_cbranch_execz .LBB84_231
; %bb.230:
	v_mov_b32_e32 v92, v60
	v_mov_b32_e32 v93, v61
	;; [unrolled: 1-line block ×20, first 2 shown]
	ds_write2_b64 v98, v[92:93], v[101:102] offset0:14 offset1:15
	ds_write2_b64 v98, v[103:104], v[105:106] offset0:16 offset1:17
	;; [unrolled: 1-line block ×5, first 2 shown]
	v_mov_b32_e32 v92, v40
	v_mov_b32_e32 v93, v41
	;; [unrolled: 1-line block ×20, first 2 shown]
	ds_write2_b64 v98, v[92:93], v[101:102] offset0:24 offset1:25
	ds_write2_b64 v98, v[103:104], v[105:106] offset0:26 offset1:27
	;; [unrolled: 1-line block ×5, first 2 shown]
	v_mov_b32_e32 v92, v20
	v_mov_b32_e32 v93, v21
	;; [unrolled: 1-line block ×8, first 2 shown]
	ds_write2_b64 v98, v[92:93], v[101:102] offset0:34 offset1:35
	v_mov_b32_e32 v101, 13
	v_mov_b32_e32 v107, v12
	;; [unrolled: 1-line block ×9, first 2 shown]
	ds_write2_b64 v98, v[103:104], v[105:106] offset0:36 offset1:37
	ds_write2_b64 v98, v[107:108], v[109:110] offset0:38 offset1:39
	;; [unrolled: 1-line block ×3, first 2 shown]
	ds_write_b64 v98, v[90:91] offset:336
.LBB84_231:
	s_or_b32 exec_lo, exec_lo, s0
	s_mov_b32 s0, exec_lo
	s_waitcnt lgkmcnt(0)
	s_waitcnt_vscnt null, 0x0
	s_barrier
	buffer_gl0_inv
	v_cmpx_lt_i32_e32 13, v101
	s_cbranch_execz .LBB84_233
; %bb.232:
	v_mul_f64 v[62:63], v[0:1], v[62:63]
	ds_read2_b64 v[102:105], v98 offset0:14 offset1:15
	ds_read2_b64 v[106:109], v98 offset0:16 offset1:17
	;; [unrolled: 1-line block ×14, first 2 shown]
	ds_read_b64 v[0:1], v98 offset:336
	s_waitcnt lgkmcnt(14)
	v_fma_f64 v[60:61], -v[62:63], v[102:103], v[60:61]
	v_fma_f64 v[58:59], -v[62:63], v[104:105], v[58:59]
	s_waitcnt lgkmcnt(13)
	v_fma_f64 v[56:57], -v[62:63], v[106:107], v[56:57]
	v_fma_f64 v[54:55], -v[62:63], v[108:109], v[54:55]
	;; [unrolled: 3-line block ×14, first 2 shown]
	s_waitcnt lgkmcnt(0)
	v_fma_f64 v[90:91], -v[62:63], v[0:1], v[90:91]
.LBB84_233:
	s_or_b32 exec_lo, exec_lo, s0
	v_lshl_add_u32 v0, v101, 3, v98
	s_barrier
	buffer_gl0_inv
	v_mov_b32_e32 v92, 14
	ds_write_b64 v0, v[60:61]
	s_waitcnt lgkmcnt(0)
	s_barrier
	buffer_gl0_inv
	ds_read_b64 v[0:1], v98 offset:112
	s_cmp_lt_i32 s7, 16
	s_cbranch_scc1 .LBB84_236
; %bb.234:
	v_add3_u32 v93, v99, 0, 0x78
	v_mov_b32_e32 v92, 14
	s_mov_b32 s0, 15
.LBB84_235:                             ; =>This Inner Loop Header: Depth=1
	ds_read_b64 v[102:103], v93
	v_add_nc_u32_e32 v93, 8, v93
	s_waitcnt lgkmcnt(0)
	v_cmp_lt_f64_e64 vcc_lo, |v[0:1]|, |v[102:103]|
	v_cndmask_b32_e32 v1, v1, v103, vcc_lo
	v_cndmask_b32_e32 v0, v0, v102, vcc_lo
	v_cndmask_b32_e64 v92, v92, s0, vcc_lo
	s_add_i32 s0, s0, 1
	s_cmp_lg_u32 s7, s0
	s_cbranch_scc1 .LBB84_235
.LBB84_236:
	s_mov_b32 s0, exec_lo
	s_waitcnt lgkmcnt(0)
	v_cmpx_eq_f64_e32 0, v[0:1]
	s_xor_b32 s0, exec_lo, s0
; %bb.237:
	v_cmp_ne_u32_e32 vcc_lo, 0, v95
	v_cndmask_b32_e32 v95, 15, v95, vcc_lo
; %bb.238:
	s_andn2_saveexec_b32 s0, s0
	s_cbranch_execz .LBB84_240
; %bb.239:
	v_div_scale_f64 v[93:94], null, v[0:1], v[0:1], 1.0
	v_rcp_f64_e32 v[102:103], v[93:94]
	v_fma_f64 v[104:105], -v[93:94], v[102:103], 1.0
	v_fma_f64 v[102:103], v[102:103], v[104:105], v[102:103]
	v_fma_f64 v[104:105], -v[93:94], v[102:103], 1.0
	v_fma_f64 v[102:103], v[102:103], v[104:105], v[102:103]
	v_div_scale_f64 v[104:105], vcc_lo, 1.0, v[0:1], 1.0
	v_mul_f64 v[106:107], v[104:105], v[102:103]
	v_fma_f64 v[93:94], -v[93:94], v[106:107], v[104:105]
	v_div_fmas_f64 v[93:94], v[93:94], v[102:103], v[106:107]
	v_div_fixup_f64 v[0:1], v[93:94], v[0:1], 1.0
.LBB84_240:
	s_or_b32 exec_lo, exec_lo, s0
	s_mov_b32 s0, exec_lo
	v_cmpx_ne_u32_e64 v101, v92
	s_xor_b32 s0, exec_lo, s0
	s_cbranch_execz .LBB84_246
; %bb.241:
	s_mov_b32 s1, exec_lo
	v_cmpx_eq_u32_e32 14, v101
	s_cbranch_execz .LBB84_245
; %bb.242:
	v_cmp_ne_u32_e32 vcc_lo, 14, v92
	s_xor_b32 s2, s6, -1
	s_and_b32 s3, s2, vcc_lo
	s_and_saveexec_b32 s2, s3
	s_cbranch_execz .LBB84_244
; %bb.243:
	v_ashrrev_i32_e32 v93, 31, v92
	v_lshlrev_b64 v[93:94], 2, v[92:93]
	v_add_co_u32 v93, vcc_lo, v4, v93
	v_add_co_ci_u32_e64 v94, null, v5, v94, vcc_lo
	s_clause 0x1
	global_load_dword v100, v[93:94], off
	global_load_dword v101, v[4:5], off offset:56
	s_waitcnt vmcnt(1)
	global_store_dword v[4:5], v100, off offset:56
	s_waitcnt vmcnt(0)
	global_store_dword v[93:94], v101, off
.LBB84_244:
	s_or_b32 exec_lo, exec_lo, s2
	v_mov_b32_e32 v100, v92
	v_mov_b32_e32 v101, v92
.LBB84_245:
	s_or_b32 exec_lo, exec_lo, s1
.LBB84_246:
	s_andn2_saveexec_b32 s0, s0
	s_cbranch_execz .LBB84_248
; %bb.247:
	v_mov_b32_e32 v101, 14
	ds_write2_b64 v98, v[58:59], v[56:57] offset0:15 offset1:16
	ds_write2_b64 v98, v[54:55], v[52:53] offset0:17 offset1:18
	;; [unrolled: 1-line block ×14, first 2 shown]
.LBB84_248:
	s_or_b32 exec_lo, exec_lo, s0
	s_mov_b32 s0, exec_lo
	s_waitcnt lgkmcnt(0)
	s_waitcnt_vscnt null, 0x0
	s_barrier
	buffer_gl0_inv
	v_cmpx_lt_i32_e32 14, v101
	s_cbranch_execz .LBB84_250
; %bb.249:
	v_mul_f64 v[60:61], v[0:1], v[60:61]
	ds_read2_b64 v[102:105], v98 offset0:15 offset1:16
	ds_read2_b64 v[106:109], v98 offset0:17 offset1:18
	;; [unrolled: 1-line block ×14, first 2 shown]
	s_waitcnt lgkmcnt(13)
	v_fma_f64 v[58:59], -v[60:61], v[102:103], v[58:59]
	v_fma_f64 v[56:57], -v[60:61], v[104:105], v[56:57]
	s_waitcnt lgkmcnt(12)
	v_fma_f64 v[54:55], -v[60:61], v[106:107], v[54:55]
	v_fma_f64 v[52:53], -v[60:61], v[108:109], v[52:53]
	;; [unrolled: 3-line block ×14, first 2 shown]
.LBB84_250:
	s_or_b32 exec_lo, exec_lo, s0
	v_lshl_add_u32 v0, v101, 3, v98
	s_barrier
	buffer_gl0_inv
	v_mov_b32_e32 v92, 15
	ds_write_b64 v0, v[58:59]
	s_waitcnt lgkmcnt(0)
	s_barrier
	buffer_gl0_inv
	ds_read_b64 v[0:1], v98 offset:120
	s_cmp_lt_i32 s7, 17
	s_cbranch_scc1 .LBB84_253
; %bb.251:
	v_add3_u32 v93, v99, 0, 0x80
	v_mov_b32_e32 v92, 15
	s_mov_b32 s0, 16
.LBB84_252:                             ; =>This Inner Loop Header: Depth=1
	ds_read_b64 v[102:103], v93
	v_add_nc_u32_e32 v93, 8, v93
	s_waitcnt lgkmcnt(0)
	v_cmp_lt_f64_e64 vcc_lo, |v[0:1]|, |v[102:103]|
	v_cndmask_b32_e32 v1, v1, v103, vcc_lo
	v_cndmask_b32_e32 v0, v0, v102, vcc_lo
	v_cndmask_b32_e64 v92, v92, s0, vcc_lo
	s_add_i32 s0, s0, 1
	s_cmp_lg_u32 s7, s0
	s_cbranch_scc1 .LBB84_252
.LBB84_253:
	s_mov_b32 s0, exec_lo
	s_waitcnt lgkmcnt(0)
	v_cmpx_eq_f64_e32 0, v[0:1]
	s_xor_b32 s0, exec_lo, s0
; %bb.254:
	v_cmp_ne_u32_e32 vcc_lo, 0, v95
	v_cndmask_b32_e32 v95, 16, v95, vcc_lo
; %bb.255:
	s_andn2_saveexec_b32 s0, s0
	s_cbranch_execz .LBB84_257
; %bb.256:
	v_div_scale_f64 v[93:94], null, v[0:1], v[0:1], 1.0
	v_rcp_f64_e32 v[102:103], v[93:94]
	v_fma_f64 v[104:105], -v[93:94], v[102:103], 1.0
	v_fma_f64 v[102:103], v[102:103], v[104:105], v[102:103]
	v_fma_f64 v[104:105], -v[93:94], v[102:103], 1.0
	v_fma_f64 v[102:103], v[102:103], v[104:105], v[102:103]
	v_div_scale_f64 v[104:105], vcc_lo, 1.0, v[0:1], 1.0
	v_mul_f64 v[106:107], v[104:105], v[102:103]
	v_fma_f64 v[93:94], -v[93:94], v[106:107], v[104:105]
	v_div_fmas_f64 v[93:94], v[93:94], v[102:103], v[106:107]
	v_div_fixup_f64 v[0:1], v[93:94], v[0:1], 1.0
.LBB84_257:
	s_or_b32 exec_lo, exec_lo, s0
	s_mov_b32 s0, exec_lo
	v_cmpx_ne_u32_e64 v101, v92
	s_xor_b32 s0, exec_lo, s0
	s_cbranch_execz .LBB84_263
; %bb.258:
	s_mov_b32 s1, exec_lo
	v_cmpx_eq_u32_e32 15, v101
	s_cbranch_execz .LBB84_262
; %bb.259:
	v_cmp_ne_u32_e32 vcc_lo, 15, v92
	s_xor_b32 s2, s6, -1
	s_and_b32 s3, s2, vcc_lo
	s_and_saveexec_b32 s2, s3
	s_cbranch_execz .LBB84_261
; %bb.260:
	v_ashrrev_i32_e32 v93, 31, v92
	v_lshlrev_b64 v[93:94], 2, v[92:93]
	v_add_co_u32 v93, vcc_lo, v4, v93
	v_add_co_ci_u32_e64 v94, null, v5, v94, vcc_lo
	s_clause 0x1
	global_load_dword v100, v[93:94], off
	global_load_dword v101, v[4:5], off offset:60
	s_waitcnt vmcnt(1)
	global_store_dword v[4:5], v100, off offset:60
	s_waitcnt vmcnt(0)
	global_store_dword v[93:94], v101, off
.LBB84_261:
	s_or_b32 exec_lo, exec_lo, s2
	v_mov_b32_e32 v100, v92
	v_mov_b32_e32 v101, v92
.LBB84_262:
	s_or_b32 exec_lo, exec_lo, s1
.LBB84_263:
	s_andn2_saveexec_b32 s0, s0
	s_cbranch_execz .LBB84_265
; %bb.264:
	v_mov_b32_e32 v92, v56
	v_mov_b32_e32 v93, v57
	;; [unrolled: 1-line block ×16, first 2 shown]
	ds_write2_b64 v98, v[92:93], v[101:102] offset0:16 offset1:17
	ds_write2_b64 v98, v[103:104], v[105:106] offset0:18 offset1:19
	;; [unrolled: 1-line block ×4, first 2 shown]
	v_mov_b32_e32 v92, v40
	v_mov_b32_e32 v93, v41
	;; [unrolled: 1-line block ×20, first 2 shown]
	ds_write2_b64 v98, v[92:93], v[101:102] offset0:24 offset1:25
	ds_write2_b64 v98, v[103:104], v[105:106] offset0:26 offset1:27
	;; [unrolled: 1-line block ×5, first 2 shown]
	v_mov_b32_e32 v92, v20
	v_mov_b32_e32 v93, v21
	;; [unrolled: 1-line block ×8, first 2 shown]
	ds_write2_b64 v98, v[92:93], v[101:102] offset0:34 offset1:35
	v_mov_b32_e32 v101, 15
	v_mov_b32_e32 v107, v12
	;; [unrolled: 1-line block ×9, first 2 shown]
	ds_write2_b64 v98, v[103:104], v[105:106] offset0:36 offset1:37
	ds_write2_b64 v98, v[107:108], v[109:110] offset0:38 offset1:39
	;; [unrolled: 1-line block ×3, first 2 shown]
	ds_write_b64 v98, v[90:91] offset:336
.LBB84_265:
	s_or_b32 exec_lo, exec_lo, s0
	s_mov_b32 s0, exec_lo
	s_waitcnt lgkmcnt(0)
	s_waitcnt_vscnt null, 0x0
	s_barrier
	buffer_gl0_inv
	v_cmpx_lt_i32_e32 15, v101
	s_cbranch_execz .LBB84_267
; %bb.266:
	v_mul_f64 v[58:59], v[0:1], v[58:59]
	ds_read2_b64 v[102:105], v98 offset0:16 offset1:17
	ds_read2_b64 v[106:109], v98 offset0:18 offset1:19
	;; [unrolled: 1-line block ×13, first 2 shown]
	ds_read_b64 v[0:1], v98 offset:336
	s_waitcnt lgkmcnt(13)
	v_fma_f64 v[56:57], -v[58:59], v[102:103], v[56:57]
	v_fma_f64 v[54:55], -v[58:59], v[104:105], v[54:55]
	s_waitcnt lgkmcnt(12)
	v_fma_f64 v[52:53], -v[58:59], v[106:107], v[52:53]
	v_fma_f64 v[48:49], -v[58:59], v[108:109], v[48:49]
	;; [unrolled: 3-line block ×13, first 2 shown]
	s_waitcnt lgkmcnt(0)
	v_fma_f64 v[90:91], -v[58:59], v[0:1], v[90:91]
.LBB84_267:
	s_or_b32 exec_lo, exec_lo, s0
	v_lshl_add_u32 v0, v101, 3, v98
	s_barrier
	buffer_gl0_inv
	v_mov_b32_e32 v92, 16
	ds_write_b64 v0, v[56:57]
	s_waitcnt lgkmcnt(0)
	s_barrier
	buffer_gl0_inv
	ds_read_b64 v[0:1], v98 offset:128
	s_cmp_lt_i32 s7, 18
	s_cbranch_scc1 .LBB84_270
; %bb.268:
	v_add3_u32 v93, v99, 0, 0x88
	v_mov_b32_e32 v92, 16
	s_mov_b32 s0, 17
.LBB84_269:                             ; =>This Inner Loop Header: Depth=1
	ds_read_b64 v[102:103], v93
	v_add_nc_u32_e32 v93, 8, v93
	s_waitcnt lgkmcnt(0)
	v_cmp_lt_f64_e64 vcc_lo, |v[0:1]|, |v[102:103]|
	v_cndmask_b32_e32 v1, v1, v103, vcc_lo
	v_cndmask_b32_e32 v0, v0, v102, vcc_lo
	v_cndmask_b32_e64 v92, v92, s0, vcc_lo
	s_add_i32 s0, s0, 1
	s_cmp_lg_u32 s7, s0
	s_cbranch_scc1 .LBB84_269
.LBB84_270:
	s_mov_b32 s0, exec_lo
	s_waitcnt lgkmcnt(0)
	v_cmpx_eq_f64_e32 0, v[0:1]
	s_xor_b32 s0, exec_lo, s0
; %bb.271:
	v_cmp_ne_u32_e32 vcc_lo, 0, v95
	v_cndmask_b32_e32 v95, 17, v95, vcc_lo
; %bb.272:
	s_andn2_saveexec_b32 s0, s0
	s_cbranch_execz .LBB84_274
; %bb.273:
	v_div_scale_f64 v[93:94], null, v[0:1], v[0:1], 1.0
	v_rcp_f64_e32 v[102:103], v[93:94]
	v_fma_f64 v[104:105], -v[93:94], v[102:103], 1.0
	v_fma_f64 v[102:103], v[102:103], v[104:105], v[102:103]
	v_fma_f64 v[104:105], -v[93:94], v[102:103], 1.0
	v_fma_f64 v[102:103], v[102:103], v[104:105], v[102:103]
	v_div_scale_f64 v[104:105], vcc_lo, 1.0, v[0:1], 1.0
	v_mul_f64 v[106:107], v[104:105], v[102:103]
	v_fma_f64 v[93:94], -v[93:94], v[106:107], v[104:105]
	v_div_fmas_f64 v[93:94], v[93:94], v[102:103], v[106:107]
	v_div_fixup_f64 v[0:1], v[93:94], v[0:1], 1.0
.LBB84_274:
	s_or_b32 exec_lo, exec_lo, s0
	s_mov_b32 s0, exec_lo
	v_cmpx_ne_u32_e64 v101, v92
	s_xor_b32 s0, exec_lo, s0
	s_cbranch_execz .LBB84_280
; %bb.275:
	s_mov_b32 s1, exec_lo
	v_cmpx_eq_u32_e32 16, v101
	s_cbranch_execz .LBB84_279
; %bb.276:
	v_cmp_ne_u32_e32 vcc_lo, 16, v92
	s_xor_b32 s2, s6, -1
	s_and_b32 s3, s2, vcc_lo
	s_and_saveexec_b32 s2, s3
	s_cbranch_execz .LBB84_278
; %bb.277:
	v_ashrrev_i32_e32 v93, 31, v92
	v_lshlrev_b64 v[93:94], 2, v[92:93]
	v_add_co_u32 v93, vcc_lo, v4, v93
	v_add_co_ci_u32_e64 v94, null, v5, v94, vcc_lo
	s_clause 0x1
	global_load_dword v100, v[93:94], off
	global_load_dword v101, v[4:5], off offset:64
	s_waitcnt vmcnt(1)
	global_store_dword v[4:5], v100, off offset:64
	s_waitcnt vmcnt(0)
	global_store_dword v[93:94], v101, off
.LBB84_278:
	s_or_b32 exec_lo, exec_lo, s2
	v_mov_b32_e32 v100, v92
	v_mov_b32_e32 v101, v92
.LBB84_279:
	s_or_b32 exec_lo, exec_lo, s1
.LBB84_280:
	s_andn2_saveexec_b32 s0, s0
	s_cbranch_execz .LBB84_282
; %bb.281:
	v_mov_b32_e32 v101, 16
	ds_write2_b64 v98, v[54:55], v[52:53] offset0:17 offset1:18
	ds_write2_b64 v98, v[48:49], v[50:51] offset0:19 offset1:20
	;; [unrolled: 1-line block ×13, first 2 shown]
.LBB84_282:
	s_or_b32 exec_lo, exec_lo, s0
	s_mov_b32 s0, exec_lo
	s_waitcnt lgkmcnt(0)
	s_waitcnt_vscnt null, 0x0
	s_barrier
	buffer_gl0_inv
	v_cmpx_lt_i32_e32 16, v101
	s_cbranch_execz .LBB84_284
; %bb.283:
	v_mul_f64 v[56:57], v[0:1], v[56:57]
	ds_read2_b64 v[102:105], v98 offset0:17 offset1:18
	ds_read2_b64 v[106:109], v98 offset0:19 offset1:20
	;; [unrolled: 1-line block ×13, first 2 shown]
	s_waitcnt lgkmcnt(12)
	v_fma_f64 v[54:55], -v[56:57], v[102:103], v[54:55]
	v_fma_f64 v[52:53], -v[56:57], v[104:105], v[52:53]
	s_waitcnt lgkmcnt(11)
	v_fma_f64 v[48:49], -v[56:57], v[106:107], v[48:49]
	v_fma_f64 v[50:51], -v[56:57], v[108:109], v[50:51]
	;; [unrolled: 3-line block ×13, first 2 shown]
.LBB84_284:
	s_or_b32 exec_lo, exec_lo, s0
	v_lshl_add_u32 v0, v101, 3, v98
	s_barrier
	buffer_gl0_inv
	v_mov_b32_e32 v92, 17
	ds_write_b64 v0, v[54:55]
	s_waitcnt lgkmcnt(0)
	s_barrier
	buffer_gl0_inv
	ds_read_b64 v[0:1], v98 offset:136
	s_cmp_lt_i32 s7, 19
	s_cbranch_scc1 .LBB84_287
; %bb.285:
	v_add3_u32 v93, v99, 0, 0x90
	v_mov_b32_e32 v92, 17
	s_mov_b32 s0, 18
.LBB84_286:                             ; =>This Inner Loop Header: Depth=1
	ds_read_b64 v[102:103], v93
	v_add_nc_u32_e32 v93, 8, v93
	s_waitcnt lgkmcnt(0)
	v_cmp_lt_f64_e64 vcc_lo, |v[0:1]|, |v[102:103]|
	v_cndmask_b32_e32 v1, v1, v103, vcc_lo
	v_cndmask_b32_e32 v0, v0, v102, vcc_lo
	v_cndmask_b32_e64 v92, v92, s0, vcc_lo
	s_add_i32 s0, s0, 1
	s_cmp_lg_u32 s7, s0
	s_cbranch_scc1 .LBB84_286
.LBB84_287:
	s_mov_b32 s0, exec_lo
	s_waitcnt lgkmcnt(0)
	v_cmpx_eq_f64_e32 0, v[0:1]
	s_xor_b32 s0, exec_lo, s0
; %bb.288:
	v_cmp_ne_u32_e32 vcc_lo, 0, v95
	v_cndmask_b32_e32 v95, 18, v95, vcc_lo
; %bb.289:
	s_andn2_saveexec_b32 s0, s0
	s_cbranch_execz .LBB84_291
; %bb.290:
	v_div_scale_f64 v[93:94], null, v[0:1], v[0:1], 1.0
	v_rcp_f64_e32 v[102:103], v[93:94]
	v_fma_f64 v[104:105], -v[93:94], v[102:103], 1.0
	v_fma_f64 v[102:103], v[102:103], v[104:105], v[102:103]
	v_fma_f64 v[104:105], -v[93:94], v[102:103], 1.0
	v_fma_f64 v[102:103], v[102:103], v[104:105], v[102:103]
	v_div_scale_f64 v[104:105], vcc_lo, 1.0, v[0:1], 1.0
	v_mul_f64 v[106:107], v[104:105], v[102:103]
	v_fma_f64 v[93:94], -v[93:94], v[106:107], v[104:105]
	v_div_fmas_f64 v[93:94], v[93:94], v[102:103], v[106:107]
	v_div_fixup_f64 v[0:1], v[93:94], v[0:1], 1.0
.LBB84_291:
	s_or_b32 exec_lo, exec_lo, s0
	s_mov_b32 s0, exec_lo
	v_cmpx_ne_u32_e64 v101, v92
	s_xor_b32 s0, exec_lo, s0
	s_cbranch_execz .LBB84_297
; %bb.292:
	s_mov_b32 s1, exec_lo
	v_cmpx_eq_u32_e32 17, v101
	s_cbranch_execz .LBB84_296
; %bb.293:
	v_cmp_ne_u32_e32 vcc_lo, 17, v92
	s_xor_b32 s2, s6, -1
	s_and_b32 s3, s2, vcc_lo
	s_and_saveexec_b32 s2, s3
	s_cbranch_execz .LBB84_295
; %bb.294:
	v_ashrrev_i32_e32 v93, 31, v92
	v_lshlrev_b64 v[93:94], 2, v[92:93]
	v_add_co_u32 v93, vcc_lo, v4, v93
	v_add_co_ci_u32_e64 v94, null, v5, v94, vcc_lo
	s_clause 0x1
	global_load_dword v100, v[93:94], off
	global_load_dword v101, v[4:5], off offset:68
	s_waitcnt vmcnt(1)
	global_store_dword v[4:5], v100, off offset:68
	s_waitcnt vmcnt(0)
	global_store_dword v[93:94], v101, off
.LBB84_295:
	s_or_b32 exec_lo, exec_lo, s2
	v_mov_b32_e32 v100, v92
	v_mov_b32_e32 v101, v92
.LBB84_296:
	s_or_b32 exec_lo, exec_lo, s1
.LBB84_297:
	s_andn2_saveexec_b32 s0, s0
	s_cbranch_execz .LBB84_299
; %bb.298:
	v_mov_b32_e32 v92, v52
	v_mov_b32_e32 v93, v53
	;; [unrolled: 1-line block ×12, first 2 shown]
	ds_write2_b64 v98, v[92:93], v[101:102] offset0:18 offset1:19
	ds_write2_b64 v98, v[103:104], v[105:106] offset0:20 offset1:21
	;; [unrolled: 1-line block ×3, first 2 shown]
	v_mov_b32_e32 v92, v40
	v_mov_b32_e32 v93, v41
	;; [unrolled: 1-line block ×20, first 2 shown]
	ds_write2_b64 v98, v[92:93], v[101:102] offset0:24 offset1:25
	ds_write2_b64 v98, v[103:104], v[105:106] offset0:26 offset1:27
	;; [unrolled: 1-line block ×5, first 2 shown]
	v_mov_b32_e32 v92, v20
	v_mov_b32_e32 v93, v21
	;; [unrolled: 1-line block ×8, first 2 shown]
	ds_write2_b64 v98, v[92:93], v[101:102] offset0:34 offset1:35
	v_mov_b32_e32 v101, 17
	v_mov_b32_e32 v107, v12
	;; [unrolled: 1-line block ×9, first 2 shown]
	ds_write2_b64 v98, v[103:104], v[105:106] offset0:36 offset1:37
	ds_write2_b64 v98, v[107:108], v[109:110] offset0:38 offset1:39
	;; [unrolled: 1-line block ×3, first 2 shown]
	ds_write_b64 v98, v[90:91] offset:336
.LBB84_299:
	s_or_b32 exec_lo, exec_lo, s0
	s_mov_b32 s0, exec_lo
	s_waitcnt lgkmcnt(0)
	s_waitcnt_vscnt null, 0x0
	s_barrier
	buffer_gl0_inv
	v_cmpx_lt_i32_e32 17, v101
	s_cbranch_execz .LBB84_301
; %bb.300:
	v_mul_f64 v[54:55], v[0:1], v[54:55]
	ds_read2_b64 v[102:105], v98 offset0:18 offset1:19
	ds_read2_b64 v[106:109], v98 offset0:20 offset1:21
	;; [unrolled: 1-line block ×12, first 2 shown]
	ds_read_b64 v[0:1], v98 offset:336
	s_waitcnt lgkmcnt(12)
	v_fma_f64 v[52:53], -v[54:55], v[102:103], v[52:53]
	v_fma_f64 v[48:49], -v[54:55], v[104:105], v[48:49]
	s_waitcnt lgkmcnt(11)
	v_fma_f64 v[50:51], -v[54:55], v[106:107], v[50:51]
	v_fma_f64 v[44:45], -v[54:55], v[108:109], v[44:45]
	;; [unrolled: 3-line block ×12, first 2 shown]
	s_waitcnt lgkmcnt(0)
	v_fma_f64 v[90:91], -v[54:55], v[0:1], v[90:91]
.LBB84_301:
	s_or_b32 exec_lo, exec_lo, s0
	v_lshl_add_u32 v0, v101, 3, v98
	s_barrier
	buffer_gl0_inv
	v_mov_b32_e32 v92, 18
	ds_write_b64 v0, v[52:53]
	s_waitcnt lgkmcnt(0)
	s_barrier
	buffer_gl0_inv
	ds_read_b64 v[0:1], v98 offset:144
	s_cmp_lt_i32 s7, 20
	s_cbranch_scc1 .LBB84_304
; %bb.302:
	v_add3_u32 v93, v99, 0, 0x98
	v_mov_b32_e32 v92, 18
	s_mov_b32 s0, 19
.LBB84_303:                             ; =>This Inner Loop Header: Depth=1
	ds_read_b64 v[102:103], v93
	v_add_nc_u32_e32 v93, 8, v93
	s_waitcnt lgkmcnt(0)
	v_cmp_lt_f64_e64 vcc_lo, |v[0:1]|, |v[102:103]|
	v_cndmask_b32_e32 v1, v1, v103, vcc_lo
	v_cndmask_b32_e32 v0, v0, v102, vcc_lo
	v_cndmask_b32_e64 v92, v92, s0, vcc_lo
	s_add_i32 s0, s0, 1
	s_cmp_lg_u32 s7, s0
	s_cbranch_scc1 .LBB84_303
.LBB84_304:
	s_mov_b32 s0, exec_lo
	s_waitcnt lgkmcnt(0)
	v_cmpx_eq_f64_e32 0, v[0:1]
	s_xor_b32 s0, exec_lo, s0
; %bb.305:
	v_cmp_ne_u32_e32 vcc_lo, 0, v95
	v_cndmask_b32_e32 v95, 19, v95, vcc_lo
; %bb.306:
	s_andn2_saveexec_b32 s0, s0
	s_cbranch_execz .LBB84_308
; %bb.307:
	v_div_scale_f64 v[93:94], null, v[0:1], v[0:1], 1.0
	v_rcp_f64_e32 v[102:103], v[93:94]
	v_fma_f64 v[104:105], -v[93:94], v[102:103], 1.0
	v_fma_f64 v[102:103], v[102:103], v[104:105], v[102:103]
	v_fma_f64 v[104:105], -v[93:94], v[102:103], 1.0
	v_fma_f64 v[102:103], v[102:103], v[104:105], v[102:103]
	v_div_scale_f64 v[104:105], vcc_lo, 1.0, v[0:1], 1.0
	v_mul_f64 v[106:107], v[104:105], v[102:103]
	v_fma_f64 v[93:94], -v[93:94], v[106:107], v[104:105]
	v_div_fmas_f64 v[93:94], v[93:94], v[102:103], v[106:107]
	v_div_fixup_f64 v[0:1], v[93:94], v[0:1], 1.0
.LBB84_308:
	s_or_b32 exec_lo, exec_lo, s0
	s_mov_b32 s0, exec_lo
	v_cmpx_ne_u32_e64 v101, v92
	s_xor_b32 s0, exec_lo, s0
	s_cbranch_execz .LBB84_314
; %bb.309:
	s_mov_b32 s1, exec_lo
	v_cmpx_eq_u32_e32 18, v101
	s_cbranch_execz .LBB84_313
; %bb.310:
	v_cmp_ne_u32_e32 vcc_lo, 18, v92
	s_xor_b32 s2, s6, -1
	s_and_b32 s3, s2, vcc_lo
	s_and_saveexec_b32 s2, s3
	s_cbranch_execz .LBB84_312
; %bb.311:
	v_ashrrev_i32_e32 v93, 31, v92
	v_lshlrev_b64 v[93:94], 2, v[92:93]
	v_add_co_u32 v93, vcc_lo, v4, v93
	v_add_co_ci_u32_e64 v94, null, v5, v94, vcc_lo
	s_clause 0x1
	global_load_dword v100, v[93:94], off
	global_load_dword v101, v[4:5], off offset:72
	s_waitcnt vmcnt(1)
	global_store_dword v[4:5], v100, off offset:72
	s_waitcnt vmcnt(0)
	global_store_dword v[93:94], v101, off
.LBB84_312:
	s_or_b32 exec_lo, exec_lo, s2
	v_mov_b32_e32 v100, v92
	v_mov_b32_e32 v101, v92
.LBB84_313:
	s_or_b32 exec_lo, exec_lo, s1
.LBB84_314:
	s_andn2_saveexec_b32 s0, s0
	s_cbranch_execz .LBB84_316
; %bb.315:
	v_mov_b32_e32 v101, 18
	ds_write2_b64 v98, v[48:49], v[50:51] offset0:19 offset1:20
	ds_write2_b64 v98, v[44:45], v[46:47] offset0:21 offset1:22
	;; [unrolled: 1-line block ×12, first 2 shown]
.LBB84_316:
	s_or_b32 exec_lo, exec_lo, s0
	s_mov_b32 s0, exec_lo
	s_waitcnt lgkmcnt(0)
	s_waitcnt_vscnt null, 0x0
	s_barrier
	buffer_gl0_inv
	v_cmpx_lt_i32_e32 18, v101
	s_cbranch_execz .LBB84_318
; %bb.317:
	v_mul_f64 v[52:53], v[0:1], v[52:53]
	ds_read2_b64 v[102:105], v98 offset0:19 offset1:20
	ds_read2_b64 v[106:109], v98 offset0:21 offset1:22
	;; [unrolled: 1-line block ×12, first 2 shown]
	s_waitcnt lgkmcnt(11)
	v_fma_f64 v[48:49], -v[52:53], v[102:103], v[48:49]
	v_fma_f64 v[50:51], -v[52:53], v[104:105], v[50:51]
	s_waitcnt lgkmcnt(10)
	v_fma_f64 v[44:45], -v[52:53], v[106:107], v[44:45]
	v_fma_f64 v[46:47], -v[52:53], v[108:109], v[46:47]
	;; [unrolled: 3-line block ×12, first 2 shown]
.LBB84_318:
	s_or_b32 exec_lo, exec_lo, s0
	v_lshl_add_u32 v0, v101, 3, v98
	s_barrier
	buffer_gl0_inv
	v_mov_b32_e32 v92, 19
	ds_write_b64 v0, v[48:49]
	s_waitcnt lgkmcnt(0)
	s_barrier
	buffer_gl0_inv
	ds_read_b64 v[0:1], v98 offset:152
	s_cmp_lt_i32 s7, 21
	s_cbranch_scc1 .LBB84_321
; %bb.319:
	v_add3_u32 v93, v99, 0, 0xa0
	v_mov_b32_e32 v92, 19
	s_mov_b32 s0, 20
.LBB84_320:                             ; =>This Inner Loop Header: Depth=1
	ds_read_b64 v[102:103], v93
	v_add_nc_u32_e32 v93, 8, v93
	s_waitcnt lgkmcnt(0)
	v_cmp_lt_f64_e64 vcc_lo, |v[0:1]|, |v[102:103]|
	v_cndmask_b32_e32 v1, v1, v103, vcc_lo
	v_cndmask_b32_e32 v0, v0, v102, vcc_lo
	v_cndmask_b32_e64 v92, v92, s0, vcc_lo
	s_add_i32 s0, s0, 1
	s_cmp_lg_u32 s7, s0
	s_cbranch_scc1 .LBB84_320
.LBB84_321:
	s_mov_b32 s0, exec_lo
	s_waitcnt lgkmcnt(0)
	v_cmpx_eq_f64_e32 0, v[0:1]
	s_xor_b32 s0, exec_lo, s0
; %bb.322:
	v_cmp_ne_u32_e32 vcc_lo, 0, v95
	v_cndmask_b32_e32 v95, 20, v95, vcc_lo
; %bb.323:
	s_andn2_saveexec_b32 s0, s0
	s_cbranch_execz .LBB84_325
; %bb.324:
	v_div_scale_f64 v[93:94], null, v[0:1], v[0:1], 1.0
	v_rcp_f64_e32 v[102:103], v[93:94]
	v_fma_f64 v[104:105], -v[93:94], v[102:103], 1.0
	v_fma_f64 v[102:103], v[102:103], v[104:105], v[102:103]
	v_fma_f64 v[104:105], -v[93:94], v[102:103], 1.0
	v_fma_f64 v[102:103], v[102:103], v[104:105], v[102:103]
	v_div_scale_f64 v[104:105], vcc_lo, 1.0, v[0:1], 1.0
	v_mul_f64 v[106:107], v[104:105], v[102:103]
	v_fma_f64 v[93:94], -v[93:94], v[106:107], v[104:105]
	v_div_fmas_f64 v[93:94], v[93:94], v[102:103], v[106:107]
	v_div_fixup_f64 v[0:1], v[93:94], v[0:1], 1.0
.LBB84_325:
	s_or_b32 exec_lo, exec_lo, s0
	s_mov_b32 s0, exec_lo
	v_cmpx_ne_u32_e64 v101, v92
	s_xor_b32 s0, exec_lo, s0
	s_cbranch_execz .LBB84_331
; %bb.326:
	s_mov_b32 s1, exec_lo
	v_cmpx_eq_u32_e32 19, v101
	s_cbranch_execz .LBB84_330
; %bb.327:
	v_cmp_ne_u32_e32 vcc_lo, 19, v92
	s_xor_b32 s2, s6, -1
	s_and_b32 s3, s2, vcc_lo
	s_and_saveexec_b32 s2, s3
	s_cbranch_execz .LBB84_329
; %bb.328:
	v_ashrrev_i32_e32 v93, 31, v92
	v_lshlrev_b64 v[93:94], 2, v[92:93]
	v_add_co_u32 v93, vcc_lo, v4, v93
	v_add_co_ci_u32_e64 v94, null, v5, v94, vcc_lo
	s_clause 0x1
	global_load_dword v100, v[93:94], off
	global_load_dword v101, v[4:5], off offset:76
	s_waitcnt vmcnt(1)
	global_store_dword v[4:5], v100, off offset:76
	s_waitcnt vmcnt(0)
	global_store_dword v[93:94], v101, off
.LBB84_329:
	s_or_b32 exec_lo, exec_lo, s2
	v_mov_b32_e32 v100, v92
	v_mov_b32_e32 v101, v92
.LBB84_330:
	s_or_b32 exec_lo, exec_lo, s1
.LBB84_331:
	s_andn2_saveexec_b32 s0, s0
	s_cbranch_execz .LBB84_333
; %bb.332:
	v_mov_b32_e32 v92, v50
	v_mov_b32_e32 v93, v51
	v_mov_b32_e32 v101, v44
	v_mov_b32_e32 v102, v45
	v_mov_b32_e32 v103, v46
	v_mov_b32_e32 v104, v47
	v_mov_b32_e32 v105, v42
	v_mov_b32_e32 v106, v43
	ds_write2_b64 v98, v[92:93], v[101:102] offset0:20 offset1:21
	ds_write2_b64 v98, v[103:104], v[105:106] offset0:22 offset1:23
	v_mov_b32_e32 v92, v40
	v_mov_b32_e32 v93, v41
	;; [unrolled: 1-line block ×20, first 2 shown]
	ds_write2_b64 v98, v[92:93], v[101:102] offset0:24 offset1:25
	ds_write2_b64 v98, v[103:104], v[105:106] offset0:26 offset1:27
	;; [unrolled: 1-line block ×5, first 2 shown]
	v_mov_b32_e32 v92, v20
	v_mov_b32_e32 v93, v21
	;; [unrolled: 1-line block ×8, first 2 shown]
	ds_write2_b64 v98, v[92:93], v[101:102] offset0:34 offset1:35
	v_mov_b32_e32 v101, 19
	v_mov_b32_e32 v107, v12
	;; [unrolled: 1-line block ×9, first 2 shown]
	ds_write2_b64 v98, v[103:104], v[105:106] offset0:36 offset1:37
	ds_write2_b64 v98, v[107:108], v[109:110] offset0:38 offset1:39
	;; [unrolled: 1-line block ×3, first 2 shown]
	ds_write_b64 v98, v[90:91] offset:336
.LBB84_333:
	s_or_b32 exec_lo, exec_lo, s0
	s_mov_b32 s0, exec_lo
	s_waitcnt lgkmcnt(0)
	s_waitcnt_vscnt null, 0x0
	s_barrier
	buffer_gl0_inv
	v_cmpx_lt_i32_e32 19, v101
	s_cbranch_execz .LBB84_335
; %bb.334:
	v_mul_f64 v[48:49], v[0:1], v[48:49]
	ds_read2_b64 v[102:105], v98 offset0:20 offset1:21
	ds_read2_b64 v[106:109], v98 offset0:22 offset1:23
	;; [unrolled: 1-line block ×11, first 2 shown]
	ds_read_b64 v[0:1], v98 offset:336
	s_waitcnt lgkmcnt(11)
	v_fma_f64 v[50:51], -v[48:49], v[102:103], v[50:51]
	v_fma_f64 v[44:45], -v[48:49], v[104:105], v[44:45]
	s_waitcnt lgkmcnt(10)
	v_fma_f64 v[46:47], -v[48:49], v[106:107], v[46:47]
	v_fma_f64 v[42:43], -v[48:49], v[108:109], v[42:43]
	;; [unrolled: 3-line block ×11, first 2 shown]
	s_waitcnt lgkmcnt(0)
	v_fma_f64 v[90:91], -v[48:49], v[0:1], v[90:91]
.LBB84_335:
	s_or_b32 exec_lo, exec_lo, s0
	v_lshl_add_u32 v0, v101, 3, v98
	s_barrier
	buffer_gl0_inv
	v_mov_b32_e32 v92, 20
	ds_write_b64 v0, v[50:51]
	s_waitcnt lgkmcnt(0)
	s_barrier
	buffer_gl0_inv
	ds_read_b64 v[0:1], v98 offset:160
	s_cmp_lt_i32 s7, 22
	s_cbranch_scc1 .LBB84_338
; %bb.336:
	v_add3_u32 v93, v99, 0, 0xa8
	v_mov_b32_e32 v92, 20
	s_mov_b32 s0, 21
.LBB84_337:                             ; =>This Inner Loop Header: Depth=1
	ds_read_b64 v[102:103], v93
	v_add_nc_u32_e32 v93, 8, v93
	s_waitcnt lgkmcnt(0)
	v_cmp_lt_f64_e64 vcc_lo, |v[0:1]|, |v[102:103]|
	v_cndmask_b32_e32 v1, v1, v103, vcc_lo
	v_cndmask_b32_e32 v0, v0, v102, vcc_lo
	v_cndmask_b32_e64 v92, v92, s0, vcc_lo
	s_add_i32 s0, s0, 1
	s_cmp_lg_u32 s7, s0
	s_cbranch_scc1 .LBB84_337
.LBB84_338:
	s_mov_b32 s0, exec_lo
	s_waitcnt lgkmcnt(0)
	v_cmpx_eq_f64_e32 0, v[0:1]
	s_xor_b32 s0, exec_lo, s0
; %bb.339:
	v_cmp_ne_u32_e32 vcc_lo, 0, v95
	v_cndmask_b32_e32 v95, 21, v95, vcc_lo
; %bb.340:
	s_andn2_saveexec_b32 s0, s0
	s_cbranch_execz .LBB84_342
; %bb.341:
	v_div_scale_f64 v[93:94], null, v[0:1], v[0:1], 1.0
	v_rcp_f64_e32 v[102:103], v[93:94]
	v_fma_f64 v[104:105], -v[93:94], v[102:103], 1.0
	v_fma_f64 v[102:103], v[102:103], v[104:105], v[102:103]
	v_fma_f64 v[104:105], -v[93:94], v[102:103], 1.0
	v_fma_f64 v[102:103], v[102:103], v[104:105], v[102:103]
	v_div_scale_f64 v[104:105], vcc_lo, 1.0, v[0:1], 1.0
	v_mul_f64 v[106:107], v[104:105], v[102:103]
	v_fma_f64 v[93:94], -v[93:94], v[106:107], v[104:105]
	v_div_fmas_f64 v[93:94], v[93:94], v[102:103], v[106:107]
	v_div_fixup_f64 v[0:1], v[93:94], v[0:1], 1.0
.LBB84_342:
	s_or_b32 exec_lo, exec_lo, s0
	s_mov_b32 s0, exec_lo
	v_cmpx_ne_u32_e64 v101, v92
	s_xor_b32 s0, exec_lo, s0
	s_cbranch_execz .LBB84_348
; %bb.343:
	s_mov_b32 s1, exec_lo
	v_cmpx_eq_u32_e32 20, v101
	s_cbranch_execz .LBB84_347
; %bb.344:
	v_cmp_ne_u32_e32 vcc_lo, 20, v92
	s_xor_b32 s2, s6, -1
	s_and_b32 s3, s2, vcc_lo
	s_and_saveexec_b32 s2, s3
	s_cbranch_execz .LBB84_346
; %bb.345:
	v_ashrrev_i32_e32 v93, 31, v92
	v_lshlrev_b64 v[93:94], 2, v[92:93]
	v_add_co_u32 v93, vcc_lo, v4, v93
	v_add_co_ci_u32_e64 v94, null, v5, v94, vcc_lo
	s_clause 0x1
	global_load_dword v100, v[93:94], off
	global_load_dword v101, v[4:5], off offset:80
	s_waitcnt vmcnt(1)
	global_store_dword v[4:5], v100, off offset:80
	s_waitcnt vmcnt(0)
	global_store_dword v[93:94], v101, off
.LBB84_346:
	s_or_b32 exec_lo, exec_lo, s2
	v_mov_b32_e32 v100, v92
	v_mov_b32_e32 v101, v92
.LBB84_347:
	s_or_b32 exec_lo, exec_lo, s1
.LBB84_348:
	s_andn2_saveexec_b32 s0, s0
	s_cbranch_execz .LBB84_350
; %bb.349:
	v_mov_b32_e32 v101, 20
	ds_write2_b64 v98, v[44:45], v[46:47] offset0:21 offset1:22
	ds_write2_b64 v98, v[42:43], v[40:41] offset0:23 offset1:24
	;; [unrolled: 1-line block ×11, first 2 shown]
.LBB84_350:
	s_or_b32 exec_lo, exec_lo, s0
	s_mov_b32 s0, exec_lo
	s_waitcnt lgkmcnt(0)
	s_waitcnt_vscnt null, 0x0
	s_barrier
	buffer_gl0_inv
	v_cmpx_lt_i32_e32 20, v101
	s_cbranch_execz .LBB84_352
; %bb.351:
	v_mul_f64 v[50:51], v[0:1], v[50:51]
	ds_read2_b64 v[102:105], v98 offset0:21 offset1:22
	ds_read2_b64 v[106:109], v98 offset0:23 offset1:24
	;; [unrolled: 1-line block ×11, first 2 shown]
	s_waitcnt lgkmcnt(10)
	v_fma_f64 v[44:45], -v[50:51], v[102:103], v[44:45]
	v_fma_f64 v[46:47], -v[50:51], v[104:105], v[46:47]
	s_waitcnt lgkmcnt(9)
	v_fma_f64 v[42:43], -v[50:51], v[106:107], v[42:43]
	v_fma_f64 v[40:41], -v[50:51], v[108:109], v[40:41]
	s_waitcnt lgkmcnt(8)
	v_fma_f64 v[38:39], -v[50:51], v[110:111], v[38:39]
	v_fma_f64 v[36:37], -v[50:51], v[112:113], v[36:37]
	s_waitcnt lgkmcnt(7)
	v_fma_f64 v[34:35], -v[50:51], v[114:115], v[34:35]
	v_fma_f64 v[32:33], -v[50:51], v[116:117], v[32:33]
	s_waitcnt lgkmcnt(6)
	v_fma_f64 v[28:29], -v[50:51], v[118:119], v[28:29]
	v_fma_f64 v[30:31], -v[50:51], v[120:121], v[30:31]
	s_waitcnt lgkmcnt(5)
	v_fma_f64 v[24:25], -v[50:51], v[122:123], v[24:25]
	v_fma_f64 v[26:27], -v[50:51], v[124:125], v[26:27]
	s_waitcnt lgkmcnt(4)
	v_fma_f64 v[22:23], -v[50:51], v[126:127], v[22:23]
	v_fma_f64 v[20:21], -v[50:51], v[128:129], v[20:21]
	s_waitcnt lgkmcnt(3)
	v_fma_f64 v[18:19], -v[50:51], v[130:131], v[18:19]
	v_fma_f64 v[16:17], -v[50:51], v[132:133], v[16:17]
	s_waitcnt lgkmcnt(2)
	v_fma_f64 v[14:15], -v[50:51], v[134:135], v[14:15]
	v_fma_f64 v[12:13], -v[50:51], v[136:137], v[12:13]
	s_waitcnt lgkmcnt(1)
	v_fma_f64 v[8:9], -v[50:51], v[138:139], v[8:9]
	v_fma_f64 v[10:11], -v[50:51], v[140:141], v[10:11]
	s_waitcnt lgkmcnt(0)
	v_fma_f64 v[6:7], -v[50:51], v[142:143], v[6:7]
	v_fma_f64 v[90:91], -v[50:51], v[144:145], v[90:91]
.LBB84_352:
	s_or_b32 exec_lo, exec_lo, s0
	v_lshl_add_u32 v0, v101, 3, v98
	s_barrier
	buffer_gl0_inv
	v_mov_b32_e32 v92, 21
	ds_write_b64 v0, v[44:45]
	s_waitcnt lgkmcnt(0)
	s_barrier
	buffer_gl0_inv
	ds_read_b64 v[0:1], v98 offset:168
	s_cmp_lt_i32 s7, 23
	s_cbranch_scc1 .LBB84_355
; %bb.353:
	v_add3_u32 v93, v99, 0, 0xb0
	v_mov_b32_e32 v92, 21
	s_mov_b32 s0, 22
.LBB84_354:                             ; =>This Inner Loop Header: Depth=1
	ds_read_b64 v[102:103], v93
	v_add_nc_u32_e32 v93, 8, v93
	s_waitcnt lgkmcnt(0)
	v_cmp_lt_f64_e64 vcc_lo, |v[0:1]|, |v[102:103]|
	v_cndmask_b32_e32 v1, v1, v103, vcc_lo
	v_cndmask_b32_e32 v0, v0, v102, vcc_lo
	v_cndmask_b32_e64 v92, v92, s0, vcc_lo
	s_add_i32 s0, s0, 1
	s_cmp_lg_u32 s7, s0
	s_cbranch_scc1 .LBB84_354
.LBB84_355:
	s_mov_b32 s0, exec_lo
	s_waitcnt lgkmcnt(0)
	v_cmpx_eq_f64_e32 0, v[0:1]
	s_xor_b32 s0, exec_lo, s0
; %bb.356:
	v_cmp_ne_u32_e32 vcc_lo, 0, v95
	v_cndmask_b32_e32 v95, 22, v95, vcc_lo
; %bb.357:
	s_andn2_saveexec_b32 s0, s0
	s_cbranch_execz .LBB84_359
; %bb.358:
	v_div_scale_f64 v[93:94], null, v[0:1], v[0:1], 1.0
	v_rcp_f64_e32 v[102:103], v[93:94]
	v_fma_f64 v[104:105], -v[93:94], v[102:103], 1.0
	v_fma_f64 v[102:103], v[102:103], v[104:105], v[102:103]
	v_fma_f64 v[104:105], -v[93:94], v[102:103], 1.0
	v_fma_f64 v[102:103], v[102:103], v[104:105], v[102:103]
	v_div_scale_f64 v[104:105], vcc_lo, 1.0, v[0:1], 1.0
	v_mul_f64 v[106:107], v[104:105], v[102:103]
	v_fma_f64 v[93:94], -v[93:94], v[106:107], v[104:105]
	v_div_fmas_f64 v[93:94], v[93:94], v[102:103], v[106:107]
	v_div_fixup_f64 v[0:1], v[93:94], v[0:1], 1.0
.LBB84_359:
	s_or_b32 exec_lo, exec_lo, s0
	s_mov_b32 s0, exec_lo
	v_cmpx_ne_u32_e64 v101, v92
	s_xor_b32 s0, exec_lo, s0
	s_cbranch_execz .LBB84_365
; %bb.360:
	s_mov_b32 s1, exec_lo
	v_cmpx_eq_u32_e32 21, v101
	s_cbranch_execz .LBB84_364
; %bb.361:
	v_cmp_ne_u32_e32 vcc_lo, 21, v92
	s_xor_b32 s2, s6, -1
	s_and_b32 s3, s2, vcc_lo
	s_and_saveexec_b32 s2, s3
	s_cbranch_execz .LBB84_363
; %bb.362:
	v_ashrrev_i32_e32 v93, 31, v92
	v_lshlrev_b64 v[93:94], 2, v[92:93]
	v_add_co_u32 v93, vcc_lo, v4, v93
	v_add_co_ci_u32_e64 v94, null, v5, v94, vcc_lo
	s_clause 0x1
	global_load_dword v100, v[93:94], off
	global_load_dword v101, v[4:5], off offset:84
	s_waitcnt vmcnt(1)
	global_store_dword v[4:5], v100, off offset:84
	s_waitcnt vmcnt(0)
	global_store_dword v[93:94], v101, off
.LBB84_363:
	s_or_b32 exec_lo, exec_lo, s2
	v_mov_b32_e32 v100, v92
	v_mov_b32_e32 v101, v92
.LBB84_364:
	s_or_b32 exec_lo, exec_lo, s1
.LBB84_365:
	s_andn2_saveexec_b32 s0, s0
	s_cbranch_execz .LBB84_367
; %bb.366:
	v_mov_b32_e32 v92, v46
	v_mov_b32_e32 v93, v47
	;; [unrolled: 1-line block ×8, first 2 shown]
	ds_write2_b64 v98, v[92:93], v[101:102] offset0:22 offset1:23
	v_mov_b32_e32 v92, v38
	v_mov_b32_e32 v93, v39
	;; [unrolled: 1-line block ×16, first 2 shown]
	ds_write2_b64 v98, v[103:104], v[92:93] offset0:24 offset1:25
	ds_write2_b64 v98, v[101:102], v[105:106] offset0:26 offset1:27
	ds_write2_b64 v98, v[107:108], v[109:110] offset0:28 offset1:29
	ds_write2_b64 v98, v[111:112], v[113:114] offset0:30 offset1:31
	ds_write2_b64 v98, v[115:116], v[117:118] offset0:32 offset1:33
	v_mov_b32_e32 v92, v20
	v_mov_b32_e32 v93, v21
	;; [unrolled: 1-line block ×8, first 2 shown]
	ds_write2_b64 v98, v[92:93], v[101:102] offset0:34 offset1:35
	v_mov_b32_e32 v101, 21
	v_mov_b32_e32 v107, v12
	;; [unrolled: 1-line block ×9, first 2 shown]
	ds_write2_b64 v98, v[103:104], v[105:106] offset0:36 offset1:37
	ds_write2_b64 v98, v[107:108], v[109:110] offset0:38 offset1:39
	;; [unrolled: 1-line block ×3, first 2 shown]
	ds_write_b64 v98, v[90:91] offset:336
.LBB84_367:
	s_or_b32 exec_lo, exec_lo, s0
	s_mov_b32 s0, exec_lo
	s_waitcnt lgkmcnt(0)
	s_waitcnt_vscnt null, 0x0
	s_barrier
	buffer_gl0_inv
	v_cmpx_lt_i32_e32 21, v101
	s_cbranch_execz .LBB84_369
; %bb.368:
	v_mul_f64 v[44:45], v[0:1], v[44:45]
	ds_read2_b64 v[102:105], v98 offset0:22 offset1:23
	ds_read2_b64 v[106:109], v98 offset0:24 offset1:25
	;; [unrolled: 1-line block ×10, first 2 shown]
	ds_read_b64 v[0:1], v98 offset:336
	s_waitcnt lgkmcnt(10)
	v_fma_f64 v[46:47], -v[44:45], v[102:103], v[46:47]
	v_fma_f64 v[42:43], -v[44:45], v[104:105], v[42:43]
	s_waitcnt lgkmcnt(9)
	v_fma_f64 v[40:41], -v[44:45], v[106:107], v[40:41]
	v_fma_f64 v[38:39], -v[44:45], v[108:109], v[38:39]
	;; [unrolled: 3-line block ×10, first 2 shown]
	s_waitcnt lgkmcnt(0)
	v_fma_f64 v[90:91], -v[44:45], v[0:1], v[90:91]
.LBB84_369:
	s_or_b32 exec_lo, exec_lo, s0
	v_lshl_add_u32 v0, v101, 3, v98
	s_barrier
	buffer_gl0_inv
	v_mov_b32_e32 v92, 22
	ds_write_b64 v0, v[46:47]
	s_waitcnt lgkmcnt(0)
	s_barrier
	buffer_gl0_inv
	ds_read_b64 v[0:1], v98 offset:176
	s_cmp_lt_i32 s7, 24
	s_cbranch_scc1 .LBB84_372
; %bb.370:
	v_add3_u32 v93, v99, 0, 0xb8
	v_mov_b32_e32 v92, 22
	s_mov_b32 s0, 23
.LBB84_371:                             ; =>This Inner Loop Header: Depth=1
	ds_read_b64 v[102:103], v93
	v_add_nc_u32_e32 v93, 8, v93
	s_waitcnt lgkmcnt(0)
	v_cmp_lt_f64_e64 vcc_lo, |v[0:1]|, |v[102:103]|
	v_cndmask_b32_e32 v1, v1, v103, vcc_lo
	v_cndmask_b32_e32 v0, v0, v102, vcc_lo
	v_cndmask_b32_e64 v92, v92, s0, vcc_lo
	s_add_i32 s0, s0, 1
	s_cmp_lg_u32 s7, s0
	s_cbranch_scc1 .LBB84_371
.LBB84_372:
	s_mov_b32 s0, exec_lo
	s_waitcnt lgkmcnt(0)
	v_cmpx_eq_f64_e32 0, v[0:1]
	s_xor_b32 s0, exec_lo, s0
; %bb.373:
	v_cmp_ne_u32_e32 vcc_lo, 0, v95
	v_cndmask_b32_e32 v95, 23, v95, vcc_lo
; %bb.374:
	s_andn2_saveexec_b32 s0, s0
	s_cbranch_execz .LBB84_376
; %bb.375:
	v_div_scale_f64 v[93:94], null, v[0:1], v[0:1], 1.0
	v_rcp_f64_e32 v[102:103], v[93:94]
	v_fma_f64 v[104:105], -v[93:94], v[102:103], 1.0
	v_fma_f64 v[102:103], v[102:103], v[104:105], v[102:103]
	v_fma_f64 v[104:105], -v[93:94], v[102:103], 1.0
	v_fma_f64 v[102:103], v[102:103], v[104:105], v[102:103]
	v_div_scale_f64 v[104:105], vcc_lo, 1.0, v[0:1], 1.0
	v_mul_f64 v[106:107], v[104:105], v[102:103]
	v_fma_f64 v[93:94], -v[93:94], v[106:107], v[104:105]
	v_div_fmas_f64 v[93:94], v[93:94], v[102:103], v[106:107]
	v_div_fixup_f64 v[0:1], v[93:94], v[0:1], 1.0
.LBB84_376:
	s_or_b32 exec_lo, exec_lo, s0
	s_mov_b32 s0, exec_lo
	v_cmpx_ne_u32_e64 v101, v92
	s_xor_b32 s0, exec_lo, s0
	s_cbranch_execz .LBB84_382
; %bb.377:
	s_mov_b32 s1, exec_lo
	v_cmpx_eq_u32_e32 22, v101
	s_cbranch_execz .LBB84_381
; %bb.378:
	v_cmp_ne_u32_e32 vcc_lo, 22, v92
	s_xor_b32 s2, s6, -1
	s_and_b32 s3, s2, vcc_lo
	s_and_saveexec_b32 s2, s3
	s_cbranch_execz .LBB84_380
; %bb.379:
	v_ashrrev_i32_e32 v93, 31, v92
	v_lshlrev_b64 v[93:94], 2, v[92:93]
	v_add_co_u32 v93, vcc_lo, v4, v93
	v_add_co_ci_u32_e64 v94, null, v5, v94, vcc_lo
	s_clause 0x1
	global_load_dword v100, v[93:94], off
	global_load_dword v101, v[4:5], off offset:88
	s_waitcnt vmcnt(1)
	global_store_dword v[4:5], v100, off offset:88
	s_waitcnt vmcnt(0)
	global_store_dword v[93:94], v101, off
.LBB84_380:
	s_or_b32 exec_lo, exec_lo, s2
	v_mov_b32_e32 v100, v92
	v_mov_b32_e32 v101, v92
.LBB84_381:
	s_or_b32 exec_lo, exec_lo, s1
.LBB84_382:
	s_andn2_saveexec_b32 s0, s0
	s_cbranch_execz .LBB84_384
; %bb.383:
	v_mov_b32_e32 v101, 22
	ds_write2_b64 v98, v[42:43], v[40:41] offset0:23 offset1:24
	ds_write2_b64 v98, v[38:39], v[36:37] offset0:25 offset1:26
	;; [unrolled: 1-line block ×10, first 2 shown]
.LBB84_384:
	s_or_b32 exec_lo, exec_lo, s0
	s_mov_b32 s0, exec_lo
	s_waitcnt lgkmcnt(0)
	s_waitcnt_vscnt null, 0x0
	s_barrier
	buffer_gl0_inv
	v_cmpx_lt_i32_e32 22, v101
	s_cbranch_execz .LBB84_386
; %bb.385:
	v_mul_f64 v[46:47], v[0:1], v[46:47]
	ds_read2_b64 v[102:105], v98 offset0:23 offset1:24
	ds_read2_b64 v[106:109], v98 offset0:25 offset1:26
	;; [unrolled: 1-line block ×10, first 2 shown]
	s_waitcnt lgkmcnt(9)
	v_fma_f64 v[42:43], -v[46:47], v[102:103], v[42:43]
	v_fma_f64 v[40:41], -v[46:47], v[104:105], v[40:41]
	s_waitcnt lgkmcnt(8)
	v_fma_f64 v[38:39], -v[46:47], v[106:107], v[38:39]
	v_fma_f64 v[36:37], -v[46:47], v[108:109], v[36:37]
	;; [unrolled: 3-line block ×10, first 2 shown]
.LBB84_386:
	s_or_b32 exec_lo, exec_lo, s0
	v_lshl_add_u32 v0, v101, 3, v98
	s_barrier
	buffer_gl0_inv
	v_mov_b32_e32 v92, 23
	ds_write_b64 v0, v[42:43]
	s_waitcnt lgkmcnt(0)
	s_barrier
	buffer_gl0_inv
	ds_read_b64 v[0:1], v98 offset:184
	s_cmp_lt_i32 s7, 25
	s_cbranch_scc1 .LBB84_389
; %bb.387:
	v_add3_u32 v93, v99, 0, 0xc0
	v_mov_b32_e32 v92, 23
	s_mov_b32 s0, 24
.LBB84_388:                             ; =>This Inner Loop Header: Depth=1
	ds_read_b64 v[102:103], v93
	v_add_nc_u32_e32 v93, 8, v93
	s_waitcnt lgkmcnt(0)
	v_cmp_lt_f64_e64 vcc_lo, |v[0:1]|, |v[102:103]|
	v_cndmask_b32_e32 v1, v1, v103, vcc_lo
	v_cndmask_b32_e32 v0, v0, v102, vcc_lo
	v_cndmask_b32_e64 v92, v92, s0, vcc_lo
	s_add_i32 s0, s0, 1
	s_cmp_lg_u32 s7, s0
	s_cbranch_scc1 .LBB84_388
.LBB84_389:
	s_mov_b32 s0, exec_lo
	s_waitcnt lgkmcnt(0)
	v_cmpx_eq_f64_e32 0, v[0:1]
	s_xor_b32 s0, exec_lo, s0
; %bb.390:
	v_cmp_ne_u32_e32 vcc_lo, 0, v95
	v_cndmask_b32_e32 v95, 24, v95, vcc_lo
; %bb.391:
	s_andn2_saveexec_b32 s0, s0
	s_cbranch_execz .LBB84_393
; %bb.392:
	v_div_scale_f64 v[93:94], null, v[0:1], v[0:1], 1.0
	v_rcp_f64_e32 v[102:103], v[93:94]
	v_fma_f64 v[104:105], -v[93:94], v[102:103], 1.0
	v_fma_f64 v[102:103], v[102:103], v[104:105], v[102:103]
	v_fma_f64 v[104:105], -v[93:94], v[102:103], 1.0
	v_fma_f64 v[102:103], v[102:103], v[104:105], v[102:103]
	v_div_scale_f64 v[104:105], vcc_lo, 1.0, v[0:1], 1.0
	v_mul_f64 v[106:107], v[104:105], v[102:103]
	v_fma_f64 v[93:94], -v[93:94], v[106:107], v[104:105]
	v_div_fmas_f64 v[93:94], v[93:94], v[102:103], v[106:107]
	v_div_fixup_f64 v[0:1], v[93:94], v[0:1], 1.0
.LBB84_393:
	s_or_b32 exec_lo, exec_lo, s0
	s_mov_b32 s0, exec_lo
	v_cmpx_ne_u32_e64 v101, v92
	s_xor_b32 s0, exec_lo, s0
	s_cbranch_execz .LBB84_399
; %bb.394:
	s_mov_b32 s1, exec_lo
	v_cmpx_eq_u32_e32 23, v101
	s_cbranch_execz .LBB84_398
; %bb.395:
	v_cmp_ne_u32_e32 vcc_lo, 23, v92
	s_xor_b32 s2, s6, -1
	s_and_b32 s3, s2, vcc_lo
	s_and_saveexec_b32 s2, s3
	s_cbranch_execz .LBB84_397
; %bb.396:
	v_ashrrev_i32_e32 v93, 31, v92
	v_lshlrev_b64 v[93:94], 2, v[92:93]
	v_add_co_u32 v93, vcc_lo, v4, v93
	v_add_co_ci_u32_e64 v94, null, v5, v94, vcc_lo
	s_clause 0x1
	global_load_dword v100, v[93:94], off
	global_load_dword v101, v[4:5], off offset:92
	s_waitcnt vmcnt(1)
	global_store_dword v[4:5], v100, off offset:92
	s_waitcnt vmcnt(0)
	global_store_dword v[93:94], v101, off
.LBB84_397:
	s_or_b32 exec_lo, exec_lo, s2
	v_mov_b32_e32 v100, v92
	v_mov_b32_e32 v101, v92
.LBB84_398:
	s_or_b32 exec_lo, exec_lo, s1
.LBB84_399:
	s_andn2_saveexec_b32 s0, s0
	s_cbranch_execz .LBB84_401
; %bb.400:
	v_mov_b32_e32 v92, v40
	v_mov_b32_e32 v93, v41
	;; [unrolled: 1-line block ×20, first 2 shown]
	ds_write2_b64 v98, v[92:93], v[101:102] offset0:24 offset1:25
	ds_write2_b64 v98, v[103:104], v[105:106] offset0:26 offset1:27
	;; [unrolled: 1-line block ×5, first 2 shown]
	v_mov_b32_e32 v92, v20
	v_mov_b32_e32 v93, v21
	;; [unrolled: 1-line block ×8, first 2 shown]
	ds_write2_b64 v98, v[92:93], v[101:102] offset0:34 offset1:35
	v_mov_b32_e32 v101, 23
	v_mov_b32_e32 v107, v12
	;; [unrolled: 1-line block ×9, first 2 shown]
	ds_write2_b64 v98, v[103:104], v[105:106] offset0:36 offset1:37
	ds_write2_b64 v98, v[107:108], v[109:110] offset0:38 offset1:39
	;; [unrolled: 1-line block ×3, first 2 shown]
	ds_write_b64 v98, v[90:91] offset:336
.LBB84_401:
	s_or_b32 exec_lo, exec_lo, s0
	s_mov_b32 s0, exec_lo
	s_waitcnt lgkmcnt(0)
	s_waitcnt_vscnt null, 0x0
	s_barrier
	buffer_gl0_inv
	v_cmpx_lt_i32_e32 23, v101
	s_cbranch_execz .LBB84_403
; %bb.402:
	v_mul_f64 v[42:43], v[0:1], v[42:43]
	ds_read2_b64 v[102:105], v98 offset0:24 offset1:25
	ds_read2_b64 v[106:109], v98 offset0:26 offset1:27
	;; [unrolled: 1-line block ×9, first 2 shown]
	ds_read_b64 v[0:1], v98 offset:336
	s_waitcnt lgkmcnt(9)
	v_fma_f64 v[40:41], -v[42:43], v[102:103], v[40:41]
	v_fma_f64 v[38:39], -v[42:43], v[104:105], v[38:39]
	s_waitcnt lgkmcnt(8)
	v_fma_f64 v[36:37], -v[42:43], v[106:107], v[36:37]
	v_fma_f64 v[34:35], -v[42:43], v[108:109], v[34:35]
	;; [unrolled: 3-line block ×9, first 2 shown]
	s_waitcnt lgkmcnt(0)
	v_fma_f64 v[90:91], -v[42:43], v[0:1], v[90:91]
.LBB84_403:
	s_or_b32 exec_lo, exec_lo, s0
	v_lshl_add_u32 v0, v101, 3, v98
	s_barrier
	buffer_gl0_inv
	v_mov_b32_e32 v92, 24
	ds_write_b64 v0, v[40:41]
	s_waitcnt lgkmcnt(0)
	s_barrier
	buffer_gl0_inv
	ds_read_b64 v[0:1], v98 offset:192
	s_cmp_lt_i32 s7, 26
	s_cbranch_scc1 .LBB84_406
; %bb.404:
	v_add3_u32 v93, v99, 0, 0xc8
	v_mov_b32_e32 v92, 24
	s_mov_b32 s0, 25
.LBB84_405:                             ; =>This Inner Loop Header: Depth=1
	ds_read_b64 v[102:103], v93
	v_add_nc_u32_e32 v93, 8, v93
	s_waitcnt lgkmcnt(0)
	v_cmp_lt_f64_e64 vcc_lo, |v[0:1]|, |v[102:103]|
	v_cndmask_b32_e32 v1, v1, v103, vcc_lo
	v_cndmask_b32_e32 v0, v0, v102, vcc_lo
	v_cndmask_b32_e64 v92, v92, s0, vcc_lo
	s_add_i32 s0, s0, 1
	s_cmp_lg_u32 s7, s0
	s_cbranch_scc1 .LBB84_405
.LBB84_406:
	s_mov_b32 s0, exec_lo
	s_waitcnt lgkmcnt(0)
	v_cmpx_eq_f64_e32 0, v[0:1]
	s_xor_b32 s0, exec_lo, s0
; %bb.407:
	v_cmp_ne_u32_e32 vcc_lo, 0, v95
	v_cndmask_b32_e32 v95, 25, v95, vcc_lo
; %bb.408:
	s_andn2_saveexec_b32 s0, s0
	s_cbranch_execz .LBB84_410
; %bb.409:
	v_div_scale_f64 v[93:94], null, v[0:1], v[0:1], 1.0
	v_rcp_f64_e32 v[102:103], v[93:94]
	v_fma_f64 v[104:105], -v[93:94], v[102:103], 1.0
	v_fma_f64 v[102:103], v[102:103], v[104:105], v[102:103]
	v_fma_f64 v[104:105], -v[93:94], v[102:103], 1.0
	v_fma_f64 v[102:103], v[102:103], v[104:105], v[102:103]
	v_div_scale_f64 v[104:105], vcc_lo, 1.0, v[0:1], 1.0
	v_mul_f64 v[106:107], v[104:105], v[102:103]
	v_fma_f64 v[93:94], -v[93:94], v[106:107], v[104:105]
	v_div_fmas_f64 v[93:94], v[93:94], v[102:103], v[106:107]
	v_div_fixup_f64 v[0:1], v[93:94], v[0:1], 1.0
.LBB84_410:
	s_or_b32 exec_lo, exec_lo, s0
	s_mov_b32 s0, exec_lo
	v_cmpx_ne_u32_e64 v101, v92
	s_xor_b32 s0, exec_lo, s0
	s_cbranch_execz .LBB84_416
; %bb.411:
	s_mov_b32 s1, exec_lo
	v_cmpx_eq_u32_e32 24, v101
	s_cbranch_execz .LBB84_415
; %bb.412:
	v_cmp_ne_u32_e32 vcc_lo, 24, v92
	s_xor_b32 s2, s6, -1
	s_and_b32 s3, s2, vcc_lo
	s_and_saveexec_b32 s2, s3
	s_cbranch_execz .LBB84_414
; %bb.413:
	v_ashrrev_i32_e32 v93, 31, v92
	v_lshlrev_b64 v[93:94], 2, v[92:93]
	v_add_co_u32 v93, vcc_lo, v4, v93
	v_add_co_ci_u32_e64 v94, null, v5, v94, vcc_lo
	s_clause 0x1
	global_load_dword v100, v[93:94], off
	global_load_dword v101, v[4:5], off offset:96
	s_waitcnt vmcnt(1)
	global_store_dword v[4:5], v100, off offset:96
	s_waitcnt vmcnt(0)
	global_store_dword v[93:94], v101, off
.LBB84_414:
	s_or_b32 exec_lo, exec_lo, s2
	v_mov_b32_e32 v100, v92
	v_mov_b32_e32 v101, v92
.LBB84_415:
	s_or_b32 exec_lo, exec_lo, s1
.LBB84_416:
	s_andn2_saveexec_b32 s0, s0
	s_cbranch_execz .LBB84_418
; %bb.417:
	v_mov_b32_e32 v101, 24
	ds_write2_b64 v98, v[38:39], v[36:37] offset0:25 offset1:26
	ds_write2_b64 v98, v[34:35], v[32:33] offset0:27 offset1:28
	;; [unrolled: 1-line block ×9, first 2 shown]
.LBB84_418:
	s_or_b32 exec_lo, exec_lo, s0
	s_mov_b32 s0, exec_lo
	s_waitcnt lgkmcnt(0)
	s_waitcnt_vscnt null, 0x0
	s_barrier
	buffer_gl0_inv
	v_cmpx_lt_i32_e32 24, v101
	s_cbranch_execz .LBB84_420
; %bb.419:
	v_mul_f64 v[40:41], v[0:1], v[40:41]
	ds_read2_b64 v[102:105], v98 offset0:25 offset1:26
	ds_read2_b64 v[106:109], v98 offset0:27 offset1:28
	;; [unrolled: 1-line block ×9, first 2 shown]
	s_waitcnt lgkmcnt(8)
	v_fma_f64 v[38:39], -v[40:41], v[102:103], v[38:39]
	v_fma_f64 v[36:37], -v[40:41], v[104:105], v[36:37]
	s_waitcnt lgkmcnt(7)
	v_fma_f64 v[34:35], -v[40:41], v[106:107], v[34:35]
	v_fma_f64 v[32:33], -v[40:41], v[108:109], v[32:33]
	s_waitcnt lgkmcnt(6)
	v_fma_f64 v[28:29], -v[40:41], v[110:111], v[28:29]
	v_fma_f64 v[30:31], -v[40:41], v[112:113], v[30:31]
	s_waitcnt lgkmcnt(5)
	v_fma_f64 v[24:25], -v[40:41], v[114:115], v[24:25]
	v_fma_f64 v[26:27], -v[40:41], v[116:117], v[26:27]
	s_waitcnt lgkmcnt(4)
	v_fma_f64 v[22:23], -v[40:41], v[118:119], v[22:23]
	v_fma_f64 v[20:21], -v[40:41], v[120:121], v[20:21]
	s_waitcnt lgkmcnt(3)
	v_fma_f64 v[18:19], -v[40:41], v[122:123], v[18:19]
	v_fma_f64 v[16:17], -v[40:41], v[124:125], v[16:17]
	s_waitcnt lgkmcnt(2)
	v_fma_f64 v[14:15], -v[40:41], v[126:127], v[14:15]
	v_fma_f64 v[12:13], -v[40:41], v[128:129], v[12:13]
	s_waitcnt lgkmcnt(1)
	v_fma_f64 v[8:9], -v[40:41], v[130:131], v[8:9]
	v_fma_f64 v[10:11], -v[40:41], v[132:133], v[10:11]
	s_waitcnt lgkmcnt(0)
	v_fma_f64 v[6:7], -v[40:41], v[134:135], v[6:7]
	v_fma_f64 v[90:91], -v[40:41], v[136:137], v[90:91]
.LBB84_420:
	s_or_b32 exec_lo, exec_lo, s0
	v_lshl_add_u32 v0, v101, 3, v98
	s_barrier
	buffer_gl0_inv
	v_mov_b32_e32 v92, 25
	ds_write_b64 v0, v[38:39]
	s_waitcnt lgkmcnt(0)
	s_barrier
	buffer_gl0_inv
	ds_read_b64 v[0:1], v98 offset:200
	s_cmp_lt_i32 s7, 27
	s_cbranch_scc1 .LBB84_423
; %bb.421:
	v_add3_u32 v93, v99, 0, 0xd0
	v_mov_b32_e32 v92, 25
	s_mov_b32 s0, 26
.LBB84_422:                             ; =>This Inner Loop Header: Depth=1
	ds_read_b64 v[102:103], v93
	v_add_nc_u32_e32 v93, 8, v93
	s_waitcnt lgkmcnt(0)
	v_cmp_lt_f64_e64 vcc_lo, |v[0:1]|, |v[102:103]|
	v_cndmask_b32_e32 v1, v1, v103, vcc_lo
	v_cndmask_b32_e32 v0, v0, v102, vcc_lo
	v_cndmask_b32_e64 v92, v92, s0, vcc_lo
	s_add_i32 s0, s0, 1
	s_cmp_lg_u32 s7, s0
	s_cbranch_scc1 .LBB84_422
.LBB84_423:
	s_mov_b32 s0, exec_lo
	s_waitcnt lgkmcnt(0)
	v_cmpx_eq_f64_e32 0, v[0:1]
	s_xor_b32 s0, exec_lo, s0
; %bb.424:
	v_cmp_ne_u32_e32 vcc_lo, 0, v95
	v_cndmask_b32_e32 v95, 26, v95, vcc_lo
; %bb.425:
	s_andn2_saveexec_b32 s0, s0
	s_cbranch_execz .LBB84_427
; %bb.426:
	v_div_scale_f64 v[93:94], null, v[0:1], v[0:1], 1.0
	v_rcp_f64_e32 v[102:103], v[93:94]
	v_fma_f64 v[104:105], -v[93:94], v[102:103], 1.0
	v_fma_f64 v[102:103], v[102:103], v[104:105], v[102:103]
	v_fma_f64 v[104:105], -v[93:94], v[102:103], 1.0
	v_fma_f64 v[102:103], v[102:103], v[104:105], v[102:103]
	v_div_scale_f64 v[104:105], vcc_lo, 1.0, v[0:1], 1.0
	v_mul_f64 v[106:107], v[104:105], v[102:103]
	v_fma_f64 v[93:94], -v[93:94], v[106:107], v[104:105]
	v_div_fmas_f64 v[93:94], v[93:94], v[102:103], v[106:107]
	v_div_fixup_f64 v[0:1], v[93:94], v[0:1], 1.0
.LBB84_427:
	s_or_b32 exec_lo, exec_lo, s0
	s_mov_b32 s0, exec_lo
	v_cmpx_ne_u32_e64 v101, v92
	s_xor_b32 s0, exec_lo, s0
	s_cbranch_execz .LBB84_433
; %bb.428:
	s_mov_b32 s1, exec_lo
	v_cmpx_eq_u32_e32 25, v101
	s_cbranch_execz .LBB84_432
; %bb.429:
	v_cmp_ne_u32_e32 vcc_lo, 25, v92
	s_xor_b32 s2, s6, -1
	s_and_b32 s3, s2, vcc_lo
	s_and_saveexec_b32 s2, s3
	s_cbranch_execz .LBB84_431
; %bb.430:
	v_ashrrev_i32_e32 v93, 31, v92
	v_lshlrev_b64 v[93:94], 2, v[92:93]
	v_add_co_u32 v93, vcc_lo, v4, v93
	v_add_co_ci_u32_e64 v94, null, v5, v94, vcc_lo
	s_clause 0x1
	global_load_dword v100, v[93:94], off
	global_load_dword v101, v[4:5], off offset:100
	s_waitcnt vmcnt(1)
	global_store_dword v[4:5], v100, off offset:100
	s_waitcnt vmcnt(0)
	global_store_dword v[93:94], v101, off
.LBB84_431:
	s_or_b32 exec_lo, exec_lo, s2
	v_mov_b32_e32 v100, v92
	v_mov_b32_e32 v101, v92
.LBB84_432:
	s_or_b32 exec_lo, exec_lo, s1
.LBB84_433:
	s_andn2_saveexec_b32 s0, s0
	s_cbranch_execz .LBB84_435
; %bb.434:
	v_mov_b32_e32 v92, v36
	v_mov_b32_e32 v93, v37
	;; [unrolled: 1-line block ×16, first 2 shown]
	ds_write2_b64 v98, v[92:93], v[101:102] offset0:26 offset1:27
	ds_write2_b64 v98, v[103:104], v[105:106] offset0:28 offset1:29
	;; [unrolled: 1-line block ×4, first 2 shown]
	v_mov_b32_e32 v92, v20
	v_mov_b32_e32 v93, v21
	;; [unrolled: 1-line block ×8, first 2 shown]
	ds_write2_b64 v98, v[92:93], v[101:102] offset0:34 offset1:35
	v_mov_b32_e32 v101, 25
	v_mov_b32_e32 v107, v12
	;; [unrolled: 1-line block ×9, first 2 shown]
	ds_write2_b64 v98, v[103:104], v[105:106] offset0:36 offset1:37
	ds_write2_b64 v98, v[107:108], v[109:110] offset0:38 offset1:39
	;; [unrolled: 1-line block ×3, first 2 shown]
	ds_write_b64 v98, v[90:91] offset:336
.LBB84_435:
	s_or_b32 exec_lo, exec_lo, s0
	s_mov_b32 s0, exec_lo
	s_waitcnt lgkmcnt(0)
	s_waitcnt_vscnt null, 0x0
	s_barrier
	buffer_gl0_inv
	v_cmpx_lt_i32_e32 25, v101
	s_cbranch_execz .LBB84_437
; %bb.436:
	v_mul_f64 v[38:39], v[0:1], v[38:39]
	ds_read2_b64 v[102:105], v98 offset0:26 offset1:27
	ds_read2_b64 v[106:109], v98 offset0:28 offset1:29
	;; [unrolled: 1-line block ×8, first 2 shown]
	ds_read_b64 v[0:1], v98 offset:336
	s_waitcnt lgkmcnt(8)
	v_fma_f64 v[36:37], -v[38:39], v[102:103], v[36:37]
	v_fma_f64 v[34:35], -v[38:39], v[104:105], v[34:35]
	s_waitcnt lgkmcnt(7)
	v_fma_f64 v[32:33], -v[38:39], v[106:107], v[32:33]
	v_fma_f64 v[28:29], -v[38:39], v[108:109], v[28:29]
	;; [unrolled: 3-line block ×8, first 2 shown]
	s_waitcnt lgkmcnt(0)
	v_fma_f64 v[90:91], -v[38:39], v[0:1], v[90:91]
.LBB84_437:
	s_or_b32 exec_lo, exec_lo, s0
	v_lshl_add_u32 v0, v101, 3, v98
	s_barrier
	buffer_gl0_inv
	v_mov_b32_e32 v92, 26
	ds_write_b64 v0, v[36:37]
	s_waitcnt lgkmcnt(0)
	s_barrier
	buffer_gl0_inv
	ds_read_b64 v[0:1], v98 offset:208
	s_cmp_lt_i32 s7, 28
	s_cbranch_scc1 .LBB84_440
; %bb.438:
	v_add3_u32 v93, v99, 0, 0xd8
	v_mov_b32_e32 v92, 26
	s_mov_b32 s0, 27
.LBB84_439:                             ; =>This Inner Loop Header: Depth=1
	ds_read_b64 v[102:103], v93
	v_add_nc_u32_e32 v93, 8, v93
	s_waitcnt lgkmcnt(0)
	v_cmp_lt_f64_e64 vcc_lo, |v[0:1]|, |v[102:103]|
	v_cndmask_b32_e32 v1, v1, v103, vcc_lo
	v_cndmask_b32_e32 v0, v0, v102, vcc_lo
	v_cndmask_b32_e64 v92, v92, s0, vcc_lo
	s_add_i32 s0, s0, 1
	s_cmp_lg_u32 s7, s0
	s_cbranch_scc1 .LBB84_439
.LBB84_440:
	s_mov_b32 s0, exec_lo
	s_waitcnt lgkmcnt(0)
	v_cmpx_eq_f64_e32 0, v[0:1]
	s_xor_b32 s0, exec_lo, s0
; %bb.441:
	v_cmp_ne_u32_e32 vcc_lo, 0, v95
	v_cndmask_b32_e32 v95, 27, v95, vcc_lo
; %bb.442:
	s_andn2_saveexec_b32 s0, s0
	s_cbranch_execz .LBB84_444
; %bb.443:
	v_div_scale_f64 v[93:94], null, v[0:1], v[0:1], 1.0
	v_rcp_f64_e32 v[102:103], v[93:94]
	v_fma_f64 v[104:105], -v[93:94], v[102:103], 1.0
	v_fma_f64 v[102:103], v[102:103], v[104:105], v[102:103]
	v_fma_f64 v[104:105], -v[93:94], v[102:103], 1.0
	v_fma_f64 v[102:103], v[102:103], v[104:105], v[102:103]
	v_div_scale_f64 v[104:105], vcc_lo, 1.0, v[0:1], 1.0
	v_mul_f64 v[106:107], v[104:105], v[102:103]
	v_fma_f64 v[93:94], -v[93:94], v[106:107], v[104:105]
	v_div_fmas_f64 v[93:94], v[93:94], v[102:103], v[106:107]
	v_div_fixup_f64 v[0:1], v[93:94], v[0:1], 1.0
.LBB84_444:
	s_or_b32 exec_lo, exec_lo, s0
	s_mov_b32 s0, exec_lo
	v_cmpx_ne_u32_e64 v101, v92
	s_xor_b32 s0, exec_lo, s0
	s_cbranch_execz .LBB84_450
; %bb.445:
	s_mov_b32 s1, exec_lo
	v_cmpx_eq_u32_e32 26, v101
	s_cbranch_execz .LBB84_449
; %bb.446:
	v_cmp_ne_u32_e32 vcc_lo, 26, v92
	s_xor_b32 s2, s6, -1
	s_and_b32 s3, s2, vcc_lo
	s_and_saveexec_b32 s2, s3
	s_cbranch_execz .LBB84_448
; %bb.447:
	v_ashrrev_i32_e32 v93, 31, v92
	v_lshlrev_b64 v[93:94], 2, v[92:93]
	v_add_co_u32 v93, vcc_lo, v4, v93
	v_add_co_ci_u32_e64 v94, null, v5, v94, vcc_lo
	s_clause 0x1
	global_load_dword v100, v[93:94], off
	global_load_dword v101, v[4:5], off offset:104
	s_waitcnt vmcnt(1)
	global_store_dword v[4:5], v100, off offset:104
	s_waitcnt vmcnt(0)
	global_store_dword v[93:94], v101, off
.LBB84_448:
	s_or_b32 exec_lo, exec_lo, s2
	v_mov_b32_e32 v100, v92
	v_mov_b32_e32 v101, v92
.LBB84_449:
	s_or_b32 exec_lo, exec_lo, s1
.LBB84_450:
	s_andn2_saveexec_b32 s0, s0
	s_cbranch_execz .LBB84_452
; %bb.451:
	v_mov_b32_e32 v101, 26
	ds_write2_b64 v98, v[34:35], v[32:33] offset0:27 offset1:28
	ds_write2_b64 v98, v[28:29], v[30:31] offset0:29 offset1:30
	;; [unrolled: 1-line block ×8, first 2 shown]
.LBB84_452:
	s_or_b32 exec_lo, exec_lo, s0
	s_mov_b32 s0, exec_lo
	s_waitcnt lgkmcnt(0)
	s_waitcnt_vscnt null, 0x0
	s_barrier
	buffer_gl0_inv
	v_cmpx_lt_i32_e32 26, v101
	s_cbranch_execz .LBB84_454
; %bb.453:
	v_mul_f64 v[36:37], v[0:1], v[36:37]
	ds_read2_b64 v[102:105], v98 offset0:27 offset1:28
	ds_read2_b64 v[106:109], v98 offset0:29 offset1:30
	;; [unrolled: 1-line block ×8, first 2 shown]
	s_waitcnt lgkmcnt(7)
	v_fma_f64 v[34:35], -v[36:37], v[102:103], v[34:35]
	v_fma_f64 v[32:33], -v[36:37], v[104:105], v[32:33]
	s_waitcnt lgkmcnt(6)
	v_fma_f64 v[28:29], -v[36:37], v[106:107], v[28:29]
	v_fma_f64 v[30:31], -v[36:37], v[108:109], v[30:31]
	;; [unrolled: 3-line block ×8, first 2 shown]
.LBB84_454:
	s_or_b32 exec_lo, exec_lo, s0
	v_lshl_add_u32 v0, v101, 3, v98
	s_barrier
	buffer_gl0_inv
	v_mov_b32_e32 v92, 27
	ds_write_b64 v0, v[34:35]
	s_waitcnt lgkmcnt(0)
	s_barrier
	buffer_gl0_inv
	ds_read_b64 v[0:1], v98 offset:216
	s_cmp_lt_i32 s7, 29
	s_cbranch_scc1 .LBB84_457
; %bb.455:
	v_add3_u32 v93, v99, 0, 0xe0
	v_mov_b32_e32 v92, 27
	s_mov_b32 s0, 28
.LBB84_456:                             ; =>This Inner Loop Header: Depth=1
	ds_read_b64 v[102:103], v93
	v_add_nc_u32_e32 v93, 8, v93
	s_waitcnt lgkmcnt(0)
	v_cmp_lt_f64_e64 vcc_lo, |v[0:1]|, |v[102:103]|
	v_cndmask_b32_e32 v1, v1, v103, vcc_lo
	v_cndmask_b32_e32 v0, v0, v102, vcc_lo
	v_cndmask_b32_e64 v92, v92, s0, vcc_lo
	s_add_i32 s0, s0, 1
	s_cmp_lg_u32 s7, s0
	s_cbranch_scc1 .LBB84_456
.LBB84_457:
	s_mov_b32 s0, exec_lo
	s_waitcnt lgkmcnt(0)
	v_cmpx_eq_f64_e32 0, v[0:1]
	s_xor_b32 s0, exec_lo, s0
; %bb.458:
	v_cmp_ne_u32_e32 vcc_lo, 0, v95
	v_cndmask_b32_e32 v95, 28, v95, vcc_lo
; %bb.459:
	s_andn2_saveexec_b32 s0, s0
	s_cbranch_execz .LBB84_461
; %bb.460:
	v_div_scale_f64 v[93:94], null, v[0:1], v[0:1], 1.0
	v_rcp_f64_e32 v[102:103], v[93:94]
	v_fma_f64 v[104:105], -v[93:94], v[102:103], 1.0
	v_fma_f64 v[102:103], v[102:103], v[104:105], v[102:103]
	v_fma_f64 v[104:105], -v[93:94], v[102:103], 1.0
	v_fma_f64 v[102:103], v[102:103], v[104:105], v[102:103]
	v_div_scale_f64 v[104:105], vcc_lo, 1.0, v[0:1], 1.0
	v_mul_f64 v[106:107], v[104:105], v[102:103]
	v_fma_f64 v[93:94], -v[93:94], v[106:107], v[104:105]
	v_div_fmas_f64 v[93:94], v[93:94], v[102:103], v[106:107]
	v_div_fixup_f64 v[0:1], v[93:94], v[0:1], 1.0
.LBB84_461:
	s_or_b32 exec_lo, exec_lo, s0
	s_mov_b32 s0, exec_lo
	v_cmpx_ne_u32_e64 v101, v92
	s_xor_b32 s0, exec_lo, s0
	s_cbranch_execz .LBB84_467
; %bb.462:
	s_mov_b32 s1, exec_lo
	v_cmpx_eq_u32_e32 27, v101
	s_cbranch_execz .LBB84_466
; %bb.463:
	v_cmp_ne_u32_e32 vcc_lo, 27, v92
	s_xor_b32 s2, s6, -1
	s_and_b32 s3, s2, vcc_lo
	s_and_saveexec_b32 s2, s3
	s_cbranch_execz .LBB84_465
; %bb.464:
	v_ashrrev_i32_e32 v93, 31, v92
	v_lshlrev_b64 v[93:94], 2, v[92:93]
	v_add_co_u32 v93, vcc_lo, v4, v93
	v_add_co_ci_u32_e64 v94, null, v5, v94, vcc_lo
	s_clause 0x1
	global_load_dword v100, v[93:94], off
	global_load_dword v101, v[4:5], off offset:108
	s_waitcnt vmcnt(1)
	global_store_dword v[4:5], v100, off offset:108
	s_waitcnt vmcnt(0)
	global_store_dword v[93:94], v101, off
.LBB84_465:
	s_or_b32 exec_lo, exec_lo, s2
	v_mov_b32_e32 v100, v92
	v_mov_b32_e32 v101, v92
.LBB84_466:
	s_or_b32 exec_lo, exec_lo, s1
.LBB84_467:
	s_andn2_saveexec_b32 s0, s0
	s_cbranch_execz .LBB84_469
; %bb.468:
	v_mov_b32_e32 v92, v32
	v_mov_b32_e32 v93, v33
	;; [unrolled: 1-line block ×12, first 2 shown]
	ds_write2_b64 v98, v[92:93], v[101:102] offset0:28 offset1:29
	ds_write2_b64 v98, v[103:104], v[105:106] offset0:30 offset1:31
	;; [unrolled: 1-line block ×3, first 2 shown]
	v_mov_b32_e32 v92, v20
	v_mov_b32_e32 v93, v21
	;; [unrolled: 1-line block ×8, first 2 shown]
	ds_write2_b64 v98, v[92:93], v[101:102] offset0:34 offset1:35
	v_mov_b32_e32 v101, 27
	v_mov_b32_e32 v107, v12
	;; [unrolled: 1-line block ×9, first 2 shown]
	ds_write2_b64 v98, v[103:104], v[105:106] offset0:36 offset1:37
	ds_write2_b64 v98, v[107:108], v[109:110] offset0:38 offset1:39
	;; [unrolled: 1-line block ×3, first 2 shown]
	ds_write_b64 v98, v[90:91] offset:336
.LBB84_469:
	s_or_b32 exec_lo, exec_lo, s0
	s_mov_b32 s0, exec_lo
	s_waitcnt lgkmcnt(0)
	s_waitcnt_vscnt null, 0x0
	s_barrier
	buffer_gl0_inv
	v_cmpx_lt_i32_e32 27, v101
	s_cbranch_execz .LBB84_471
; %bb.470:
	v_mul_f64 v[34:35], v[0:1], v[34:35]
	ds_read2_b64 v[102:105], v98 offset0:28 offset1:29
	ds_read2_b64 v[106:109], v98 offset0:30 offset1:31
	;; [unrolled: 1-line block ×7, first 2 shown]
	ds_read_b64 v[0:1], v98 offset:336
	s_waitcnt lgkmcnt(7)
	v_fma_f64 v[32:33], -v[34:35], v[102:103], v[32:33]
	v_fma_f64 v[28:29], -v[34:35], v[104:105], v[28:29]
	s_waitcnt lgkmcnt(6)
	v_fma_f64 v[30:31], -v[34:35], v[106:107], v[30:31]
	v_fma_f64 v[24:25], -v[34:35], v[108:109], v[24:25]
	;; [unrolled: 3-line block ×7, first 2 shown]
	s_waitcnt lgkmcnt(0)
	v_fma_f64 v[90:91], -v[34:35], v[0:1], v[90:91]
.LBB84_471:
	s_or_b32 exec_lo, exec_lo, s0
	v_lshl_add_u32 v0, v101, 3, v98
	s_barrier
	buffer_gl0_inv
	v_mov_b32_e32 v92, 28
	ds_write_b64 v0, v[32:33]
	s_waitcnt lgkmcnt(0)
	s_barrier
	buffer_gl0_inv
	ds_read_b64 v[0:1], v98 offset:224
	s_cmp_lt_i32 s7, 30
	s_cbranch_scc1 .LBB84_474
; %bb.472:
	v_add3_u32 v93, v99, 0, 0xe8
	v_mov_b32_e32 v92, 28
	s_mov_b32 s0, 29
.LBB84_473:                             ; =>This Inner Loop Header: Depth=1
	ds_read_b64 v[102:103], v93
	v_add_nc_u32_e32 v93, 8, v93
	s_waitcnt lgkmcnt(0)
	v_cmp_lt_f64_e64 vcc_lo, |v[0:1]|, |v[102:103]|
	v_cndmask_b32_e32 v1, v1, v103, vcc_lo
	v_cndmask_b32_e32 v0, v0, v102, vcc_lo
	v_cndmask_b32_e64 v92, v92, s0, vcc_lo
	s_add_i32 s0, s0, 1
	s_cmp_lg_u32 s7, s0
	s_cbranch_scc1 .LBB84_473
.LBB84_474:
	s_mov_b32 s0, exec_lo
	s_waitcnt lgkmcnt(0)
	v_cmpx_eq_f64_e32 0, v[0:1]
	s_xor_b32 s0, exec_lo, s0
; %bb.475:
	v_cmp_ne_u32_e32 vcc_lo, 0, v95
	v_cndmask_b32_e32 v95, 29, v95, vcc_lo
; %bb.476:
	s_andn2_saveexec_b32 s0, s0
	s_cbranch_execz .LBB84_478
; %bb.477:
	v_div_scale_f64 v[93:94], null, v[0:1], v[0:1], 1.0
	v_rcp_f64_e32 v[102:103], v[93:94]
	v_fma_f64 v[104:105], -v[93:94], v[102:103], 1.0
	v_fma_f64 v[102:103], v[102:103], v[104:105], v[102:103]
	v_fma_f64 v[104:105], -v[93:94], v[102:103], 1.0
	v_fma_f64 v[102:103], v[102:103], v[104:105], v[102:103]
	v_div_scale_f64 v[104:105], vcc_lo, 1.0, v[0:1], 1.0
	v_mul_f64 v[106:107], v[104:105], v[102:103]
	v_fma_f64 v[93:94], -v[93:94], v[106:107], v[104:105]
	v_div_fmas_f64 v[93:94], v[93:94], v[102:103], v[106:107]
	v_div_fixup_f64 v[0:1], v[93:94], v[0:1], 1.0
.LBB84_478:
	s_or_b32 exec_lo, exec_lo, s0
	s_mov_b32 s0, exec_lo
	v_cmpx_ne_u32_e64 v101, v92
	s_xor_b32 s0, exec_lo, s0
	s_cbranch_execz .LBB84_484
; %bb.479:
	s_mov_b32 s1, exec_lo
	v_cmpx_eq_u32_e32 28, v101
	s_cbranch_execz .LBB84_483
; %bb.480:
	v_cmp_ne_u32_e32 vcc_lo, 28, v92
	s_xor_b32 s2, s6, -1
	s_and_b32 s3, s2, vcc_lo
	s_and_saveexec_b32 s2, s3
	s_cbranch_execz .LBB84_482
; %bb.481:
	v_ashrrev_i32_e32 v93, 31, v92
	v_lshlrev_b64 v[93:94], 2, v[92:93]
	v_add_co_u32 v93, vcc_lo, v4, v93
	v_add_co_ci_u32_e64 v94, null, v5, v94, vcc_lo
	s_clause 0x1
	global_load_dword v100, v[93:94], off
	global_load_dword v101, v[4:5], off offset:112
	s_waitcnt vmcnt(1)
	global_store_dword v[4:5], v100, off offset:112
	s_waitcnt vmcnt(0)
	global_store_dword v[93:94], v101, off
.LBB84_482:
	s_or_b32 exec_lo, exec_lo, s2
	v_mov_b32_e32 v100, v92
	v_mov_b32_e32 v101, v92
.LBB84_483:
	s_or_b32 exec_lo, exec_lo, s1
.LBB84_484:
	s_andn2_saveexec_b32 s0, s0
	s_cbranch_execz .LBB84_486
; %bb.485:
	v_mov_b32_e32 v101, 28
	ds_write2_b64 v98, v[28:29], v[30:31] offset0:29 offset1:30
	ds_write2_b64 v98, v[24:25], v[26:27] offset0:31 offset1:32
	;; [unrolled: 1-line block ×7, first 2 shown]
.LBB84_486:
	s_or_b32 exec_lo, exec_lo, s0
	s_mov_b32 s0, exec_lo
	s_waitcnt lgkmcnt(0)
	s_waitcnt_vscnt null, 0x0
	s_barrier
	buffer_gl0_inv
	v_cmpx_lt_i32_e32 28, v101
	s_cbranch_execz .LBB84_488
; %bb.487:
	v_mul_f64 v[32:33], v[0:1], v[32:33]
	ds_read2_b64 v[102:105], v98 offset0:29 offset1:30
	ds_read2_b64 v[106:109], v98 offset0:31 offset1:32
	;; [unrolled: 1-line block ×7, first 2 shown]
	s_waitcnt lgkmcnt(6)
	v_fma_f64 v[28:29], -v[32:33], v[102:103], v[28:29]
	v_fma_f64 v[30:31], -v[32:33], v[104:105], v[30:31]
	s_waitcnt lgkmcnt(5)
	v_fma_f64 v[24:25], -v[32:33], v[106:107], v[24:25]
	v_fma_f64 v[26:27], -v[32:33], v[108:109], v[26:27]
	;; [unrolled: 3-line block ×7, first 2 shown]
.LBB84_488:
	s_or_b32 exec_lo, exec_lo, s0
	v_lshl_add_u32 v0, v101, 3, v98
	s_barrier
	buffer_gl0_inv
	v_mov_b32_e32 v92, 29
	ds_write_b64 v0, v[28:29]
	s_waitcnt lgkmcnt(0)
	s_barrier
	buffer_gl0_inv
	ds_read_b64 v[0:1], v98 offset:232
	s_cmp_lt_i32 s7, 31
	s_cbranch_scc1 .LBB84_491
; %bb.489:
	v_add3_u32 v93, v99, 0, 0xf0
	v_mov_b32_e32 v92, 29
	s_mov_b32 s0, 30
.LBB84_490:                             ; =>This Inner Loop Header: Depth=1
	ds_read_b64 v[102:103], v93
	v_add_nc_u32_e32 v93, 8, v93
	s_waitcnt lgkmcnt(0)
	v_cmp_lt_f64_e64 vcc_lo, |v[0:1]|, |v[102:103]|
	v_cndmask_b32_e32 v1, v1, v103, vcc_lo
	v_cndmask_b32_e32 v0, v0, v102, vcc_lo
	v_cndmask_b32_e64 v92, v92, s0, vcc_lo
	s_add_i32 s0, s0, 1
	s_cmp_lg_u32 s7, s0
	s_cbranch_scc1 .LBB84_490
.LBB84_491:
	s_mov_b32 s0, exec_lo
	s_waitcnt lgkmcnt(0)
	v_cmpx_eq_f64_e32 0, v[0:1]
	s_xor_b32 s0, exec_lo, s0
; %bb.492:
	v_cmp_ne_u32_e32 vcc_lo, 0, v95
	v_cndmask_b32_e32 v95, 30, v95, vcc_lo
; %bb.493:
	s_andn2_saveexec_b32 s0, s0
	s_cbranch_execz .LBB84_495
; %bb.494:
	v_div_scale_f64 v[93:94], null, v[0:1], v[0:1], 1.0
	v_rcp_f64_e32 v[102:103], v[93:94]
	v_fma_f64 v[104:105], -v[93:94], v[102:103], 1.0
	v_fma_f64 v[102:103], v[102:103], v[104:105], v[102:103]
	v_fma_f64 v[104:105], -v[93:94], v[102:103], 1.0
	v_fma_f64 v[102:103], v[102:103], v[104:105], v[102:103]
	v_div_scale_f64 v[104:105], vcc_lo, 1.0, v[0:1], 1.0
	v_mul_f64 v[106:107], v[104:105], v[102:103]
	v_fma_f64 v[93:94], -v[93:94], v[106:107], v[104:105]
	v_div_fmas_f64 v[93:94], v[93:94], v[102:103], v[106:107]
	v_div_fixup_f64 v[0:1], v[93:94], v[0:1], 1.0
.LBB84_495:
	s_or_b32 exec_lo, exec_lo, s0
	s_mov_b32 s0, exec_lo
	v_cmpx_ne_u32_e64 v101, v92
	s_xor_b32 s0, exec_lo, s0
	s_cbranch_execz .LBB84_501
; %bb.496:
	s_mov_b32 s1, exec_lo
	v_cmpx_eq_u32_e32 29, v101
	s_cbranch_execz .LBB84_500
; %bb.497:
	v_cmp_ne_u32_e32 vcc_lo, 29, v92
	s_xor_b32 s2, s6, -1
	s_and_b32 s3, s2, vcc_lo
	s_and_saveexec_b32 s2, s3
	s_cbranch_execz .LBB84_499
; %bb.498:
	v_ashrrev_i32_e32 v93, 31, v92
	v_lshlrev_b64 v[93:94], 2, v[92:93]
	v_add_co_u32 v93, vcc_lo, v4, v93
	v_add_co_ci_u32_e64 v94, null, v5, v94, vcc_lo
	s_clause 0x1
	global_load_dword v100, v[93:94], off
	global_load_dword v101, v[4:5], off offset:116
	s_waitcnt vmcnt(1)
	global_store_dword v[4:5], v100, off offset:116
	s_waitcnt vmcnt(0)
	global_store_dword v[93:94], v101, off
.LBB84_499:
	s_or_b32 exec_lo, exec_lo, s2
	v_mov_b32_e32 v100, v92
	v_mov_b32_e32 v101, v92
.LBB84_500:
	s_or_b32 exec_lo, exec_lo, s1
.LBB84_501:
	s_andn2_saveexec_b32 s0, s0
	s_cbranch_execz .LBB84_503
; %bb.502:
	v_mov_b32_e32 v92, v30
	v_mov_b32_e32 v93, v31
	;; [unrolled: 1-line block ×8, first 2 shown]
	ds_write2_b64 v98, v[92:93], v[101:102] offset0:30 offset1:31
	ds_write2_b64 v98, v[103:104], v[105:106] offset0:32 offset1:33
	v_mov_b32_e32 v92, v20
	v_mov_b32_e32 v93, v21
	;; [unrolled: 1-line block ×8, first 2 shown]
	ds_write2_b64 v98, v[92:93], v[101:102] offset0:34 offset1:35
	v_mov_b32_e32 v101, 29
	v_mov_b32_e32 v107, v12
	;; [unrolled: 1-line block ×9, first 2 shown]
	ds_write2_b64 v98, v[103:104], v[105:106] offset0:36 offset1:37
	ds_write2_b64 v98, v[107:108], v[109:110] offset0:38 offset1:39
	;; [unrolled: 1-line block ×3, first 2 shown]
	ds_write_b64 v98, v[90:91] offset:336
.LBB84_503:
	s_or_b32 exec_lo, exec_lo, s0
	s_mov_b32 s0, exec_lo
	s_waitcnt lgkmcnt(0)
	s_waitcnt_vscnt null, 0x0
	s_barrier
	buffer_gl0_inv
	v_cmpx_lt_i32_e32 29, v101
	s_cbranch_execz .LBB84_505
; %bb.504:
	v_mul_f64 v[28:29], v[0:1], v[28:29]
	ds_read2_b64 v[102:105], v98 offset0:30 offset1:31
	ds_read2_b64 v[106:109], v98 offset0:32 offset1:33
	;; [unrolled: 1-line block ×6, first 2 shown]
	ds_read_b64 v[0:1], v98 offset:336
	s_waitcnt lgkmcnt(6)
	v_fma_f64 v[30:31], -v[28:29], v[102:103], v[30:31]
	v_fma_f64 v[24:25], -v[28:29], v[104:105], v[24:25]
	s_waitcnt lgkmcnt(5)
	v_fma_f64 v[26:27], -v[28:29], v[106:107], v[26:27]
	v_fma_f64 v[22:23], -v[28:29], v[108:109], v[22:23]
	;; [unrolled: 3-line block ×6, first 2 shown]
	s_waitcnt lgkmcnt(0)
	v_fma_f64 v[90:91], -v[28:29], v[0:1], v[90:91]
.LBB84_505:
	s_or_b32 exec_lo, exec_lo, s0
	v_lshl_add_u32 v0, v101, 3, v98
	s_barrier
	buffer_gl0_inv
	v_mov_b32_e32 v92, 30
	ds_write_b64 v0, v[30:31]
	s_waitcnt lgkmcnt(0)
	s_barrier
	buffer_gl0_inv
	ds_read_b64 v[0:1], v98 offset:240
	s_cmp_lt_i32 s7, 32
	s_cbranch_scc1 .LBB84_508
; %bb.506:
	v_add3_u32 v93, v99, 0, 0xf8
	v_mov_b32_e32 v92, 30
	s_mov_b32 s0, 31
.LBB84_507:                             ; =>This Inner Loop Header: Depth=1
	ds_read_b64 v[102:103], v93
	v_add_nc_u32_e32 v93, 8, v93
	s_waitcnt lgkmcnt(0)
	v_cmp_lt_f64_e64 vcc_lo, |v[0:1]|, |v[102:103]|
	v_cndmask_b32_e32 v1, v1, v103, vcc_lo
	v_cndmask_b32_e32 v0, v0, v102, vcc_lo
	v_cndmask_b32_e64 v92, v92, s0, vcc_lo
	s_add_i32 s0, s0, 1
	s_cmp_lg_u32 s7, s0
	s_cbranch_scc1 .LBB84_507
.LBB84_508:
	s_mov_b32 s0, exec_lo
	s_waitcnt lgkmcnt(0)
	v_cmpx_eq_f64_e32 0, v[0:1]
	s_xor_b32 s0, exec_lo, s0
; %bb.509:
	v_cmp_ne_u32_e32 vcc_lo, 0, v95
	v_cndmask_b32_e32 v95, 31, v95, vcc_lo
; %bb.510:
	s_andn2_saveexec_b32 s0, s0
	s_cbranch_execz .LBB84_512
; %bb.511:
	v_div_scale_f64 v[93:94], null, v[0:1], v[0:1], 1.0
	v_rcp_f64_e32 v[102:103], v[93:94]
	v_fma_f64 v[104:105], -v[93:94], v[102:103], 1.0
	v_fma_f64 v[102:103], v[102:103], v[104:105], v[102:103]
	v_fma_f64 v[104:105], -v[93:94], v[102:103], 1.0
	v_fma_f64 v[102:103], v[102:103], v[104:105], v[102:103]
	v_div_scale_f64 v[104:105], vcc_lo, 1.0, v[0:1], 1.0
	v_mul_f64 v[106:107], v[104:105], v[102:103]
	v_fma_f64 v[93:94], -v[93:94], v[106:107], v[104:105]
	v_div_fmas_f64 v[93:94], v[93:94], v[102:103], v[106:107]
	v_div_fixup_f64 v[0:1], v[93:94], v[0:1], 1.0
.LBB84_512:
	s_or_b32 exec_lo, exec_lo, s0
	s_mov_b32 s0, exec_lo
	v_cmpx_ne_u32_e64 v101, v92
	s_xor_b32 s0, exec_lo, s0
	s_cbranch_execz .LBB84_518
; %bb.513:
	s_mov_b32 s1, exec_lo
	v_cmpx_eq_u32_e32 30, v101
	s_cbranch_execz .LBB84_517
; %bb.514:
	v_cmp_ne_u32_e32 vcc_lo, 30, v92
	s_xor_b32 s2, s6, -1
	s_and_b32 s3, s2, vcc_lo
	s_and_saveexec_b32 s2, s3
	s_cbranch_execz .LBB84_516
; %bb.515:
	v_ashrrev_i32_e32 v93, 31, v92
	v_lshlrev_b64 v[93:94], 2, v[92:93]
	v_add_co_u32 v93, vcc_lo, v4, v93
	v_add_co_ci_u32_e64 v94, null, v5, v94, vcc_lo
	s_clause 0x1
	global_load_dword v100, v[93:94], off
	global_load_dword v101, v[4:5], off offset:120
	s_waitcnt vmcnt(1)
	global_store_dword v[4:5], v100, off offset:120
	s_waitcnt vmcnt(0)
	global_store_dword v[93:94], v101, off
.LBB84_516:
	s_or_b32 exec_lo, exec_lo, s2
	v_mov_b32_e32 v100, v92
	v_mov_b32_e32 v101, v92
.LBB84_517:
	s_or_b32 exec_lo, exec_lo, s1
.LBB84_518:
	s_andn2_saveexec_b32 s0, s0
	s_cbranch_execz .LBB84_520
; %bb.519:
	v_mov_b32_e32 v101, 30
	ds_write2_b64 v98, v[24:25], v[26:27] offset0:31 offset1:32
	ds_write2_b64 v98, v[22:23], v[20:21] offset0:33 offset1:34
	;; [unrolled: 1-line block ×6, first 2 shown]
.LBB84_520:
	s_or_b32 exec_lo, exec_lo, s0
	s_mov_b32 s0, exec_lo
	s_waitcnt lgkmcnt(0)
	s_waitcnt_vscnt null, 0x0
	s_barrier
	buffer_gl0_inv
	v_cmpx_lt_i32_e32 30, v101
	s_cbranch_execz .LBB84_522
; %bb.521:
	v_mul_f64 v[30:31], v[0:1], v[30:31]
	ds_read2_b64 v[102:105], v98 offset0:31 offset1:32
	ds_read2_b64 v[106:109], v98 offset0:33 offset1:34
	;; [unrolled: 1-line block ×6, first 2 shown]
	s_waitcnt lgkmcnt(5)
	v_fma_f64 v[24:25], -v[30:31], v[102:103], v[24:25]
	v_fma_f64 v[26:27], -v[30:31], v[104:105], v[26:27]
	s_waitcnt lgkmcnt(4)
	v_fma_f64 v[22:23], -v[30:31], v[106:107], v[22:23]
	v_fma_f64 v[20:21], -v[30:31], v[108:109], v[20:21]
	;; [unrolled: 3-line block ×6, first 2 shown]
.LBB84_522:
	s_or_b32 exec_lo, exec_lo, s0
	v_lshl_add_u32 v0, v101, 3, v98
	s_barrier
	buffer_gl0_inv
	v_mov_b32_e32 v92, 31
	ds_write_b64 v0, v[24:25]
	s_waitcnt lgkmcnt(0)
	s_barrier
	buffer_gl0_inv
	ds_read_b64 v[0:1], v98 offset:248
	s_cmp_lt_i32 s7, 33
	s_cbranch_scc1 .LBB84_525
; %bb.523:
	v_add3_u32 v93, v99, 0, 0x100
	v_mov_b32_e32 v92, 31
	s_mov_b32 s0, 32
.LBB84_524:                             ; =>This Inner Loop Header: Depth=1
	ds_read_b64 v[102:103], v93
	v_add_nc_u32_e32 v93, 8, v93
	s_waitcnt lgkmcnt(0)
	v_cmp_lt_f64_e64 vcc_lo, |v[0:1]|, |v[102:103]|
	v_cndmask_b32_e32 v1, v1, v103, vcc_lo
	v_cndmask_b32_e32 v0, v0, v102, vcc_lo
	v_cndmask_b32_e64 v92, v92, s0, vcc_lo
	s_add_i32 s0, s0, 1
	s_cmp_lg_u32 s7, s0
	s_cbranch_scc1 .LBB84_524
.LBB84_525:
	s_mov_b32 s0, exec_lo
	s_waitcnt lgkmcnt(0)
	v_cmpx_eq_f64_e32 0, v[0:1]
	s_xor_b32 s0, exec_lo, s0
; %bb.526:
	v_cmp_ne_u32_e32 vcc_lo, 0, v95
	v_cndmask_b32_e32 v95, 32, v95, vcc_lo
; %bb.527:
	s_andn2_saveexec_b32 s0, s0
	s_cbranch_execz .LBB84_529
; %bb.528:
	v_div_scale_f64 v[93:94], null, v[0:1], v[0:1], 1.0
	v_rcp_f64_e32 v[102:103], v[93:94]
	v_fma_f64 v[104:105], -v[93:94], v[102:103], 1.0
	v_fma_f64 v[102:103], v[102:103], v[104:105], v[102:103]
	v_fma_f64 v[104:105], -v[93:94], v[102:103], 1.0
	v_fma_f64 v[102:103], v[102:103], v[104:105], v[102:103]
	v_div_scale_f64 v[104:105], vcc_lo, 1.0, v[0:1], 1.0
	v_mul_f64 v[106:107], v[104:105], v[102:103]
	v_fma_f64 v[93:94], -v[93:94], v[106:107], v[104:105]
	v_div_fmas_f64 v[93:94], v[93:94], v[102:103], v[106:107]
	v_div_fixup_f64 v[0:1], v[93:94], v[0:1], 1.0
.LBB84_529:
	s_or_b32 exec_lo, exec_lo, s0
	s_mov_b32 s0, exec_lo
	v_cmpx_ne_u32_e64 v101, v92
	s_xor_b32 s0, exec_lo, s0
	s_cbranch_execz .LBB84_535
; %bb.530:
	s_mov_b32 s1, exec_lo
	v_cmpx_eq_u32_e32 31, v101
	s_cbranch_execz .LBB84_534
; %bb.531:
	v_cmp_ne_u32_e32 vcc_lo, 31, v92
	s_xor_b32 s2, s6, -1
	s_and_b32 s3, s2, vcc_lo
	s_and_saveexec_b32 s2, s3
	s_cbranch_execz .LBB84_533
; %bb.532:
	v_ashrrev_i32_e32 v93, 31, v92
	v_lshlrev_b64 v[93:94], 2, v[92:93]
	v_add_co_u32 v93, vcc_lo, v4, v93
	v_add_co_ci_u32_e64 v94, null, v5, v94, vcc_lo
	s_clause 0x1
	global_load_dword v100, v[93:94], off
	global_load_dword v101, v[4:5], off offset:124
	s_waitcnt vmcnt(1)
	global_store_dword v[4:5], v100, off offset:124
	s_waitcnt vmcnt(0)
	global_store_dword v[93:94], v101, off
.LBB84_533:
	s_or_b32 exec_lo, exec_lo, s2
	v_mov_b32_e32 v100, v92
	v_mov_b32_e32 v101, v92
.LBB84_534:
	s_or_b32 exec_lo, exec_lo, s1
.LBB84_535:
	s_andn2_saveexec_b32 s0, s0
	s_cbranch_execz .LBB84_537
; %bb.536:
	v_mov_b32_e32 v92, v26
	v_mov_b32_e32 v93, v27
	;; [unrolled: 1-line block ×8, first 2 shown]
	ds_write2_b64 v98, v[92:93], v[101:102] offset0:32 offset1:33
	v_mov_b32_e32 v92, v18
	v_mov_b32_e32 v93, v19
	;; [unrolled: 1-line block ×13, first 2 shown]
	ds_write2_b64 v98, v[103:104], v[92:93] offset0:34 offset1:35
	ds_write2_b64 v98, v[105:106], v[107:108] offset0:36 offset1:37
	;; [unrolled: 1-line block ×4, first 2 shown]
	ds_write_b64 v98, v[90:91] offset:336
.LBB84_537:
	s_or_b32 exec_lo, exec_lo, s0
	s_mov_b32 s0, exec_lo
	s_waitcnt lgkmcnt(0)
	s_waitcnt_vscnt null, 0x0
	s_barrier
	buffer_gl0_inv
	v_cmpx_lt_i32_e32 31, v101
	s_cbranch_execz .LBB84_539
; %bb.538:
	v_mul_f64 v[24:25], v[0:1], v[24:25]
	ds_read2_b64 v[102:105], v98 offset0:32 offset1:33
	ds_read2_b64 v[106:109], v98 offset0:34 offset1:35
	;; [unrolled: 1-line block ×5, first 2 shown]
	ds_read_b64 v[0:1], v98 offset:336
	s_waitcnt lgkmcnt(5)
	v_fma_f64 v[26:27], -v[24:25], v[102:103], v[26:27]
	v_fma_f64 v[22:23], -v[24:25], v[104:105], v[22:23]
	s_waitcnt lgkmcnt(4)
	v_fma_f64 v[20:21], -v[24:25], v[106:107], v[20:21]
	v_fma_f64 v[18:19], -v[24:25], v[108:109], v[18:19]
	;; [unrolled: 3-line block ×5, first 2 shown]
	s_waitcnt lgkmcnt(0)
	v_fma_f64 v[90:91], -v[24:25], v[0:1], v[90:91]
.LBB84_539:
	s_or_b32 exec_lo, exec_lo, s0
	v_lshl_add_u32 v0, v101, 3, v98
	s_barrier
	buffer_gl0_inv
	v_mov_b32_e32 v92, 32
	ds_write_b64 v0, v[26:27]
	s_waitcnt lgkmcnt(0)
	s_barrier
	buffer_gl0_inv
	ds_read_b64 v[0:1], v98 offset:256
	s_cmp_lt_i32 s7, 34
	s_cbranch_scc1 .LBB84_542
; %bb.540:
	v_add3_u32 v93, v99, 0, 0x108
	v_mov_b32_e32 v92, 32
	s_mov_b32 s0, 33
.LBB84_541:                             ; =>This Inner Loop Header: Depth=1
	ds_read_b64 v[102:103], v93
	v_add_nc_u32_e32 v93, 8, v93
	s_waitcnt lgkmcnt(0)
	v_cmp_lt_f64_e64 vcc_lo, |v[0:1]|, |v[102:103]|
	v_cndmask_b32_e32 v1, v1, v103, vcc_lo
	v_cndmask_b32_e32 v0, v0, v102, vcc_lo
	v_cndmask_b32_e64 v92, v92, s0, vcc_lo
	s_add_i32 s0, s0, 1
	s_cmp_lg_u32 s7, s0
	s_cbranch_scc1 .LBB84_541
.LBB84_542:
	s_mov_b32 s0, exec_lo
	s_waitcnt lgkmcnt(0)
	v_cmpx_eq_f64_e32 0, v[0:1]
	s_xor_b32 s0, exec_lo, s0
; %bb.543:
	v_cmp_ne_u32_e32 vcc_lo, 0, v95
	v_cndmask_b32_e32 v95, 33, v95, vcc_lo
; %bb.544:
	s_andn2_saveexec_b32 s0, s0
	s_cbranch_execz .LBB84_546
; %bb.545:
	v_div_scale_f64 v[93:94], null, v[0:1], v[0:1], 1.0
	v_rcp_f64_e32 v[102:103], v[93:94]
	v_fma_f64 v[104:105], -v[93:94], v[102:103], 1.0
	v_fma_f64 v[102:103], v[102:103], v[104:105], v[102:103]
	v_fma_f64 v[104:105], -v[93:94], v[102:103], 1.0
	v_fma_f64 v[102:103], v[102:103], v[104:105], v[102:103]
	v_div_scale_f64 v[104:105], vcc_lo, 1.0, v[0:1], 1.0
	v_mul_f64 v[106:107], v[104:105], v[102:103]
	v_fma_f64 v[93:94], -v[93:94], v[106:107], v[104:105]
	v_div_fmas_f64 v[93:94], v[93:94], v[102:103], v[106:107]
	v_div_fixup_f64 v[0:1], v[93:94], v[0:1], 1.0
.LBB84_546:
	s_or_b32 exec_lo, exec_lo, s0
	s_mov_b32 s0, exec_lo
	v_cmpx_ne_u32_e64 v101, v92
	s_xor_b32 s0, exec_lo, s0
	s_cbranch_execz .LBB84_552
; %bb.547:
	s_mov_b32 s1, exec_lo
	v_cmpx_eq_u32_e32 32, v101
	s_cbranch_execz .LBB84_551
; %bb.548:
	v_cmp_ne_u32_e32 vcc_lo, 32, v92
	s_xor_b32 s2, s6, -1
	s_and_b32 s3, s2, vcc_lo
	s_and_saveexec_b32 s2, s3
	s_cbranch_execz .LBB84_550
; %bb.549:
	v_ashrrev_i32_e32 v93, 31, v92
	v_lshlrev_b64 v[93:94], 2, v[92:93]
	v_add_co_u32 v93, vcc_lo, v4, v93
	v_add_co_ci_u32_e64 v94, null, v5, v94, vcc_lo
	s_clause 0x1
	global_load_dword v100, v[93:94], off
	global_load_dword v101, v[4:5], off offset:128
	s_waitcnt vmcnt(1)
	global_store_dword v[4:5], v100, off offset:128
	s_waitcnt vmcnt(0)
	global_store_dword v[93:94], v101, off
.LBB84_550:
	s_or_b32 exec_lo, exec_lo, s2
	v_mov_b32_e32 v100, v92
	v_mov_b32_e32 v101, v92
.LBB84_551:
	s_or_b32 exec_lo, exec_lo, s1
.LBB84_552:
	s_andn2_saveexec_b32 s0, s0
	s_cbranch_execz .LBB84_554
; %bb.553:
	v_mov_b32_e32 v101, 32
	ds_write2_b64 v98, v[22:23], v[20:21] offset0:33 offset1:34
	ds_write2_b64 v98, v[18:19], v[16:17] offset0:35 offset1:36
	;; [unrolled: 1-line block ×5, first 2 shown]
.LBB84_554:
	s_or_b32 exec_lo, exec_lo, s0
	s_mov_b32 s0, exec_lo
	s_waitcnt lgkmcnt(0)
	s_waitcnt_vscnt null, 0x0
	s_barrier
	buffer_gl0_inv
	v_cmpx_lt_i32_e32 32, v101
	s_cbranch_execz .LBB84_556
; %bb.555:
	v_mul_f64 v[26:27], v[0:1], v[26:27]
	ds_read2_b64 v[102:105], v98 offset0:33 offset1:34
	ds_read2_b64 v[106:109], v98 offset0:35 offset1:36
	;; [unrolled: 1-line block ×5, first 2 shown]
	s_waitcnt lgkmcnt(4)
	v_fma_f64 v[22:23], -v[26:27], v[102:103], v[22:23]
	v_fma_f64 v[20:21], -v[26:27], v[104:105], v[20:21]
	s_waitcnt lgkmcnt(3)
	v_fma_f64 v[18:19], -v[26:27], v[106:107], v[18:19]
	v_fma_f64 v[16:17], -v[26:27], v[108:109], v[16:17]
	s_waitcnt lgkmcnt(2)
	v_fma_f64 v[14:15], -v[26:27], v[110:111], v[14:15]
	v_fma_f64 v[12:13], -v[26:27], v[112:113], v[12:13]
	s_waitcnt lgkmcnt(1)
	v_fma_f64 v[8:9], -v[26:27], v[114:115], v[8:9]
	v_fma_f64 v[10:11], -v[26:27], v[116:117], v[10:11]
	s_waitcnt lgkmcnt(0)
	v_fma_f64 v[6:7], -v[26:27], v[118:119], v[6:7]
	v_fma_f64 v[90:91], -v[26:27], v[120:121], v[90:91]
.LBB84_556:
	s_or_b32 exec_lo, exec_lo, s0
	v_lshl_add_u32 v0, v101, 3, v98
	s_barrier
	buffer_gl0_inv
	v_mov_b32_e32 v92, 33
	ds_write_b64 v0, v[22:23]
	s_waitcnt lgkmcnt(0)
	s_barrier
	buffer_gl0_inv
	ds_read_b64 v[0:1], v98 offset:264
	s_cmp_lt_i32 s7, 35
	s_cbranch_scc1 .LBB84_559
; %bb.557:
	v_add3_u32 v93, v99, 0, 0x110
	v_mov_b32_e32 v92, 33
	s_mov_b32 s0, 34
.LBB84_558:                             ; =>This Inner Loop Header: Depth=1
	ds_read_b64 v[102:103], v93
	v_add_nc_u32_e32 v93, 8, v93
	s_waitcnt lgkmcnt(0)
	v_cmp_lt_f64_e64 vcc_lo, |v[0:1]|, |v[102:103]|
	v_cndmask_b32_e32 v1, v1, v103, vcc_lo
	v_cndmask_b32_e32 v0, v0, v102, vcc_lo
	v_cndmask_b32_e64 v92, v92, s0, vcc_lo
	s_add_i32 s0, s0, 1
	s_cmp_lg_u32 s7, s0
	s_cbranch_scc1 .LBB84_558
.LBB84_559:
	s_mov_b32 s0, exec_lo
	s_waitcnt lgkmcnt(0)
	v_cmpx_eq_f64_e32 0, v[0:1]
	s_xor_b32 s0, exec_lo, s0
; %bb.560:
	v_cmp_ne_u32_e32 vcc_lo, 0, v95
	v_cndmask_b32_e32 v95, 34, v95, vcc_lo
; %bb.561:
	s_andn2_saveexec_b32 s0, s0
	s_cbranch_execz .LBB84_563
; %bb.562:
	v_div_scale_f64 v[93:94], null, v[0:1], v[0:1], 1.0
	v_rcp_f64_e32 v[102:103], v[93:94]
	v_fma_f64 v[104:105], -v[93:94], v[102:103], 1.0
	v_fma_f64 v[102:103], v[102:103], v[104:105], v[102:103]
	v_fma_f64 v[104:105], -v[93:94], v[102:103], 1.0
	v_fma_f64 v[102:103], v[102:103], v[104:105], v[102:103]
	v_div_scale_f64 v[104:105], vcc_lo, 1.0, v[0:1], 1.0
	v_mul_f64 v[106:107], v[104:105], v[102:103]
	v_fma_f64 v[93:94], -v[93:94], v[106:107], v[104:105]
	v_div_fmas_f64 v[93:94], v[93:94], v[102:103], v[106:107]
	v_div_fixup_f64 v[0:1], v[93:94], v[0:1], 1.0
.LBB84_563:
	s_or_b32 exec_lo, exec_lo, s0
	s_mov_b32 s0, exec_lo
	v_cmpx_ne_u32_e64 v101, v92
	s_xor_b32 s0, exec_lo, s0
	s_cbranch_execz .LBB84_569
; %bb.564:
	s_mov_b32 s1, exec_lo
	v_cmpx_eq_u32_e32 33, v101
	s_cbranch_execz .LBB84_568
; %bb.565:
	v_cmp_ne_u32_e32 vcc_lo, 33, v92
	s_xor_b32 s2, s6, -1
	s_and_b32 s3, s2, vcc_lo
	s_and_saveexec_b32 s2, s3
	s_cbranch_execz .LBB84_567
; %bb.566:
	v_ashrrev_i32_e32 v93, 31, v92
	v_lshlrev_b64 v[93:94], 2, v[92:93]
	v_add_co_u32 v93, vcc_lo, v4, v93
	v_add_co_ci_u32_e64 v94, null, v5, v94, vcc_lo
	s_clause 0x1
	global_load_dword v100, v[93:94], off
	global_load_dword v101, v[4:5], off offset:132
	s_waitcnt vmcnt(1)
	global_store_dword v[4:5], v100, off offset:132
	s_waitcnt vmcnt(0)
	global_store_dword v[93:94], v101, off
.LBB84_567:
	s_or_b32 exec_lo, exec_lo, s2
	v_mov_b32_e32 v100, v92
	v_mov_b32_e32 v101, v92
.LBB84_568:
	s_or_b32 exec_lo, exec_lo, s1
.LBB84_569:
	s_andn2_saveexec_b32 s0, s0
	s_cbranch_execz .LBB84_571
; %bb.570:
	v_mov_b32_e32 v92, v20
	v_mov_b32_e32 v93, v21
	;; [unrolled: 1-line block ×8, first 2 shown]
	ds_write2_b64 v98, v[92:93], v[101:102] offset0:34 offset1:35
	v_mov_b32_e32 v101, 33
	v_mov_b32_e32 v107, v12
	;; [unrolled: 1-line block ×9, first 2 shown]
	ds_write2_b64 v98, v[103:104], v[105:106] offset0:36 offset1:37
	ds_write2_b64 v98, v[107:108], v[109:110] offset0:38 offset1:39
	;; [unrolled: 1-line block ×3, first 2 shown]
	ds_write_b64 v98, v[90:91] offset:336
.LBB84_571:
	s_or_b32 exec_lo, exec_lo, s0
	s_mov_b32 s0, exec_lo
	s_waitcnt lgkmcnt(0)
	s_waitcnt_vscnt null, 0x0
	s_barrier
	buffer_gl0_inv
	v_cmpx_lt_i32_e32 33, v101
	s_cbranch_execz .LBB84_573
; %bb.572:
	v_mul_f64 v[22:23], v[0:1], v[22:23]
	ds_read2_b64 v[102:105], v98 offset0:34 offset1:35
	ds_read2_b64 v[106:109], v98 offset0:36 offset1:37
	;; [unrolled: 1-line block ×4, first 2 shown]
	ds_read_b64 v[0:1], v98 offset:336
	s_waitcnt lgkmcnt(4)
	v_fma_f64 v[20:21], -v[22:23], v[102:103], v[20:21]
	v_fma_f64 v[18:19], -v[22:23], v[104:105], v[18:19]
	s_waitcnt lgkmcnt(3)
	v_fma_f64 v[16:17], -v[22:23], v[106:107], v[16:17]
	v_fma_f64 v[14:15], -v[22:23], v[108:109], v[14:15]
	;; [unrolled: 3-line block ×4, first 2 shown]
	s_waitcnt lgkmcnt(0)
	v_fma_f64 v[90:91], -v[22:23], v[0:1], v[90:91]
.LBB84_573:
	s_or_b32 exec_lo, exec_lo, s0
	v_lshl_add_u32 v0, v101, 3, v98
	s_barrier
	buffer_gl0_inv
	v_mov_b32_e32 v92, 34
	ds_write_b64 v0, v[20:21]
	s_waitcnt lgkmcnt(0)
	s_barrier
	buffer_gl0_inv
	ds_read_b64 v[0:1], v98 offset:272
	s_cmp_lt_i32 s7, 36
	s_cbranch_scc1 .LBB84_576
; %bb.574:
	v_add3_u32 v93, v99, 0, 0x118
	v_mov_b32_e32 v92, 34
	s_mov_b32 s0, 35
.LBB84_575:                             ; =>This Inner Loop Header: Depth=1
	ds_read_b64 v[102:103], v93
	v_add_nc_u32_e32 v93, 8, v93
	s_waitcnt lgkmcnt(0)
	v_cmp_lt_f64_e64 vcc_lo, |v[0:1]|, |v[102:103]|
	v_cndmask_b32_e32 v1, v1, v103, vcc_lo
	v_cndmask_b32_e32 v0, v0, v102, vcc_lo
	v_cndmask_b32_e64 v92, v92, s0, vcc_lo
	s_add_i32 s0, s0, 1
	s_cmp_lg_u32 s7, s0
	s_cbranch_scc1 .LBB84_575
.LBB84_576:
	s_mov_b32 s0, exec_lo
	s_waitcnt lgkmcnt(0)
	v_cmpx_eq_f64_e32 0, v[0:1]
	s_xor_b32 s0, exec_lo, s0
; %bb.577:
	v_cmp_ne_u32_e32 vcc_lo, 0, v95
	v_cndmask_b32_e32 v95, 35, v95, vcc_lo
; %bb.578:
	s_andn2_saveexec_b32 s0, s0
	s_cbranch_execz .LBB84_580
; %bb.579:
	v_div_scale_f64 v[93:94], null, v[0:1], v[0:1], 1.0
	v_rcp_f64_e32 v[102:103], v[93:94]
	v_fma_f64 v[104:105], -v[93:94], v[102:103], 1.0
	v_fma_f64 v[102:103], v[102:103], v[104:105], v[102:103]
	v_fma_f64 v[104:105], -v[93:94], v[102:103], 1.0
	v_fma_f64 v[102:103], v[102:103], v[104:105], v[102:103]
	v_div_scale_f64 v[104:105], vcc_lo, 1.0, v[0:1], 1.0
	v_mul_f64 v[106:107], v[104:105], v[102:103]
	v_fma_f64 v[93:94], -v[93:94], v[106:107], v[104:105]
	v_div_fmas_f64 v[93:94], v[93:94], v[102:103], v[106:107]
	v_div_fixup_f64 v[0:1], v[93:94], v[0:1], 1.0
.LBB84_580:
	s_or_b32 exec_lo, exec_lo, s0
	s_mov_b32 s0, exec_lo
	v_cmpx_ne_u32_e64 v101, v92
	s_xor_b32 s0, exec_lo, s0
	s_cbranch_execz .LBB84_586
; %bb.581:
	s_mov_b32 s1, exec_lo
	v_cmpx_eq_u32_e32 34, v101
	s_cbranch_execz .LBB84_585
; %bb.582:
	v_cmp_ne_u32_e32 vcc_lo, 34, v92
	s_xor_b32 s2, s6, -1
	s_and_b32 s3, s2, vcc_lo
	s_and_saveexec_b32 s2, s3
	s_cbranch_execz .LBB84_584
; %bb.583:
	v_ashrrev_i32_e32 v93, 31, v92
	v_lshlrev_b64 v[93:94], 2, v[92:93]
	v_add_co_u32 v93, vcc_lo, v4, v93
	v_add_co_ci_u32_e64 v94, null, v5, v94, vcc_lo
	s_clause 0x1
	global_load_dword v100, v[93:94], off
	global_load_dword v101, v[4:5], off offset:136
	s_waitcnt vmcnt(1)
	global_store_dword v[4:5], v100, off offset:136
	s_waitcnt vmcnt(0)
	global_store_dword v[93:94], v101, off
.LBB84_584:
	s_or_b32 exec_lo, exec_lo, s2
	v_mov_b32_e32 v100, v92
	v_mov_b32_e32 v101, v92
.LBB84_585:
	s_or_b32 exec_lo, exec_lo, s1
.LBB84_586:
	s_andn2_saveexec_b32 s0, s0
	s_cbranch_execz .LBB84_588
; %bb.587:
	v_mov_b32_e32 v101, 34
	ds_write2_b64 v98, v[18:19], v[16:17] offset0:35 offset1:36
	ds_write2_b64 v98, v[14:15], v[12:13] offset0:37 offset1:38
	;; [unrolled: 1-line block ×4, first 2 shown]
.LBB84_588:
	s_or_b32 exec_lo, exec_lo, s0
	s_mov_b32 s0, exec_lo
	s_waitcnt lgkmcnt(0)
	s_waitcnt_vscnt null, 0x0
	s_barrier
	buffer_gl0_inv
	v_cmpx_lt_i32_e32 34, v101
	s_cbranch_execz .LBB84_590
; %bb.589:
	v_mul_f64 v[20:21], v[0:1], v[20:21]
	ds_read2_b64 v[102:105], v98 offset0:35 offset1:36
	ds_read2_b64 v[106:109], v98 offset0:37 offset1:38
	ds_read2_b64 v[110:113], v98 offset0:39 offset1:40
	ds_read2_b64 v[114:117], v98 offset0:41 offset1:42
	s_waitcnt lgkmcnt(3)
	v_fma_f64 v[18:19], -v[20:21], v[102:103], v[18:19]
	v_fma_f64 v[16:17], -v[20:21], v[104:105], v[16:17]
	s_waitcnt lgkmcnt(2)
	v_fma_f64 v[14:15], -v[20:21], v[106:107], v[14:15]
	v_fma_f64 v[12:13], -v[20:21], v[108:109], v[12:13]
	;; [unrolled: 3-line block ×4, first 2 shown]
.LBB84_590:
	s_or_b32 exec_lo, exec_lo, s0
	v_lshl_add_u32 v0, v101, 3, v98
	s_barrier
	buffer_gl0_inv
	v_mov_b32_e32 v92, 35
	ds_write_b64 v0, v[18:19]
	s_waitcnt lgkmcnt(0)
	s_barrier
	buffer_gl0_inv
	ds_read_b64 v[0:1], v98 offset:280
	s_cmp_lt_i32 s7, 37
	s_cbranch_scc1 .LBB84_593
; %bb.591:
	v_add3_u32 v93, v99, 0, 0x120
	v_mov_b32_e32 v92, 35
	s_mov_b32 s0, 36
.LBB84_592:                             ; =>This Inner Loop Header: Depth=1
	ds_read_b64 v[102:103], v93
	v_add_nc_u32_e32 v93, 8, v93
	s_waitcnt lgkmcnt(0)
	v_cmp_lt_f64_e64 vcc_lo, |v[0:1]|, |v[102:103]|
	v_cndmask_b32_e32 v1, v1, v103, vcc_lo
	v_cndmask_b32_e32 v0, v0, v102, vcc_lo
	v_cndmask_b32_e64 v92, v92, s0, vcc_lo
	s_add_i32 s0, s0, 1
	s_cmp_lg_u32 s7, s0
	s_cbranch_scc1 .LBB84_592
.LBB84_593:
	s_mov_b32 s0, exec_lo
	s_waitcnt lgkmcnt(0)
	v_cmpx_eq_f64_e32 0, v[0:1]
	s_xor_b32 s0, exec_lo, s0
; %bb.594:
	v_cmp_ne_u32_e32 vcc_lo, 0, v95
	v_cndmask_b32_e32 v95, 36, v95, vcc_lo
; %bb.595:
	s_andn2_saveexec_b32 s0, s0
	s_cbranch_execz .LBB84_597
; %bb.596:
	v_div_scale_f64 v[93:94], null, v[0:1], v[0:1], 1.0
	v_rcp_f64_e32 v[102:103], v[93:94]
	v_fma_f64 v[104:105], -v[93:94], v[102:103], 1.0
	v_fma_f64 v[102:103], v[102:103], v[104:105], v[102:103]
	v_fma_f64 v[104:105], -v[93:94], v[102:103], 1.0
	v_fma_f64 v[102:103], v[102:103], v[104:105], v[102:103]
	v_div_scale_f64 v[104:105], vcc_lo, 1.0, v[0:1], 1.0
	v_mul_f64 v[106:107], v[104:105], v[102:103]
	v_fma_f64 v[93:94], -v[93:94], v[106:107], v[104:105]
	v_div_fmas_f64 v[93:94], v[93:94], v[102:103], v[106:107]
	v_div_fixup_f64 v[0:1], v[93:94], v[0:1], 1.0
.LBB84_597:
	s_or_b32 exec_lo, exec_lo, s0
	s_mov_b32 s0, exec_lo
	v_cmpx_ne_u32_e64 v101, v92
	s_xor_b32 s0, exec_lo, s0
	s_cbranch_execz .LBB84_603
; %bb.598:
	s_mov_b32 s1, exec_lo
	v_cmpx_eq_u32_e32 35, v101
	s_cbranch_execz .LBB84_602
; %bb.599:
	v_cmp_ne_u32_e32 vcc_lo, 35, v92
	s_xor_b32 s2, s6, -1
	s_and_b32 s3, s2, vcc_lo
	s_and_saveexec_b32 s2, s3
	s_cbranch_execz .LBB84_601
; %bb.600:
	v_ashrrev_i32_e32 v93, 31, v92
	v_lshlrev_b64 v[93:94], 2, v[92:93]
	v_add_co_u32 v93, vcc_lo, v4, v93
	v_add_co_ci_u32_e64 v94, null, v5, v94, vcc_lo
	s_clause 0x1
	global_load_dword v100, v[93:94], off
	global_load_dword v101, v[4:5], off offset:140
	s_waitcnt vmcnt(1)
	global_store_dword v[4:5], v100, off offset:140
	s_waitcnt vmcnt(0)
	global_store_dword v[93:94], v101, off
.LBB84_601:
	s_or_b32 exec_lo, exec_lo, s2
	v_mov_b32_e32 v100, v92
	v_mov_b32_e32 v101, v92
.LBB84_602:
	s_or_b32 exec_lo, exec_lo, s1
.LBB84_603:
	s_andn2_saveexec_b32 s0, s0
	s_cbranch_execz .LBB84_605
; %bb.604:
	v_mov_b32_e32 v92, v16
	v_mov_b32_e32 v93, v17
	;; [unrolled: 1-line block ×13, first 2 shown]
	ds_write2_b64 v98, v[92:93], v[102:103] offset0:36 offset1:37
	ds_write2_b64 v98, v[104:105], v[106:107] offset0:38 offset1:39
	;; [unrolled: 1-line block ×3, first 2 shown]
	ds_write_b64 v98, v[90:91] offset:336
.LBB84_605:
	s_or_b32 exec_lo, exec_lo, s0
	s_mov_b32 s0, exec_lo
	s_waitcnt lgkmcnt(0)
	s_waitcnt_vscnt null, 0x0
	s_barrier
	buffer_gl0_inv
	v_cmpx_lt_i32_e32 35, v101
	s_cbranch_execz .LBB84_607
; %bb.606:
	v_mul_f64 v[18:19], v[0:1], v[18:19]
	ds_read2_b64 v[102:105], v98 offset0:36 offset1:37
	ds_read2_b64 v[106:109], v98 offset0:38 offset1:39
	;; [unrolled: 1-line block ×3, first 2 shown]
	ds_read_b64 v[0:1], v98 offset:336
	s_waitcnt lgkmcnt(3)
	v_fma_f64 v[16:17], -v[18:19], v[102:103], v[16:17]
	v_fma_f64 v[14:15], -v[18:19], v[104:105], v[14:15]
	s_waitcnt lgkmcnt(2)
	v_fma_f64 v[12:13], -v[18:19], v[106:107], v[12:13]
	v_fma_f64 v[8:9], -v[18:19], v[108:109], v[8:9]
	;; [unrolled: 3-line block ×3, first 2 shown]
	s_waitcnt lgkmcnt(0)
	v_fma_f64 v[90:91], -v[18:19], v[0:1], v[90:91]
.LBB84_607:
	s_or_b32 exec_lo, exec_lo, s0
	v_lshl_add_u32 v0, v101, 3, v98
	s_barrier
	buffer_gl0_inv
	v_mov_b32_e32 v92, 36
	ds_write_b64 v0, v[16:17]
	s_waitcnt lgkmcnt(0)
	s_barrier
	buffer_gl0_inv
	ds_read_b64 v[0:1], v98 offset:288
	s_cmp_lt_i32 s7, 38
	s_cbranch_scc1 .LBB84_610
; %bb.608:
	v_add3_u32 v93, v99, 0, 0x128
	v_mov_b32_e32 v92, 36
	s_mov_b32 s0, 37
.LBB84_609:                             ; =>This Inner Loop Header: Depth=1
	ds_read_b64 v[102:103], v93
	v_add_nc_u32_e32 v93, 8, v93
	s_waitcnt lgkmcnt(0)
	v_cmp_lt_f64_e64 vcc_lo, |v[0:1]|, |v[102:103]|
	v_cndmask_b32_e32 v1, v1, v103, vcc_lo
	v_cndmask_b32_e32 v0, v0, v102, vcc_lo
	v_cndmask_b32_e64 v92, v92, s0, vcc_lo
	s_add_i32 s0, s0, 1
	s_cmp_lg_u32 s7, s0
	s_cbranch_scc1 .LBB84_609
.LBB84_610:
	s_mov_b32 s0, exec_lo
	s_waitcnt lgkmcnt(0)
	v_cmpx_eq_f64_e32 0, v[0:1]
	s_xor_b32 s0, exec_lo, s0
; %bb.611:
	v_cmp_ne_u32_e32 vcc_lo, 0, v95
	v_cndmask_b32_e32 v95, 37, v95, vcc_lo
; %bb.612:
	s_andn2_saveexec_b32 s0, s0
	s_cbranch_execz .LBB84_614
; %bb.613:
	v_div_scale_f64 v[93:94], null, v[0:1], v[0:1], 1.0
	v_rcp_f64_e32 v[102:103], v[93:94]
	v_fma_f64 v[104:105], -v[93:94], v[102:103], 1.0
	v_fma_f64 v[102:103], v[102:103], v[104:105], v[102:103]
	v_fma_f64 v[104:105], -v[93:94], v[102:103], 1.0
	v_fma_f64 v[102:103], v[102:103], v[104:105], v[102:103]
	v_div_scale_f64 v[104:105], vcc_lo, 1.0, v[0:1], 1.0
	v_mul_f64 v[106:107], v[104:105], v[102:103]
	v_fma_f64 v[93:94], -v[93:94], v[106:107], v[104:105]
	v_div_fmas_f64 v[93:94], v[93:94], v[102:103], v[106:107]
	v_div_fixup_f64 v[0:1], v[93:94], v[0:1], 1.0
.LBB84_614:
	s_or_b32 exec_lo, exec_lo, s0
	s_mov_b32 s0, exec_lo
	v_cmpx_ne_u32_e64 v101, v92
	s_xor_b32 s0, exec_lo, s0
	s_cbranch_execz .LBB84_620
; %bb.615:
	s_mov_b32 s1, exec_lo
	v_cmpx_eq_u32_e32 36, v101
	s_cbranch_execz .LBB84_619
; %bb.616:
	v_cmp_ne_u32_e32 vcc_lo, 36, v92
	s_xor_b32 s2, s6, -1
	s_and_b32 s3, s2, vcc_lo
	s_and_saveexec_b32 s2, s3
	s_cbranch_execz .LBB84_618
; %bb.617:
	v_ashrrev_i32_e32 v93, 31, v92
	v_lshlrev_b64 v[93:94], 2, v[92:93]
	v_add_co_u32 v93, vcc_lo, v4, v93
	v_add_co_ci_u32_e64 v94, null, v5, v94, vcc_lo
	s_clause 0x1
	global_load_dword v100, v[93:94], off
	global_load_dword v101, v[4:5], off offset:144
	s_waitcnt vmcnt(1)
	global_store_dword v[4:5], v100, off offset:144
	s_waitcnt vmcnt(0)
	global_store_dword v[93:94], v101, off
.LBB84_618:
	s_or_b32 exec_lo, exec_lo, s2
	v_mov_b32_e32 v100, v92
	v_mov_b32_e32 v101, v92
.LBB84_619:
	s_or_b32 exec_lo, exec_lo, s1
.LBB84_620:
	s_andn2_saveexec_b32 s0, s0
	s_cbranch_execz .LBB84_622
; %bb.621:
	v_mov_b32_e32 v101, 36
	ds_write2_b64 v98, v[14:15], v[12:13] offset0:37 offset1:38
	ds_write2_b64 v98, v[8:9], v[10:11] offset0:39 offset1:40
	;; [unrolled: 1-line block ×3, first 2 shown]
.LBB84_622:
	s_or_b32 exec_lo, exec_lo, s0
	s_mov_b32 s0, exec_lo
	s_waitcnt lgkmcnt(0)
	s_waitcnt_vscnt null, 0x0
	s_barrier
	buffer_gl0_inv
	v_cmpx_lt_i32_e32 36, v101
	s_cbranch_execz .LBB84_624
; %bb.623:
	v_mul_f64 v[16:17], v[0:1], v[16:17]
	ds_read2_b64 v[102:105], v98 offset0:37 offset1:38
	ds_read2_b64 v[106:109], v98 offset0:39 offset1:40
	;; [unrolled: 1-line block ×3, first 2 shown]
	s_waitcnt lgkmcnt(2)
	v_fma_f64 v[14:15], -v[16:17], v[102:103], v[14:15]
	v_fma_f64 v[12:13], -v[16:17], v[104:105], v[12:13]
	s_waitcnt lgkmcnt(1)
	v_fma_f64 v[8:9], -v[16:17], v[106:107], v[8:9]
	v_fma_f64 v[10:11], -v[16:17], v[108:109], v[10:11]
	;; [unrolled: 3-line block ×3, first 2 shown]
.LBB84_624:
	s_or_b32 exec_lo, exec_lo, s0
	v_lshl_add_u32 v0, v101, 3, v98
	s_barrier
	buffer_gl0_inv
	v_mov_b32_e32 v92, 37
	ds_write_b64 v0, v[14:15]
	s_waitcnt lgkmcnt(0)
	s_barrier
	buffer_gl0_inv
	ds_read_b64 v[0:1], v98 offset:296
	s_cmp_lt_i32 s7, 39
	s_cbranch_scc1 .LBB84_627
; %bb.625:
	v_add3_u32 v93, v99, 0, 0x130
	v_mov_b32_e32 v92, 37
	s_mov_b32 s0, 38
.LBB84_626:                             ; =>This Inner Loop Header: Depth=1
	ds_read_b64 v[102:103], v93
	v_add_nc_u32_e32 v93, 8, v93
	s_waitcnt lgkmcnt(0)
	v_cmp_lt_f64_e64 vcc_lo, |v[0:1]|, |v[102:103]|
	v_cndmask_b32_e32 v1, v1, v103, vcc_lo
	v_cndmask_b32_e32 v0, v0, v102, vcc_lo
	v_cndmask_b32_e64 v92, v92, s0, vcc_lo
	s_add_i32 s0, s0, 1
	s_cmp_lg_u32 s7, s0
	s_cbranch_scc1 .LBB84_626
.LBB84_627:
	s_mov_b32 s0, exec_lo
	s_waitcnt lgkmcnt(0)
	v_cmpx_eq_f64_e32 0, v[0:1]
	s_xor_b32 s0, exec_lo, s0
; %bb.628:
	v_cmp_ne_u32_e32 vcc_lo, 0, v95
	v_cndmask_b32_e32 v95, 38, v95, vcc_lo
; %bb.629:
	s_andn2_saveexec_b32 s0, s0
	s_cbranch_execz .LBB84_631
; %bb.630:
	v_div_scale_f64 v[93:94], null, v[0:1], v[0:1], 1.0
	v_rcp_f64_e32 v[102:103], v[93:94]
	v_fma_f64 v[104:105], -v[93:94], v[102:103], 1.0
	v_fma_f64 v[102:103], v[102:103], v[104:105], v[102:103]
	v_fma_f64 v[104:105], -v[93:94], v[102:103], 1.0
	v_fma_f64 v[102:103], v[102:103], v[104:105], v[102:103]
	v_div_scale_f64 v[104:105], vcc_lo, 1.0, v[0:1], 1.0
	v_mul_f64 v[106:107], v[104:105], v[102:103]
	v_fma_f64 v[93:94], -v[93:94], v[106:107], v[104:105]
	v_div_fmas_f64 v[93:94], v[93:94], v[102:103], v[106:107]
	v_div_fixup_f64 v[0:1], v[93:94], v[0:1], 1.0
.LBB84_631:
	s_or_b32 exec_lo, exec_lo, s0
	s_mov_b32 s0, exec_lo
	v_cmpx_ne_u32_e64 v101, v92
	s_xor_b32 s0, exec_lo, s0
	s_cbranch_execz .LBB84_637
; %bb.632:
	s_mov_b32 s1, exec_lo
	v_cmpx_eq_u32_e32 37, v101
	s_cbranch_execz .LBB84_636
; %bb.633:
	v_cmp_ne_u32_e32 vcc_lo, 37, v92
	s_xor_b32 s2, s6, -1
	s_and_b32 s3, s2, vcc_lo
	s_and_saveexec_b32 s2, s3
	s_cbranch_execz .LBB84_635
; %bb.634:
	v_ashrrev_i32_e32 v93, 31, v92
	v_lshlrev_b64 v[93:94], 2, v[92:93]
	v_add_co_u32 v93, vcc_lo, v4, v93
	v_add_co_ci_u32_e64 v94, null, v5, v94, vcc_lo
	s_clause 0x1
	global_load_dword v100, v[93:94], off
	global_load_dword v101, v[4:5], off offset:148
	s_waitcnt vmcnt(1)
	global_store_dword v[4:5], v100, off offset:148
	s_waitcnt vmcnt(0)
	global_store_dword v[93:94], v101, off
.LBB84_635:
	s_or_b32 exec_lo, exec_lo, s2
	v_mov_b32_e32 v100, v92
	v_mov_b32_e32 v101, v92
.LBB84_636:
	s_or_b32 exec_lo, exec_lo, s1
.LBB84_637:
	s_andn2_saveexec_b32 s0, s0
	s_cbranch_execz .LBB84_639
; %bb.638:
	v_mov_b32_e32 v92, v12
	v_mov_b32_e32 v93, v13
	;; [unrolled: 1-line block ×9, first 2 shown]
	ds_write2_b64 v98, v[92:93], v[102:103] offset0:38 offset1:39
	ds_write2_b64 v98, v[104:105], v[106:107] offset0:40 offset1:41
	ds_write_b64 v98, v[90:91] offset:336
.LBB84_639:
	s_or_b32 exec_lo, exec_lo, s0
	s_mov_b32 s0, exec_lo
	s_waitcnt lgkmcnt(0)
	s_waitcnt_vscnt null, 0x0
	s_barrier
	buffer_gl0_inv
	v_cmpx_lt_i32_e32 37, v101
	s_cbranch_execz .LBB84_641
; %bb.640:
	v_mul_f64 v[14:15], v[0:1], v[14:15]
	ds_read2_b64 v[102:105], v98 offset0:38 offset1:39
	ds_read2_b64 v[106:109], v98 offset0:40 offset1:41
	ds_read_b64 v[0:1], v98 offset:336
	s_waitcnt lgkmcnt(2)
	v_fma_f64 v[12:13], -v[14:15], v[102:103], v[12:13]
	v_fma_f64 v[8:9], -v[14:15], v[104:105], v[8:9]
	s_waitcnt lgkmcnt(1)
	v_fma_f64 v[10:11], -v[14:15], v[106:107], v[10:11]
	v_fma_f64 v[6:7], -v[14:15], v[108:109], v[6:7]
	s_waitcnt lgkmcnt(0)
	v_fma_f64 v[90:91], -v[14:15], v[0:1], v[90:91]
.LBB84_641:
	s_or_b32 exec_lo, exec_lo, s0
	v_lshl_add_u32 v0, v101, 3, v98
	s_barrier
	buffer_gl0_inv
	v_mov_b32_e32 v92, 38
	ds_write_b64 v0, v[12:13]
	s_waitcnt lgkmcnt(0)
	s_barrier
	buffer_gl0_inv
	ds_read_b64 v[0:1], v98 offset:304
	s_cmp_lt_i32 s7, 40
	s_cbranch_scc1 .LBB84_644
; %bb.642:
	v_add3_u32 v93, v99, 0, 0x138
	v_mov_b32_e32 v92, 38
	s_mov_b32 s0, 39
.LBB84_643:                             ; =>This Inner Loop Header: Depth=1
	ds_read_b64 v[102:103], v93
	v_add_nc_u32_e32 v93, 8, v93
	s_waitcnt lgkmcnt(0)
	v_cmp_lt_f64_e64 vcc_lo, |v[0:1]|, |v[102:103]|
	v_cndmask_b32_e32 v1, v1, v103, vcc_lo
	v_cndmask_b32_e32 v0, v0, v102, vcc_lo
	v_cndmask_b32_e64 v92, v92, s0, vcc_lo
	s_add_i32 s0, s0, 1
	s_cmp_lg_u32 s7, s0
	s_cbranch_scc1 .LBB84_643
.LBB84_644:
	s_mov_b32 s0, exec_lo
	s_waitcnt lgkmcnt(0)
	v_cmpx_eq_f64_e32 0, v[0:1]
	s_xor_b32 s0, exec_lo, s0
; %bb.645:
	v_cmp_ne_u32_e32 vcc_lo, 0, v95
	v_cndmask_b32_e32 v95, 39, v95, vcc_lo
; %bb.646:
	s_andn2_saveexec_b32 s0, s0
	s_cbranch_execz .LBB84_648
; %bb.647:
	v_div_scale_f64 v[93:94], null, v[0:1], v[0:1], 1.0
	v_rcp_f64_e32 v[102:103], v[93:94]
	v_fma_f64 v[104:105], -v[93:94], v[102:103], 1.0
	v_fma_f64 v[102:103], v[102:103], v[104:105], v[102:103]
	v_fma_f64 v[104:105], -v[93:94], v[102:103], 1.0
	v_fma_f64 v[102:103], v[102:103], v[104:105], v[102:103]
	v_div_scale_f64 v[104:105], vcc_lo, 1.0, v[0:1], 1.0
	v_mul_f64 v[106:107], v[104:105], v[102:103]
	v_fma_f64 v[93:94], -v[93:94], v[106:107], v[104:105]
	v_div_fmas_f64 v[93:94], v[93:94], v[102:103], v[106:107]
	v_div_fixup_f64 v[0:1], v[93:94], v[0:1], 1.0
.LBB84_648:
	s_or_b32 exec_lo, exec_lo, s0
	s_mov_b32 s0, exec_lo
	v_cmpx_ne_u32_e64 v101, v92
	s_xor_b32 s0, exec_lo, s0
	s_cbranch_execz .LBB84_654
; %bb.649:
	s_mov_b32 s1, exec_lo
	v_cmpx_eq_u32_e32 38, v101
	s_cbranch_execz .LBB84_653
; %bb.650:
	v_cmp_ne_u32_e32 vcc_lo, 38, v92
	s_xor_b32 s2, s6, -1
	s_and_b32 s3, s2, vcc_lo
	s_and_saveexec_b32 s2, s3
	s_cbranch_execz .LBB84_652
; %bb.651:
	v_ashrrev_i32_e32 v93, 31, v92
	v_lshlrev_b64 v[93:94], 2, v[92:93]
	v_add_co_u32 v93, vcc_lo, v4, v93
	v_add_co_ci_u32_e64 v94, null, v5, v94, vcc_lo
	s_clause 0x1
	global_load_dword v100, v[93:94], off
	global_load_dword v101, v[4:5], off offset:152
	s_waitcnt vmcnt(1)
	global_store_dword v[4:5], v100, off offset:152
	s_waitcnt vmcnt(0)
	global_store_dword v[93:94], v101, off
.LBB84_652:
	s_or_b32 exec_lo, exec_lo, s2
	v_mov_b32_e32 v100, v92
	v_mov_b32_e32 v101, v92
.LBB84_653:
	s_or_b32 exec_lo, exec_lo, s1
.LBB84_654:
	s_andn2_saveexec_b32 s0, s0
	s_cbranch_execz .LBB84_656
; %bb.655:
	v_mov_b32_e32 v101, 38
	ds_write2_b64 v98, v[8:9], v[10:11] offset0:39 offset1:40
	ds_write2_b64 v98, v[6:7], v[90:91] offset0:41 offset1:42
.LBB84_656:
	s_or_b32 exec_lo, exec_lo, s0
	s_mov_b32 s0, exec_lo
	s_waitcnt lgkmcnt(0)
	s_waitcnt_vscnt null, 0x0
	s_barrier
	buffer_gl0_inv
	v_cmpx_lt_i32_e32 38, v101
	s_cbranch_execz .LBB84_658
; %bb.657:
	v_mul_f64 v[12:13], v[0:1], v[12:13]
	ds_read2_b64 v[102:105], v98 offset0:39 offset1:40
	ds_read2_b64 v[106:109], v98 offset0:41 offset1:42
	s_waitcnt lgkmcnt(1)
	v_fma_f64 v[8:9], -v[12:13], v[102:103], v[8:9]
	v_fma_f64 v[10:11], -v[12:13], v[104:105], v[10:11]
	s_waitcnt lgkmcnt(0)
	v_fma_f64 v[6:7], -v[12:13], v[106:107], v[6:7]
	v_fma_f64 v[90:91], -v[12:13], v[108:109], v[90:91]
.LBB84_658:
	s_or_b32 exec_lo, exec_lo, s0
	v_lshl_add_u32 v0, v101, 3, v98
	s_barrier
	buffer_gl0_inv
	v_mov_b32_e32 v92, 39
	ds_write_b64 v0, v[8:9]
	s_waitcnt lgkmcnt(0)
	s_barrier
	buffer_gl0_inv
	ds_read_b64 v[0:1], v98 offset:312
	s_cmp_lt_i32 s7, 41
	s_cbranch_scc1 .LBB84_661
; %bb.659:
	v_add3_u32 v93, v99, 0, 0x140
	v_mov_b32_e32 v92, 39
	s_mov_b32 s0, 40
.LBB84_660:                             ; =>This Inner Loop Header: Depth=1
	ds_read_b64 v[102:103], v93
	v_add_nc_u32_e32 v93, 8, v93
	s_waitcnt lgkmcnt(0)
	v_cmp_lt_f64_e64 vcc_lo, |v[0:1]|, |v[102:103]|
	v_cndmask_b32_e32 v1, v1, v103, vcc_lo
	v_cndmask_b32_e32 v0, v0, v102, vcc_lo
	v_cndmask_b32_e64 v92, v92, s0, vcc_lo
	s_add_i32 s0, s0, 1
	s_cmp_lg_u32 s7, s0
	s_cbranch_scc1 .LBB84_660
.LBB84_661:
	s_mov_b32 s0, exec_lo
	s_waitcnt lgkmcnt(0)
	v_cmpx_eq_f64_e32 0, v[0:1]
	s_xor_b32 s0, exec_lo, s0
; %bb.662:
	v_cmp_ne_u32_e32 vcc_lo, 0, v95
	v_cndmask_b32_e32 v95, 40, v95, vcc_lo
; %bb.663:
	s_andn2_saveexec_b32 s0, s0
	s_cbranch_execz .LBB84_665
; %bb.664:
	v_div_scale_f64 v[93:94], null, v[0:1], v[0:1], 1.0
	v_rcp_f64_e32 v[102:103], v[93:94]
	v_fma_f64 v[104:105], -v[93:94], v[102:103], 1.0
	v_fma_f64 v[102:103], v[102:103], v[104:105], v[102:103]
	v_fma_f64 v[104:105], -v[93:94], v[102:103], 1.0
	v_fma_f64 v[102:103], v[102:103], v[104:105], v[102:103]
	v_div_scale_f64 v[104:105], vcc_lo, 1.0, v[0:1], 1.0
	v_mul_f64 v[106:107], v[104:105], v[102:103]
	v_fma_f64 v[93:94], -v[93:94], v[106:107], v[104:105]
	v_div_fmas_f64 v[93:94], v[93:94], v[102:103], v[106:107]
	v_div_fixup_f64 v[0:1], v[93:94], v[0:1], 1.0
.LBB84_665:
	s_or_b32 exec_lo, exec_lo, s0
	s_mov_b32 s0, exec_lo
	v_cmpx_ne_u32_e64 v101, v92
	s_xor_b32 s0, exec_lo, s0
	s_cbranch_execz .LBB84_671
; %bb.666:
	s_mov_b32 s1, exec_lo
	v_cmpx_eq_u32_e32 39, v101
	s_cbranch_execz .LBB84_670
; %bb.667:
	v_cmp_ne_u32_e32 vcc_lo, 39, v92
	s_xor_b32 s2, s6, -1
	s_and_b32 s3, s2, vcc_lo
	s_and_saveexec_b32 s2, s3
	s_cbranch_execz .LBB84_669
; %bb.668:
	v_ashrrev_i32_e32 v93, 31, v92
	v_lshlrev_b64 v[93:94], 2, v[92:93]
	v_add_co_u32 v93, vcc_lo, v4, v93
	v_add_co_ci_u32_e64 v94, null, v5, v94, vcc_lo
	s_clause 0x1
	global_load_dword v100, v[93:94], off
	global_load_dword v101, v[4:5], off offset:156
	s_waitcnt vmcnt(1)
	global_store_dword v[4:5], v100, off offset:156
	s_waitcnt vmcnt(0)
	global_store_dword v[93:94], v101, off
.LBB84_669:
	s_or_b32 exec_lo, exec_lo, s2
	v_mov_b32_e32 v100, v92
	v_mov_b32_e32 v101, v92
.LBB84_670:
	s_or_b32 exec_lo, exec_lo, s1
.LBB84_671:
	s_andn2_saveexec_b32 s0, s0
	s_cbranch_execz .LBB84_673
; %bb.672:
	v_mov_b32_e32 v92, v10
	v_mov_b32_e32 v93, v11
	;; [unrolled: 1-line block ×5, first 2 shown]
	ds_write2_b64 v98, v[92:93], v[102:103] offset0:40 offset1:41
	ds_write_b64 v98, v[90:91] offset:336
.LBB84_673:
	s_or_b32 exec_lo, exec_lo, s0
	s_mov_b32 s0, exec_lo
	s_waitcnt lgkmcnt(0)
	s_waitcnt_vscnt null, 0x0
	s_barrier
	buffer_gl0_inv
	v_cmpx_lt_i32_e32 39, v101
	s_cbranch_execz .LBB84_675
; %bb.674:
	v_mul_f64 v[8:9], v[0:1], v[8:9]
	ds_read2_b64 v[102:105], v98 offset0:40 offset1:41
	ds_read_b64 v[0:1], v98 offset:336
	s_waitcnt lgkmcnt(1)
	v_fma_f64 v[10:11], -v[8:9], v[102:103], v[10:11]
	v_fma_f64 v[6:7], -v[8:9], v[104:105], v[6:7]
	s_waitcnt lgkmcnt(0)
	v_fma_f64 v[90:91], -v[8:9], v[0:1], v[90:91]
.LBB84_675:
	s_or_b32 exec_lo, exec_lo, s0
	v_lshl_add_u32 v0, v101, 3, v98
	s_barrier
	buffer_gl0_inv
	v_mov_b32_e32 v92, 40
	ds_write_b64 v0, v[10:11]
	s_waitcnt lgkmcnt(0)
	s_barrier
	buffer_gl0_inv
	ds_read_b64 v[0:1], v98 offset:320
	s_cmp_lt_i32 s7, 42
	s_cbranch_scc1 .LBB84_678
; %bb.676:
	v_add3_u32 v93, v99, 0, 0x148
	v_mov_b32_e32 v92, 40
	s_mov_b32 s0, 41
.LBB84_677:                             ; =>This Inner Loop Header: Depth=1
	ds_read_b64 v[102:103], v93
	v_add_nc_u32_e32 v93, 8, v93
	s_waitcnt lgkmcnt(0)
	v_cmp_lt_f64_e64 vcc_lo, |v[0:1]|, |v[102:103]|
	v_cndmask_b32_e32 v1, v1, v103, vcc_lo
	v_cndmask_b32_e32 v0, v0, v102, vcc_lo
	v_cndmask_b32_e64 v92, v92, s0, vcc_lo
	s_add_i32 s0, s0, 1
	s_cmp_lg_u32 s7, s0
	s_cbranch_scc1 .LBB84_677
.LBB84_678:
	s_mov_b32 s0, exec_lo
	s_waitcnt lgkmcnt(0)
	v_cmpx_eq_f64_e32 0, v[0:1]
	s_xor_b32 s0, exec_lo, s0
; %bb.679:
	v_cmp_ne_u32_e32 vcc_lo, 0, v95
	v_cndmask_b32_e32 v95, 41, v95, vcc_lo
; %bb.680:
	s_andn2_saveexec_b32 s0, s0
	s_cbranch_execz .LBB84_682
; %bb.681:
	v_div_scale_f64 v[93:94], null, v[0:1], v[0:1], 1.0
	v_rcp_f64_e32 v[102:103], v[93:94]
	v_fma_f64 v[104:105], -v[93:94], v[102:103], 1.0
	v_fma_f64 v[102:103], v[102:103], v[104:105], v[102:103]
	v_fma_f64 v[104:105], -v[93:94], v[102:103], 1.0
	v_fma_f64 v[102:103], v[102:103], v[104:105], v[102:103]
	v_div_scale_f64 v[104:105], vcc_lo, 1.0, v[0:1], 1.0
	v_mul_f64 v[106:107], v[104:105], v[102:103]
	v_fma_f64 v[93:94], -v[93:94], v[106:107], v[104:105]
	v_div_fmas_f64 v[93:94], v[93:94], v[102:103], v[106:107]
	v_div_fixup_f64 v[0:1], v[93:94], v[0:1], 1.0
.LBB84_682:
	s_or_b32 exec_lo, exec_lo, s0
	s_mov_b32 s0, exec_lo
	v_cmpx_ne_u32_e64 v101, v92
	s_xor_b32 s0, exec_lo, s0
	s_cbranch_execz .LBB84_688
; %bb.683:
	s_mov_b32 s1, exec_lo
	v_cmpx_eq_u32_e32 40, v101
	s_cbranch_execz .LBB84_687
; %bb.684:
	v_cmp_ne_u32_e32 vcc_lo, 40, v92
	s_xor_b32 s2, s6, -1
	s_and_b32 s3, s2, vcc_lo
	s_and_saveexec_b32 s2, s3
	s_cbranch_execz .LBB84_686
; %bb.685:
	v_ashrrev_i32_e32 v93, 31, v92
	v_lshlrev_b64 v[93:94], 2, v[92:93]
	v_add_co_u32 v93, vcc_lo, v4, v93
	v_add_co_ci_u32_e64 v94, null, v5, v94, vcc_lo
	s_clause 0x1
	global_load_dword v100, v[93:94], off
	global_load_dword v101, v[4:5], off offset:160
	s_waitcnt vmcnt(1)
	global_store_dword v[4:5], v100, off offset:160
	s_waitcnt vmcnt(0)
	global_store_dword v[93:94], v101, off
.LBB84_686:
	s_or_b32 exec_lo, exec_lo, s2
	v_mov_b32_e32 v100, v92
	v_mov_b32_e32 v101, v92
.LBB84_687:
	s_or_b32 exec_lo, exec_lo, s1
.LBB84_688:
	s_andn2_saveexec_b32 s0, s0
; %bb.689:
	v_mov_b32_e32 v101, 40
	ds_write2_b64 v98, v[6:7], v[90:91] offset0:41 offset1:42
; %bb.690:
	s_or_b32 exec_lo, exec_lo, s0
	s_mov_b32 s0, exec_lo
	s_waitcnt lgkmcnt(0)
	s_waitcnt_vscnt null, 0x0
	s_barrier
	buffer_gl0_inv
	v_cmpx_lt_i32_e32 40, v101
	s_cbranch_execz .LBB84_692
; %bb.691:
	v_mul_f64 v[10:11], v[0:1], v[10:11]
	ds_read2_b64 v[102:105], v98 offset0:41 offset1:42
	s_waitcnt lgkmcnt(0)
	v_fma_f64 v[6:7], -v[10:11], v[102:103], v[6:7]
	v_fma_f64 v[90:91], -v[10:11], v[104:105], v[90:91]
.LBB84_692:
	s_or_b32 exec_lo, exec_lo, s0
	v_lshl_add_u32 v0, v101, 3, v98
	s_barrier
	buffer_gl0_inv
	v_mov_b32_e32 v92, 41
	ds_write_b64 v0, v[6:7]
	s_waitcnt lgkmcnt(0)
	s_barrier
	buffer_gl0_inv
	ds_read_b64 v[0:1], v98 offset:328
	s_cmp_lt_i32 s7, 43
	s_cbranch_scc1 .LBB84_695
; %bb.693:
	v_add3_u32 v93, v99, 0, 0x150
	v_mov_b32_e32 v92, 41
	s_mov_b32 s0, 42
.LBB84_694:                             ; =>This Inner Loop Header: Depth=1
	ds_read_b64 v[102:103], v93
	v_add_nc_u32_e32 v93, 8, v93
	s_waitcnt lgkmcnt(0)
	v_cmp_lt_f64_e64 vcc_lo, |v[0:1]|, |v[102:103]|
	v_cndmask_b32_e32 v1, v1, v103, vcc_lo
	v_cndmask_b32_e32 v0, v0, v102, vcc_lo
	v_cndmask_b32_e64 v92, v92, s0, vcc_lo
	s_add_i32 s0, s0, 1
	s_cmp_lg_u32 s7, s0
	s_cbranch_scc1 .LBB84_694
.LBB84_695:
	s_mov_b32 s0, exec_lo
	s_waitcnt lgkmcnt(0)
	v_cmpx_eq_f64_e32 0, v[0:1]
	s_xor_b32 s0, exec_lo, s0
; %bb.696:
	v_cmp_ne_u32_e32 vcc_lo, 0, v95
	v_cndmask_b32_e32 v95, 42, v95, vcc_lo
; %bb.697:
	s_andn2_saveexec_b32 s0, s0
	s_cbranch_execz .LBB84_699
; %bb.698:
	v_div_scale_f64 v[93:94], null, v[0:1], v[0:1], 1.0
	v_rcp_f64_e32 v[102:103], v[93:94]
	v_fma_f64 v[104:105], -v[93:94], v[102:103], 1.0
	v_fma_f64 v[102:103], v[102:103], v[104:105], v[102:103]
	v_fma_f64 v[104:105], -v[93:94], v[102:103], 1.0
	v_fma_f64 v[102:103], v[102:103], v[104:105], v[102:103]
	v_div_scale_f64 v[104:105], vcc_lo, 1.0, v[0:1], 1.0
	v_mul_f64 v[106:107], v[104:105], v[102:103]
	v_fma_f64 v[93:94], -v[93:94], v[106:107], v[104:105]
	v_div_fmas_f64 v[93:94], v[93:94], v[102:103], v[106:107]
	v_div_fixup_f64 v[0:1], v[93:94], v[0:1], 1.0
.LBB84_699:
	s_or_b32 exec_lo, exec_lo, s0
	s_mov_b32 s0, exec_lo
	v_cmpx_ne_u32_e64 v101, v92
	s_xor_b32 s0, exec_lo, s0
	s_cbranch_execz .LBB84_705
; %bb.700:
	s_mov_b32 s1, exec_lo
	v_cmpx_eq_u32_e32 41, v101
	s_cbranch_execz .LBB84_704
; %bb.701:
	v_cmp_ne_u32_e32 vcc_lo, 41, v92
	s_xor_b32 s2, s6, -1
	s_and_b32 s3, s2, vcc_lo
	s_and_saveexec_b32 s2, s3
	s_cbranch_execz .LBB84_703
; %bb.702:
	v_ashrrev_i32_e32 v93, 31, v92
	v_lshlrev_b64 v[93:94], 2, v[92:93]
	v_add_co_u32 v93, vcc_lo, v4, v93
	v_add_co_ci_u32_e64 v94, null, v5, v94, vcc_lo
	s_clause 0x1
	global_load_dword v100, v[93:94], off
	global_load_dword v101, v[4:5], off offset:164
	s_waitcnt vmcnt(1)
	global_store_dword v[4:5], v100, off offset:164
	s_waitcnt vmcnt(0)
	global_store_dword v[93:94], v101, off
.LBB84_703:
	s_or_b32 exec_lo, exec_lo, s2
	v_mov_b32_e32 v100, v92
	v_mov_b32_e32 v101, v92
.LBB84_704:
	s_or_b32 exec_lo, exec_lo, s1
.LBB84_705:
	s_andn2_saveexec_b32 s0, s0
; %bb.706:
	v_mov_b32_e32 v101, 41
	ds_write_b64 v98, v[90:91] offset:336
; %bb.707:
	s_or_b32 exec_lo, exec_lo, s0
	s_mov_b32 s0, exec_lo
	s_waitcnt lgkmcnt(0)
	s_waitcnt_vscnt null, 0x0
	s_barrier
	buffer_gl0_inv
	v_cmpx_lt_i32_e32 41, v101
	s_cbranch_execz .LBB84_709
; %bb.708:
	v_mul_f64 v[6:7], v[0:1], v[6:7]
	ds_read_b64 v[0:1], v98 offset:336
	s_waitcnt lgkmcnt(0)
	v_fma_f64 v[90:91], -v[6:7], v[0:1], v[90:91]
.LBB84_709:
	s_or_b32 exec_lo, exec_lo, s0
	v_lshl_add_u32 v0, v101, 3, v98
	s_barrier
	buffer_gl0_inv
	v_mov_b32_e32 v92, 42
	ds_write_b64 v0, v[90:91]
	s_waitcnt lgkmcnt(0)
	s_barrier
	buffer_gl0_inv
	ds_read_b64 v[0:1], v98 offset:336
	s_cmp_lt_i32 s7, 44
	s_cbranch_scc1 .LBB84_712
; %bb.710:
	v_add3_u32 v93, v99, 0, 0x158
	v_mov_b32_e32 v92, 42
	s_mov_b32 s0, 43
.LBB84_711:                             ; =>This Inner Loop Header: Depth=1
	ds_read_b64 v[98:99], v93
	v_add_nc_u32_e32 v93, 8, v93
	s_waitcnt lgkmcnt(0)
	v_cmp_lt_f64_e64 vcc_lo, |v[0:1]|, |v[98:99]|
	v_cndmask_b32_e32 v1, v1, v99, vcc_lo
	v_cndmask_b32_e32 v0, v0, v98, vcc_lo
	v_cndmask_b32_e64 v92, v92, s0, vcc_lo
	s_add_i32 s0, s0, 1
	s_cmp_lg_u32 s7, s0
	s_cbranch_scc1 .LBB84_711
.LBB84_712:
	s_mov_b32 s0, exec_lo
	s_waitcnt lgkmcnt(0)
	v_cmpx_eq_f64_e32 0, v[0:1]
	s_xor_b32 s0, exec_lo, s0
; %bb.713:
	v_cmp_ne_u32_e32 vcc_lo, 0, v95
	v_cndmask_b32_e32 v95, 43, v95, vcc_lo
; %bb.714:
	s_andn2_saveexec_b32 s0, s0
	s_cbranch_execz .LBB84_716
; %bb.715:
	v_div_scale_f64 v[93:94], null, v[0:1], v[0:1], 1.0
	v_rcp_f64_e32 v[98:99], v[93:94]
	v_fma_f64 v[102:103], -v[93:94], v[98:99], 1.0
	v_fma_f64 v[98:99], v[98:99], v[102:103], v[98:99]
	v_fma_f64 v[102:103], -v[93:94], v[98:99], 1.0
	v_fma_f64 v[98:99], v[98:99], v[102:103], v[98:99]
	v_div_scale_f64 v[102:103], vcc_lo, 1.0, v[0:1], 1.0
	v_mul_f64 v[104:105], v[102:103], v[98:99]
	v_fma_f64 v[93:94], -v[93:94], v[104:105], v[102:103]
	v_div_fmas_f64 v[93:94], v[93:94], v[98:99], v[104:105]
	v_div_fixup_f64 v[0:1], v[93:94], v[0:1], 1.0
.LBB84_716:
	s_or_b32 exec_lo, exec_lo, s0
	v_mov_b32_e32 v93, 42
	s_mov_b32 s0, exec_lo
	v_cmpx_ne_u32_e64 v101, v92
	s_cbranch_execz .LBB84_722
; %bb.717:
	s_mov_b32 s1, exec_lo
	v_cmpx_eq_u32_e32 42, v101
	s_cbranch_execz .LBB84_721
; %bb.718:
	v_cmp_ne_u32_e32 vcc_lo, 42, v92
	s_xor_b32 s2, s6, -1
	s_and_b32 s3, s2, vcc_lo
	s_and_saveexec_b32 s2, s3
	s_cbranch_execz .LBB84_720
; %bb.719:
	v_ashrrev_i32_e32 v93, 31, v92
	v_lshlrev_b64 v[93:94], 2, v[92:93]
	v_add_co_u32 v93, vcc_lo, v4, v93
	v_add_co_ci_u32_e64 v94, null, v5, v94, vcc_lo
	s_clause 0x1
	global_load_dword v98, v[93:94], off
	global_load_dword v99, v[4:5], off offset:168
	s_waitcnt vmcnt(1)
	global_store_dword v[4:5], v98, off offset:168
	s_waitcnt vmcnt(0)
	global_store_dword v[93:94], v99, off
.LBB84_720:
	s_or_b32 exec_lo, exec_lo, s2
	v_mov_b32_e32 v100, v92
	v_mov_b32_e32 v101, v92
.LBB84_721:
	s_or_b32 exec_lo, exec_lo, s1
	v_mov_b32_e32 v93, v101
.LBB84_722:
	s_or_b32 exec_lo, exec_lo, s0
	s_load_dwordx8 s[0:7], s[4:5], 0x28
	v_ashrrev_i32_e32 v94, 31, v93
	s_mov_b32 s9, exec_lo
	s_waitcnt lgkmcnt(0)
	s_waitcnt_vscnt null, 0x0
	s_barrier
	buffer_gl0_inv
	s_barrier
	buffer_gl0_inv
	v_cmpx_gt_i32_e32 43, v93
	s_cbranch_execz .LBB84_724
; %bb.723:
	v_mul_lo_u32 v92, s5, v2
	v_mul_lo_u32 v98, s4, v3
	v_mad_u64_u32 v[4:5], null, s4, v2, 0
	s_lshl_b64 s[2:3], s[2:3], 2
	v_add3_u32 v5, v5, v98, v92
	v_lshlrev_b64 v[4:5], 2, v[4:5]
	v_add_co_u32 v92, vcc_lo, s0, v4
	v_add_co_ci_u32_e64 v98, null, s1, v5, vcc_lo
	v_lshlrev_b64 v[4:5], 2, v[93:94]
	v_add_co_u32 v92, vcc_lo, v92, s2
	v_add_co_ci_u32_e64 v98, null, s3, v98, vcc_lo
	v_add_co_u32 v4, vcc_lo, v92, v4
	v_add_co_ci_u32_e64 v5, null, v98, v5, vcc_lo
	v_add3_u32 v92, v100, s13, 1
	global_store_dword v[4:5], v92, off
.LBB84_724:
	s_or_b32 exec_lo, exec_lo, s9
	s_mov_b32 s1, exec_lo
	v_cmpx_eq_u32_e32 0, v93
	s_cbranch_execz .LBB84_727
; %bb.725:
	v_lshlrev_b64 v[2:3], 2, v[2:3]
	v_cmp_ne_u32_e64 s0, 0, v95
	v_add_co_u32 v2, vcc_lo, s6, v2
	v_add_co_ci_u32_e64 v3, null, s7, v3, vcc_lo
	global_load_dword v4, v[2:3], off
	s_waitcnt vmcnt(0)
	v_cmp_eq_u32_e32 vcc_lo, 0, v4
	s_and_b32 s0, vcc_lo, s0
	s_and_b32 exec_lo, exec_lo, s0
	s_cbranch_execz .LBB84_727
; %bb.726:
	v_add_nc_u32_e32 v4, s13, v95
	global_store_dword v[2:3], v4, off
.LBB84_727:
	s_or_b32 exec_lo, exec_lo, s1
	v_mul_f64 v[0:1], v[0:1], v[90:91]
	v_add3_u32 v2, s8, s8, v93
	v_lshlrev_b64 v[4:5], 3, v[93:94]
	v_add_nc_u32_e32 v92, s8, v2
	v_ashrrev_i32_e32 v3, 31, v2
	v_add_co_u32 v4, vcc_lo, v96, v4
	v_add_co_ci_u32_e64 v5, null, v97, v5, vcc_lo
	v_add_nc_u32_e32 v94, s8, v92
	v_lshlrev_b64 v[2:3], 3, v[2:3]
	v_cmp_lt_i32_e32 vcc_lo, 42, v93
	flat_store_dwordx2 v[4:5], v[88:89]
	v_ashrrev_i32_e32 v93, 31, v92
	v_add_nc_u32_e32 v88, s8, v94
	v_add_co_u32 v4, s0, v4, s10
	v_add_co_ci_u32_e64 v5, null, s11, v5, s0
	v_cndmask_b32_e32 v1, v91, v1, vcc_lo
	v_cndmask_b32_e32 v0, v90, v0, vcc_lo
	v_add_co_u32 v2, vcc_lo, v96, v2
	v_ashrrev_i32_e32 v95, 31, v94
	v_add_co_ci_u32_e64 v3, null, v97, v3, vcc_lo
	v_ashrrev_i32_e32 v89, 31, v88
	v_lshlrev_b64 v[90:91], 3, v[92:93]
	flat_store_dwordx2 v[4:5], v[84:85]
	flat_store_dwordx2 v[2:3], v[86:87]
	v_lshlrev_b64 v[2:3], 3, v[94:95]
	v_add_nc_u32_e32 v86, s8, v88
	v_lshlrev_b64 v[84:85], 3, v[88:89]
	v_add_co_u32 v4, vcc_lo, v96, v90
	v_add_co_ci_u32_e64 v5, null, v97, v91, vcc_lo
	v_add_co_u32 v2, vcc_lo, v96, v2
	v_add_co_ci_u32_e64 v3, null, v97, v3, vcc_lo
	v_add_co_u32 v84, vcc_lo, v96, v84
	v_add_nc_u32_e32 v88, s8, v86
	v_add_co_ci_u32_e64 v85, null, v97, v85, vcc_lo
	v_ashrrev_i32_e32 v87, 31, v86
	flat_store_dwordx2 v[4:5], v[82:83]
	flat_store_dwordx2 v[2:3], v[80:81]
	flat_store_dwordx2 v[84:85], v[78:79]
	v_add_nc_u32_e32 v78, s8, v88
	v_ashrrev_i32_e32 v89, 31, v88
	v_lshlrev_b64 v[4:5], 3, v[86:87]
	v_add_nc_u32_e32 v80, s8, v78
	v_lshlrev_b64 v[2:3], 3, v[88:89]
	v_ashrrev_i32_e32 v79, 31, v78
	v_add_co_u32 v4, vcc_lo, v96, v4
	v_add_nc_u32_e32 v82, s8, v80
	v_add_co_ci_u32_e64 v5, null, v97, v5, vcc_lo
	v_add_co_u32 v2, vcc_lo, v96, v2
	v_ashrrev_i32_e32 v81, 31, v80
	v_add_co_ci_u32_e64 v3, null, v97, v3, vcc_lo
	v_ashrrev_i32_e32 v83, 31, v82
	v_lshlrev_b64 v[78:79], 3, v[78:79]
	flat_store_dwordx2 v[4:5], v[76:77]
	flat_store_dwordx2 v[2:3], v[74:75]
	v_lshlrev_b64 v[2:3], 3, v[80:81]
	v_add_nc_u32_e32 v76, s8, v82
	v_lshlrev_b64 v[74:75], 3, v[82:83]
	v_add_co_u32 v4, vcc_lo, v96, v78
	v_add_co_ci_u32_e64 v5, null, v97, v79, vcc_lo
	v_add_co_u32 v2, vcc_lo, v96, v2
	v_add_co_ci_u32_e64 v3, null, v97, v3, vcc_lo
	v_add_co_u32 v74, vcc_lo, v96, v74
	v_add_nc_u32_e32 v78, s8, v76
	v_add_co_ci_u32_e64 v75, null, v97, v75, vcc_lo
	v_ashrrev_i32_e32 v77, 31, v76
	flat_store_dwordx2 v[4:5], v[72:73]
	flat_store_dwordx2 v[2:3], v[68:69]
	flat_store_dwordx2 v[74:75], v[70:71]
	v_add_nc_u32_e32 v68, s8, v78
	v_ashrrev_i32_e32 v79, 31, v78
	v_lshlrev_b64 v[4:5], 3, v[76:77]
	v_add_nc_u32_e32 v70, s8, v68
	v_lshlrev_b64 v[2:3], 3, v[78:79]
	v_ashrrev_i32_e32 v69, 31, v68
	v_add_co_u32 v4, vcc_lo, v96, v4
	v_add_nc_u32_e32 v72, s8, v70
	v_add_co_ci_u32_e64 v5, null, v97, v5, vcc_lo
	;; [unrolled: 30-line block ×6, first 2 shown]
	v_add_co_u32 v2, vcc_lo, v96, v2
	v_ashrrev_i32_e32 v31, 31, v30
	v_add_co_ci_u32_e64 v3, null, v97, v3, vcc_lo
	v_ashrrev_i32_e32 v33, 31, v32
	v_lshlrev_b64 v[28:29], 3, v[28:29]
	flat_store_dwordx2 v[4:5], v[24:25]
	flat_store_dwordx2 v[2:3], v[26:27]
	v_lshlrev_b64 v[2:3], 3, v[30:31]
	v_add_nc_u32_e32 v26, s8, v32
	v_lshlrev_b64 v[24:25], 3, v[32:33]
	v_add_co_u32 v4, vcc_lo, v96, v28
	v_add_co_ci_u32_e64 v5, null, v97, v29, vcc_lo
	v_add_co_u32 v2, vcc_lo, v96, v2
	v_add_nc_u32_e32 v28, s8, v26
	v_add_co_ci_u32_e64 v3, null, v97, v3, vcc_lo
	v_add_co_u32 v24, vcc_lo, v96, v24
	v_ashrrev_i32_e32 v27, 31, v26
	v_add_co_ci_u32_e64 v25, null, v97, v25, vcc_lo
	v_ashrrev_i32_e32 v29, 31, v28
	flat_store_dwordx2 v[4:5], v[22:23]
	v_lshlrev_b64 v[4:5], 3, v[26:27]
	flat_store_dwordx2 v[2:3], v[20:21]
	flat_store_dwordx2 v[24:25], v[18:19]
	v_add_nc_u32_e32 v18, s8, v28
	v_lshlrev_b64 v[2:3], 3, v[28:29]
	v_add_co_u32 v4, vcc_lo, v96, v4
	v_add_nc_u32_e32 v20, s8, v18
	v_add_co_ci_u32_e64 v5, null, v97, v5, vcc_lo
	v_add_co_u32 v2, vcc_lo, v96, v2
	v_add_co_ci_u32_e64 v3, null, v97, v3, vcc_lo
	v_add_nc_u32_e32 v22, s8, v20
	v_ashrrev_i32_e32 v19, 31, v18
	flat_store_dwordx2 v[4:5], v[16:17]
	flat_store_dwordx2 v[2:3], v[14:15]
	v_ashrrev_i32_e32 v21, 31, v20
	v_add_nc_u32_e32 v14, s8, v22
	v_lshlrev_b64 v[4:5], 3, v[18:19]
	v_ashrrev_i32_e32 v23, 31, v22
	v_lshlrev_b64 v[2:3], 3, v[20:21]
	v_add_nc_u32_e32 v18, s8, v14
	v_ashrrev_i32_e32 v15, 31, v14
	v_lshlrev_b64 v[16:17], 3, v[22:23]
	v_add_co_u32 v4, vcc_lo, v96, v4
	v_ashrrev_i32_e32 v19, 31, v18
	v_lshlrev_b64 v[14:15], 3, v[14:15]
	v_add_co_ci_u32_e64 v5, null, v97, v5, vcc_lo
	v_add_co_u32 v2, vcc_lo, v96, v2
	v_lshlrev_b64 v[18:19], 3, v[18:19]
	v_add_co_ci_u32_e64 v3, null, v97, v3, vcc_lo
	v_add_co_u32 v16, vcc_lo, v96, v16
	v_add_co_ci_u32_e64 v17, null, v97, v17, vcc_lo
	v_add_co_u32 v14, vcc_lo, v96, v14
	;; [unrolled: 2-line block ×3, first 2 shown]
	v_add_co_ci_u32_e64 v19, null, v97, v19, vcc_lo
	flat_store_dwordx2 v[4:5], v[12:13]
	flat_store_dwordx2 v[2:3], v[8:9]
	;; [unrolled: 1-line block ×5, first 2 shown]
.LBB84_728:
	s_endpgm
	.section	.rodata,"a",@progbits
	.p2align	6, 0x0
	.amdhsa_kernel _ZN9rocsolver6v33100L18getf2_small_kernelILi43EdiiPKPdEEvT1_T3_lS5_lPS5_llPT2_S5_S5_S7_l
		.amdhsa_group_segment_fixed_size 0
		.amdhsa_private_segment_fixed_size 0
		.amdhsa_kernarg_size 352
		.amdhsa_user_sgpr_count 6
		.amdhsa_user_sgpr_private_segment_buffer 1
		.amdhsa_user_sgpr_dispatch_ptr 0
		.amdhsa_user_sgpr_queue_ptr 0
		.amdhsa_user_sgpr_kernarg_segment_ptr 1
		.amdhsa_user_sgpr_dispatch_id 0
		.amdhsa_user_sgpr_flat_scratch_init 0
		.amdhsa_user_sgpr_private_segment_size 0
		.amdhsa_wavefront_size32 1
		.amdhsa_uses_dynamic_stack 0
		.amdhsa_system_sgpr_private_segment_wavefront_offset 0
		.amdhsa_system_sgpr_workgroup_id_x 1
		.amdhsa_system_sgpr_workgroup_id_y 1
		.amdhsa_system_sgpr_workgroup_id_z 0
		.amdhsa_system_sgpr_workgroup_info 0
		.amdhsa_system_vgpr_workitem_id 1
		.amdhsa_next_free_vgpr 178
		.amdhsa_next_free_sgpr 14
		.amdhsa_reserve_vcc 1
		.amdhsa_reserve_flat_scratch 1
		.amdhsa_float_round_mode_32 0
		.amdhsa_float_round_mode_16_64 0
		.amdhsa_float_denorm_mode_32 3
		.amdhsa_float_denorm_mode_16_64 3
		.amdhsa_dx10_clamp 1
		.amdhsa_ieee_mode 1
		.amdhsa_fp16_overflow 0
		.amdhsa_workgroup_processor_mode 1
		.amdhsa_memory_ordered 1
		.amdhsa_forward_progress 1
		.amdhsa_shared_vgpr_count 0
		.amdhsa_exception_fp_ieee_invalid_op 0
		.amdhsa_exception_fp_denorm_src 0
		.amdhsa_exception_fp_ieee_div_zero 0
		.amdhsa_exception_fp_ieee_overflow 0
		.amdhsa_exception_fp_ieee_underflow 0
		.amdhsa_exception_fp_ieee_inexact 0
		.amdhsa_exception_int_div_zero 0
	.end_amdhsa_kernel
	.section	.text._ZN9rocsolver6v33100L18getf2_small_kernelILi43EdiiPKPdEEvT1_T3_lS5_lPS5_llPT2_S5_S5_S7_l,"axG",@progbits,_ZN9rocsolver6v33100L18getf2_small_kernelILi43EdiiPKPdEEvT1_T3_lS5_lPS5_llPT2_S5_S5_S7_l,comdat
.Lfunc_end84:
	.size	_ZN9rocsolver6v33100L18getf2_small_kernelILi43EdiiPKPdEEvT1_T3_lS5_lPS5_llPT2_S5_S5_S7_l, .Lfunc_end84-_ZN9rocsolver6v33100L18getf2_small_kernelILi43EdiiPKPdEEvT1_T3_lS5_lPS5_llPT2_S5_S5_S7_l
                                        ; -- End function
	.set _ZN9rocsolver6v33100L18getf2_small_kernelILi43EdiiPKPdEEvT1_T3_lS5_lPS5_llPT2_S5_S5_S7_l.num_vgpr, 178
	.set _ZN9rocsolver6v33100L18getf2_small_kernelILi43EdiiPKPdEEvT1_T3_lS5_lPS5_llPT2_S5_S5_S7_l.num_agpr, 0
	.set _ZN9rocsolver6v33100L18getf2_small_kernelILi43EdiiPKPdEEvT1_T3_lS5_lPS5_llPT2_S5_S5_S7_l.numbered_sgpr, 14
	.set _ZN9rocsolver6v33100L18getf2_small_kernelILi43EdiiPKPdEEvT1_T3_lS5_lPS5_llPT2_S5_S5_S7_l.num_named_barrier, 0
	.set _ZN9rocsolver6v33100L18getf2_small_kernelILi43EdiiPKPdEEvT1_T3_lS5_lPS5_llPT2_S5_S5_S7_l.private_seg_size, 0
	.set _ZN9rocsolver6v33100L18getf2_small_kernelILi43EdiiPKPdEEvT1_T3_lS5_lPS5_llPT2_S5_S5_S7_l.uses_vcc, 1
	.set _ZN9rocsolver6v33100L18getf2_small_kernelILi43EdiiPKPdEEvT1_T3_lS5_lPS5_llPT2_S5_S5_S7_l.uses_flat_scratch, 1
	.set _ZN9rocsolver6v33100L18getf2_small_kernelILi43EdiiPKPdEEvT1_T3_lS5_lPS5_llPT2_S5_S5_S7_l.has_dyn_sized_stack, 0
	.set _ZN9rocsolver6v33100L18getf2_small_kernelILi43EdiiPKPdEEvT1_T3_lS5_lPS5_llPT2_S5_S5_S7_l.has_recursion, 0
	.set _ZN9rocsolver6v33100L18getf2_small_kernelILi43EdiiPKPdEEvT1_T3_lS5_lPS5_llPT2_S5_S5_S7_l.has_indirect_call, 0
	.section	.AMDGPU.csdata,"",@progbits
; Kernel info:
; codeLenInByte = 43292
; TotalNumSgprs: 16
; NumVgprs: 178
; ScratchSize: 0
; MemoryBound: 0
; FloatMode: 240
; IeeeMode: 1
; LDSByteSize: 0 bytes/workgroup (compile time only)
; SGPRBlocks: 0
; VGPRBlocks: 22
; NumSGPRsForWavesPerEU: 16
; NumVGPRsForWavesPerEU: 178
; Occupancy: 5
; WaveLimiterHint : 1
; COMPUTE_PGM_RSRC2:SCRATCH_EN: 0
; COMPUTE_PGM_RSRC2:USER_SGPR: 6
; COMPUTE_PGM_RSRC2:TRAP_HANDLER: 0
; COMPUTE_PGM_RSRC2:TGID_X_EN: 1
; COMPUTE_PGM_RSRC2:TGID_Y_EN: 1
; COMPUTE_PGM_RSRC2:TGID_Z_EN: 0
; COMPUTE_PGM_RSRC2:TIDIG_COMP_CNT: 1
	.section	.text._ZN9rocsolver6v33100L23getf2_npvt_small_kernelILi43EdiiPKPdEEvT1_T3_lS5_lPT2_S5_S5_,"axG",@progbits,_ZN9rocsolver6v33100L23getf2_npvt_small_kernelILi43EdiiPKPdEEvT1_T3_lS5_lPT2_S5_S5_,comdat
	.globl	_ZN9rocsolver6v33100L23getf2_npvt_small_kernelILi43EdiiPKPdEEvT1_T3_lS5_lPT2_S5_S5_ ; -- Begin function _ZN9rocsolver6v33100L23getf2_npvt_small_kernelILi43EdiiPKPdEEvT1_T3_lS5_lPT2_S5_S5_
	.p2align	8
	.type	_ZN9rocsolver6v33100L23getf2_npvt_small_kernelILi43EdiiPKPdEEvT1_T3_lS5_lPT2_S5_S5_,@function
_ZN9rocsolver6v33100L23getf2_npvt_small_kernelILi43EdiiPKPdEEvT1_T3_lS5_lPT2_S5_S5_: ; @_ZN9rocsolver6v33100L23getf2_npvt_small_kernelILi43EdiiPKPdEEvT1_T3_lS5_lPT2_S5_S5_
; %bb.0:
	s_mov_b64 s[14:15], s[2:3]
	s_mov_b64 s[12:13], s[0:1]
	s_add_u32 s12, s12, s8
	s_clause 0x1
	s_load_dword s0, s[4:5], 0x44
	s_load_dwordx2 s[8:9], s[4:5], 0x30
	s_addc_u32 s13, s13, 0
	s_waitcnt lgkmcnt(0)
	s_lshr_b32 s10, s0, 16
	s_mov_b32 s0, exec_lo
	v_mad_u64_u32 v[2:3], null, s7, s10, v[1:2]
	v_cmpx_gt_i32_e64 s8, v2
	s_cbranch_execz .LBB85_218
; %bb.1:
	s_clause 0x1
	s_load_dwordx4 s[0:3], s[4:5], 0x8
	s_load_dword s6, s[4:5], 0x18
	v_ashrrev_i32_e32 v3, 31, v2
	v_lshlrev_b32_e32 v90, 3, v0
	v_lshlrev_b32_e32 v176, 3, v1
	s_mulk_i32 s10, 0x158
	v_mad_u32_u24 v246, 0x158, v1, 0
	v_lshlrev_b64 v[4:5], 3, v[2:3]
	v_add3_u32 v1, 0, s10, v176
	s_waitcnt lgkmcnt(0)
	v_add_co_u32 v4, vcc_lo, s0, v4
	v_add_co_ci_u32_e64 v5, null, s1, v5, vcc_lo
	v_add3_u32 v6, s6, s6, v0
	s_lshl_b64 s[2:3], s[2:3], 3
	s_ashr_i32 s7, s6, 31
	global_load_dwordx2 v[4:5], v[4:5], off
	s_lshl_b64 s[0:1], s[6:7], 3
	v_add_nc_u32_e32 v8, s6, v6
	v_ashrrev_i32_e32 v7, 31, v6
	v_add_nc_u32_e32 v10, s6, v8
	v_ashrrev_i32_e32 v9, 31, v8
	v_lshlrev_b64 v[6:7], 3, v[6:7]
	v_add_nc_u32_e32 v12, s6, v10
	v_ashrrev_i32_e32 v11, 31, v10
	v_lshlrev_b64 v[8:9], 3, v[8:9]
	;; [unrolled: 3-line block ×15, first 2 shown]
	v_ashrrev_i32_e32 v39, 31, v38
	v_lshlrev_b64 v[36:37], 3, v[36:37]
	v_add_nc_u32_e32 v40, s6, v38
	v_lshlrev_b64 v[38:39], 3, v[38:39]
	v_add_nc_u32_e32 v42, s6, v40
	v_ashrrev_i32_e32 v41, 31, v40
	v_add_nc_u32_e32 v44, s6, v42
	v_ashrrev_i32_e32 v43, 31, v42
	v_lshlrev_b64 v[40:41], 3, v[40:41]
	v_add_nc_u32_e32 v46, s6, v44
	v_ashrrev_i32_e32 v45, 31, v44
	v_lshlrev_b64 v[42:43], 3, v[42:43]
	v_add_nc_u32_e32 v48, s6, v46
	v_ashrrev_i32_e32 v47, 31, v46
	v_lshlrev_b64 v[44:45], 3, v[44:45]
	v_add_nc_u32_e32 v50, s6, v48
	v_ashrrev_i32_e32 v49, 31, v48
	v_lshlrev_b64 v[46:47], 3, v[46:47]
	v_add_nc_u32_e32 v52, s6, v50
	v_ashrrev_i32_e32 v51, 31, v50
	v_lshlrev_b64 v[48:49], 3, v[48:49]
	v_add_nc_u32_e32 v54, s6, v52
	v_ashrrev_i32_e32 v53, 31, v52
	v_lshlrev_b64 v[50:51], 3, v[50:51]
	v_add_nc_u32_e32 v56, s6, v54
	v_ashrrev_i32_e32 v55, 31, v54
	v_lshlrev_b64 v[52:53], 3, v[52:53]
	v_add_nc_u32_e32 v58, s6, v56
	v_ashrrev_i32_e32 v57, 31, v56
	v_lshlrev_b64 v[54:55], 3, v[54:55]
	v_add_nc_u32_e32 v60, s6, v58
	v_ashrrev_i32_e32 v59, 31, v58
	v_lshlrev_b64 v[56:57], 3, v[56:57]
	v_add_nc_u32_e32 v62, s6, v60
	v_ashrrev_i32_e32 v61, 31, v60
	v_lshlrev_b64 v[58:59], 3, v[58:59]
	v_add_nc_u32_e32 v64, s6, v62
	v_ashrrev_i32_e32 v63, 31, v62
	v_lshlrev_b64 v[60:61], 3, v[60:61]
	v_add_nc_u32_e32 v66, s6, v64
	v_ashrrev_i32_e32 v65, 31, v64
	v_lshlrev_b64 v[62:63], 3, v[62:63]
	v_add_nc_u32_e32 v68, s6, v66
	v_ashrrev_i32_e32 v67, 31, v66
	v_lshlrev_b64 v[64:65], 3, v[64:65]
	v_add_nc_u32_e32 v70, s6, v68
	v_ashrrev_i32_e32 v69, 31, v68
	v_lshlrev_b64 v[66:67], 3, v[66:67]
	v_add_nc_u32_e32 v72, s6, v70
	v_ashrrev_i32_e32 v71, 31, v70
	v_lshlrev_b64 v[68:69], 3, v[68:69]
	v_add_nc_u32_e32 v74, s6, v72
	v_ashrrev_i32_e32 v73, 31, v72
	v_lshlrev_b64 v[70:71], 3, v[70:71]
	v_add_nc_u32_e32 v76, s6, v74
	v_ashrrev_i32_e32 v75, 31, v74
	v_lshlrev_b64 v[72:73], 3, v[72:73]
	v_add_nc_u32_e32 v78, s6, v76
	v_ashrrev_i32_e32 v77, 31, v76
	v_lshlrev_b64 v[74:75], 3, v[74:75]
	v_add_nc_u32_e32 v80, s6, v78
	v_ashrrev_i32_e32 v79, 31, v78
	v_lshlrev_b64 v[76:77], 3, v[76:77]
	v_add_nc_u32_e32 v82, s6, v80
	v_ashrrev_i32_e32 v81, 31, v80
	v_lshlrev_b64 v[78:79], 3, v[78:79]
	v_add_nc_u32_e32 v84, s6, v82
	v_ashrrev_i32_e32 v83, 31, v82
	v_lshlrev_b64 v[80:81], 3, v[80:81]
	v_ashrrev_i32_e32 v85, 31, v84
	v_add_nc_u32_e32 v86, s6, v84
	v_lshlrev_b64 v[82:83], 3, v[82:83]
	v_lshlrev_b64 v[84:85], 3, v[84:85]
	v_ashrrev_i32_e32 v87, 31, v86
	v_lshlrev_b64 v[88:89], 3, v[86:87]
	s_waitcnt vmcnt(0)
	v_add_co_u32 v91, vcc_lo, v4, s2
	v_add_co_ci_u32_e64 v92, null, s3, v5, vcc_lo
	v_add_co_u32 v4, vcc_lo, v91, v6
	v_add_co_ci_u32_e64 v5, null, v92, v7, vcc_lo
	;; [unrolled: 2-line block ×18, first 2 shown]
	s_clause 0xd
	flat_load_dwordx2 v[158:159], v[8:9]
	flat_load_dwordx2 v[142:143], v[10:11]
	;; [unrolled: 1-line block ×14, first 2 shown]
	buffer_store_dword v38, off, s[12:15], 0 offset:40 ; 4-byte Folded Spill
	buffer_store_dword v39, off, s[12:15], 0 offset:44 ; 4-byte Folded Spill
	v_add_co_u32 v36, vcc_lo, v91, v40
	v_add_co_ci_u32_e64 v37, null, v92, v41, vcc_lo
	v_add_co_u32 v40, vcc_lo, v91, v42
	v_add_co_ci_u32_e64 v41, null, v92, v43, vcc_lo
	v_add_co_u32 v42, vcc_lo, v91, v44
	v_add_co_ci_u32_e64 v43, null, v92, v45, vcc_lo
	v_add_co_u32 v44, vcc_lo, v91, v46
	v_add_co_ci_u32_e64 v45, null, v92, v47, vcc_lo
	v_add_co_u32 v46, vcc_lo, v91, v48
	v_add_co_ci_u32_e64 v47, null, v92, v49, vcc_lo
	v_add_co_u32 v48, vcc_lo, v91, v50
	v_add_co_ci_u32_e64 v49, null, v92, v51, vcc_lo
	v_add_co_u32 v50, vcc_lo, v91, v52
	v_add_co_ci_u32_e64 v51, null, v92, v53, vcc_lo
	v_add_co_u32 v52, vcc_lo, v91, v54
	v_add_co_ci_u32_e64 v53, null, v92, v55, vcc_lo
	v_add_co_u32 v54, vcc_lo, v91, v56
	v_add_co_ci_u32_e64 v55, null, v92, v57, vcc_lo
	v_add_co_u32 v56, vcc_lo, v91, v58
	v_add_co_ci_u32_e64 v57, null, v92, v59, vcc_lo
	v_add_co_u32 v58, vcc_lo, v91, v60
	v_add_co_ci_u32_e64 v59, null, v92, v61, vcc_lo
	v_add_co_u32 v60, vcc_lo, v91, v62
	v_add_co_ci_u32_e64 v61, null, v92, v63, vcc_lo
	v_add_co_u32 v62, vcc_lo, v91, v64
	v_add_co_ci_u32_e64 v63, null, v92, v65, vcc_lo
	v_add_co_u32 v64, vcc_lo, v91, v66
	v_add_co_ci_u32_e64 v65, null, v92, v67, vcc_lo
	v_add_co_u32 v66, vcc_lo, v91, v68
	v_add_co_ci_u32_e64 v67, null, v92, v69, vcc_lo
	v_add_co_u32 v68, vcc_lo, v91, v70
	v_add_co_ci_u32_e64 v69, null, v92, v71, vcc_lo
	v_add_co_u32 v70, vcc_lo, v91, v72
	v_add_co_ci_u32_e64 v71, null, v92, v73, vcc_lo
	v_add_co_u32 v72, vcc_lo, v91, v74
	v_add_co_ci_u32_e64 v73, null, v92, v75, vcc_lo
	v_add_co_u32 v74, vcc_lo, v91, v76
	v_add_co_ci_u32_e64 v75, null, v92, v77, vcc_lo
	v_add_co_u32 v76, vcc_lo, v91, v78
	v_add_co_ci_u32_e64 v77, null, v92, v79, vcc_lo
	v_add_co_u32 v78, vcc_lo, v91, v80
	v_add_co_ci_u32_e64 v79, null, v92, v81, vcc_lo
	v_add_co_u32 v80, vcc_lo, v91, v82
	v_add_co_ci_u32_e64 v81, null, v92, v83, vcc_lo
	v_add_co_u32 v82, vcc_lo, v91, v84
	v_add_co_ci_u32_e64 v83, null, v92, v85, vcc_lo
	v_add_co_u32 v86, vcc_lo, v91, v90
	v_add_co_ci_u32_e64 v87, null, 0, v92, vcc_lo
	v_add_co_u32 v84, vcc_lo, v91, v88
	v_add_co_ci_u32_e64 v85, null, v92, v89, vcc_lo
	v_add_co_u32 v160, vcc_lo, v86, s0
	v_add_co_ci_u32_e64 v161, null, s1, v87, vcc_lo
	v_cmp_ne_u32_e64 s1, 0, v0
	v_cmp_eq_u32_e64 s0, 0, v0
	s_clause 0x1c
	flat_load_dwordx2 v[144:145], v[38:39]
	flat_load_dwordx2 v[108:109], v[36:37]
	;; [unrolled: 1-line block ×29, first 2 shown]
	s_and_saveexec_b32 s2, s0
	s_cbranch_execz .LBB85_4
; %bb.2:
	s_waitcnt vmcnt(6) lgkmcnt(6)
	ds_write_b64 v1, v[168:169]
	s_waitcnt vmcnt(4) lgkmcnt(5)
	ds_write2_b64 v246, v[172:173], v[174:175] offset0:1 offset1:2
	s_waitcnt vmcnt(3) lgkmcnt(5)
	ds_write2_b64 v246, v[170:171], v[158:159] offset0:3 offset1:4
	ds_write2_b64 v246, v[142:143], v[156:157] offset0:5 offset1:6
	;; [unrolled: 1-line block ×18, first 2 shown]
	s_waitcnt vmcnt(2) lgkmcnt(22)
	ds_write2_b64 v246, v[88:89], v[164:165] offset0:39 offset1:40
	s_waitcnt vmcnt(0) lgkmcnt(21)
	ds_write2_b64 v246, v[162:163], v[166:167] offset0:41 offset1:42
	ds_read_b64 v[176:177], v1
	s_waitcnt lgkmcnt(0)
	v_cmp_neq_f64_e32 vcc_lo, 0, v[176:177]
	s_and_b32 exec_lo, exec_lo, vcc_lo
	s_cbranch_execz .LBB85_4
; %bb.3:
	v_div_scale_f64 v[178:179], null, v[176:177], v[176:177], 1.0
	v_rcp_f64_e32 v[180:181], v[178:179]
	v_fma_f64 v[182:183], -v[178:179], v[180:181], 1.0
	v_fma_f64 v[180:181], v[180:181], v[182:183], v[180:181]
	v_fma_f64 v[182:183], -v[178:179], v[180:181], 1.0
	v_fma_f64 v[180:181], v[180:181], v[182:183], v[180:181]
	v_div_scale_f64 v[182:183], vcc_lo, 1.0, v[176:177], 1.0
	v_mul_f64 v[184:185], v[182:183], v[180:181]
	v_fma_f64 v[178:179], -v[178:179], v[184:185], v[182:183]
	v_div_fmas_f64 v[178:179], v[178:179], v[180:181], v[184:185]
	v_div_fixup_f64 v[176:177], v[178:179], v[176:177], 1.0
	ds_write_b64 v1, v[176:177]
.LBB85_4:
	s_or_b32 exec_lo, exec_lo, s2
	s_waitcnt vmcnt(0) lgkmcnt(0)
	s_waitcnt_vscnt null, 0x0
	s_barrier
	buffer_gl0_inv
	ds_read_b64 v[176:177], v1
	s_waitcnt lgkmcnt(0)
	buffer_store_dword v176, off, s[12:15], 0 ; 4-byte Folded Spill
	buffer_store_dword v177, off, s[12:15], 0 offset:4 ; 4-byte Folded Spill
	s_and_saveexec_b32 s2, s1
	s_cbranch_execz .LBB85_6
; %bb.5:
	s_clause 0x1
	buffer_load_dword v176, off, s[12:15], 0
	buffer_load_dword v177, off, s[12:15], 0 offset:4
	s_waitcnt vmcnt(0)
	v_mul_f64 v[168:169], v[176:177], v[168:169]
	ds_read2_b64 v[176:179], v246 offset0:1 offset1:2
	ds_read2_b64 v[180:183], v246 offset0:3 offset1:4
	;; [unrolled: 1-line block ×11, first 2 shown]
	s_waitcnt lgkmcnt(10)
	v_fma_f64 v[172:173], -v[168:169], v[176:177], v[172:173]
	v_fma_f64 v[174:175], -v[168:169], v[178:179], v[174:175]
	s_waitcnt lgkmcnt(9)
	v_fma_f64 v[170:171], -v[168:169], v[180:181], v[170:171]
	v_fma_f64 v[158:159], -v[168:169], v[182:183], v[158:159]
	;; [unrolled: 3-line block ×6, first 2 shown]
	ds_read2_b64 v[176:179], v246 offset0:23 offset1:24
	ds_read2_b64 v[180:183], v246 offset0:25 offset1:26
	s_waitcnt lgkmcnt(6)
	v_fma_f64 v[134:135], -v[168:169], v[200:201], v[134:135]
	v_fma_f64 v[148:149], -v[168:169], v[202:203], v[148:149]
	ds_read2_b64 v[184:187], v246 offset0:27 offset1:28
	ds_read2_b64 v[188:191], v246 offset0:29 offset1:30
	s_waitcnt lgkmcnt(7)
	v_fma_f64 v[132:133], -v[168:169], v[204:205], v[132:133]
	v_fma_f64 v[146:147], -v[168:169], v[206:207], v[146:147]
	;; [unrolled: 5-line block ×5, first 2 shown]
	s_waitcnt lgkmcnt(9)
	v_fma_f64 v[104:105], -v[168:169], v[176:177], v[104:105]
	v_fma_f64 v[124:125], -v[168:169], v[178:179], v[124:125]
	s_waitcnt lgkmcnt(8)
	v_fma_f64 v[102:103], -v[168:169], v[180:181], v[102:103]
	v_fma_f64 v[122:123], -v[168:169], v[182:183], v[122:123]
	;; [unrolled: 3-line block ×10, first 2 shown]
.LBB85_6:
	s_or_b32 exec_lo, exec_lo, s2
	s_mov_b32 s1, exec_lo
	s_waitcnt_vscnt null, 0x0
	s_barrier
	buffer_gl0_inv
	v_cmpx_eq_u32_e32 1, v0
	s_cbranch_execz .LBB85_9
; %bb.7:
	v_mov_b32_e32 v176, v174
	v_mov_b32_e32 v177, v175
	;; [unrolled: 1-line block ×20, first 2 shown]
	ds_write_b64 v1, v[172:173]
	ds_write2_b64 v246, v[176:177], v[178:179] offset0:2 offset1:3
	ds_write2_b64 v246, v[180:181], v[182:183] offset0:4 offset1:5
	ds_write2_b64 v246, v[184:185], v[186:187] offset0:6 offset1:7
	ds_write2_b64 v246, v[188:189], v[190:191] offset0:8 offset1:9
	ds_write2_b64 v246, v[192:193], v[194:195] offset0:10 offset1:11
	v_mov_b32_e32 v176, v150
	v_mov_b32_e32 v177, v151
	v_mov_b32_e32 v178, v134
	v_mov_b32_e32 v179, v135
	v_mov_b32_e32 v180, v148
	v_mov_b32_e32 v181, v149
	v_mov_b32_e32 v182, v132
	v_mov_b32_e32 v183, v133
	v_mov_b32_e32 v184, v146
	v_mov_b32_e32 v185, v147
	v_mov_b32_e32 v186, v130
	v_mov_b32_e32 v187, v131
	v_mov_b32_e32 v188, v144
	v_mov_b32_e32 v189, v145
	v_mov_b32_e32 v190, v108
	v_mov_b32_e32 v191, v109
	v_mov_b32_e32 v192, v128
	v_mov_b32_e32 v193, v129
	v_mov_b32_e32 v194, v106
	v_mov_b32_e32 v195, v107
	ds_write2_b64 v246, v[176:177], v[178:179] offset0:12 offset1:13
	ds_write2_b64 v246, v[180:181], v[182:183] offset0:14 offset1:15
	ds_write2_b64 v246, v[184:185], v[186:187] offset0:16 offset1:17
	ds_write2_b64 v246, v[188:189], v[190:191] offset0:18 offset1:19
	ds_write2_b64 v246, v[192:193], v[194:195] offset0:20 offset1:21
	v_mov_b32_e32 v176, v126
	v_mov_b32_e32 v177, v127
	v_mov_b32_e32 v178, v104
	v_mov_b32_e32 v179, v105
	v_mov_b32_e32 v180, v124
	v_mov_b32_e32 v181, v125
	v_mov_b32_e32 v182, v102
	v_mov_b32_e32 v183, v103
	v_mov_b32_e32 v184, v122
	v_mov_b32_e32 v185, v123
	v_mov_b32_e32 v186, v100
	v_mov_b32_e32 v187, v101
	v_mov_b32_e32 v188, v120
	v_mov_b32_e32 v189, v121
	v_mov_b32_e32 v190, v98
	v_mov_b32_e32 v191, v99
	v_mov_b32_e32 v192, v118
	v_mov_b32_e32 v193, v119
	v_mov_b32_e32 v194, v96
	v_mov_b32_e32 v195, v97
	ds_write2_b64 v246, v[176:177], v[178:179] offset0:22 offset1:23
	ds_write2_b64 v246, v[180:181], v[182:183] offset0:24 offset1:25
	ds_write2_b64 v246, v[184:185], v[186:187] offset0:26 offset1:27
	ds_write2_b64 v246, v[188:189], v[190:191] offset0:28 offset1:29
	ds_write2_b64 v246, v[192:193], v[194:195] offset0:30 offset1:31
	v_mov_b32_e32 v176, v116
	v_mov_b32_e32 v177, v117
	v_mov_b32_e32 v178, v94
	v_mov_b32_e32 v179, v95
	v_mov_b32_e32 v180, v114
	v_mov_b32_e32 v181, v115
	v_mov_b32_e32 v182, v92
	v_mov_b32_e32 v183, v93
	v_mov_b32_e32 v184, v112
	v_mov_b32_e32 v185, v113
	v_mov_b32_e32 v186, v90
	v_mov_b32_e32 v187, v91
	v_mov_b32_e32 v188, v110
	v_mov_b32_e32 v189, v111
	v_mov_b32_e32 v190, v88
	v_mov_b32_e32 v191, v89
	v_mov_b32_e32 v192, v164
	v_mov_b32_e32 v193, v165
	v_mov_b32_e32 v194, v162
	v_mov_b32_e32 v195, v163
	ds_write2_b64 v246, v[176:177], v[178:179] offset0:32 offset1:33
	ds_write2_b64 v246, v[180:181], v[182:183] offset0:34 offset1:35
	;; [unrolled: 1-line block ×5, first 2 shown]
	ds_write_b64 v246, v[166:167] offset:336
	ds_read_b64 v[176:177], v1
	s_waitcnt lgkmcnt(0)
	v_cmp_neq_f64_e32 vcc_lo, 0, v[176:177]
	s_and_b32 exec_lo, exec_lo, vcc_lo
	s_cbranch_execz .LBB85_9
; %bb.8:
	v_div_scale_f64 v[178:179], null, v[176:177], v[176:177], 1.0
	v_rcp_f64_e32 v[180:181], v[178:179]
	v_fma_f64 v[182:183], -v[178:179], v[180:181], 1.0
	v_fma_f64 v[180:181], v[180:181], v[182:183], v[180:181]
	v_fma_f64 v[182:183], -v[178:179], v[180:181], 1.0
	v_fma_f64 v[180:181], v[180:181], v[182:183], v[180:181]
	v_div_scale_f64 v[182:183], vcc_lo, 1.0, v[176:177], 1.0
	v_mul_f64 v[184:185], v[182:183], v[180:181]
	v_fma_f64 v[178:179], -v[178:179], v[184:185], v[182:183]
	v_div_fmas_f64 v[178:179], v[178:179], v[180:181], v[184:185]
	v_div_fixup_f64 v[176:177], v[178:179], v[176:177], 1.0
	ds_write_b64 v1, v[176:177]
.LBB85_9:
	s_or_b32 exec_lo, exec_lo, s1
	s_waitcnt lgkmcnt(0)
	s_barrier
	buffer_gl0_inv
	ds_read_b64 v[176:177], v1
	s_mov_b32 s1, exec_lo
	s_waitcnt lgkmcnt(0)
	buffer_store_dword v176, off, s[12:15], 0 offset:8 ; 4-byte Folded Spill
	buffer_store_dword v177, off, s[12:15], 0 offset:12 ; 4-byte Folded Spill
	v_cmpx_lt_u32_e32 1, v0
	s_cbranch_execz .LBB85_11
; %bb.10:
	s_clause 0x1
	buffer_load_dword v176, off, s[12:15], 0 offset:8
	buffer_load_dword v177, off, s[12:15], 0 offset:12
	s_waitcnt vmcnt(0)
	v_mul_f64 v[172:173], v[176:177], v[172:173]
	ds_read2_b64 v[176:179], v246 offset0:2 offset1:3
	ds_read2_b64 v[180:183], v246 offset0:4 offset1:5
	;; [unrolled: 1-line block ×11, first 2 shown]
	s_waitcnt lgkmcnt(10)
	v_fma_f64 v[174:175], -v[172:173], v[176:177], v[174:175]
	v_fma_f64 v[170:171], -v[172:173], v[178:179], v[170:171]
	s_waitcnt lgkmcnt(9)
	v_fma_f64 v[158:159], -v[172:173], v[180:181], v[158:159]
	v_fma_f64 v[142:143], -v[172:173], v[182:183], v[142:143]
	;; [unrolled: 3-line block ×6, first 2 shown]
	ds_read2_b64 v[176:179], v246 offset0:24 offset1:25
	ds_read2_b64 v[180:183], v246 offset0:26 offset1:27
	s_waitcnt lgkmcnt(6)
	v_fma_f64 v[148:149], -v[172:173], v[200:201], v[148:149]
	v_fma_f64 v[132:133], -v[172:173], v[202:203], v[132:133]
	ds_read2_b64 v[184:187], v246 offset0:28 offset1:29
	ds_read2_b64 v[188:191], v246 offset0:30 offset1:31
	s_waitcnt lgkmcnt(7)
	v_fma_f64 v[146:147], -v[172:173], v[204:205], v[146:147]
	v_fma_f64 v[130:131], -v[172:173], v[206:207], v[130:131]
	;; [unrolled: 5-line block ×3, first 2 shown]
	ds_read2_b64 v[200:203], v246 offset0:36 offset1:37
	ds_read2_b64 v[204:207], v246 offset0:38 offset1:39
	s_waitcnt lgkmcnt(9)
	v_fma_f64 v[128:129], -v[172:173], v[212:213], v[128:129]
	ds_read2_b64 v[208:211], v246 offset0:40 offset1:41
	ds_read_b64 v[212:213], v246 offset:336
	v_fma_f64 v[106:107], -v[172:173], v[214:215], v[106:107]
	s_waitcnt lgkmcnt(10)
	v_fma_f64 v[126:127], -v[172:173], v[216:217], v[126:127]
	v_fma_f64 v[104:105], -v[172:173], v[218:219], v[104:105]
	s_waitcnt lgkmcnt(9)
	v_fma_f64 v[124:125], -v[172:173], v[176:177], v[124:125]
	;; [unrolled: 3-line block ×11, first 2 shown]
.LBB85_11:
	s_or_b32 exec_lo, exec_lo, s1
	s_mov_b32 s1, exec_lo
	s_waitcnt_vscnt null, 0x0
	s_barrier
	buffer_gl0_inv
	v_cmpx_eq_u32_e32 2, v0
	s_cbranch_execz .LBB85_14
; %bb.12:
	ds_write_b64 v1, v[174:175]
	ds_write2_b64 v246, v[170:171], v[158:159] offset0:3 offset1:4
	ds_write2_b64 v246, v[142:143], v[156:157] offset0:5 offset1:6
	;; [unrolled: 1-line block ×20, first 2 shown]
	ds_read_b64 v[176:177], v1
	s_waitcnt lgkmcnt(0)
	v_cmp_neq_f64_e32 vcc_lo, 0, v[176:177]
	s_and_b32 exec_lo, exec_lo, vcc_lo
	s_cbranch_execz .LBB85_14
; %bb.13:
	v_div_scale_f64 v[178:179], null, v[176:177], v[176:177], 1.0
	v_rcp_f64_e32 v[180:181], v[178:179]
	v_fma_f64 v[182:183], -v[178:179], v[180:181], 1.0
	v_fma_f64 v[180:181], v[180:181], v[182:183], v[180:181]
	v_fma_f64 v[182:183], -v[178:179], v[180:181], 1.0
	v_fma_f64 v[180:181], v[180:181], v[182:183], v[180:181]
	v_div_scale_f64 v[182:183], vcc_lo, 1.0, v[176:177], 1.0
	v_mul_f64 v[184:185], v[182:183], v[180:181]
	v_fma_f64 v[178:179], -v[178:179], v[184:185], v[182:183]
	v_div_fmas_f64 v[178:179], v[178:179], v[180:181], v[184:185]
	v_div_fixup_f64 v[176:177], v[178:179], v[176:177], 1.0
	ds_write_b64 v1, v[176:177]
.LBB85_14:
	s_or_b32 exec_lo, exec_lo, s1
	s_waitcnt lgkmcnt(0)
	s_barrier
	buffer_gl0_inv
	ds_read_b64 v[176:177], v1
	s_mov_b32 s1, exec_lo
	s_waitcnt lgkmcnt(0)
	buffer_store_dword v176, off, s[12:15], 0 offset:16 ; 4-byte Folded Spill
	buffer_store_dword v177, off, s[12:15], 0 offset:20 ; 4-byte Folded Spill
	v_cmpx_lt_u32_e32 2, v0
	s_cbranch_execz .LBB85_16
; %bb.15:
	s_clause 0x1
	buffer_load_dword v176, off, s[12:15], 0 offset:16
	buffer_load_dword v177, off, s[12:15], 0 offset:20
	s_waitcnt vmcnt(0)
	v_mul_f64 v[174:175], v[176:177], v[174:175]
	ds_read2_b64 v[176:179], v246 offset0:3 offset1:4
	ds_read2_b64 v[180:183], v246 offset0:5 offset1:6
	;; [unrolled: 1-line block ×11, first 2 shown]
	s_waitcnt lgkmcnt(10)
	v_fma_f64 v[170:171], -v[174:175], v[176:177], v[170:171]
	v_fma_f64 v[158:159], -v[174:175], v[178:179], v[158:159]
	s_waitcnt lgkmcnt(9)
	v_fma_f64 v[142:143], -v[174:175], v[180:181], v[142:143]
	v_fma_f64 v[156:157], -v[174:175], v[182:183], v[156:157]
	;; [unrolled: 3-line block ×5, first 2 shown]
	s_waitcnt lgkmcnt(5)
	v_fma_f64 v[134:135], -v[174:175], v[196:197], v[134:135]
	ds_read2_b64 v[176:179], v246 offset0:25 offset1:26
	ds_read2_b64 v[180:183], v246 offset0:27 offset1:28
	v_fma_f64 v[148:149], -v[174:175], v[198:199], v[148:149]
	s_waitcnt lgkmcnt(6)
	v_fma_f64 v[132:133], -v[174:175], v[200:201], v[132:133]
	ds_read2_b64 v[184:187], v246 offset0:29 offset1:30
	ds_read2_b64 v[188:191], v246 offset0:31 offset1:32
	v_fma_f64 v[146:147], -v[174:175], v[202:203], v[146:147]
	;; [unrolled: 5-line block ×4, first 2 shown]
	ds_read2_b64 v[208:211], v246 offset0:41 offset1:42
	s_waitcnt lgkmcnt(10)
	v_fma_f64 v[106:107], -v[174:175], v[212:213], v[106:107]
	v_fma_f64 v[126:127], -v[174:175], v[214:215], v[126:127]
	s_waitcnt lgkmcnt(9)
	v_fma_f64 v[104:105], -v[174:175], v[216:217], v[104:105]
	v_fma_f64 v[124:125], -v[174:175], v[218:219], v[124:125]
	;; [unrolled: 3-line block ×11, first 2 shown]
.LBB85_16:
	s_or_b32 exec_lo, exec_lo, s1
	s_mov_b32 s1, exec_lo
	s_waitcnt_vscnt null, 0x0
	s_barrier
	buffer_gl0_inv
	v_cmpx_eq_u32_e32 3, v0
	s_cbranch_execz .LBB85_19
; %bb.17:
	v_mov_b32_e32 v176, v158
	v_mov_b32_e32 v177, v159
	;; [unrolled: 1-line block ×16, first 2 shown]
	ds_write_b64 v1, v[170:171]
	ds_write2_b64 v246, v[176:177], v[178:179] offset0:4 offset1:5
	ds_write2_b64 v246, v[180:181], v[182:183] offset0:6 offset1:7
	ds_write2_b64 v246, v[184:185], v[186:187] offset0:8 offset1:9
	ds_write2_b64 v246, v[188:189], v[190:191] offset0:10 offset1:11
	v_mov_b32_e32 v176, v150
	v_mov_b32_e32 v177, v151
	v_mov_b32_e32 v178, v134
	v_mov_b32_e32 v179, v135
	v_mov_b32_e32 v180, v148
	v_mov_b32_e32 v181, v149
	v_mov_b32_e32 v182, v132
	v_mov_b32_e32 v183, v133
	v_mov_b32_e32 v184, v146
	v_mov_b32_e32 v185, v147
	v_mov_b32_e32 v186, v130
	v_mov_b32_e32 v187, v131
	v_mov_b32_e32 v188, v144
	v_mov_b32_e32 v189, v145
	v_mov_b32_e32 v190, v108
	v_mov_b32_e32 v191, v109
	v_mov_b32_e32 v192, v128
	v_mov_b32_e32 v193, v129
	v_mov_b32_e32 v194, v106
	v_mov_b32_e32 v195, v107
	ds_write2_b64 v246, v[176:177], v[178:179] offset0:12 offset1:13
	ds_write2_b64 v246, v[180:181], v[182:183] offset0:14 offset1:15
	ds_write2_b64 v246, v[184:185], v[186:187] offset0:16 offset1:17
	ds_write2_b64 v246, v[188:189], v[190:191] offset0:18 offset1:19
	ds_write2_b64 v246, v[192:193], v[194:195] offset0:20 offset1:21
	v_mov_b32_e32 v176, v126
	v_mov_b32_e32 v177, v127
	v_mov_b32_e32 v178, v104
	v_mov_b32_e32 v179, v105
	v_mov_b32_e32 v180, v124
	v_mov_b32_e32 v181, v125
	v_mov_b32_e32 v182, v102
	v_mov_b32_e32 v183, v103
	v_mov_b32_e32 v184, v122
	v_mov_b32_e32 v185, v123
	v_mov_b32_e32 v186, v100
	v_mov_b32_e32 v187, v101
	v_mov_b32_e32 v188, v120
	v_mov_b32_e32 v189, v121
	v_mov_b32_e32 v190, v98
	v_mov_b32_e32 v191, v99
	v_mov_b32_e32 v192, v118
	v_mov_b32_e32 v193, v119
	v_mov_b32_e32 v194, v96
	v_mov_b32_e32 v195, v97
	ds_write2_b64 v246, v[176:177], v[178:179] offset0:22 offset1:23
	;; [unrolled: 25-line block ×3, first 2 shown]
	ds_write2_b64 v246, v[180:181], v[182:183] offset0:34 offset1:35
	ds_write2_b64 v246, v[184:185], v[186:187] offset0:36 offset1:37
	;; [unrolled: 1-line block ×4, first 2 shown]
	ds_write_b64 v246, v[166:167] offset:336
	ds_read_b64 v[176:177], v1
	s_waitcnt lgkmcnt(0)
	v_cmp_neq_f64_e32 vcc_lo, 0, v[176:177]
	s_and_b32 exec_lo, exec_lo, vcc_lo
	s_cbranch_execz .LBB85_19
; %bb.18:
	v_div_scale_f64 v[178:179], null, v[176:177], v[176:177], 1.0
	v_rcp_f64_e32 v[180:181], v[178:179]
	v_fma_f64 v[182:183], -v[178:179], v[180:181], 1.0
	v_fma_f64 v[180:181], v[180:181], v[182:183], v[180:181]
	v_fma_f64 v[182:183], -v[178:179], v[180:181], 1.0
	v_fma_f64 v[180:181], v[180:181], v[182:183], v[180:181]
	v_div_scale_f64 v[182:183], vcc_lo, 1.0, v[176:177], 1.0
	v_mul_f64 v[184:185], v[182:183], v[180:181]
	v_fma_f64 v[178:179], -v[178:179], v[184:185], v[182:183]
	v_div_fmas_f64 v[178:179], v[178:179], v[180:181], v[184:185]
	v_div_fixup_f64 v[176:177], v[178:179], v[176:177], 1.0
	ds_write_b64 v1, v[176:177]
.LBB85_19:
	s_or_b32 exec_lo, exec_lo, s1
	s_waitcnt lgkmcnt(0)
	s_barrier
	buffer_gl0_inv
	ds_read_b64 v[176:177], v1
	s_mov_b32 s1, exec_lo
	s_waitcnt lgkmcnt(0)
	buffer_store_dword v176, off, s[12:15], 0 offset:24 ; 4-byte Folded Spill
	buffer_store_dword v177, off, s[12:15], 0 offset:28 ; 4-byte Folded Spill
	v_cmpx_lt_u32_e32 3, v0
	s_cbranch_execz .LBB85_21
; %bb.20:
	s_clause 0x1
	buffer_load_dword v176, off, s[12:15], 0 offset:24
	buffer_load_dword v177, off, s[12:15], 0 offset:28
	s_waitcnt vmcnt(0)
	v_mul_f64 v[170:171], v[176:177], v[170:171]
	ds_read2_b64 v[176:179], v246 offset0:4 offset1:5
	ds_read2_b64 v[184:187], v246 offset0:6 offset1:7
	;; [unrolled: 1-line block ×11, first 2 shown]
	ds_read_b64 v[180:181], v246 offset:336
	s_waitcnt lgkmcnt(11)
	v_fma_f64 v[158:159], -v[170:171], v[176:177], v[158:159]
	v_fma_f64 v[142:143], -v[170:171], v[178:179], v[142:143]
	s_waitcnt lgkmcnt(10)
	v_fma_f64 v[156:157], -v[170:171], v[184:185], v[156:157]
	v_fma_f64 v[140:141], -v[170:171], v[186:187], v[140:141]
	;; [unrolled: 3-line block ×5, first 2 shown]
	s_waitcnt lgkmcnt(6)
	v_fma_f64 v[148:149], -v[170:171], v[200:201], v[148:149]
	ds_read2_b64 v[176:179], v246 offset0:26 offset1:27
	ds_read2_b64 v[184:187], v246 offset0:28 offset1:29
	v_fma_f64 v[132:133], -v[170:171], v[202:203], v[132:133]
	s_waitcnt lgkmcnt(7)
	v_fma_f64 v[146:147], -v[170:171], v[204:205], v[146:147]
	ds_read2_b64 v[188:191], v246 offset0:30 offset1:31
	ds_read2_b64 v[192:195], v246 offset0:32 offset1:33
	v_fma_f64 v[130:131], -v[170:171], v[206:207], v[130:131]
	;; [unrolled: 5-line block ×3, first 2 shown]
	ds_read2_b64 v[204:207], v246 offset0:38 offset1:39
	ds_read2_b64 v[208:211], v246 offset0:40 offset1:41
	s_waitcnt lgkmcnt(11)
	v_fma_f64 v[128:129], -v[170:171], v[212:213], v[128:129]
	v_fma_f64 v[106:107], -v[170:171], v[214:215], v[106:107]
	s_waitcnt lgkmcnt(10)
	v_fma_f64 v[126:127], -v[170:171], v[216:217], v[126:127]
	v_fma_f64 v[104:105], -v[170:171], v[218:219], v[104:105]
	;; [unrolled: 3-line block ×3, first 2 shown]
	s_waitcnt lgkmcnt(8)
	v_fma_f64 v[166:167], -v[170:171], v[180:181], v[166:167]
	s_waitcnt lgkmcnt(7)
	v_fma_f64 v[122:123], -v[170:171], v[176:177], v[122:123]
	v_fma_f64 v[100:101], -v[170:171], v[178:179], v[100:101]
	s_waitcnt lgkmcnt(6)
	v_fma_f64 v[120:121], -v[170:171], v[184:185], v[120:121]
	;; [unrolled: 3-line block ×8, first 2 shown]
	v_fma_f64 v[162:163], -v[170:171], v[210:211], v[162:163]
.LBB85_21:
	s_or_b32 exec_lo, exec_lo, s1
	s_mov_b32 s1, exec_lo
	s_waitcnt_vscnt null, 0x0
	s_barrier
	buffer_gl0_inv
	v_cmpx_eq_u32_e32 4, v0
	s_cbranch_execz .LBB85_24
; %bb.22:
	ds_write_b64 v1, v[158:159]
	ds_write2_b64 v246, v[142:143], v[156:157] offset0:5 offset1:6
	ds_write2_b64 v246, v[140:141], v[154:155] offset0:7 offset1:8
	;; [unrolled: 1-line block ×19, first 2 shown]
	ds_read_b64 v[176:177], v1
	s_waitcnt lgkmcnt(0)
	v_cmp_neq_f64_e32 vcc_lo, 0, v[176:177]
	s_and_b32 exec_lo, exec_lo, vcc_lo
	s_cbranch_execz .LBB85_24
; %bb.23:
	v_div_scale_f64 v[178:179], null, v[176:177], v[176:177], 1.0
	v_rcp_f64_e32 v[180:181], v[178:179]
	v_fma_f64 v[182:183], -v[178:179], v[180:181], 1.0
	v_fma_f64 v[180:181], v[180:181], v[182:183], v[180:181]
	v_fma_f64 v[182:183], -v[178:179], v[180:181], 1.0
	v_fma_f64 v[180:181], v[180:181], v[182:183], v[180:181]
	v_div_scale_f64 v[182:183], vcc_lo, 1.0, v[176:177], 1.0
	v_mul_f64 v[184:185], v[182:183], v[180:181]
	v_fma_f64 v[178:179], -v[178:179], v[184:185], v[182:183]
	v_div_fmas_f64 v[178:179], v[178:179], v[180:181], v[184:185]
	v_div_fixup_f64 v[176:177], v[178:179], v[176:177], 1.0
	ds_write_b64 v1, v[176:177]
.LBB85_24:
	s_or_b32 exec_lo, exec_lo, s1
	s_waitcnt lgkmcnt(0)
	s_barrier
	buffer_gl0_inv
	ds_read_b64 v[176:177], v1
	s_mov_b32 s1, exec_lo
	s_waitcnt lgkmcnt(0)
	buffer_store_dword v176, off, s[12:15], 0 offset:32 ; 4-byte Folded Spill
	buffer_store_dword v177, off, s[12:15], 0 offset:36 ; 4-byte Folded Spill
	v_cmpx_lt_u32_e32 4, v0
	s_cbranch_execz .LBB85_26
; %bb.25:
	s_clause 0x1
	buffer_load_dword v176, off, s[12:15], 0 offset:32
	buffer_load_dword v177, off, s[12:15], 0 offset:36
	s_waitcnt vmcnt(0)
	v_mul_f64 v[158:159], v[176:177], v[158:159]
	ds_read2_b64 v[176:179], v246 offset0:5 offset1:6
	ds_read2_b64 v[186:189], v246 offset0:7 offset1:8
	;; [unrolled: 1-line block ×12, first 2 shown]
	s_waitcnt lgkmcnt(11)
	v_fma_f64 v[142:143], -v[158:159], v[176:177], v[142:143]
	v_fma_f64 v[156:157], -v[158:159], v[178:179], v[156:157]
	s_waitcnt lgkmcnt(10)
	v_fma_f64 v[140:141], -v[158:159], v[186:187], v[140:141]
	v_fma_f64 v[154:155], -v[158:159], v[188:189], v[154:155]
	;; [unrolled: 3-line block ×5, first 2 shown]
	s_waitcnt lgkmcnt(6)
	v_fma_f64 v[132:133], -v[158:159], v[202:203], v[132:133]
	ds_read2_b64 v[176:179], v246 offset0:29 offset1:30
	ds_read2_b64 v[186:189], v246 offset0:31 offset1:32
	v_fma_f64 v[146:147], -v[158:159], v[204:205], v[146:147]
	s_waitcnt lgkmcnt(7)
	v_fma_f64 v[130:131], -v[158:159], v[206:207], v[130:131]
	ds_read2_b64 v[190:193], v246 offset0:33 offset1:34
	ds_read2_b64 v[194:197], v246 offset0:35 offset1:36
	v_fma_f64 v[144:145], -v[158:159], v[208:209], v[144:145]
	ds_read2_b64 v[198:201], v246 offset0:37 offset1:38
	ds_read2_b64 v[202:205], v246 offset0:39 offset1:40
	;; [unrolled: 1-line block ×3, first 2 shown]
	s_waitcnt lgkmcnt(11)
	v_fma_f64 v[108:109], -v[158:159], v[210:211], v[108:109]
	v_fma_f64 v[128:129], -v[158:159], v[212:213], v[128:129]
	s_waitcnt lgkmcnt(10)
	v_fma_f64 v[106:107], -v[158:159], v[214:215], v[106:107]
	v_fma_f64 v[126:127], -v[158:159], v[216:217], v[126:127]
	;; [unrolled: 3-line block ×12, first 2 shown]
.LBB85_26:
	s_or_b32 exec_lo, exec_lo, s1
	s_mov_b32 s1, exec_lo
	s_waitcnt_vscnt null, 0x0
	s_barrier
	buffer_gl0_inv
	v_cmpx_eq_u32_e32 5, v0
	s_cbranch_execz .LBB85_29
; %bb.27:
	v_mov_b32_e32 v176, v156
	v_mov_b32_e32 v177, v157
	;; [unrolled: 1-line block ×12, first 2 shown]
	ds_write_b64 v1, v[142:143]
	ds_write2_b64 v246, v[176:177], v[178:179] offset0:6 offset1:7
	ds_write2_b64 v246, v[180:181], v[182:183] offset0:8 offset1:9
	ds_write2_b64 v246, v[186:187], v[188:189] offset0:10 offset1:11
	v_mov_b32_e32 v176, v150
	v_mov_b32_e32 v177, v151
	v_mov_b32_e32 v178, v134
	v_mov_b32_e32 v179, v135
	v_mov_b32_e32 v180, v148
	v_mov_b32_e32 v181, v149
	v_mov_b32_e32 v182, v132
	v_mov_b32_e32 v183, v133
	v_mov_b32_e32 v186, v146
	v_mov_b32_e32 v187, v147
	v_mov_b32_e32 v188, v130
	v_mov_b32_e32 v189, v131
	v_mov_b32_e32 v190, v144
	v_mov_b32_e32 v191, v145
	v_mov_b32_e32 v192, v108
	v_mov_b32_e32 v193, v109
	v_mov_b32_e32 v194, v128
	v_mov_b32_e32 v195, v129
	v_mov_b32_e32 v196, v106
	v_mov_b32_e32 v197, v107
	ds_write2_b64 v246, v[176:177], v[178:179] offset0:12 offset1:13
	ds_write2_b64 v246, v[180:181], v[182:183] offset0:14 offset1:15
	ds_write2_b64 v246, v[186:187], v[188:189] offset0:16 offset1:17
	ds_write2_b64 v246, v[190:191], v[192:193] offset0:18 offset1:19
	ds_write2_b64 v246, v[194:195], v[196:197] offset0:20 offset1:21
	v_mov_b32_e32 v176, v126
	v_mov_b32_e32 v177, v127
	v_mov_b32_e32 v178, v104
	v_mov_b32_e32 v179, v105
	v_mov_b32_e32 v180, v124
	v_mov_b32_e32 v181, v125
	v_mov_b32_e32 v182, v102
	v_mov_b32_e32 v183, v103
	v_mov_b32_e32 v186, v122
	v_mov_b32_e32 v187, v123
	v_mov_b32_e32 v188, v100
	v_mov_b32_e32 v189, v101
	v_mov_b32_e32 v190, v120
	v_mov_b32_e32 v191, v121
	v_mov_b32_e32 v192, v98
	v_mov_b32_e32 v193, v99
	v_mov_b32_e32 v194, v118
	v_mov_b32_e32 v195, v119
	v_mov_b32_e32 v196, v96
	v_mov_b32_e32 v197, v97
	ds_write2_b64 v246, v[176:177], v[178:179] offset0:22 offset1:23
	ds_write2_b64 v246, v[180:181], v[182:183] offset0:24 offset1:25
	;; [unrolled: 25-line block ×3, first 2 shown]
	ds_write2_b64 v246, v[186:187], v[188:189] offset0:36 offset1:37
	ds_write2_b64 v246, v[190:191], v[192:193] offset0:38 offset1:39
	;; [unrolled: 1-line block ×3, first 2 shown]
	ds_write_b64 v246, v[166:167] offset:336
	ds_read_b64 v[176:177], v1
	s_waitcnt lgkmcnt(0)
	v_cmp_neq_f64_e32 vcc_lo, 0, v[176:177]
	s_and_b32 exec_lo, exec_lo, vcc_lo
	s_cbranch_execz .LBB85_29
; %bb.28:
	v_div_scale_f64 v[178:179], null, v[176:177], v[176:177], 1.0
	v_rcp_f64_e32 v[180:181], v[178:179]
	v_fma_f64 v[182:183], -v[178:179], v[180:181], 1.0
	v_fma_f64 v[180:181], v[180:181], v[182:183], v[180:181]
	v_fma_f64 v[182:183], -v[178:179], v[180:181], 1.0
	v_fma_f64 v[180:181], v[180:181], v[182:183], v[180:181]
	v_div_scale_f64 v[182:183], vcc_lo, 1.0, v[176:177], 1.0
	v_mul_f64 v[186:187], v[182:183], v[180:181]
	v_fma_f64 v[178:179], -v[178:179], v[186:187], v[182:183]
	v_div_fmas_f64 v[178:179], v[178:179], v[180:181], v[186:187]
	v_div_fixup_f64 v[176:177], v[178:179], v[176:177], 1.0
	ds_write_b64 v1, v[176:177]
.LBB85_29:
	s_or_b32 exec_lo, exec_lo, s1
	s_waitcnt lgkmcnt(0)
	s_barrier
	buffer_gl0_inv
	ds_read_b64 v[186:187], v1
	s_mov_b32 s1, exec_lo
	v_cmpx_lt_u32_e32 5, v0
	s_cbranch_execz .LBB85_31
; %bb.30:
	s_waitcnt lgkmcnt(0)
	v_mul_f64 v[142:143], v[186:187], v[142:143]
	ds_read2_b64 v[176:179], v246 offset0:6 offset1:7
	ds_read2_b64 v[188:191], v246 offset0:8 offset1:9
	;; [unrolled: 1-line block ×12, first 2 shown]
	ds_read_b64 v[180:181], v246 offset:336
	s_waitcnt lgkmcnt(12)
	v_fma_f64 v[156:157], -v[142:143], v[176:177], v[156:157]
	v_fma_f64 v[140:141], -v[142:143], v[178:179], v[140:141]
	s_waitcnt lgkmcnt(11)
	v_fma_f64 v[154:155], -v[142:143], v[188:189], v[154:155]
	v_fma_f64 v[138:139], -v[142:143], v[190:191], v[138:139]
	s_waitcnt lgkmcnt(10)
	v_fma_f64 v[152:153], -v[142:143], v[192:193], v[152:153]
	v_fma_f64 v[136:137], -v[142:143], v[194:195], v[136:137]
	s_waitcnt lgkmcnt(9)
	v_fma_f64 v[150:151], -v[142:143], v[196:197], v[150:151]
	v_fma_f64 v[134:135], -v[142:143], v[198:199], v[134:135]
	s_waitcnt lgkmcnt(8)
	v_fma_f64 v[148:149], -v[142:143], v[200:201], v[148:149]
	v_fma_f64 v[132:133], -v[142:143], v[202:203], v[132:133]
	s_waitcnt lgkmcnt(7)
	v_fma_f64 v[146:147], -v[142:143], v[204:205], v[146:147]
	ds_read2_b64 v[176:179], v246 offset0:30 offset1:31
	ds_read2_b64 v[188:191], v246 offset0:32 offset1:33
	v_fma_f64 v[130:131], -v[142:143], v[206:207], v[130:131]
	ds_read2_b64 v[192:195], v246 offset0:34 offset1:35
	ds_read2_b64 v[196:199], v246 offset0:36 offset1:37
	;; [unrolled: 1-line block ×4, first 2 shown]
	s_waitcnt lgkmcnt(12)
	v_fma_f64 v[144:145], -v[142:143], v[208:209], v[144:145]
	v_fma_f64 v[108:109], -v[142:143], v[210:211], v[108:109]
	s_waitcnt lgkmcnt(11)
	v_fma_f64 v[128:129], -v[142:143], v[212:213], v[128:129]
	v_fma_f64 v[106:107], -v[142:143], v[214:215], v[106:107]
	;; [unrolled: 3-line block ×6, first 2 shown]
	s_waitcnt lgkmcnt(6)
	v_fma_f64 v[166:167], -v[142:143], v[180:181], v[166:167]
	s_waitcnt lgkmcnt(5)
	v_fma_f64 v[118:119], -v[142:143], v[176:177], v[118:119]
	v_fma_f64 v[96:97], -v[142:143], v[178:179], v[96:97]
	s_waitcnt lgkmcnt(4)
	v_fma_f64 v[116:117], -v[142:143], v[188:189], v[116:117]
	v_fma_f64 v[94:95], -v[142:143], v[190:191], v[94:95]
	s_waitcnt lgkmcnt(3)
	v_fma_f64 v[114:115], -v[142:143], v[192:193], v[114:115]
	v_fma_f64 v[92:93], -v[142:143], v[194:195], v[92:93]
	s_waitcnt lgkmcnt(2)
	v_fma_f64 v[112:113], -v[142:143], v[196:197], v[112:113]
	v_fma_f64 v[90:91], -v[142:143], v[198:199], v[90:91]
	s_waitcnt lgkmcnt(1)
	v_fma_f64 v[110:111], -v[142:143], v[200:201], v[110:111]
	v_fma_f64 v[88:89], -v[142:143], v[202:203], v[88:89]
	s_waitcnt lgkmcnt(0)
	v_fma_f64 v[164:165], -v[142:143], v[204:205], v[164:165]
	v_fma_f64 v[162:163], -v[142:143], v[206:207], v[162:163]
.LBB85_31:
	s_or_b32 exec_lo, exec_lo, s1
	s_mov_b32 s1, exec_lo
	s_waitcnt lgkmcnt(0)
	s_barrier
	buffer_gl0_inv
	v_cmpx_eq_u32_e32 6, v0
	s_cbranch_execz .LBB85_34
; %bb.32:
	ds_write_b64 v1, v[156:157]
	ds_write2_b64 v246, v[140:141], v[154:155] offset0:7 offset1:8
	ds_write2_b64 v246, v[138:139], v[152:153] offset0:9 offset1:10
	;; [unrolled: 1-line block ×18, first 2 shown]
	ds_read_b64 v[176:177], v1
	s_waitcnt lgkmcnt(0)
	v_cmp_neq_f64_e32 vcc_lo, 0, v[176:177]
	s_and_b32 exec_lo, exec_lo, vcc_lo
	s_cbranch_execz .LBB85_34
; %bb.33:
	v_div_scale_f64 v[178:179], null, v[176:177], v[176:177], 1.0
	v_rcp_f64_e32 v[180:181], v[178:179]
	v_fma_f64 v[182:183], -v[178:179], v[180:181], 1.0
	v_fma_f64 v[180:181], v[180:181], v[182:183], v[180:181]
	v_fma_f64 v[182:183], -v[178:179], v[180:181], 1.0
	v_fma_f64 v[180:181], v[180:181], v[182:183], v[180:181]
	v_div_scale_f64 v[182:183], vcc_lo, 1.0, v[176:177], 1.0
	v_mul_f64 v[188:189], v[182:183], v[180:181]
	v_fma_f64 v[178:179], -v[178:179], v[188:189], v[182:183]
	v_div_fmas_f64 v[178:179], v[178:179], v[180:181], v[188:189]
	v_div_fixup_f64 v[176:177], v[178:179], v[176:177], 1.0
	ds_write_b64 v1, v[176:177]
.LBB85_34:
	s_or_b32 exec_lo, exec_lo, s1
	s_waitcnt lgkmcnt(0)
	s_barrier
	buffer_gl0_inv
	ds_read_b64 v[188:189], v1
	s_mov_b32 s1, exec_lo
	v_cmpx_lt_u32_e32 6, v0
	s_cbranch_execz .LBB85_36
; %bb.35:
	s_waitcnt lgkmcnt(0)
	v_mul_f64 v[156:157], v[188:189], v[156:157]
	ds_read2_b64 v[176:179], v246 offset0:7 offset1:8
	ds_read2_b64 v[190:193], v246 offset0:9 offset1:10
	;; [unrolled: 1-line block ×12, first 2 shown]
	s_waitcnt lgkmcnt(11)
	v_fma_f64 v[140:141], -v[156:157], v[176:177], v[140:141]
	v_fma_f64 v[154:155], -v[156:157], v[178:179], v[154:155]
	s_waitcnt lgkmcnt(10)
	v_fma_f64 v[138:139], -v[156:157], v[190:191], v[138:139]
	v_fma_f64 v[152:153], -v[156:157], v[192:193], v[152:153]
	;; [unrolled: 3-line block ×5, first 2 shown]
	ds_read2_b64 v[176:179], v246 offset0:31 offset1:32
	ds_read2_b64 v[190:193], v246 offset0:33 offset1:34
	s_waitcnt lgkmcnt(8)
	v_fma_f64 v[130:131], -v[156:157], v[206:207], v[130:131]
	v_fma_f64 v[144:145], -v[156:157], v[208:209], v[144:145]
	ds_read2_b64 v[194:197], v246 offset0:35 offset1:36
	ds_read2_b64 v[198:201], v246 offset0:37 offset1:38
	;; [unrolled: 1-line block ×4, first 2 shown]
	s_waitcnt lgkmcnt(11)
	v_fma_f64 v[108:109], -v[156:157], v[210:211], v[108:109]
	v_fma_f64 v[128:129], -v[156:157], v[212:213], v[128:129]
	s_waitcnt lgkmcnt(10)
	v_fma_f64 v[106:107], -v[156:157], v[214:215], v[106:107]
	v_fma_f64 v[126:127], -v[156:157], v[216:217], v[126:127]
	;; [unrolled: 3-line block ×12, first 2 shown]
.LBB85_36:
	s_or_b32 exec_lo, exec_lo, s1
	s_mov_b32 s1, exec_lo
	s_waitcnt lgkmcnt(0)
	s_barrier
	buffer_gl0_inv
	v_cmpx_eq_u32_e32 7, v0
	s_cbranch_execz .LBB85_39
; %bb.37:
	v_mov_b32_e32 v176, v154
	v_mov_b32_e32 v177, v155
	;; [unrolled: 1-line block ×8, first 2 shown]
	ds_write_b64 v1, v[140:141]
	ds_write2_b64 v246, v[176:177], v[178:179] offset0:8 offset1:9
	ds_write2_b64 v246, v[180:181], v[182:183] offset0:10 offset1:11
	v_mov_b32_e32 v176, v150
	v_mov_b32_e32 v177, v151
	v_mov_b32_e32 v178, v134
	v_mov_b32_e32 v179, v135
	v_mov_b32_e32 v180, v148
	v_mov_b32_e32 v181, v149
	v_mov_b32_e32 v182, v132
	v_mov_b32_e32 v183, v133
	v_mov_b32_e32 v190, v146
	v_mov_b32_e32 v191, v147
	v_mov_b32_e32 v192, v130
	v_mov_b32_e32 v193, v131
	v_mov_b32_e32 v194, v144
	v_mov_b32_e32 v195, v145
	v_mov_b32_e32 v196, v108
	v_mov_b32_e32 v197, v109
	v_mov_b32_e32 v198, v128
	v_mov_b32_e32 v199, v129
	v_mov_b32_e32 v200, v106
	v_mov_b32_e32 v201, v107
	ds_write2_b64 v246, v[176:177], v[178:179] offset0:12 offset1:13
	ds_write2_b64 v246, v[180:181], v[182:183] offset0:14 offset1:15
	ds_write2_b64 v246, v[190:191], v[192:193] offset0:16 offset1:17
	ds_write2_b64 v246, v[194:195], v[196:197] offset0:18 offset1:19
	ds_write2_b64 v246, v[198:199], v[200:201] offset0:20 offset1:21
	v_mov_b32_e32 v176, v126
	v_mov_b32_e32 v177, v127
	v_mov_b32_e32 v178, v104
	v_mov_b32_e32 v179, v105
	v_mov_b32_e32 v180, v124
	v_mov_b32_e32 v181, v125
	v_mov_b32_e32 v182, v102
	v_mov_b32_e32 v183, v103
	v_mov_b32_e32 v190, v122
	v_mov_b32_e32 v191, v123
	v_mov_b32_e32 v192, v100
	v_mov_b32_e32 v193, v101
	v_mov_b32_e32 v194, v120
	v_mov_b32_e32 v195, v121
	v_mov_b32_e32 v196, v98
	v_mov_b32_e32 v197, v99
	v_mov_b32_e32 v198, v118
	v_mov_b32_e32 v199, v119
	v_mov_b32_e32 v200, v96
	v_mov_b32_e32 v201, v97
	ds_write2_b64 v246, v[176:177], v[178:179] offset0:22 offset1:23
	ds_write2_b64 v246, v[180:181], v[182:183] offset0:24 offset1:25
	ds_write2_b64 v246, v[190:191], v[192:193] offset0:26 offset1:27
	;; [unrolled: 25-line block ×3, first 2 shown]
	ds_write2_b64 v246, v[194:195], v[196:197] offset0:38 offset1:39
	ds_write2_b64 v246, v[198:199], v[200:201] offset0:40 offset1:41
	ds_write_b64 v246, v[166:167] offset:336
	ds_read_b64 v[176:177], v1
	s_waitcnt lgkmcnt(0)
	v_cmp_neq_f64_e32 vcc_lo, 0, v[176:177]
	s_and_b32 exec_lo, exec_lo, vcc_lo
	s_cbranch_execz .LBB85_39
; %bb.38:
	v_div_scale_f64 v[178:179], null, v[176:177], v[176:177], 1.0
	v_rcp_f64_e32 v[180:181], v[178:179]
	v_fma_f64 v[182:183], -v[178:179], v[180:181], 1.0
	v_fma_f64 v[180:181], v[180:181], v[182:183], v[180:181]
	v_fma_f64 v[182:183], -v[178:179], v[180:181], 1.0
	v_fma_f64 v[180:181], v[180:181], v[182:183], v[180:181]
	v_div_scale_f64 v[182:183], vcc_lo, 1.0, v[176:177], 1.0
	v_mul_f64 v[190:191], v[182:183], v[180:181]
	v_fma_f64 v[178:179], -v[178:179], v[190:191], v[182:183]
	v_div_fmas_f64 v[178:179], v[178:179], v[180:181], v[190:191]
	v_div_fixup_f64 v[176:177], v[178:179], v[176:177], 1.0
	ds_write_b64 v1, v[176:177]
.LBB85_39:
	s_or_b32 exec_lo, exec_lo, s1
	s_waitcnt lgkmcnt(0)
	s_barrier
	buffer_gl0_inv
	ds_read_b64 v[190:191], v1
	s_mov_b32 s1, exec_lo
	v_cmpx_lt_u32_e32 7, v0
	s_cbranch_execz .LBB85_41
; %bb.40:
	s_waitcnt lgkmcnt(0)
	v_mul_f64 v[140:141], v[190:191], v[140:141]
	ds_read2_b64 v[176:179], v246 offset0:8 offset1:9
	ds_read2_b64 v[192:195], v246 offset0:10 offset1:11
	;; [unrolled: 1-line block ×12, first 2 shown]
	ds_read_b64 v[180:181], v246 offset:336
	s_waitcnt lgkmcnt(12)
	v_fma_f64 v[154:155], -v[140:141], v[176:177], v[154:155]
	v_fma_f64 v[138:139], -v[140:141], v[178:179], v[138:139]
	s_waitcnt lgkmcnt(11)
	v_fma_f64 v[152:153], -v[140:141], v[192:193], v[152:153]
	v_fma_f64 v[136:137], -v[140:141], v[194:195], v[136:137]
	s_waitcnt lgkmcnt(10)
	v_fma_f64 v[150:151], -v[140:141], v[196:197], v[150:151]
	v_fma_f64 v[134:135], -v[140:141], v[198:199], v[134:135]
	s_waitcnt lgkmcnt(9)
	v_fma_f64 v[148:149], -v[140:141], v[200:201], v[148:149]
	v_fma_f64 v[132:133], -v[140:141], v[202:203], v[132:133]
	s_waitcnt lgkmcnt(8)
	v_fma_f64 v[146:147], -v[140:141], v[204:205], v[146:147]
	v_fma_f64 v[130:131], -v[140:141], v[206:207], v[130:131]
	ds_read2_b64 v[176:179], v246 offset0:32 offset1:33
	ds_read2_b64 v[192:195], v246 offset0:34 offset1:35
	;; [unrolled: 1-line block ×5, first 2 shown]
	s_waitcnt lgkmcnt(12)
	v_fma_f64 v[144:145], -v[140:141], v[208:209], v[144:145]
	v_fma_f64 v[108:109], -v[140:141], v[210:211], v[108:109]
	s_waitcnt lgkmcnt(11)
	v_fma_f64 v[128:129], -v[140:141], v[212:213], v[128:129]
	v_fma_f64 v[106:107], -v[140:141], v[214:215], v[106:107]
	;; [unrolled: 3-line block ×7, first 2 shown]
	s_waitcnt lgkmcnt(5)
	v_fma_f64 v[166:167], -v[140:141], v[180:181], v[166:167]
	s_waitcnt lgkmcnt(4)
	v_fma_f64 v[116:117], -v[140:141], v[176:177], v[116:117]
	v_fma_f64 v[94:95], -v[140:141], v[178:179], v[94:95]
	s_waitcnt lgkmcnt(3)
	v_fma_f64 v[114:115], -v[140:141], v[192:193], v[114:115]
	;; [unrolled: 3-line block ×5, first 2 shown]
	v_fma_f64 v[162:163], -v[140:141], v[206:207], v[162:163]
.LBB85_41:
	s_or_b32 exec_lo, exec_lo, s1
	s_mov_b32 s1, exec_lo
	s_waitcnt lgkmcnt(0)
	s_barrier
	buffer_gl0_inv
	v_cmpx_eq_u32_e32 8, v0
	s_cbranch_execz .LBB85_44
; %bb.42:
	ds_write_b64 v1, v[154:155]
	ds_write2_b64 v246, v[138:139], v[152:153] offset0:9 offset1:10
	ds_write2_b64 v246, v[136:137], v[150:151] offset0:11 offset1:12
	;; [unrolled: 1-line block ×17, first 2 shown]
	ds_read_b64 v[176:177], v1
	s_waitcnt lgkmcnt(0)
	v_cmp_neq_f64_e32 vcc_lo, 0, v[176:177]
	s_and_b32 exec_lo, exec_lo, vcc_lo
	s_cbranch_execz .LBB85_44
; %bb.43:
	v_div_scale_f64 v[178:179], null, v[176:177], v[176:177], 1.0
	v_rcp_f64_e32 v[180:181], v[178:179]
	v_fma_f64 v[182:183], -v[178:179], v[180:181], 1.0
	v_fma_f64 v[180:181], v[180:181], v[182:183], v[180:181]
	v_fma_f64 v[182:183], -v[178:179], v[180:181], 1.0
	v_fma_f64 v[180:181], v[180:181], v[182:183], v[180:181]
	v_div_scale_f64 v[182:183], vcc_lo, 1.0, v[176:177], 1.0
	v_mul_f64 v[192:193], v[182:183], v[180:181]
	v_fma_f64 v[178:179], -v[178:179], v[192:193], v[182:183]
	v_div_fmas_f64 v[178:179], v[178:179], v[180:181], v[192:193]
	v_div_fixup_f64 v[176:177], v[178:179], v[176:177], 1.0
	ds_write_b64 v1, v[176:177]
.LBB85_44:
	s_or_b32 exec_lo, exec_lo, s1
	s_waitcnt lgkmcnt(0)
	s_barrier
	buffer_gl0_inv
	ds_read_b64 v[192:193], v1
	s_mov_b32 s1, exec_lo
	v_cmpx_lt_u32_e32 8, v0
	s_cbranch_execz .LBB85_46
; %bb.45:
	s_waitcnt lgkmcnt(0)
	v_mul_f64 v[154:155], v[192:193], v[154:155]
	ds_read2_b64 v[176:179], v246 offset0:9 offset1:10
	ds_read2_b64 v[194:197], v246 offset0:11 offset1:12
	;; [unrolled: 1-line block ×13, first 2 shown]
	s_waitcnt lgkmcnt(12)
	v_fma_f64 v[138:139], -v[154:155], v[176:177], v[138:139]
	v_fma_f64 v[152:153], -v[154:155], v[178:179], v[152:153]
	s_waitcnt lgkmcnt(11)
	v_fma_f64 v[136:137], -v[154:155], v[194:195], v[136:137]
	v_fma_f64 v[150:151], -v[154:155], v[196:197], v[150:151]
	;; [unrolled: 3-line block ×4, first 2 shown]
	ds_read2_b64 v[176:179], v246 offset0:35 offset1:36
	ds_read2_b64 v[194:197], v246 offset0:37 offset1:38
	;; [unrolled: 1-line block ×4, first 2 shown]
	s_waitcnt lgkmcnt(12)
	v_fma_f64 v[130:131], -v[154:155], v[206:207], v[130:131]
	v_fma_f64 v[144:145], -v[154:155], v[208:209], v[144:145]
	s_waitcnt lgkmcnt(11)
	v_fma_f64 v[108:109], -v[154:155], v[210:211], v[108:109]
	v_fma_f64 v[128:129], -v[154:155], v[212:213], v[128:129]
	;; [unrolled: 3-line block ×13, first 2 shown]
.LBB85_46:
	s_or_b32 exec_lo, exec_lo, s1
	s_mov_b32 s1, exec_lo
	s_waitcnt lgkmcnt(0)
	s_barrier
	buffer_gl0_inv
	v_cmpx_eq_u32_e32 9, v0
	s_cbranch_execz .LBB85_49
; %bb.47:
	v_mov_b32_e32 v176, v152
	v_mov_b32_e32 v177, v153
	;; [unrolled: 1-line block ×4, first 2 shown]
	ds_write_b64 v1, v[138:139]
	ds_write2_b64 v246, v[176:177], v[178:179] offset0:10 offset1:11
	v_mov_b32_e32 v176, v150
	v_mov_b32_e32 v177, v151
	v_mov_b32_e32 v178, v134
	v_mov_b32_e32 v179, v135
	v_mov_b32_e32 v180, v148
	v_mov_b32_e32 v181, v149
	v_mov_b32_e32 v182, v132
	v_mov_b32_e32 v183, v133
	v_mov_b32_e32 v194, v146
	v_mov_b32_e32 v195, v147
	v_mov_b32_e32 v196, v130
	v_mov_b32_e32 v197, v131
	v_mov_b32_e32 v198, v144
	v_mov_b32_e32 v199, v145
	v_mov_b32_e32 v200, v108
	v_mov_b32_e32 v201, v109
	v_mov_b32_e32 v202, v128
	v_mov_b32_e32 v203, v129
	v_mov_b32_e32 v204, v106
	v_mov_b32_e32 v205, v107
	ds_write2_b64 v246, v[176:177], v[178:179] offset0:12 offset1:13
	ds_write2_b64 v246, v[180:181], v[182:183] offset0:14 offset1:15
	ds_write2_b64 v246, v[194:195], v[196:197] offset0:16 offset1:17
	ds_write2_b64 v246, v[198:199], v[200:201] offset0:18 offset1:19
	ds_write2_b64 v246, v[202:203], v[204:205] offset0:20 offset1:21
	v_mov_b32_e32 v176, v126
	v_mov_b32_e32 v177, v127
	v_mov_b32_e32 v178, v104
	v_mov_b32_e32 v179, v105
	v_mov_b32_e32 v180, v124
	v_mov_b32_e32 v181, v125
	v_mov_b32_e32 v182, v102
	v_mov_b32_e32 v183, v103
	v_mov_b32_e32 v194, v122
	v_mov_b32_e32 v195, v123
	v_mov_b32_e32 v196, v100
	v_mov_b32_e32 v197, v101
	v_mov_b32_e32 v198, v120
	v_mov_b32_e32 v199, v121
	v_mov_b32_e32 v200, v98
	v_mov_b32_e32 v201, v99
	v_mov_b32_e32 v202, v118
	v_mov_b32_e32 v203, v119
	v_mov_b32_e32 v204, v96
	v_mov_b32_e32 v205, v97
	ds_write2_b64 v246, v[176:177], v[178:179] offset0:22 offset1:23
	ds_write2_b64 v246, v[180:181], v[182:183] offset0:24 offset1:25
	ds_write2_b64 v246, v[194:195], v[196:197] offset0:26 offset1:27
	ds_write2_b64 v246, v[198:199], v[200:201] offset0:28 offset1:29
	ds_write2_b64 v246, v[202:203], v[204:205] offset0:30 offset1:31
	v_mov_b32_e32 v176, v116
	v_mov_b32_e32 v177, v117
	v_mov_b32_e32 v178, v94
	v_mov_b32_e32 v179, v95
	v_mov_b32_e32 v180, v114
	v_mov_b32_e32 v181, v115
	v_mov_b32_e32 v182, v92
	v_mov_b32_e32 v183, v93
	v_mov_b32_e32 v194, v112
	v_mov_b32_e32 v195, v113
	v_mov_b32_e32 v196, v90
	v_mov_b32_e32 v197, v91
	v_mov_b32_e32 v198, v110
	v_mov_b32_e32 v199, v111
	v_mov_b32_e32 v200, v88
	v_mov_b32_e32 v201, v89
	v_mov_b32_e32 v202, v164
	v_mov_b32_e32 v203, v165
	v_mov_b32_e32 v204, v162
	v_mov_b32_e32 v205, v163
	ds_write2_b64 v246, v[176:177], v[178:179] offset0:32 offset1:33
	ds_write2_b64 v246, v[180:181], v[182:183] offset0:34 offset1:35
	ds_write2_b64 v246, v[194:195], v[196:197] offset0:36 offset1:37
	ds_write2_b64 v246, v[198:199], v[200:201] offset0:38 offset1:39
	ds_write2_b64 v246, v[202:203], v[204:205] offset0:40 offset1:41
	ds_write_b64 v246, v[166:167] offset:336
	ds_read_b64 v[176:177], v1
	s_waitcnt lgkmcnt(0)
	v_cmp_neq_f64_e32 vcc_lo, 0, v[176:177]
	s_and_b32 exec_lo, exec_lo, vcc_lo
	s_cbranch_execz .LBB85_49
; %bb.48:
	v_div_scale_f64 v[178:179], null, v[176:177], v[176:177], 1.0
	v_rcp_f64_e32 v[180:181], v[178:179]
	v_fma_f64 v[182:183], -v[178:179], v[180:181], 1.0
	v_fma_f64 v[180:181], v[180:181], v[182:183], v[180:181]
	v_fma_f64 v[182:183], -v[178:179], v[180:181], 1.0
	v_fma_f64 v[180:181], v[180:181], v[182:183], v[180:181]
	v_div_scale_f64 v[182:183], vcc_lo, 1.0, v[176:177], 1.0
	v_mul_f64 v[194:195], v[182:183], v[180:181]
	v_fma_f64 v[178:179], -v[178:179], v[194:195], v[182:183]
	v_div_fmas_f64 v[178:179], v[178:179], v[180:181], v[194:195]
	v_div_fixup_f64 v[176:177], v[178:179], v[176:177], 1.0
	ds_write_b64 v1, v[176:177]
.LBB85_49:
	s_or_b32 exec_lo, exec_lo, s1
	s_waitcnt lgkmcnt(0)
	s_barrier
	buffer_gl0_inv
	ds_read_b64 v[194:195], v1
	s_mov_b32 s1, exec_lo
	v_cmpx_lt_u32_e32 9, v0
	s_cbranch_execz .LBB85_51
; %bb.50:
	s_waitcnt lgkmcnt(0)
	v_mul_f64 v[138:139], v[194:195], v[138:139]
	ds_read2_b64 v[176:179], v246 offset0:10 offset1:11
	ds_read2_b64 v[196:199], v246 offset0:12 offset1:13
	;; [unrolled: 1-line block ×13, first 2 shown]
	ds_read_b64 v[180:181], v246 offset:336
	s_waitcnt lgkmcnt(13)
	v_fma_f64 v[152:153], -v[138:139], v[176:177], v[152:153]
	v_fma_f64 v[136:137], -v[138:139], v[178:179], v[136:137]
	s_waitcnt lgkmcnt(12)
	v_fma_f64 v[150:151], -v[138:139], v[196:197], v[150:151]
	v_fma_f64 v[134:135], -v[138:139], v[198:199], v[134:135]
	;; [unrolled: 3-line block ×3, first 2 shown]
	ds_read2_b64 v[176:179], v246 offset0:36 offset1:37
	ds_read2_b64 v[196:199], v246 offset0:38 offset1:39
	;; [unrolled: 1-line block ×3, first 2 shown]
	s_waitcnt lgkmcnt(13)
	v_fma_f64 v[146:147], -v[138:139], v[204:205], v[146:147]
	v_fma_f64 v[130:131], -v[138:139], v[206:207], v[130:131]
	s_waitcnt lgkmcnt(12)
	v_fma_f64 v[144:145], -v[138:139], v[208:209], v[144:145]
	v_fma_f64 v[108:109], -v[138:139], v[210:211], v[108:109]
	;; [unrolled: 3-line block ×13, first 2 shown]
	v_fma_f64 v[166:167], -v[138:139], v[180:181], v[166:167]
.LBB85_51:
	s_or_b32 exec_lo, exec_lo, s1
	s_mov_b32 s1, exec_lo
	s_waitcnt lgkmcnt(0)
	s_barrier
	buffer_gl0_inv
	v_cmpx_eq_u32_e32 10, v0
	s_cbranch_execz .LBB85_54
; %bb.52:
	ds_write_b64 v1, v[152:153]
	ds_write2_b64 v246, v[136:137], v[150:151] offset0:11 offset1:12
	ds_write2_b64 v246, v[134:135], v[148:149] offset0:13 offset1:14
	;; [unrolled: 1-line block ×16, first 2 shown]
	ds_read_b64 v[176:177], v1
	s_waitcnt lgkmcnt(0)
	v_cmp_neq_f64_e32 vcc_lo, 0, v[176:177]
	s_and_b32 exec_lo, exec_lo, vcc_lo
	s_cbranch_execz .LBB85_54
; %bb.53:
	v_div_scale_f64 v[178:179], null, v[176:177], v[176:177], 1.0
	v_rcp_f64_e32 v[180:181], v[178:179]
	v_fma_f64 v[182:183], -v[178:179], v[180:181], 1.0
	v_fma_f64 v[180:181], v[180:181], v[182:183], v[180:181]
	v_fma_f64 v[182:183], -v[178:179], v[180:181], 1.0
	v_fma_f64 v[180:181], v[180:181], v[182:183], v[180:181]
	v_div_scale_f64 v[182:183], vcc_lo, 1.0, v[176:177], 1.0
	v_mul_f64 v[196:197], v[182:183], v[180:181]
	v_fma_f64 v[178:179], -v[178:179], v[196:197], v[182:183]
	v_div_fmas_f64 v[178:179], v[178:179], v[180:181], v[196:197]
	v_div_fixup_f64 v[176:177], v[178:179], v[176:177], 1.0
	ds_write_b64 v1, v[176:177]
.LBB85_54:
	s_or_b32 exec_lo, exec_lo, s1
	s_waitcnt lgkmcnt(0)
	s_barrier
	buffer_gl0_inv
	ds_read_b64 v[196:197], v1
	s_mov_b32 s1, exec_lo
	v_cmpx_lt_u32_e32 10, v0
	s_cbranch_execz .LBB85_56
; %bb.55:
	s_waitcnt lgkmcnt(0)
	v_mul_f64 v[152:153], v[196:197], v[152:153]
	ds_read2_b64 v[176:179], v246 offset0:11 offset1:12
	ds_read2_b64 v[198:201], v246 offset0:13 offset1:14
	ds_read2_b64 v[202:205], v246 offset0:15 offset1:16
	ds_read2_b64 v[206:209], v246 offset0:17 offset1:18
	ds_read2_b64 v[210:213], v246 offset0:19 offset1:20
	ds_read2_b64 v[214:217], v246 offset0:21 offset1:22
	ds_read2_b64 v[218:221], v246 offset0:23 offset1:24
	ds_read2_b64 v[222:225], v246 offset0:25 offset1:26
	ds_read2_b64 v[226:229], v246 offset0:27 offset1:28
	ds_read2_b64 v[230:233], v246 offset0:29 offset1:30
	ds_read2_b64 v[234:237], v246 offset0:31 offset1:32
	ds_read2_b64 v[238:241], v246 offset0:33 offset1:34
	ds_read2_b64 v[242:245], v246 offset0:35 offset1:36
	s_waitcnt lgkmcnt(12)
	v_fma_f64 v[136:137], -v[152:153], v[176:177], v[136:137]
	v_fma_f64 v[150:151], -v[152:153], v[178:179], v[150:151]
	s_waitcnt lgkmcnt(11)
	v_fma_f64 v[134:135], -v[152:153], v[198:199], v[134:135]
	v_fma_f64 v[148:149], -v[152:153], v[200:201], v[148:149]
	;; [unrolled: 3-line block ×3, first 2 shown]
	ds_read2_b64 v[176:179], v246 offset0:37 offset1:38
	ds_read2_b64 v[198:201], v246 offset0:39 offset1:40
	;; [unrolled: 1-line block ×3, first 2 shown]
	s_waitcnt lgkmcnt(12)
	v_fma_f64 v[130:131], -v[152:153], v[206:207], v[130:131]
	v_fma_f64 v[144:145], -v[152:153], v[208:209], v[144:145]
	s_waitcnt lgkmcnt(11)
	v_fma_f64 v[108:109], -v[152:153], v[210:211], v[108:109]
	v_fma_f64 v[128:129], -v[152:153], v[212:213], v[128:129]
	;; [unrolled: 3-line block ×13, first 2 shown]
.LBB85_56:
	s_or_b32 exec_lo, exec_lo, s1
	s_mov_b32 s1, exec_lo
	s_waitcnt lgkmcnt(0)
	s_barrier
	buffer_gl0_inv
	v_cmpx_eq_u32_e32 11, v0
	s_cbranch_execz .LBB85_59
; %bb.57:
	v_mov_b32_e32 v176, v150
	v_mov_b32_e32 v177, v151
	;; [unrolled: 1-line block ×20, first 2 shown]
	ds_write_b64 v1, v[136:137]
	ds_write2_b64 v246, v[176:177], v[178:179] offset0:12 offset1:13
	ds_write2_b64 v246, v[180:181], v[182:183] offset0:14 offset1:15
	;; [unrolled: 1-line block ×5, first 2 shown]
	v_mov_b32_e32 v176, v126
	v_mov_b32_e32 v177, v127
	;; [unrolled: 1-line block ×20, first 2 shown]
	ds_write2_b64 v246, v[176:177], v[178:179] offset0:22 offset1:23
	ds_write2_b64 v246, v[180:181], v[182:183] offset0:24 offset1:25
	;; [unrolled: 1-line block ×5, first 2 shown]
	v_mov_b32_e32 v176, v116
	v_mov_b32_e32 v177, v117
	;; [unrolled: 1-line block ×20, first 2 shown]
	ds_write2_b64 v246, v[176:177], v[178:179] offset0:32 offset1:33
	ds_write2_b64 v246, v[180:181], v[182:183] offset0:34 offset1:35
	;; [unrolled: 1-line block ×5, first 2 shown]
	ds_write_b64 v246, v[166:167] offset:336
	ds_read_b64 v[176:177], v1
	s_waitcnt lgkmcnt(0)
	v_cmp_neq_f64_e32 vcc_lo, 0, v[176:177]
	s_and_b32 exec_lo, exec_lo, vcc_lo
	s_cbranch_execz .LBB85_59
; %bb.58:
	v_div_scale_f64 v[178:179], null, v[176:177], v[176:177], 1.0
	v_rcp_f64_e32 v[180:181], v[178:179]
	v_fma_f64 v[182:183], -v[178:179], v[180:181], 1.0
	v_fma_f64 v[180:181], v[180:181], v[182:183], v[180:181]
	v_fma_f64 v[182:183], -v[178:179], v[180:181], 1.0
	v_fma_f64 v[180:181], v[180:181], v[182:183], v[180:181]
	v_div_scale_f64 v[182:183], vcc_lo, 1.0, v[176:177], 1.0
	v_mul_f64 v[198:199], v[182:183], v[180:181]
	v_fma_f64 v[178:179], -v[178:179], v[198:199], v[182:183]
	v_div_fmas_f64 v[178:179], v[178:179], v[180:181], v[198:199]
	v_div_fixup_f64 v[176:177], v[178:179], v[176:177], 1.0
	ds_write_b64 v1, v[176:177]
.LBB85_59:
	s_or_b32 exec_lo, exec_lo, s1
	s_waitcnt lgkmcnt(0)
	s_barrier
	buffer_gl0_inv
	ds_read_b64 v[198:199], v1
	s_mov_b32 s1, exec_lo
	v_cmpx_lt_u32_e32 11, v0
	s_cbranch_execz .LBB85_61
; %bb.60:
	s_waitcnt lgkmcnt(0)
	v_mul_f64 v[136:137], v[198:199], v[136:137]
	ds_read2_b64 v[176:179], v246 offset0:12 offset1:13
	ds_read2_b64 v[200:203], v246 offset0:14 offset1:15
	;; [unrolled: 1-line block ×13, first 2 shown]
	ds_read_b64 v[180:181], v246 offset:336
	s_waitcnt lgkmcnt(13)
	v_fma_f64 v[150:151], -v[136:137], v[176:177], v[150:151]
	v_fma_f64 v[134:135], -v[136:137], v[178:179], v[134:135]
	s_waitcnt lgkmcnt(12)
	v_fma_f64 v[148:149], -v[136:137], v[200:201], v[148:149]
	v_fma_f64 v[132:133], -v[136:137], v[202:203], v[132:133]
	ds_read2_b64 v[176:179], v246 offset0:38 offset1:39
	ds_read2_b64 v[200:203], v246 offset0:40 offset1:41
	s_waitcnt lgkmcnt(13)
	v_fma_f64 v[146:147], -v[136:137], v[204:205], v[146:147]
	v_fma_f64 v[130:131], -v[136:137], v[206:207], v[130:131]
	s_waitcnt lgkmcnt(12)
	v_fma_f64 v[144:145], -v[136:137], v[208:209], v[144:145]
	v_fma_f64 v[108:109], -v[136:137], v[210:211], v[108:109]
	;; [unrolled: 3-line block ×13, first 2 shown]
	v_fma_f64 v[166:167], -v[136:137], v[180:181], v[166:167]
.LBB85_61:
	s_or_b32 exec_lo, exec_lo, s1
	s_mov_b32 s1, exec_lo
	s_waitcnt lgkmcnt(0)
	s_barrier
	buffer_gl0_inv
	v_cmpx_eq_u32_e32 12, v0
	s_cbranch_execz .LBB85_64
; %bb.62:
	ds_write_b64 v1, v[150:151]
	ds_write2_b64 v246, v[134:135], v[148:149] offset0:13 offset1:14
	ds_write2_b64 v246, v[132:133], v[146:147] offset0:15 offset1:16
	;; [unrolled: 1-line block ×15, first 2 shown]
	ds_read_b64 v[176:177], v1
	s_waitcnt lgkmcnt(0)
	v_cmp_neq_f64_e32 vcc_lo, 0, v[176:177]
	s_and_b32 exec_lo, exec_lo, vcc_lo
	s_cbranch_execz .LBB85_64
; %bb.63:
	v_div_scale_f64 v[178:179], null, v[176:177], v[176:177], 1.0
	v_rcp_f64_e32 v[180:181], v[178:179]
	v_fma_f64 v[182:183], -v[178:179], v[180:181], 1.0
	v_fma_f64 v[180:181], v[180:181], v[182:183], v[180:181]
	v_fma_f64 v[182:183], -v[178:179], v[180:181], 1.0
	v_fma_f64 v[180:181], v[180:181], v[182:183], v[180:181]
	v_div_scale_f64 v[182:183], vcc_lo, 1.0, v[176:177], 1.0
	v_mul_f64 v[200:201], v[182:183], v[180:181]
	v_fma_f64 v[178:179], -v[178:179], v[200:201], v[182:183]
	v_div_fmas_f64 v[178:179], v[178:179], v[180:181], v[200:201]
	v_div_fixup_f64 v[176:177], v[178:179], v[176:177], 1.0
	ds_write_b64 v1, v[176:177]
.LBB85_64:
	s_or_b32 exec_lo, exec_lo, s1
	s_waitcnt lgkmcnt(0)
	s_barrier
	buffer_gl0_inv
	ds_read_b64 v[200:201], v1
	s_mov_b32 s1, exec_lo
	v_cmpx_lt_u32_e32 12, v0
	s_cbranch_execz .LBB85_66
; %bb.65:
	s_waitcnt lgkmcnt(0)
	v_mul_f64 v[150:151], v[200:201], v[150:151]
	ds_read2_b64 v[176:179], v246 offset0:13 offset1:14
	s_waitcnt lgkmcnt(0)
	v_fma_f64 v[134:135], -v[150:151], v[176:177], v[134:135]
	v_fma_f64 v[148:149], -v[150:151], v[178:179], v[148:149]
	ds_read2_b64 v[176:179], v246 offset0:15 offset1:16
	s_waitcnt lgkmcnt(0)
	v_fma_f64 v[132:133], -v[150:151], v[176:177], v[132:133]
	v_fma_f64 v[146:147], -v[150:151], v[178:179], v[146:147]
	;; [unrolled: 4-line block ×15, first 2 shown]
.LBB85_66:
	s_or_b32 exec_lo, exec_lo, s1
	s_mov_b32 s1, exec_lo
	s_waitcnt lgkmcnt(0)
	s_barrier
	buffer_gl0_inv
	v_cmpx_eq_u32_e32 13, v0
	s_cbranch_execz .LBB85_69
; %bb.67:
	v_mov_b32_e32 v176, v148
	v_mov_b32_e32 v177, v149
	;; [unrolled: 1-line block ×16, first 2 shown]
	ds_write_b64 v1, v[134:135]
	ds_write2_b64 v246, v[176:177], v[178:179] offset0:14 offset1:15
	ds_write2_b64 v246, v[180:181], v[182:183] offset0:16 offset1:17
	;; [unrolled: 1-line block ×4, first 2 shown]
	v_mov_b32_e32 v176, v126
	v_mov_b32_e32 v177, v127
	;; [unrolled: 1-line block ×20, first 2 shown]
	ds_write2_b64 v246, v[176:177], v[178:179] offset0:22 offset1:23
	ds_write2_b64 v246, v[180:181], v[182:183] offset0:24 offset1:25
	;; [unrolled: 1-line block ×5, first 2 shown]
	v_mov_b32_e32 v176, v116
	v_mov_b32_e32 v177, v117
	;; [unrolled: 1-line block ×20, first 2 shown]
	ds_write2_b64 v246, v[176:177], v[178:179] offset0:32 offset1:33
	ds_write2_b64 v246, v[180:181], v[182:183] offset0:34 offset1:35
	;; [unrolled: 1-line block ×5, first 2 shown]
	ds_write_b64 v246, v[166:167] offset:336
	ds_read_b64 v[176:177], v1
	s_waitcnt lgkmcnt(0)
	v_cmp_neq_f64_e32 vcc_lo, 0, v[176:177]
	s_and_b32 exec_lo, exec_lo, vcc_lo
	s_cbranch_execz .LBB85_69
; %bb.68:
	v_div_scale_f64 v[178:179], null, v[176:177], v[176:177], 1.0
	v_rcp_f64_e32 v[180:181], v[178:179]
	v_fma_f64 v[182:183], -v[178:179], v[180:181], 1.0
	v_fma_f64 v[180:181], v[180:181], v[182:183], v[180:181]
	v_fma_f64 v[182:183], -v[178:179], v[180:181], 1.0
	v_fma_f64 v[180:181], v[180:181], v[182:183], v[180:181]
	v_div_scale_f64 v[182:183], vcc_lo, 1.0, v[176:177], 1.0
	v_mul_f64 v[202:203], v[182:183], v[180:181]
	v_fma_f64 v[178:179], -v[178:179], v[202:203], v[182:183]
	v_div_fmas_f64 v[178:179], v[178:179], v[180:181], v[202:203]
	v_div_fixup_f64 v[176:177], v[178:179], v[176:177], 1.0
	ds_write_b64 v1, v[176:177]
.LBB85_69:
	s_or_b32 exec_lo, exec_lo, s1
	s_waitcnt lgkmcnt(0)
	s_barrier
	buffer_gl0_inv
	ds_read_b64 v[202:203], v1
	s_mov_b32 s1, exec_lo
	v_cmpx_lt_u32_e32 13, v0
	s_cbranch_execz .LBB85_71
; %bb.70:
	s_waitcnt lgkmcnt(0)
	v_mul_f64 v[134:135], v[202:203], v[134:135]
	ds_read2_b64 v[176:179], v246 offset0:14 offset1:15
	s_waitcnt lgkmcnt(0)
	v_fma_f64 v[148:149], -v[134:135], v[176:177], v[148:149]
	v_fma_f64 v[132:133], -v[134:135], v[178:179], v[132:133]
	ds_read2_b64 v[176:179], v246 offset0:16 offset1:17
	s_waitcnt lgkmcnt(0)
	v_fma_f64 v[146:147], -v[134:135], v[176:177], v[146:147]
	v_fma_f64 v[130:131], -v[134:135], v[178:179], v[130:131]
	;; [unrolled: 4-line block ×13, first 2 shown]
	ds_read2_b64 v[176:179], v246 offset0:40 offset1:41
	s_waitcnt lgkmcnt(0)
	v_fma_f64 v[164:165], -v[134:135], v[176:177], v[164:165]
	ds_read_b64 v[176:177], v246 offset:336
	v_fma_f64 v[162:163], -v[134:135], v[178:179], v[162:163]
	s_waitcnt lgkmcnt(0)
	v_fma_f64 v[166:167], -v[134:135], v[176:177], v[166:167]
.LBB85_71:
	s_or_b32 exec_lo, exec_lo, s1
	s_mov_b32 s1, exec_lo
	s_waitcnt lgkmcnt(0)
	s_barrier
	buffer_gl0_inv
	v_cmpx_eq_u32_e32 14, v0
	s_cbranch_execz .LBB85_74
; %bb.72:
	ds_write_b64 v1, v[148:149]
	ds_write2_b64 v246, v[132:133], v[146:147] offset0:15 offset1:16
	ds_write2_b64 v246, v[130:131], v[144:145] offset0:17 offset1:18
	ds_write2_b64 v246, v[108:109], v[128:129] offset0:19 offset1:20
	ds_write2_b64 v246, v[106:107], v[126:127] offset0:21 offset1:22
	ds_write2_b64 v246, v[104:105], v[124:125] offset0:23 offset1:24
	ds_write2_b64 v246, v[102:103], v[122:123] offset0:25 offset1:26
	ds_write2_b64 v246, v[100:101], v[120:121] offset0:27 offset1:28
	ds_write2_b64 v246, v[98:99], v[118:119] offset0:29 offset1:30
	ds_write2_b64 v246, v[96:97], v[116:117] offset0:31 offset1:32
	ds_write2_b64 v246, v[94:95], v[114:115] offset0:33 offset1:34
	ds_write2_b64 v246, v[92:93], v[112:113] offset0:35 offset1:36
	ds_write2_b64 v246, v[90:91], v[110:111] offset0:37 offset1:38
	ds_write2_b64 v246, v[88:89], v[164:165] offset0:39 offset1:40
	ds_write2_b64 v246, v[162:163], v[166:167] offset0:41 offset1:42
	ds_read_b64 v[176:177], v1
	s_waitcnt lgkmcnt(0)
	v_cmp_neq_f64_e32 vcc_lo, 0, v[176:177]
	s_and_b32 exec_lo, exec_lo, vcc_lo
	s_cbranch_execz .LBB85_74
; %bb.73:
	v_div_scale_f64 v[178:179], null, v[176:177], v[176:177], 1.0
	v_rcp_f64_e32 v[180:181], v[178:179]
	v_fma_f64 v[182:183], -v[178:179], v[180:181], 1.0
	v_fma_f64 v[180:181], v[180:181], v[182:183], v[180:181]
	v_fma_f64 v[182:183], -v[178:179], v[180:181], 1.0
	v_fma_f64 v[180:181], v[180:181], v[182:183], v[180:181]
	v_div_scale_f64 v[182:183], vcc_lo, 1.0, v[176:177], 1.0
	v_mul_f64 v[204:205], v[182:183], v[180:181]
	v_fma_f64 v[178:179], -v[178:179], v[204:205], v[182:183]
	v_div_fmas_f64 v[178:179], v[178:179], v[180:181], v[204:205]
	v_div_fixup_f64 v[176:177], v[178:179], v[176:177], 1.0
	ds_write_b64 v1, v[176:177]
.LBB85_74:
	s_or_b32 exec_lo, exec_lo, s1
	s_waitcnt lgkmcnt(0)
	s_barrier
	buffer_gl0_inv
	ds_read_b64 v[204:205], v1
	s_mov_b32 s1, exec_lo
	v_cmpx_lt_u32_e32 14, v0
	s_cbranch_execz .LBB85_76
; %bb.75:
	s_waitcnt lgkmcnt(0)
	v_mul_f64 v[148:149], v[204:205], v[148:149]
	ds_read2_b64 v[176:179], v246 offset0:15 offset1:16
	s_waitcnt lgkmcnt(0)
	v_fma_f64 v[132:133], -v[148:149], v[176:177], v[132:133]
	v_fma_f64 v[146:147], -v[148:149], v[178:179], v[146:147]
	ds_read2_b64 v[176:179], v246 offset0:17 offset1:18
	s_waitcnt lgkmcnt(0)
	v_fma_f64 v[130:131], -v[148:149], v[176:177], v[130:131]
	v_fma_f64 v[144:145], -v[148:149], v[178:179], v[144:145]
	;; [unrolled: 4-line block ×14, first 2 shown]
.LBB85_76:
	s_or_b32 exec_lo, exec_lo, s1
	s_mov_b32 s1, exec_lo
	s_waitcnt lgkmcnt(0)
	s_barrier
	buffer_gl0_inv
	v_cmpx_eq_u32_e32 15, v0
	s_cbranch_execz .LBB85_79
; %bb.77:
	v_mov_b32_e32 v176, v146
	v_mov_b32_e32 v177, v147
	;; [unrolled: 1-line block ×12, first 2 shown]
	ds_write_b64 v1, v[132:133]
	ds_write2_b64 v246, v[176:177], v[178:179] offset0:16 offset1:17
	ds_write2_b64 v246, v[180:181], v[182:183] offset0:18 offset1:19
	;; [unrolled: 1-line block ×3, first 2 shown]
	v_mov_b32_e32 v176, v126
	v_mov_b32_e32 v177, v127
	;; [unrolled: 1-line block ×20, first 2 shown]
	ds_write2_b64 v246, v[176:177], v[178:179] offset0:22 offset1:23
	ds_write2_b64 v246, v[180:181], v[182:183] offset0:24 offset1:25
	;; [unrolled: 1-line block ×5, first 2 shown]
	v_mov_b32_e32 v176, v116
	v_mov_b32_e32 v177, v117
	;; [unrolled: 1-line block ×20, first 2 shown]
	ds_write2_b64 v246, v[176:177], v[178:179] offset0:32 offset1:33
	ds_write2_b64 v246, v[180:181], v[182:183] offset0:34 offset1:35
	;; [unrolled: 1-line block ×5, first 2 shown]
	ds_write_b64 v246, v[166:167] offset:336
	ds_read_b64 v[176:177], v1
	s_waitcnt lgkmcnt(0)
	v_cmp_neq_f64_e32 vcc_lo, 0, v[176:177]
	s_and_b32 exec_lo, exec_lo, vcc_lo
	s_cbranch_execz .LBB85_79
; %bb.78:
	v_div_scale_f64 v[178:179], null, v[176:177], v[176:177], 1.0
	v_rcp_f64_e32 v[180:181], v[178:179]
	v_fma_f64 v[182:183], -v[178:179], v[180:181], 1.0
	v_fma_f64 v[180:181], v[180:181], v[182:183], v[180:181]
	v_fma_f64 v[182:183], -v[178:179], v[180:181], 1.0
	v_fma_f64 v[180:181], v[180:181], v[182:183], v[180:181]
	v_div_scale_f64 v[182:183], vcc_lo, 1.0, v[176:177], 1.0
	v_mul_f64 v[206:207], v[182:183], v[180:181]
	v_fma_f64 v[178:179], -v[178:179], v[206:207], v[182:183]
	v_div_fmas_f64 v[178:179], v[178:179], v[180:181], v[206:207]
	v_div_fixup_f64 v[176:177], v[178:179], v[176:177], 1.0
	ds_write_b64 v1, v[176:177]
.LBB85_79:
	s_or_b32 exec_lo, exec_lo, s1
	s_waitcnt lgkmcnt(0)
	s_barrier
	buffer_gl0_inv
	ds_read_b64 v[206:207], v1
	s_mov_b32 s1, exec_lo
	v_cmpx_lt_u32_e32 15, v0
	s_cbranch_execz .LBB85_81
; %bb.80:
	s_waitcnt lgkmcnt(0)
	v_mul_f64 v[132:133], v[206:207], v[132:133]
	ds_read2_b64 v[176:179], v246 offset0:16 offset1:17
	s_waitcnt lgkmcnt(0)
	v_fma_f64 v[146:147], -v[132:133], v[176:177], v[146:147]
	v_fma_f64 v[130:131], -v[132:133], v[178:179], v[130:131]
	ds_read2_b64 v[176:179], v246 offset0:18 offset1:19
	s_waitcnt lgkmcnt(0)
	v_fma_f64 v[144:145], -v[132:133], v[176:177], v[144:145]
	v_fma_f64 v[108:109], -v[132:133], v[178:179], v[108:109]
	;; [unrolled: 4-line block ×12, first 2 shown]
	ds_read2_b64 v[176:179], v246 offset0:40 offset1:41
	s_waitcnt lgkmcnt(0)
	v_fma_f64 v[164:165], -v[132:133], v[176:177], v[164:165]
	ds_read_b64 v[176:177], v246 offset:336
	v_fma_f64 v[162:163], -v[132:133], v[178:179], v[162:163]
	s_waitcnt lgkmcnt(0)
	v_fma_f64 v[166:167], -v[132:133], v[176:177], v[166:167]
.LBB85_81:
	s_or_b32 exec_lo, exec_lo, s1
	s_mov_b32 s1, exec_lo
	s_waitcnt lgkmcnt(0)
	s_barrier
	buffer_gl0_inv
	v_cmpx_eq_u32_e32 16, v0
	s_cbranch_execz .LBB85_84
; %bb.82:
	ds_write_b64 v1, v[146:147]
	ds_write2_b64 v246, v[130:131], v[144:145] offset0:17 offset1:18
	ds_write2_b64 v246, v[108:109], v[128:129] offset0:19 offset1:20
	;; [unrolled: 1-line block ×13, first 2 shown]
	ds_read_b64 v[176:177], v1
	s_waitcnt lgkmcnt(0)
	v_cmp_neq_f64_e32 vcc_lo, 0, v[176:177]
	s_and_b32 exec_lo, exec_lo, vcc_lo
	s_cbranch_execz .LBB85_84
; %bb.83:
	v_div_scale_f64 v[178:179], null, v[176:177], v[176:177], 1.0
	v_rcp_f64_e32 v[180:181], v[178:179]
	v_fma_f64 v[182:183], -v[178:179], v[180:181], 1.0
	v_fma_f64 v[180:181], v[180:181], v[182:183], v[180:181]
	v_fma_f64 v[182:183], -v[178:179], v[180:181], 1.0
	v_fma_f64 v[180:181], v[180:181], v[182:183], v[180:181]
	v_div_scale_f64 v[182:183], vcc_lo, 1.0, v[176:177], 1.0
	v_mul_f64 v[208:209], v[182:183], v[180:181]
	v_fma_f64 v[178:179], -v[178:179], v[208:209], v[182:183]
	v_div_fmas_f64 v[178:179], v[178:179], v[180:181], v[208:209]
	v_div_fixup_f64 v[176:177], v[178:179], v[176:177], 1.0
	ds_write_b64 v1, v[176:177]
.LBB85_84:
	s_or_b32 exec_lo, exec_lo, s1
	s_waitcnt lgkmcnt(0)
	s_barrier
	buffer_gl0_inv
	ds_read_b64 v[208:209], v1
	s_mov_b32 s1, exec_lo
	v_cmpx_lt_u32_e32 16, v0
	s_cbranch_execz .LBB85_86
; %bb.85:
	s_waitcnt lgkmcnt(0)
	v_mul_f64 v[146:147], v[208:209], v[146:147]
	ds_read2_b64 v[176:179], v246 offset0:17 offset1:18
	s_waitcnt lgkmcnt(0)
	v_fma_f64 v[130:131], -v[146:147], v[176:177], v[130:131]
	v_fma_f64 v[144:145], -v[146:147], v[178:179], v[144:145]
	ds_read2_b64 v[176:179], v246 offset0:19 offset1:20
	s_waitcnt lgkmcnt(0)
	v_fma_f64 v[108:109], -v[146:147], v[176:177], v[108:109]
	v_fma_f64 v[128:129], -v[146:147], v[178:179], v[128:129]
	;; [unrolled: 4-line block ×13, first 2 shown]
.LBB85_86:
	s_or_b32 exec_lo, exec_lo, s1
	s_mov_b32 s1, exec_lo
	s_waitcnt lgkmcnt(0)
	s_barrier
	buffer_gl0_inv
	v_cmpx_eq_u32_e32 17, v0
	s_cbranch_execz .LBB85_89
; %bb.87:
	v_mov_b32_e32 v176, v144
	v_mov_b32_e32 v177, v145
	;; [unrolled: 1-line block ×8, first 2 shown]
	ds_write_b64 v1, v[130:131]
	ds_write2_b64 v246, v[176:177], v[178:179] offset0:18 offset1:19
	ds_write2_b64 v246, v[180:181], v[182:183] offset0:20 offset1:21
	v_mov_b32_e32 v176, v126
	v_mov_b32_e32 v177, v127
	;; [unrolled: 1-line block ×20, first 2 shown]
	ds_write2_b64 v246, v[176:177], v[178:179] offset0:22 offset1:23
	ds_write2_b64 v246, v[180:181], v[182:183] offset0:24 offset1:25
	;; [unrolled: 1-line block ×5, first 2 shown]
	v_mov_b32_e32 v176, v116
	v_mov_b32_e32 v177, v117
	;; [unrolled: 1-line block ×20, first 2 shown]
	ds_write2_b64 v246, v[176:177], v[178:179] offset0:32 offset1:33
	ds_write2_b64 v246, v[180:181], v[182:183] offset0:34 offset1:35
	;; [unrolled: 1-line block ×5, first 2 shown]
	ds_write_b64 v246, v[166:167] offset:336
	ds_read_b64 v[176:177], v1
	s_waitcnt lgkmcnt(0)
	v_cmp_neq_f64_e32 vcc_lo, 0, v[176:177]
	s_and_b32 exec_lo, exec_lo, vcc_lo
	s_cbranch_execz .LBB85_89
; %bb.88:
	v_div_scale_f64 v[178:179], null, v[176:177], v[176:177], 1.0
	v_rcp_f64_e32 v[180:181], v[178:179]
	v_fma_f64 v[182:183], -v[178:179], v[180:181], 1.0
	v_fma_f64 v[180:181], v[180:181], v[182:183], v[180:181]
	v_fma_f64 v[182:183], -v[178:179], v[180:181], 1.0
	v_fma_f64 v[180:181], v[180:181], v[182:183], v[180:181]
	v_div_scale_f64 v[182:183], vcc_lo, 1.0, v[176:177], 1.0
	v_mul_f64 v[210:211], v[182:183], v[180:181]
	v_fma_f64 v[178:179], -v[178:179], v[210:211], v[182:183]
	v_div_fmas_f64 v[178:179], v[178:179], v[180:181], v[210:211]
	v_div_fixup_f64 v[176:177], v[178:179], v[176:177], 1.0
	ds_write_b64 v1, v[176:177]
.LBB85_89:
	s_or_b32 exec_lo, exec_lo, s1
	s_waitcnt lgkmcnt(0)
	s_barrier
	buffer_gl0_inv
	ds_read_b64 v[210:211], v1
	s_mov_b32 s1, exec_lo
	v_cmpx_lt_u32_e32 17, v0
	s_cbranch_execz .LBB85_91
; %bb.90:
	s_waitcnt lgkmcnt(0)
	v_mul_f64 v[130:131], v[210:211], v[130:131]
	ds_read2_b64 v[176:179], v246 offset0:18 offset1:19
	s_waitcnt lgkmcnt(0)
	v_fma_f64 v[144:145], -v[130:131], v[176:177], v[144:145]
	v_fma_f64 v[108:109], -v[130:131], v[178:179], v[108:109]
	ds_read2_b64 v[176:179], v246 offset0:20 offset1:21
	s_waitcnt lgkmcnt(0)
	v_fma_f64 v[128:129], -v[130:131], v[176:177], v[128:129]
	v_fma_f64 v[106:107], -v[130:131], v[178:179], v[106:107]
	;; [unrolled: 4-line block ×11, first 2 shown]
	ds_read2_b64 v[176:179], v246 offset0:40 offset1:41
	s_waitcnt lgkmcnt(0)
	v_fma_f64 v[164:165], -v[130:131], v[176:177], v[164:165]
	ds_read_b64 v[176:177], v246 offset:336
	v_fma_f64 v[162:163], -v[130:131], v[178:179], v[162:163]
	s_waitcnt lgkmcnt(0)
	v_fma_f64 v[166:167], -v[130:131], v[176:177], v[166:167]
.LBB85_91:
	s_or_b32 exec_lo, exec_lo, s1
	s_mov_b32 s1, exec_lo
	s_waitcnt lgkmcnt(0)
	s_barrier
	buffer_gl0_inv
	v_cmpx_eq_u32_e32 18, v0
	s_cbranch_execz .LBB85_94
; %bb.92:
	ds_write_b64 v1, v[144:145]
	ds_write2_b64 v246, v[108:109], v[128:129] offset0:19 offset1:20
	ds_write2_b64 v246, v[106:107], v[126:127] offset0:21 offset1:22
	ds_write2_b64 v246, v[104:105], v[124:125] offset0:23 offset1:24
	ds_write2_b64 v246, v[102:103], v[122:123] offset0:25 offset1:26
	ds_write2_b64 v246, v[100:101], v[120:121] offset0:27 offset1:28
	ds_write2_b64 v246, v[98:99], v[118:119] offset0:29 offset1:30
	ds_write2_b64 v246, v[96:97], v[116:117] offset0:31 offset1:32
	ds_write2_b64 v246, v[94:95], v[114:115] offset0:33 offset1:34
	ds_write2_b64 v246, v[92:93], v[112:113] offset0:35 offset1:36
	ds_write2_b64 v246, v[90:91], v[110:111] offset0:37 offset1:38
	ds_write2_b64 v246, v[88:89], v[164:165] offset0:39 offset1:40
	ds_write2_b64 v246, v[162:163], v[166:167] offset0:41 offset1:42
	ds_read_b64 v[176:177], v1
	s_waitcnt lgkmcnt(0)
	v_cmp_neq_f64_e32 vcc_lo, 0, v[176:177]
	s_and_b32 exec_lo, exec_lo, vcc_lo
	s_cbranch_execz .LBB85_94
; %bb.93:
	v_div_scale_f64 v[178:179], null, v[176:177], v[176:177], 1.0
	v_rcp_f64_e32 v[180:181], v[178:179]
	v_fma_f64 v[182:183], -v[178:179], v[180:181], 1.0
	v_fma_f64 v[180:181], v[180:181], v[182:183], v[180:181]
	v_fma_f64 v[182:183], -v[178:179], v[180:181], 1.0
	v_fma_f64 v[180:181], v[180:181], v[182:183], v[180:181]
	v_div_scale_f64 v[182:183], vcc_lo, 1.0, v[176:177], 1.0
	v_mul_f64 v[212:213], v[182:183], v[180:181]
	v_fma_f64 v[178:179], -v[178:179], v[212:213], v[182:183]
	v_div_fmas_f64 v[178:179], v[178:179], v[180:181], v[212:213]
	v_div_fixup_f64 v[176:177], v[178:179], v[176:177], 1.0
	ds_write_b64 v1, v[176:177]
.LBB85_94:
	s_or_b32 exec_lo, exec_lo, s1
	s_waitcnt lgkmcnt(0)
	s_barrier
	buffer_gl0_inv
	ds_read_b64 v[38:39], v1
	s_mov_b32 s1, exec_lo
	v_cmpx_lt_u32_e32 18, v0
	s_cbranch_execz .LBB85_96
; %bb.95:
	s_waitcnt lgkmcnt(0)
	v_mul_f64 v[144:145], v[38:39], v[144:145]
	ds_read2_b64 v[176:179], v246 offset0:19 offset1:20
	s_waitcnt lgkmcnt(0)
	v_fma_f64 v[108:109], -v[144:145], v[176:177], v[108:109]
	v_fma_f64 v[128:129], -v[144:145], v[178:179], v[128:129]
	ds_read2_b64 v[176:179], v246 offset0:21 offset1:22
	s_waitcnt lgkmcnt(0)
	v_fma_f64 v[106:107], -v[144:145], v[176:177], v[106:107]
	v_fma_f64 v[126:127], -v[144:145], v[178:179], v[126:127]
	;; [unrolled: 4-line block ×12, first 2 shown]
.LBB85_96:
	s_or_b32 exec_lo, exec_lo, s1
	s_mov_b32 s1, exec_lo
	s_waitcnt lgkmcnt(0)
	s_barrier
	buffer_gl0_inv
	v_cmpx_eq_u32_e32 19, v0
	s_cbranch_execz .LBB85_99
; %bb.97:
	v_mov_b32_e32 v176, v128
	v_mov_b32_e32 v177, v129
	;; [unrolled: 1-line block ×4, first 2 shown]
	ds_write_b64 v1, v[108:109]
	ds_write2_b64 v246, v[176:177], v[178:179] offset0:20 offset1:21
	v_mov_b32_e32 v176, v126
	v_mov_b32_e32 v177, v127
	;; [unrolled: 1-line block ×20, first 2 shown]
	ds_write2_b64 v246, v[176:177], v[178:179] offset0:22 offset1:23
	ds_write2_b64 v246, v[180:181], v[182:183] offset0:24 offset1:25
	;; [unrolled: 1-line block ×5, first 2 shown]
	v_mov_b32_e32 v176, v116
	v_mov_b32_e32 v177, v117
	;; [unrolled: 1-line block ×20, first 2 shown]
	ds_write2_b64 v246, v[176:177], v[178:179] offset0:32 offset1:33
	ds_write2_b64 v246, v[180:181], v[182:183] offset0:34 offset1:35
	;; [unrolled: 1-line block ×5, first 2 shown]
	ds_write_b64 v246, v[166:167] offset:336
	ds_read_b64 v[176:177], v1
	s_waitcnt lgkmcnt(0)
	v_cmp_neq_f64_e32 vcc_lo, 0, v[176:177]
	s_and_b32 exec_lo, exec_lo, vcc_lo
	s_cbranch_execz .LBB85_99
; %bb.98:
	v_div_scale_f64 v[178:179], null, v[176:177], v[176:177], 1.0
	v_rcp_f64_e32 v[180:181], v[178:179]
	v_fma_f64 v[182:183], -v[178:179], v[180:181], 1.0
	v_fma_f64 v[180:181], v[180:181], v[182:183], v[180:181]
	v_fma_f64 v[182:183], -v[178:179], v[180:181], 1.0
	v_fma_f64 v[180:181], v[180:181], v[182:183], v[180:181]
	v_div_scale_f64 v[182:183], vcc_lo, 1.0, v[176:177], 1.0
	v_mul_f64 v[214:215], v[182:183], v[180:181]
	v_fma_f64 v[178:179], -v[178:179], v[214:215], v[182:183]
	v_div_fmas_f64 v[178:179], v[178:179], v[180:181], v[214:215]
	v_div_fixup_f64 v[176:177], v[178:179], v[176:177], 1.0
	ds_write_b64 v1, v[176:177]
.LBB85_99:
	s_or_b32 exec_lo, exec_lo, s1
	s_waitcnt lgkmcnt(0)
	s_barrier
	buffer_gl0_inv
	ds_read_b64 v[214:215], v1
	s_mov_b32 s1, exec_lo
	v_cmpx_lt_u32_e32 19, v0
	s_cbranch_execz .LBB85_101
; %bb.100:
	s_waitcnt lgkmcnt(0)
	v_mul_f64 v[108:109], v[214:215], v[108:109]
	ds_read2_b64 v[176:179], v246 offset0:20 offset1:21
	s_waitcnt lgkmcnt(0)
	v_fma_f64 v[128:129], -v[108:109], v[176:177], v[128:129]
	v_fma_f64 v[106:107], -v[108:109], v[178:179], v[106:107]
	ds_read2_b64 v[176:179], v246 offset0:22 offset1:23
	s_waitcnt lgkmcnt(0)
	v_fma_f64 v[126:127], -v[108:109], v[176:177], v[126:127]
	v_fma_f64 v[104:105], -v[108:109], v[178:179], v[104:105]
	;; [unrolled: 4-line block ×10, first 2 shown]
	ds_read2_b64 v[176:179], v246 offset0:40 offset1:41
	s_waitcnt lgkmcnt(0)
	v_fma_f64 v[164:165], -v[108:109], v[176:177], v[164:165]
	ds_read_b64 v[176:177], v246 offset:336
	v_fma_f64 v[162:163], -v[108:109], v[178:179], v[162:163]
	s_waitcnt lgkmcnt(0)
	v_fma_f64 v[166:167], -v[108:109], v[176:177], v[166:167]
.LBB85_101:
	s_or_b32 exec_lo, exec_lo, s1
	s_mov_b32 s1, exec_lo
	s_waitcnt lgkmcnt(0)
	s_barrier
	buffer_gl0_inv
	v_cmpx_eq_u32_e32 20, v0
	s_cbranch_execz .LBB85_104
; %bb.102:
	ds_write_b64 v1, v[128:129]
	ds_write2_b64 v246, v[106:107], v[126:127] offset0:21 offset1:22
	ds_write2_b64 v246, v[104:105], v[124:125] offset0:23 offset1:24
	;; [unrolled: 1-line block ×11, first 2 shown]
	ds_read_b64 v[176:177], v1
	s_waitcnt lgkmcnt(0)
	v_cmp_neq_f64_e32 vcc_lo, 0, v[176:177]
	s_and_b32 exec_lo, exec_lo, vcc_lo
	s_cbranch_execz .LBB85_104
; %bb.103:
	v_div_scale_f64 v[178:179], null, v[176:177], v[176:177], 1.0
	v_rcp_f64_e32 v[180:181], v[178:179]
	v_fma_f64 v[182:183], -v[178:179], v[180:181], 1.0
	v_fma_f64 v[180:181], v[180:181], v[182:183], v[180:181]
	v_fma_f64 v[182:183], -v[178:179], v[180:181], 1.0
	v_fma_f64 v[180:181], v[180:181], v[182:183], v[180:181]
	v_div_scale_f64 v[182:183], vcc_lo, 1.0, v[176:177], 1.0
	v_mul_f64 v[216:217], v[182:183], v[180:181]
	v_fma_f64 v[178:179], -v[178:179], v[216:217], v[182:183]
	v_div_fmas_f64 v[178:179], v[178:179], v[180:181], v[216:217]
	v_div_fixup_f64 v[176:177], v[178:179], v[176:177], 1.0
	ds_write_b64 v1, v[176:177]
.LBB85_104:
	s_or_b32 exec_lo, exec_lo, s1
	s_waitcnt lgkmcnt(0)
	s_barrier
	buffer_gl0_inv
	ds_read_b64 v[216:217], v1
	s_mov_b32 s1, exec_lo
	v_cmpx_lt_u32_e32 20, v0
	s_cbranch_execz .LBB85_106
; %bb.105:
	s_waitcnt lgkmcnt(0)
	v_mul_f64 v[128:129], v[216:217], v[128:129]
	ds_read2_b64 v[176:179], v246 offset0:21 offset1:22
	s_waitcnt lgkmcnt(0)
	v_fma_f64 v[106:107], -v[128:129], v[176:177], v[106:107]
	v_fma_f64 v[126:127], -v[128:129], v[178:179], v[126:127]
	ds_read2_b64 v[176:179], v246 offset0:23 offset1:24
	s_waitcnt lgkmcnt(0)
	v_fma_f64 v[104:105], -v[128:129], v[176:177], v[104:105]
	v_fma_f64 v[124:125], -v[128:129], v[178:179], v[124:125]
	;; [unrolled: 4-line block ×11, first 2 shown]
.LBB85_106:
	s_or_b32 exec_lo, exec_lo, s1
	s_mov_b32 s1, exec_lo
	s_waitcnt lgkmcnt(0)
	s_barrier
	buffer_gl0_inv
	v_cmpx_eq_u32_e32 21, v0
	s_cbranch_execz .LBB85_109
; %bb.107:
	v_mov_b32_e32 v176, v126
	v_mov_b32_e32 v177, v127
	;; [unrolled: 1-line block ×20, first 2 shown]
	ds_write_b64 v1, v[106:107]
	ds_write2_b64 v246, v[176:177], v[178:179] offset0:22 offset1:23
	ds_write2_b64 v246, v[180:181], v[182:183] offset0:24 offset1:25
	;; [unrolled: 1-line block ×5, first 2 shown]
	v_mov_b32_e32 v176, v116
	v_mov_b32_e32 v177, v117
	;; [unrolled: 1-line block ×20, first 2 shown]
	ds_write2_b64 v246, v[176:177], v[178:179] offset0:32 offset1:33
	ds_write2_b64 v246, v[180:181], v[182:183] offset0:34 offset1:35
	;; [unrolled: 1-line block ×5, first 2 shown]
	ds_write_b64 v246, v[166:167] offset:336
	ds_read_b64 v[176:177], v1
	s_waitcnt lgkmcnt(0)
	v_cmp_neq_f64_e32 vcc_lo, 0, v[176:177]
	s_and_b32 exec_lo, exec_lo, vcc_lo
	s_cbranch_execz .LBB85_109
; %bb.108:
	v_div_scale_f64 v[178:179], null, v[176:177], v[176:177], 1.0
	v_rcp_f64_e32 v[180:181], v[178:179]
	v_fma_f64 v[182:183], -v[178:179], v[180:181], 1.0
	v_fma_f64 v[180:181], v[180:181], v[182:183], v[180:181]
	v_fma_f64 v[182:183], -v[178:179], v[180:181], 1.0
	v_fma_f64 v[180:181], v[180:181], v[182:183], v[180:181]
	v_div_scale_f64 v[182:183], vcc_lo, 1.0, v[176:177], 1.0
	v_mul_f64 v[218:219], v[182:183], v[180:181]
	v_fma_f64 v[178:179], -v[178:179], v[218:219], v[182:183]
	v_div_fmas_f64 v[178:179], v[178:179], v[180:181], v[218:219]
	v_div_fixup_f64 v[176:177], v[178:179], v[176:177], 1.0
	ds_write_b64 v1, v[176:177]
.LBB85_109:
	s_or_b32 exec_lo, exec_lo, s1
	s_waitcnt lgkmcnt(0)
	s_barrier
	buffer_gl0_inv
	ds_read_b64 v[218:219], v1
	s_mov_b32 s1, exec_lo
	v_cmpx_lt_u32_e32 21, v0
	s_cbranch_execz .LBB85_111
; %bb.110:
	s_waitcnt lgkmcnt(0)
	v_mul_f64 v[106:107], v[218:219], v[106:107]
	ds_read2_b64 v[176:179], v246 offset0:22 offset1:23
	s_waitcnt lgkmcnt(0)
	v_fma_f64 v[126:127], -v[106:107], v[176:177], v[126:127]
	v_fma_f64 v[104:105], -v[106:107], v[178:179], v[104:105]
	ds_read2_b64 v[176:179], v246 offset0:24 offset1:25
	s_waitcnt lgkmcnt(0)
	v_fma_f64 v[124:125], -v[106:107], v[176:177], v[124:125]
	v_fma_f64 v[102:103], -v[106:107], v[178:179], v[102:103]
	;; [unrolled: 4-line block ×9, first 2 shown]
	ds_read2_b64 v[176:179], v246 offset0:40 offset1:41
	s_waitcnt lgkmcnt(0)
	v_fma_f64 v[164:165], -v[106:107], v[176:177], v[164:165]
	ds_read_b64 v[176:177], v246 offset:336
	v_fma_f64 v[162:163], -v[106:107], v[178:179], v[162:163]
	s_waitcnt lgkmcnt(0)
	v_fma_f64 v[166:167], -v[106:107], v[176:177], v[166:167]
.LBB85_111:
	s_or_b32 exec_lo, exec_lo, s1
	s_mov_b32 s1, exec_lo
	s_waitcnt lgkmcnt(0)
	s_barrier
	buffer_gl0_inv
	v_cmpx_eq_u32_e32 22, v0
	s_cbranch_execz .LBB85_114
; %bb.112:
	ds_write_b64 v1, v[126:127]
	ds_write2_b64 v246, v[104:105], v[124:125] offset0:23 offset1:24
	ds_write2_b64 v246, v[102:103], v[122:123] offset0:25 offset1:26
	;; [unrolled: 1-line block ×10, first 2 shown]
	ds_read_b64 v[176:177], v1
	s_waitcnt lgkmcnt(0)
	v_cmp_neq_f64_e32 vcc_lo, 0, v[176:177]
	s_and_b32 exec_lo, exec_lo, vcc_lo
	s_cbranch_execz .LBB85_114
; %bb.113:
	v_div_scale_f64 v[178:179], null, v[176:177], v[176:177], 1.0
	v_rcp_f64_e32 v[180:181], v[178:179]
	v_fma_f64 v[182:183], -v[178:179], v[180:181], 1.0
	v_fma_f64 v[180:181], v[180:181], v[182:183], v[180:181]
	v_fma_f64 v[182:183], -v[178:179], v[180:181], 1.0
	v_fma_f64 v[180:181], v[180:181], v[182:183], v[180:181]
	v_div_scale_f64 v[182:183], vcc_lo, 1.0, v[176:177], 1.0
	v_mul_f64 v[220:221], v[182:183], v[180:181]
	v_fma_f64 v[178:179], -v[178:179], v[220:221], v[182:183]
	v_div_fmas_f64 v[178:179], v[178:179], v[180:181], v[220:221]
	v_div_fixup_f64 v[176:177], v[178:179], v[176:177], 1.0
	ds_write_b64 v1, v[176:177]
.LBB85_114:
	s_or_b32 exec_lo, exec_lo, s1
	s_waitcnt lgkmcnt(0)
	s_barrier
	buffer_gl0_inv
	ds_read_b64 v[220:221], v1
	s_mov_b32 s1, exec_lo
	v_cmpx_lt_u32_e32 22, v0
	s_cbranch_execz .LBB85_116
; %bb.115:
	s_waitcnt lgkmcnt(0)
	v_mul_f64 v[126:127], v[220:221], v[126:127]
	ds_read2_b64 v[176:179], v246 offset0:23 offset1:24
	s_waitcnt lgkmcnt(0)
	v_fma_f64 v[104:105], -v[126:127], v[176:177], v[104:105]
	v_fma_f64 v[124:125], -v[126:127], v[178:179], v[124:125]
	ds_read2_b64 v[176:179], v246 offset0:25 offset1:26
	s_waitcnt lgkmcnt(0)
	v_fma_f64 v[102:103], -v[126:127], v[176:177], v[102:103]
	v_fma_f64 v[122:123], -v[126:127], v[178:179], v[122:123]
	;; [unrolled: 4-line block ×10, first 2 shown]
.LBB85_116:
	s_or_b32 exec_lo, exec_lo, s1
	s_mov_b32 s1, exec_lo
	s_waitcnt lgkmcnt(0)
	s_barrier
	buffer_gl0_inv
	v_cmpx_eq_u32_e32 23, v0
	s_cbranch_execz .LBB85_119
; %bb.117:
	v_mov_b32_e32 v176, v124
	v_mov_b32_e32 v177, v125
	;; [unrolled: 1-line block ×16, first 2 shown]
	ds_write_b64 v1, v[104:105]
	ds_write2_b64 v246, v[176:177], v[178:179] offset0:24 offset1:25
	ds_write2_b64 v246, v[180:181], v[182:183] offset0:26 offset1:27
	;; [unrolled: 1-line block ×4, first 2 shown]
	v_mov_b32_e32 v176, v116
	v_mov_b32_e32 v177, v117
	v_mov_b32_e32 v178, v94
	v_mov_b32_e32 v179, v95
	v_mov_b32_e32 v180, v114
	v_mov_b32_e32 v181, v115
	v_mov_b32_e32 v182, v92
	v_mov_b32_e32 v183, v93
	v_mov_b32_e32 v222, v112
	v_mov_b32_e32 v223, v113
	v_mov_b32_e32 v224, v90
	v_mov_b32_e32 v225, v91
	v_mov_b32_e32 v226, v110
	v_mov_b32_e32 v227, v111
	v_mov_b32_e32 v228, v88
	v_mov_b32_e32 v229, v89
	v_mov_b32_e32 v230, v164
	v_mov_b32_e32 v231, v165
	v_mov_b32_e32 v232, v162
	v_mov_b32_e32 v233, v163
	ds_write2_b64 v246, v[176:177], v[178:179] offset0:32 offset1:33
	ds_write2_b64 v246, v[180:181], v[182:183] offset0:34 offset1:35
	;; [unrolled: 1-line block ×5, first 2 shown]
	ds_write_b64 v246, v[166:167] offset:336
	ds_read_b64 v[176:177], v1
	s_waitcnt lgkmcnt(0)
	v_cmp_neq_f64_e32 vcc_lo, 0, v[176:177]
	s_and_b32 exec_lo, exec_lo, vcc_lo
	s_cbranch_execz .LBB85_119
; %bb.118:
	v_div_scale_f64 v[178:179], null, v[176:177], v[176:177], 1.0
	v_rcp_f64_e32 v[180:181], v[178:179]
	v_fma_f64 v[182:183], -v[178:179], v[180:181], 1.0
	v_fma_f64 v[180:181], v[180:181], v[182:183], v[180:181]
	v_fma_f64 v[182:183], -v[178:179], v[180:181], 1.0
	v_fma_f64 v[180:181], v[180:181], v[182:183], v[180:181]
	v_div_scale_f64 v[182:183], vcc_lo, 1.0, v[176:177], 1.0
	v_mul_f64 v[222:223], v[182:183], v[180:181]
	v_fma_f64 v[178:179], -v[178:179], v[222:223], v[182:183]
	v_div_fmas_f64 v[178:179], v[178:179], v[180:181], v[222:223]
	v_div_fixup_f64 v[176:177], v[178:179], v[176:177], 1.0
	ds_write_b64 v1, v[176:177]
.LBB85_119:
	s_or_b32 exec_lo, exec_lo, s1
	s_waitcnt lgkmcnt(0)
	s_barrier
	buffer_gl0_inv
	ds_read_b64 v[222:223], v1
	s_mov_b32 s1, exec_lo
	v_cmpx_lt_u32_e32 23, v0
	s_cbranch_execz .LBB85_121
; %bb.120:
	s_waitcnt lgkmcnt(0)
	v_mul_f64 v[104:105], v[222:223], v[104:105]
	ds_read2_b64 v[176:179], v246 offset0:24 offset1:25
	s_waitcnt lgkmcnt(0)
	v_fma_f64 v[124:125], -v[104:105], v[176:177], v[124:125]
	v_fma_f64 v[102:103], -v[104:105], v[178:179], v[102:103]
	ds_read2_b64 v[176:179], v246 offset0:26 offset1:27
	s_waitcnt lgkmcnt(0)
	v_fma_f64 v[122:123], -v[104:105], v[176:177], v[122:123]
	v_fma_f64 v[100:101], -v[104:105], v[178:179], v[100:101]
	;; [unrolled: 4-line block ×8, first 2 shown]
	ds_read2_b64 v[176:179], v246 offset0:40 offset1:41
	s_waitcnt lgkmcnt(0)
	v_fma_f64 v[164:165], -v[104:105], v[176:177], v[164:165]
	ds_read_b64 v[176:177], v246 offset:336
	v_fma_f64 v[162:163], -v[104:105], v[178:179], v[162:163]
	s_waitcnt lgkmcnt(0)
	v_fma_f64 v[166:167], -v[104:105], v[176:177], v[166:167]
.LBB85_121:
	s_or_b32 exec_lo, exec_lo, s1
	s_mov_b32 s1, exec_lo
	s_waitcnt lgkmcnt(0)
	s_barrier
	buffer_gl0_inv
	v_cmpx_eq_u32_e32 24, v0
	s_cbranch_execz .LBB85_124
; %bb.122:
	ds_write_b64 v1, v[124:125]
	ds_write2_b64 v246, v[102:103], v[122:123] offset0:25 offset1:26
	ds_write2_b64 v246, v[100:101], v[120:121] offset0:27 offset1:28
	;; [unrolled: 1-line block ×9, first 2 shown]
	ds_read_b64 v[176:177], v1
	s_waitcnt lgkmcnt(0)
	v_cmp_neq_f64_e32 vcc_lo, 0, v[176:177]
	s_and_b32 exec_lo, exec_lo, vcc_lo
	s_cbranch_execz .LBB85_124
; %bb.123:
	v_div_scale_f64 v[178:179], null, v[176:177], v[176:177], 1.0
	v_rcp_f64_e32 v[180:181], v[178:179]
	v_fma_f64 v[182:183], -v[178:179], v[180:181], 1.0
	v_fma_f64 v[180:181], v[180:181], v[182:183], v[180:181]
	v_fma_f64 v[182:183], -v[178:179], v[180:181], 1.0
	v_fma_f64 v[180:181], v[180:181], v[182:183], v[180:181]
	v_div_scale_f64 v[182:183], vcc_lo, 1.0, v[176:177], 1.0
	v_mul_f64 v[224:225], v[182:183], v[180:181]
	v_fma_f64 v[178:179], -v[178:179], v[224:225], v[182:183]
	v_div_fmas_f64 v[178:179], v[178:179], v[180:181], v[224:225]
	v_div_fixup_f64 v[176:177], v[178:179], v[176:177], 1.0
	ds_write_b64 v1, v[176:177]
.LBB85_124:
	s_or_b32 exec_lo, exec_lo, s1
	s_waitcnt lgkmcnt(0)
	s_barrier
	buffer_gl0_inv
	ds_read_b64 v[224:225], v1
	s_mov_b32 s1, exec_lo
	v_cmpx_lt_u32_e32 24, v0
	s_cbranch_execz .LBB85_126
; %bb.125:
	s_waitcnt lgkmcnt(0)
	v_mul_f64 v[124:125], v[224:225], v[124:125]
	ds_read2_b64 v[176:179], v246 offset0:25 offset1:26
	s_waitcnt lgkmcnt(0)
	v_fma_f64 v[102:103], -v[124:125], v[176:177], v[102:103]
	v_fma_f64 v[122:123], -v[124:125], v[178:179], v[122:123]
	ds_read2_b64 v[176:179], v246 offset0:27 offset1:28
	s_waitcnt lgkmcnt(0)
	v_fma_f64 v[100:101], -v[124:125], v[176:177], v[100:101]
	v_fma_f64 v[120:121], -v[124:125], v[178:179], v[120:121]
	;; [unrolled: 4-line block ×9, first 2 shown]
.LBB85_126:
	s_or_b32 exec_lo, exec_lo, s1
	s_mov_b32 s1, exec_lo
	s_waitcnt lgkmcnt(0)
	s_barrier
	buffer_gl0_inv
	v_cmpx_eq_u32_e32 25, v0
	s_cbranch_execz .LBB85_129
; %bb.127:
	v_mov_b32_e32 v176, v122
	v_mov_b32_e32 v177, v123
	;; [unrolled: 1-line block ×12, first 2 shown]
	ds_write_b64 v1, v[102:103]
	ds_write2_b64 v246, v[176:177], v[178:179] offset0:26 offset1:27
	ds_write2_b64 v246, v[180:181], v[182:183] offset0:28 offset1:29
	;; [unrolled: 1-line block ×3, first 2 shown]
	v_mov_b32_e32 v176, v116
	v_mov_b32_e32 v177, v117
	;; [unrolled: 1-line block ×20, first 2 shown]
	ds_write2_b64 v246, v[176:177], v[178:179] offset0:32 offset1:33
	ds_write2_b64 v246, v[180:181], v[182:183] offset0:34 offset1:35
	;; [unrolled: 1-line block ×5, first 2 shown]
	ds_write_b64 v246, v[166:167] offset:336
	ds_read_b64 v[176:177], v1
	s_waitcnt lgkmcnt(0)
	v_cmp_neq_f64_e32 vcc_lo, 0, v[176:177]
	s_and_b32 exec_lo, exec_lo, vcc_lo
	s_cbranch_execz .LBB85_129
; %bb.128:
	v_div_scale_f64 v[178:179], null, v[176:177], v[176:177], 1.0
	v_rcp_f64_e32 v[180:181], v[178:179]
	v_fma_f64 v[182:183], -v[178:179], v[180:181], 1.0
	v_fma_f64 v[180:181], v[180:181], v[182:183], v[180:181]
	v_fma_f64 v[182:183], -v[178:179], v[180:181], 1.0
	v_fma_f64 v[180:181], v[180:181], v[182:183], v[180:181]
	v_div_scale_f64 v[182:183], vcc_lo, 1.0, v[176:177], 1.0
	v_mul_f64 v[226:227], v[182:183], v[180:181]
	v_fma_f64 v[178:179], -v[178:179], v[226:227], v[182:183]
	v_div_fmas_f64 v[178:179], v[178:179], v[180:181], v[226:227]
	v_div_fixup_f64 v[176:177], v[178:179], v[176:177], 1.0
	ds_write_b64 v1, v[176:177]
.LBB85_129:
	s_or_b32 exec_lo, exec_lo, s1
	s_waitcnt lgkmcnt(0)
	s_barrier
	buffer_gl0_inv
	ds_read_b64 v[226:227], v1
	s_mov_b32 s1, exec_lo
	v_cmpx_lt_u32_e32 25, v0
	s_cbranch_execz .LBB85_131
; %bb.130:
	s_waitcnt lgkmcnt(0)
	v_mul_f64 v[102:103], v[226:227], v[102:103]
	ds_read2_b64 v[176:179], v246 offset0:26 offset1:27
	s_waitcnt lgkmcnt(0)
	v_fma_f64 v[122:123], -v[102:103], v[176:177], v[122:123]
	v_fma_f64 v[100:101], -v[102:103], v[178:179], v[100:101]
	ds_read2_b64 v[176:179], v246 offset0:28 offset1:29
	s_waitcnt lgkmcnt(0)
	v_fma_f64 v[120:121], -v[102:103], v[176:177], v[120:121]
	v_fma_f64 v[98:99], -v[102:103], v[178:179], v[98:99]
	;; [unrolled: 4-line block ×7, first 2 shown]
	ds_read2_b64 v[176:179], v246 offset0:40 offset1:41
	s_waitcnt lgkmcnt(0)
	v_fma_f64 v[164:165], -v[102:103], v[176:177], v[164:165]
	ds_read_b64 v[176:177], v246 offset:336
	v_fma_f64 v[162:163], -v[102:103], v[178:179], v[162:163]
	s_waitcnt lgkmcnt(0)
	v_fma_f64 v[166:167], -v[102:103], v[176:177], v[166:167]
.LBB85_131:
	s_or_b32 exec_lo, exec_lo, s1
	s_mov_b32 s1, exec_lo
	s_waitcnt lgkmcnt(0)
	s_barrier
	buffer_gl0_inv
	v_cmpx_eq_u32_e32 26, v0
	s_cbranch_execz .LBB85_134
; %bb.132:
	ds_write_b64 v1, v[122:123]
	ds_write2_b64 v246, v[100:101], v[120:121] offset0:27 offset1:28
	ds_write2_b64 v246, v[98:99], v[118:119] offset0:29 offset1:30
	ds_write2_b64 v246, v[96:97], v[116:117] offset0:31 offset1:32
	ds_write2_b64 v246, v[94:95], v[114:115] offset0:33 offset1:34
	ds_write2_b64 v246, v[92:93], v[112:113] offset0:35 offset1:36
	ds_write2_b64 v246, v[90:91], v[110:111] offset0:37 offset1:38
	ds_write2_b64 v246, v[88:89], v[164:165] offset0:39 offset1:40
	ds_write2_b64 v246, v[162:163], v[166:167] offset0:41 offset1:42
	ds_read_b64 v[176:177], v1
	s_waitcnt lgkmcnt(0)
	v_cmp_neq_f64_e32 vcc_lo, 0, v[176:177]
	s_and_b32 exec_lo, exec_lo, vcc_lo
	s_cbranch_execz .LBB85_134
; %bb.133:
	v_div_scale_f64 v[178:179], null, v[176:177], v[176:177], 1.0
	v_rcp_f64_e32 v[180:181], v[178:179]
	v_fma_f64 v[182:183], -v[178:179], v[180:181], 1.0
	v_fma_f64 v[180:181], v[180:181], v[182:183], v[180:181]
	v_fma_f64 v[182:183], -v[178:179], v[180:181], 1.0
	v_fma_f64 v[180:181], v[180:181], v[182:183], v[180:181]
	v_div_scale_f64 v[182:183], vcc_lo, 1.0, v[176:177], 1.0
	v_mul_f64 v[228:229], v[182:183], v[180:181]
	v_fma_f64 v[178:179], -v[178:179], v[228:229], v[182:183]
	v_div_fmas_f64 v[178:179], v[178:179], v[180:181], v[228:229]
	v_div_fixup_f64 v[176:177], v[178:179], v[176:177], 1.0
	ds_write_b64 v1, v[176:177]
.LBB85_134:
	s_or_b32 exec_lo, exec_lo, s1
	s_waitcnt lgkmcnt(0)
	s_barrier
	buffer_gl0_inv
	ds_read_b64 v[228:229], v1
	s_mov_b32 s1, exec_lo
	v_cmpx_lt_u32_e32 26, v0
	s_cbranch_execz .LBB85_136
; %bb.135:
	s_waitcnt lgkmcnt(0)
	v_mul_f64 v[122:123], v[228:229], v[122:123]
	ds_read2_b64 v[176:179], v246 offset0:27 offset1:28
	s_waitcnt lgkmcnt(0)
	v_fma_f64 v[100:101], -v[122:123], v[176:177], v[100:101]
	v_fma_f64 v[120:121], -v[122:123], v[178:179], v[120:121]
	ds_read2_b64 v[176:179], v246 offset0:29 offset1:30
	s_waitcnt lgkmcnt(0)
	v_fma_f64 v[98:99], -v[122:123], v[176:177], v[98:99]
	v_fma_f64 v[118:119], -v[122:123], v[178:179], v[118:119]
	;; [unrolled: 4-line block ×8, first 2 shown]
.LBB85_136:
	s_or_b32 exec_lo, exec_lo, s1
	s_mov_b32 s1, exec_lo
	s_waitcnt lgkmcnt(0)
	s_barrier
	buffer_gl0_inv
	v_cmpx_eq_u32_e32 27, v0
	s_cbranch_execz .LBB85_139
; %bb.137:
	v_mov_b32_e32 v176, v120
	v_mov_b32_e32 v177, v121
	v_mov_b32_e32 v178, v98
	v_mov_b32_e32 v179, v99
	v_mov_b32_e32 v180, v118
	v_mov_b32_e32 v181, v119
	v_mov_b32_e32 v182, v96
	v_mov_b32_e32 v183, v97
	ds_write_b64 v1, v[100:101]
	ds_write2_b64 v246, v[176:177], v[178:179] offset0:28 offset1:29
	ds_write2_b64 v246, v[180:181], v[182:183] offset0:30 offset1:31
	v_mov_b32_e32 v176, v116
	v_mov_b32_e32 v177, v117
	;; [unrolled: 1-line block ×20, first 2 shown]
	ds_write2_b64 v246, v[176:177], v[178:179] offset0:32 offset1:33
	ds_write2_b64 v246, v[180:181], v[182:183] offset0:34 offset1:35
	;; [unrolled: 1-line block ×5, first 2 shown]
	ds_write_b64 v246, v[166:167] offset:336
	ds_read_b64 v[176:177], v1
	s_waitcnt lgkmcnt(0)
	v_cmp_neq_f64_e32 vcc_lo, 0, v[176:177]
	s_and_b32 exec_lo, exec_lo, vcc_lo
	s_cbranch_execz .LBB85_139
; %bb.138:
	v_div_scale_f64 v[178:179], null, v[176:177], v[176:177], 1.0
	v_rcp_f64_e32 v[180:181], v[178:179]
	v_fma_f64 v[182:183], -v[178:179], v[180:181], 1.0
	v_fma_f64 v[180:181], v[180:181], v[182:183], v[180:181]
	v_fma_f64 v[182:183], -v[178:179], v[180:181], 1.0
	v_fma_f64 v[180:181], v[180:181], v[182:183], v[180:181]
	v_div_scale_f64 v[182:183], vcc_lo, 1.0, v[176:177], 1.0
	v_mul_f64 v[230:231], v[182:183], v[180:181]
	v_fma_f64 v[178:179], -v[178:179], v[230:231], v[182:183]
	v_div_fmas_f64 v[178:179], v[178:179], v[180:181], v[230:231]
	v_div_fixup_f64 v[176:177], v[178:179], v[176:177], 1.0
	ds_write_b64 v1, v[176:177]
.LBB85_139:
	s_or_b32 exec_lo, exec_lo, s1
	s_waitcnt lgkmcnt(0)
	s_barrier
	buffer_gl0_inv
	ds_read_b64 v[230:231], v1
	s_mov_b32 s1, exec_lo
	v_cmpx_lt_u32_e32 27, v0
	s_cbranch_execz .LBB85_141
; %bb.140:
	s_waitcnt lgkmcnt(0)
	v_mul_f64 v[100:101], v[230:231], v[100:101]
	ds_read2_b64 v[176:179], v246 offset0:28 offset1:29
	s_waitcnt lgkmcnt(0)
	v_fma_f64 v[120:121], -v[100:101], v[176:177], v[120:121]
	v_fma_f64 v[98:99], -v[100:101], v[178:179], v[98:99]
	ds_read2_b64 v[176:179], v246 offset0:30 offset1:31
	s_waitcnt lgkmcnt(0)
	v_fma_f64 v[118:119], -v[100:101], v[176:177], v[118:119]
	v_fma_f64 v[96:97], -v[100:101], v[178:179], v[96:97]
	;; [unrolled: 4-line block ×6, first 2 shown]
	ds_read2_b64 v[176:179], v246 offset0:40 offset1:41
	s_waitcnt lgkmcnt(0)
	v_fma_f64 v[164:165], -v[100:101], v[176:177], v[164:165]
	ds_read_b64 v[176:177], v246 offset:336
	v_fma_f64 v[162:163], -v[100:101], v[178:179], v[162:163]
	s_waitcnt lgkmcnt(0)
	v_fma_f64 v[166:167], -v[100:101], v[176:177], v[166:167]
.LBB85_141:
	s_or_b32 exec_lo, exec_lo, s1
	s_mov_b32 s1, exec_lo
	s_waitcnt lgkmcnt(0)
	s_barrier
	buffer_gl0_inv
	v_cmpx_eq_u32_e32 28, v0
	s_cbranch_execz .LBB85_144
; %bb.142:
	ds_write_b64 v1, v[120:121]
	ds_write2_b64 v246, v[98:99], v[118:119] offset0:29 offset1:30
	ds_write2_b64 v246, v[96:97], v[116:117] offset0:31 offset1:32
	;; [unrolled: 1-line block ×7, first 2 shown]
	ds_read_b64 v[176:177], v1
	s_waitcnt lgkmcnt(0)
	v_cmp_neq_f64_e32 vcc_lo, 0, v[176:177]
	s_and_b32 exec_lo, exec_lo, vcc_lo
	s_cbranch_execz .LBB85_144
; %bb.143:
	v_div_scale_f64 v[178:179], null, v[176:177], v[176:177], 1.0
	v_rcp_f64_e32 v[180:181], v[178:179]
	v_fma_f64 v[182:183], -v[178:179], v[180:181], 1.0
	v_fma_f64 v[180:181], v[180:181], v[182:183], v[180:181]
	v_fma_f64 v[182:183], -v[178:179], v[180:181], 1.0
	v_fma_f64 v[180:181], v[180:181], v[182:183], v[180:181]
	v_div_scale_f64 v[182:183], vcc_lo, 1.0, v[176:177], 1.0
	v_mul_f64 v[232:233], v[182:183], v[180:181]
	v_fma_f64 v[178:179], -v[178:179], v[232:233], v[182:183]
	v_div_fmas_f64 v[178:179], v[178:179], v[180:181], v[232:233]
	v_div_fixup_f64 v[176:177], v[178:179], v[176:177], 1.0
	ds_write_b64 v1, v[176:177]
.LBB85_144:
	s_or_b32 exec_lo, exec_lo, s1
	s_waitcnt lgkmcnt(0)
	s_barrier
	buffer_gl0_inv
	ds_read_b64 v[232:233], v1
	s_mov_b32 s1, exec_lo
	v_cmpx_lt_u32_e32 28, v0
	s_cbranch_execz .LBB85_146
; %bb.145:
	s_waitcnt lgkmcnt(0)
	v_mul_f64 v[120:121], v[232:233], v[120:121]
	ds_read2_b64 v[176:179], v246 offset0:29 offset1:30
	s_waitcnt lgkmcnt(0)
	v_fma_f64 v[98:99], -v[120:121], v[176:177], v[98:99]
	v_fma_f64 v[118:119], -v[120:121], v[178:179], v[118:119]
	ds_read2_b64 v[176:179], v246 offset0:31 offset1:32
	s_waitcnt lgkmcnt(0)
	v_fma_f64 v[96:97], -v[120:121], v[176:177], v[96:97]
	v_fma_f64 v[116:117], -v[120:121], v[178:179], v[116:117]
	;; [unrolled: 4-line block ×7, first 2 shown]
.LBB85_146:
	s_or_b32 exec_lo, exec_lo, s1
	s_mov_b32 s1, exec_lo
	s_waitcnt lgkmcnt(0)
	s_barrier
	buffer_gl0_inv
	v_cmpx_eq_u32_e32 29, v0
	s_cbranch_execz .LBB85_149
; %bb.147:
	v_mov_b32_e32 v176, v118
	v_mov_b32_e32 v177, v119
	;; [unrolled: 1-line block ×4, first 2 shown]
	ds_write_b64 v1, v[98:99]
	ds_write2_b64 v246, v[176:177], v[178:179] offset0:30 offset1:31
	v_mov_b32_e32 v176, v116
	v_mov_b32_e32 v177, v117
	;; [unrolled: 1-line block ×20, first 2 shown]
	ds_write2_b64 v246, v[176:177], v[178:179] offset0:32 offset1:33
	ds_write2_b64 v246, v[180:181], v[182:183] offset0:34 offset1:35
	;; [unrolled: 1-line block ×5, first 2 shown]
	ds_write_b64 v246, v[166:167] offset:336
	ds_read_b64 v[176:177], v1
	s_waitcnt lgkmcnt(0)
	v_cmp_neq_f64_e32 vcc_lo, 0, v[176:177]
	s_and_b32 exec_lo, exec_lo, vcc_lo
	s_cbranch_execz .LBB85_149
; %bb.148:
	v_div_scale_f64 v[178:179], null, v[176:177], v[176:177], 1.0
	v_rcp_f64_e32 v[180:181], v[178:179]
	v_fma_f64 v[182:183], -v[178:179], v[180:181], 1.0
	v_fma_f64 v[180:181], v[180:181], v[182:183], v[180:181]
	v_fma_f64 v[182:183], -v[178:179], v[180:181], 1.0
	v_fma_f64 v[180:181], v[180:181], v[182:183], v[180:181]
	v_div_scale_f64 v[182:183], vcc_lo, 1.0, v[176:177], 1.0
	v_mul_f64 v[234:235], v[182:183], v[180:181]
	v_fma_f64 v[178:179], -v[178:179], v[234:235], v[182:183]
	v_div_fmas_f64 v[178:179], v[178:179], v[180:181], v[234:235]
	v_div_fixup_f64 v[176:177], v[178:179], v[176:177], 1.0
	ds_write_b64 v1, v[176:177]
.LBB85_149:
	s_or_b32 exec_lo, exec_lo, s1
	s_waitcnt lgkmcnt(0)
	s_barrier
	buffer_gl0_inv
	ds_read_b64 v[234:235], v1
	s_mov_b32 s1, exec_lo
	v_cmpx_lt_u32_e32 29, v0
	s_cbranch_execz .LBB85_151
; %bb.150:
	s_waitcnt lgkmcnt(0)
	v_mul_f64 v[98:99], v[234:235], v[98:99]
	ds_read2_b64 v[176:179], v246 offset0:30 offset1:31
	s_waitcnt lgkmcnt(0)
	v_fma_f64 v[118:119], -v[98:99], v[176:177], v[118:119]
	v_fma_f64 v[96:97], -v[98:99], v[178:179], v[96:97]
	ds_read2_b64 v[176:179], v246 offset0:32 offset1:33
	s_waitcnt lgkmcnt(0)
	v_fma_f64 v[116:117], -v[98:99], v[176:177], v[116:117]
	v_fma_f64 v[94:95], -v[98:99], v[178:179], v[94:95]
	ds_read2_b64 v[176:179], v246 offset0:34 offset1:35
	s_waitcnt lgkmcnt(0)
	v_fma_f64 v[114:115], -v[98:99], v[176:177], v[114:115]
	v_fma_f64 v[92:93], -v[98:99], v[178:179], v[92:93]
	ds_read2_b64 v[176:179], v246 offset0:36 offset1:37
	s_waitcnt lgkmcnt(0)
	v_fma_f64 v[112:113], -v[98:99], v[176:177], v[112:113]
	v_fma_f64 v[90:91], -v[98:99], v[178:179], v[90:91]
	ds_read2_b64 v[176:179], v246 offset0:38 offset1:39
	s_waitcnt lgkmcnt(0)
	v_fma_f64 v[110:111], -v[98:99], v[176:177], v[110:111]
	v_fma_f64 v[88:89], -v[98:99], v[178:179], v[88:89]
	ds_read2_b64 v[176:179], v246 offset0:40 offset1:41
	s_waitcnt lgkmcnt(0)
	v_fma_f64 v[164:165], -v[98:99], v[176:177], v[164:165]
	ds_read_b64 v[176:177], v246 offset:336
	v_fma_f64 v[162:163], -v[98:99], v[178:179], v[162:163]
	s_waitcnt lgkmcnt(0)
	v_fma_f64 v[166:167], -v[98:99], v[176:177], v[166:167]
.LBB85_151:
	s_or_b32 exec_lo, exec_lo, s1
	s_mov_b32 s1, exec_lo
	s_waitcnt lgkmcnt(0)
	s_barrier
	buffer_gl0_inv
	v_cmpx_eq_u32_e32 30, v0
	s_cbranch_execz .LBB85_154
; %bb.152:
	ds_write_b64 v1, v[118:119]
	ds_write2_b64 v246, v[96:97], v[116:117] offset0:31 offset1:32
	ds_write2_b64 v246, v[94:95], v[114:115] offset0:33 offset1:34
	;; [unrolled: 1-line block ×6, first 2 shown]
	ds_read_b64 v[176:177], v1
	s_waitcnt lgkmcnt(0)
	v_cmp_neq_f64_e32 vcc_lo, 0, v[176:177]
	s_and_b32 exec_lo, exec_lo, vcc_lo
	s_cbranch_execz .LBB85_154
; %bb.153:
	v_div_scale_f64 v[178:179], null, v[176:177], v[176:177], 1.0
	v_rcp_f64_e32 v[180:181], v[178:179]
	v_fma_f64 v[182:183], -v[178:179], v[180:181], 1.0
	v_fma_f64 v[180:181], v[180:181], v[182:183], v[180:181]
	v_fma_f64 v[182:183], -v[178:179], v[180:181], 1.0
	v_fma_f64 v[180:181], v[180:181], v[182:183], v[180:181]
	v_div_scale_f64 v[182:183], vcc_lo, 1.0, v[176:177], 1.0
	v_mul_f64 v[236:237], v[182:183], v[180:181]
	v_fma_f64 v[178:179], -v[178:179], v[236:237], v[182:183]
	v_div_fmas_f64 v[178:179], v[178:179], v[180:181], v[236:237]
	v_div_fixup_f64 v[176:177], v[178:179], v[176:177], 1.0
	ds_write_b64 v1, v[176:177]
.LBB85_154:
	s_or_b32 exec_lo, exec_lo, s1
	s_waitcnt lgkmcnt(0)
	s_barrier
	buffer_gl0_inv
	ds_read_b64 v[236:237], v1
	s_mov_b32 s1, exec_lo
	v_cmpx_lt_u32_e32 30, v0
	s_cbranch_execz .LBB85_156
; %bb.155:
	s_waitcnt lgkmcnt(0)
	v_mul_f64 v[118:119], v[236:237], v[118:119]
	ds_read2_b64 v[176:179], v246 offset0:31 offset1:32
	s_waitcnt lgkmcnt(0)
	v_fma_f64 v[96:97], -v[118:119], v[176:177], v[96:97]
	v_fma_f64 v[116:117], -v[118:119], v[178:179], v[116:117]
	ds_read2_b64 v[176:179], v246 offset0:33 offset1:34
	s_waitcnt lgkmcnt(0)
	v_fma_f64 v[94:95], -v[118:119], v[176:177], v[94:95]
	v_fma_f64 v[114:115], -v[118:119], v[178:179], v[114:115]
	;; [unrolled: 4-line block ×6, first 2 shown]
.LBB85_156:
	s_or_b32 exec_lo, exec_lo, s1
	s_mov_b32 s1, exec_lo
	s_waitcnt lgkmcnt(0)
	s_barrier
	buffer_gl0_inv
	v_cmpx_eq_u32_e32 31, v0
	s_cbranch_execz .LBB85_159
; %bb.157:
	v_mov_b32_e32 v176, v116
	v_mov_b32_e32 v177, v117
	;; [unrolled: 1-line block ×4, first 2 shown]
	ds_write_b64 v1, v[96:97]
	ds_write2_b64 v246, v[176:177], v[178:179] offset0:32 offset1:33
	v_mov_b32_e32 v176, v114
	v_mov_b32_e32 v177, v115
	v_mov_b32_e32 v178, v92
	v_mov_b32_e32 v179, v93
	ds_write2_b64 v246, v[176:177], v[178:179] offset0:34 offset1:35
	v_mov_b32_e32 v176, v112
	v_mov_b32_e32 v177, v113
	v_mov_b32_e32 v178, v90
	v_mov_b32_e32 v179, v91
	;; [unrolled: 5-line block ×4, first 2 shown]
	ds_write2_b64 v246, v[176:177], v[178:179] offset0:40 offset1:41
	ds_write_b64 v246, v[166:167] offset:336
	ds_read_b64 v[176:177], v1
	s_waitcnt lgkmcnt(0)
	v_cmp_neq_f64_e32 vcc_lo, 0, v[176:177]
	s_and_b32 exec_lo, exec_lo, vcc_lo
	s_cbranch_execz .LBB85_159
; %bb.158:
	v_div_scale_f64 v[178:179], null, v[176:177], v[176:177], 1.0
	v_rcp_f64_e32 v[180:181], v[178:179]
	v_fma_f64 v[182:183], -v[178:179], v[180:181], 1.0
	v_fma_f64 v[180:181], v[180:181], v[182:183], v[180:181]
	v_fma_f64 v[182:183], -v[178:179], v[180:181], 1.0
	v_fma_f64 v[180:181], v[180:181], v[182:183], v[180:181]
	v_div_scale_f64 v[182:183], vcc_lo, 1.0, v[176:177], 1.0
	v_mul_f64 v[238:239], v[182:183], v[180:181]
	v_fma_f64 v[178:179], -v[178:179], v[238:239], v[182:183]
	v_div_fmas_f64 v[178:179], v[178:179], v[180:181], v[238:239]
	v_div_fixup_f64 v[176:177], v[178:179], v[176:177], 1.0
	ds_write_b64 v1, v[176:177]
.LBB85_159:
	s_or_b32 exec_lo, exec_lo, s1
	s_waitcnt lgkmcnt(0)
	s_barrier
	buffer_gl0_inv
	ds_read_b64 v[238:239], v1
	s_mov_b32 s1, exec_lo
	v_cmpx_lt_u32_e32 31, v0
	s_cbranch_execz .LBB85_161
; %bb.160:
	s_waitcnt lgkmcnt(0)
	v_mul_f64 v[96:97], v[238:239], v[96:97]
	ds_read2_b64 v[176:179], v246 offset0:32 offset1:33
	s_waitcnt lgkmcnt(0)
	v_fma_f64 v[116:117], -v[96:97], v[176:177], v[116:117]
	v_fma_f64 v[94:95], -v[96:97], v[178:179], v[94:95]
	ds_read2_b64 v[176:179], v246 offset0:34 offset1:35
	s_waitcnt lgkmcnt(0)
	v_fma_f64 v[114:115], -v[96:97], v[176:177], v[114:115]
	v_fma_f64 v[92:93], -v[96:97], v[178:179], v[92:93]
	;; [unrolled: 4-line block ×4, first 2 shown]
	ds_read2_b64 v[176:179], v246 offset0:40 offset1:41
	s_waitcnt lgkmcnt(0)
	v_fma_f64 v[164:165], -v[96:97], v[176:177], v[164:165]
	ds_read_b64 v[176:177], v246 offset:336
	v_fma_f64 v[162:163], -v[96:97], v[178:179], v[162:163]
	s_waitcnt lgkmcnt(0)
	v_fma_f64 v[166:167], -v[96:97], v[176:177], v[166:167]
.LBB85_161:
	s_or_b32 exec_lo, exec_lo, s1
	s_mov_b32 s1, exec_lo
	s_waitcnt lgkmcnt(0)
	s_barrier
	buffer_gl0_inv
	v_cmpx_eq_u32_e32 32, v0
	s_cbranch_execz .LBB85_164
; %bb.162:
	ds_write_b64 v1, v[116:117]
	ds_write2_b64 v246, v[94:95], v[114:115] offset0:33 offset1:34
	ds_write2_b64 v246, v[92:93], v[112:113] offset0:35 offset1:36
	ds_write2_b64 v246, v[90:91], v[110:111] offset0:37 offset1:38
	ds_write2_b64 v246, v[88:89], v[164:165] offset0:39 offset1:40
	ds_write2_b64 v246, v[162:163], v[166:167] offset0:41 offset1:42
	ds_read_b64 v[176:177], v1
	s_waitcnt lgkmcnt(0)
	v_cmp_neq_f64_e32 vcc_lo, 0, v[176:177]
	s_and_b32 exec_lo, exec_lo, vcc_lo
	s_cbranch_execz .LBB85_164
; %bb.163:
	v_div_scale_f64 v[178:179], null, v[176:177], v[176:177], 1.0
	v_rcp_f64_e32 v[180:181], v[178:179]
	v_fma_f64 v[182:183], -v[178:179], v[180:181], 1.0
	v_fma_f64 v[180:181], v[180:181], v[182:183], v[180:181]
	v_fma_f64 v[182:183], -v[178:179], v[180:181], 1.0
	v_fma_f64 v[180:181], v[180:181], v[182:183], v[180:181]
	v_div_scale_f64 v[182:183], vcc_lo, 1.0, v[176:177], 1.0
	v_mul_f64 v[240:241], v[182:183], v[180:181]
	v_fma_f64 v[178:179], -v[178:179], v[240:241], v[182:183]
	v_div_fmas_f64 v[178:179], v[178:179], v[180:181], v[240:241]
	v_div_fixup_f64 v[176:177], v[178:179], v[176:177], 1.0
	ds_write_b64 v1, v[176:177]
.LBB85_164:
	s_or_b32 exec_lo, exec_lo, s1
	s_waitcnt lgkmcnt(0)
	s_barrier
	buffer_gl0_inv
	ds_read_b64 v[240:241], v1
	s_mov_b32 s1, exec_lo
	v_cmpx_lt_u32_e32 32, v0
	s_cbranch_execz .LBB85_166
; %bb.165:
	s_waitcnt lgkmcnt(0)
	v_mul_f64 v[116:117], v[240:241], v[116:117]
	ds_read2_b64 v[176:179], v246 offset0:33 offset1:34
	s_waitcnt lgkmcnt(0)
	v_fma_f64 v[94:95], -v[116:117], v[176:177], v[94:95]
	v_fma_f64 v[114:115], -v[116:117], v[178:179], v[114:115]
	ds_read2_b64 v[176:179], v246 offset0:35 offset1:36
	s_waitcnt lgkmcnt(0)
	v_fma_f64 v[92:93], -v[116:117], v[176:177], v[92:93]
	v_fma_f64 v[112:113], -v[116:117], v[178:179], v[112:113]
	;; [unrolled: 4-line block ×5, first 2 shown]
.LBB85_166:
	s_or_b32 exec_lo, exec_lo, s1
	s_mov_b32 s1, exec_lo
	s_waitcnt lgkmcnt(0)
	s_barrier
	buffer_gl0_inv
	v_cmpx_eq_u32_e32 33, v0
	s_cbranch_execz .LBB85_169
; %bb.167:
	v_mov_b32_e32 v176, v114
	v_mov_b32_e32 v177, v115
	;; [unrolled: 1-line block ×4, first 2 shown]
	ds_write_b64 v1, v[94:95]
	ds_write2_b64 v246, v[176:177], v[178:179] offset0:34 offset1:35
	v_mov_b32_e32 v176, v112
	v_mov_b32_e32 v177, v113
	v_mov_b32_e32 v178, v90
	v_mov_b32_e32 v179, v91
	ds_write2_b64 v246, v[176:177], v[178:179] offset0:36 offset1:37
	v_mov_b32_e32 v176, v110
	v_mov_b32_e32 v177, v111
	v_mov_b32_e32 v178, v88
	v_mov_b32_e32 v179, v89
	;; [unrolled: 5-line block ×3, first 2 shown]
	ds_write2_b64 v246, v[176:177], v[178:179] offset0:40 offset1:41
	ds_write_b64 v246, v[166:167] offset:336
	ds_read_b64 v[176:177], v1
	s_waitcnt lgkmcnt(0)
	v_cmp_neq_f64_e32 vcc_lo, 0, v[176:177]
	s_and_b32 exec_lo, exec_lo, vcc_lo
	s_cbranch_execz .LBB85_169
; %bb.168:
	v_div_scale_f64 v[178:179], null, v[176:177], v[176:177], 1.0
	v_rcp_f64_e32 v[180:181], v[178:179]
	v_fma_f64 v[182:183], -v[178:179], v[180:181], 1.0
	v_fma_f64 v[180:181], v[180:181], v[182:183], v[180:181]
	v_fma_f64 v[182:183], -v[178:179], v[180:181], 1.0
	v_fma_f64 v[180:181], v[180:181], v[182:183], v[180:181]
	v_div_scale_f64 v[182:183], vcc_lo, 1.0, v[176:177], 1.0
	v_mul_f64 v[242:243], v[182:183], v[180:181]
	v_fma_f64 v[178:179], -v[178:179], v[242:243], v[182:183]
	v_div_fmas_f64 v[178:179], v[178:179], v[180:181], v[242:243]
	v_div_fixup_f64 v[176:177], v[178:179], v[176:177], 1.0
	ds_write_b64 v1, v[176:177]
.LBB85_169:
	s_or_b32 exec_lo, exec_lo, s1
	s_waitcnt lgkmcnt(0)
	s_barrier
	buffer_gl0_inv
	ds_read_b64 v[242:243], v1
	s_mov_b32 s1, exec_lo
	v_cmpx_lt_u32_e32 33, v0
	s_cbranch_execz .LBB85_171
; %bb.170:
	s_waitcnt lgkmcnt(0)
	v_mul_f64 v[94:95], v[242:243], v[94:95]
	ds_read2_b64 v[176:179], v246 offset0:34 offset1:35
	s_waitcnt lgkmcnt(0)
	v_fma_f64 v[114:115], -v[94:95], v[176:177], v[114:115]
	v_fma_f64 v[92:93], -v[94:95], v[178:179], v[92:93]
	ds_read2_b64 v[176:179], v246 offset0:36 offset1:37
	s_waitcnt lgkmcnt(0)
	v_fma_f64 v[112:113], -v[94:95], v[176:177], v[112:113]
	v_fma_f64 v[90:91], -v[94:95], v[178:179], v[90:91]
	;; [unrolled: 4-line block ×3, first 2 shown]
	ds_read2_b64 v[176:179], v246 offset0:40 offset1:41
	s_waitcnt lgkmcnt(0)
	v_fma_f64 v[164:165], -v[94:95], v[176:177], v[164:165]
	ds_read_b64 v[176:177], v246 offset:336
	v_fma_f64 v[162:163], -v[94:95], v[178:179], v[162:163]
	s_waitcnt lgkmcnt(0)
	v_fma_f64 v[166:167], -v[94:95], v[176:177], v[166:167]
.LBB85_171:
	s_or_b32 exec_lo, exec_lo, s1
	s_mov_b32 s1, exec_lo
	s_waitcnt lgkmcnt(0)
	s_barrier
	buffer_gl0_inv
	v_cmpx_eq_u32_e32 34, v0
	s_cbranch_execz .LBB85_174
; %bb.172:
	ds_write_b64 v1, v[114:115]
	ds_write2_b64 v246, v[92:93], v[112:113] offset0:35 offset1:36
	ds_write2_b64 v246, v[90:91], v[110:111] offset0:37 offset1:38
	;; [unrolled: 1-line block ×4, first 2 shown]
	ds_read_b64 v[176:177], v1
	s_waitcnt lgkmcnt(0)
	v_cmp_neq_f64_e32 vcc_lo, 0, v[176:177]
	s_and_b32 exec_lo, exec_lo, vcc_lo
	s_cbranch_execz .LBB85_174
; %bb.173:
	v_div_scale_f64 v[178:179], null, v[176:177], v[176:177], 1.0
	v_rcp_f64_e32 v[180:181], v[178:179]
	v_fma_f64 v[182:183], -v[178:179], v[180:181], 1.0
	v_fma_f64 v[180:181], v[180:181], v[182:183], v[180:181]
	v_fma_f64 v[182:183], -v[178:179], v[180:181], 1.0
	v_fma_f64 v[180:181], v[180:181], v[182:183], v[180:181]
	v_div_scale_f64 v[182:183], vcc_lo, 1.0, v[176:177], 1.0
	v_mul_f64 v[244:245], v[182:183], v[180:181]
	v_fma_f64 v[178:179], -v[178:179], v[244:245], v[182:183]
	v_div_fmas_f64 v[178:179], v[178:179], v[180:181], v[244:245]
	v_div_fixup_f64 v[176:177], v[178:179], v[176:177], 1.0
	ds_write_b64 v1, v[176:177]
.LBB85_174:
	s_or_b32 exec_lo, exec_lo, s1
	s_waitcnt lgkmcnt(0)
	s_barrier
	buffer_gl0_inv
	ds_read_b64 v[244:245], v1
	s_mov_b32 s1, exec_lo
	v_cmpx_lt_u32_e32 34, v0
	s_cbranch_execz .LBB85_176
; %bb.175:
	s_waitcnt lgkmcnt(0)
	v_mul_f64 v[114:115], v[244:245], v[114:115]
	ds_read2_b64 v[176:179], v246 offset0:35 offset1:36
	s_waitcnt lgkmcnt(0)
	v_fma_f64 v[92:93], -v[114:115], v[176:177], v[92:93]
	v_fma_f64 v[112:113], -v[114:115], v[178:179], v[112:113]
	ds_read2_b64 v[176:179], v246 offset0:37 offset1:38
	s_waitcnt lgkmcnt(0)
	v_fma_f64 v[90:91], -v[114:115], v[176:177], v[90:91]
	v_fma_f64 v[110:111], -v[114:115], v[178:179], v[110:111]
	ds_read2_b64 v[176:179], v246 offset0:39 offset1:40
	s_waitcnt lgkmcnt(0)
	v_fma_f64 v[88:89], -v[114:115], v[176:177], v[88:89]
	v_fma_f64 v[164:165], -v[114:115], v[178:179], v[164:165]
	ds_read2_b64 v[176:179], v246 offset0:41 offset1:42
	s_waitcnt lgkmcnt(0)
	v_fma_f64 v[162:163], -v[114:115], v[176:177], v[162:163]
	v_fma_f64 v[166:167], -v[114:115], v[178:179], v[166:167]
.LBB85_176:
	s_or_b32 exec_lo, exec_lo, s1
	s_mov_b32 s1, exec_lo
	s_waitcnt lgkmcnt(0)
	s_barrier
	buffer_gl0_inv
	v_cmpx_eq_u32_e32 35, v0
	s_cbranch_execz .LBB85_179
; %bb.177:
	v_mov_b32_e32 v176, v112
	v_mov_b32_e32 v177, v113
	;; [unrolled: 1-line block ×4, first 2 shown]
	ds_write_b64 v1, v[92:93]
	ds_write2_b64 v246, v[176:177], v[178:179] offset0:36 offset1:37
	v_mov_b32_e32 v176, v110
	v_mov_b32_e32 v177, v111
	;; [unrolled: 1-line block ×4, first 2 shown]
	ds_write2_b64 v246, v[176:177], v[178:179] offset0:38 offset1:39
	v_mov_b32_e32 v176, v164
	v_mov_b32_e32 v177, v165
	;; [unrolled: 1-line block ×4, first 2 shown]
	ds_write2_b64 v246, v[176:177], v[178:179] offset0:40 offset1:41
	ds_write_b64 v246, v[166:167] offset:336
	ds_read_b64 v[176:177], v1
	s_waitcnt lgkmcnt(0)
	v_cmp_neq_f64_e32 vcc_lo, 0, v[176:177]
	s_and_b32 exec_lo, exec_lo, vcc_lo
	s_cbranch_execz .LBB85_179
; %bb.178:
	v_div_scale_f64 v[178:179], null, v[176:177], v[176:177], 1.0
	v_rcp_f64_e32 v[180:181], v[178:179]
	v_fma_f64 v[182:183], -v[178:179], v[180:181], 1.0
	v_fma_f64 v[180:181], v[180:181], v[182:183], v[180:181]
	v_fma_f64 v[182:183], -v[178:179], v[180:181], 1.0
	v_fma_f64 v[180:181], v[180:181], v[182:183], v[180:181]
	v_div_scale_f64 v[182:183], vcc_lo, 1.0, v[176:177], 1.0
	v_mul_f64 v[247:248], v[182:183], v[180:181]
	v_fma_f64 v[178:179], -v[178:179], v[247:248], v[182:183]
	v_div_fmas_f64 v[178:179], v[178:179], v[180:181], v[247:248]
	v_div_fixup_f64 v[176:177], v[178:179], v[176:177], 1.0
	ds_write_b64 v1, v[176:177]
.LBB85_179:
	s_or_b32 exec_lo, exec_lo, s1
	s_waitcnt lgkmcnt(0)
	s_barrier
	buffer_gl0_inv
	ds_read_b64 v[248:249], v1
	s_mov_b32 s1, exec_lo
	v_cmpx_lt_u32_e32 35, v0
	s_cbranch_execz .LBB85_181
; %bb.180:
	s_waitcnt lgkmcnt(0)
	v_mul_f64 v[92:93], v[248:249], v[92:93]
	ds_read2_b64 v[176:179], v246 offset0:36 offset1:37
	s_waitcnt lgkmcnt(0)
	v_fma_f64 v[112:113], -v[92:93], v[176:177], v[112:113]
	v_fma_f64 v[90:91], -v[92:93], v[178:179], v[90:91]
	ds_read2_b64 v[176:179], v246 offset0:38 offset1:39
	s_waitcnt lgkmcnt(0)
	v_fma_f64 v[110:111], -v[92:93], v[176:177], v[110:111]
	v_fma_f64 v[88:89], -v[92:93], v[178:179], v[88:89]
	ds_read2_b64 v[176:179], v246 offset0:40 offset1:41
	s_waitcnt lgkmcnt(0)
	v_fma_f64 v[164:165], -v[92:93], v[176:177], v[164:165]
	ds_read_b64 v[176:177], v246 offset:336
	v_fma_f64 v[162:163], -v[92:93], v[178:179], v[162:163]
	s_waitcnt lgkmcnt(0)
	v_fma_f64 v[166:167], -v[92:93], v[176:177], v[166:167]
.LBB85_181:
	s_or_b32 exec_lo, exec_lo, s1
	s_mov_b32 s1, exec_lo
	s_waitcnt lgkmcnt(0)
	s_barrier
	buffer_gl0_inv
	v_cmpx_eq_u32_e32 36, v0
	s_cbranch_execz .LBB85_184
; %bb.182:
	ds_write_b64 v1, v[112:113]
	ds_write2_b64 v246, v[90:91], v[110:111] offset0:37 offset1:38
	ds_write2_b64 v246, v[88:89], v[164:165] offset0:39 offset1:40
	;; [unrolled: 1-line block ×3, first 2 shown]
	ds_read_b64 v[176:177], v1
	s_waitcnt lgkmcnt(0)
	v_cmp_neq_f64_e32 vcc_lo, 0, v[176:177]
	s_and_b32 exec_lo, exec_lo, vcc_lo
	s_cbranch_execz .LBB85_184
; %bb.183:
	v_div_scale_f64 v[178:179], null, v[176:177], v[176:177], 1.0
	v_rcp_f64_e32 v[180:181], v[178:179]
	v_fma_f64 v[182:183], -v[178:179], v[180:181], 1.0
	v_fma_f64 v[180:181], v[180:181], v[182:183], v[180:181]
	v_fma_f64 v[182:183], -v[178:179], v[180:181], 1.0
	v_fma_f64 v[180:181], v[180:181], v[182:183], v[180:181]
	v_div_scale_f64 v[182:183], vcc_lo, 1.0, v[176:177], 1.0
	v_mul_f64 v[250:251], v[182:183], v[180:181]
	v_fma_f64 v[178:179], -v[178:179], v[250:251], v[182:183]
	v_div_fmas_f64 v[178:179], v[178:179], v[180:181], v[250:251]
	v_div_fixup_f64 v[176:177], v[178:179], v[176:177], 1.0
	ds_write_b64 v1, v[176:177]
.LBB85_184:
	s_or_b32 exec_lo, exec_lo, s1
	s_waitcnt lgkmcnt(0)
	s_barrier
	buffer_gl0_inv
	ds_read_b64 v[250:251], v1
	s_mov_b32 s1, exec_lo
	v_cmpx_lt_u32_e32 36, v0
	s_cbranch_execz .LBB85_186
; %bb.185:
	s_waitcnt lgkmcnt(0)
	v_mul_f64 v[112:113], v[250:251], v[112:113]
	ds_read2_b64 v[176:179], v246 offset0:37 offset1:38
	s_waitcnt lgkmcnt(0)
	v_fma_f64 v[90:91], -v[112:113], v[176:177], v[90:91]
	v_fma_f64 v[110:111], -v[112:113], v[178:179], v[110:111]
	ds_read2_b64 v[176:179], v246 offset0:39 offset1:40
	s_waitcnt lgkmcnt(0)
	v_fma_f64 v[88:89], -v[112:113], v[176:177], v[88:89]
	v_fma_f64 v[164:165], -v[112:113], v[178:179], v[164:165]
	;; [unrolled: 4-line block ×3, first 2 shown]
.LBB85_186:
	s_or_b32 exec_lo, exec_lo, s1
	s_mov_b32 s1, exec_lo
	s_waitcnt lgkmcnt(0)
	s_barrier
	buffer_gl0_inv
	v_cmpx_eq_u32_e32 37, v0
	s_cbranch_execz .LBB85_189
; %bb.187:
	v_mov_b32_e32 v176, v110
	v_mov_b32_e32 v177, v111
	;; [unrolled: 1-line block ×4, first 2 shown]
	ds_write_b64 v1, v[90:91]
	ds_write2_b64 v246, v[176:177], v[178:179] offset0:38 offset1:39
	v_mov_b32_e32 v176, v164
	v_mov_b32_e32 v177, v165
	v_mov_b32_e32 v178, v162
	v_mov_b32_e32 v179, v163
	ds_write2_b64 v246, v[176:177], v[178:179] offset0:40 offset1:41
	ds_write_b64 v246, v[166:167] offset:336
	ds_read_b64 v[176:177], v1
	s_waitcnt lgkmcnt(0)
	v_cmp_neq_f64_e32 vcc_lo, 0, v[176:177]
	s_and_b32 exec_lo, exec_lo, vcc_lo
	s_cbranch_execz .LBB85_189
; %bb.188:
	v_div_scale_f64 v[178:179], null, v[176:177], v[176:177], 1.0
	v_rcp_f64_e32 v[180:181], v[178:179]
	v_fma_f64 v[182:183], -v[178:179], v[180:181], 1.0
	v_fma_f64 v[180:181], v[180:181], v[182:183], v[180:181]
	v_fma_f64 v[182:183], -v[178:179], v[180:181], 1.0
	v_fma_f64 v[180:181], v[180:181], v[182:183], v[180:181]
	v_div_scale_f64 v[182:183], vcc_lo, 1.0, v[176:177], 1.0
	v_mul_f64 v[252:253], v[182:183], v[180:181]
	v_fma_f64 v[178:179], -v[178:179], v[252:253], v[182:183]
	v_div_fmas_f64 v[178:179], v[178:179], v[180:181], v[252:253]
	v_div_fixup_f64 v[176:177], v[178:179], v[176:177], 1.0
	ds_write_b64 v1, v[176:177]
.LBB85_189:
	s_or_b32 exec_lo, exec_lo, s1
	s_waitcnt lgkmcnt(0)
	s_barrier
	buffer_gl0_inv
	ds_read_b64 v[252:253], v1
	s_mov_b32 s1, exec_lo
	v_cmpx_lt_u32_e32 37, v0
	s_cbranch_execz .LBB85_191
; %bb.190:
	s_waitcnt lgkmcnt(0)
	v_mul_f64 v[90:91], v[252:253], v[90:91]
	ds_read2_b64 v[176:179], v246 offset0:38 offset1:39
	s_waitcnt lgkmcnt(0)
	v_fma_f64 v[110:111], -v[90:91], v[176:177], v[110:111]
	v_fma_f64 v[88:89], -v[90:91], v[178:179], v[88:89]
	ds_read2_b64 v[176:179], v246 offset0:40 offset1:41
	s_waitcnt lgkmcnt(0)
	v_fma_f64 v[164:165], -v[90:91], v[176:177], v[164:165]
	ds_read_b64 v[176:177], v246 offset:336
	v_fma_f64 v[162:163], -v[90:91], v[178:179], v[162:163]
	s_waitcnt lgkmcnt(0)
	v_fma_f64 v[166:167], -v[90:91], v[176:177], v[166:167]
.LBB85_191:
	s_or_b32 exec_lo, exec_lo, s1
	s_mov_b32 s1, exec_lo
	s_waitcnt lgkmcnt(0)
	s_barrier
	buffer_gl0_inv
	v_cmpx_eq_u32_e32 38, v0
	s_cbranch_execz .LBB85_194
; %bb.192:
	ds_write_b64 v1, v[110:111]
	ds_write2_b64 v246, v[88:89], v[164:165] offset0:39 offset1:40
	ds_write2_b64 v246, v[162:163], v[166:167] offset0:41 offset1:42
	ds_read_b64 v[176:177], v1
	s_waitcnt lgkmcnt(0)
	v_cmp_neq_f64_e32 vcc_lo, 0, v[176:177]
	s_and_b32 exec_lo, exec_lo, vcc_lo
	s_cbranch_execz .LBB85_194
; %bb.193:
	v_div_scale_f64 v[178:179], null, v[176:177], v[176:177], 1.0
	v_rcp_f64_e32 v[180:181], v[178:179]
	v_fma_f64 v[182:183], -v[178:179], v[180:181], 1.0
	v_fma_f64 v[180:181], v[180:181], v[182:183], v[180:181]
	v_fma_f64 v[182:183], -v[178:179], v[180:181], 1.0
	v_fma_f64 v[180:181], v[180:181], v[182:183], v[180:181]
	v_div_scale_f64 v[182:183], vcc_lo, 1.0, v[176:177], 1.0
	v_mul_f64 v[254:255], v[182:183], v[180:181]
	v_fma_f64 v[178:179], -v[178:179], v[254:255], v[182:183]
	v_div_fmas_f64 v[178:179], v[178:179], v[180:181], v[254:255]
	v_div_fixup_f64 v[176:177], v[178:179], v[176:177], 1.0
	ds_write_b64 v1, v[176:177]
.LBB85_194:
	s_or_b32 exec_lo, exec_lo, s1
	s_waitcnt lgkmcnt(0)
	s_barrier
	buffer_gl0_inv
	ds_read_b64 v[254:255], v1
	s_mov_b32 s1, exec_lo
	v_cmpx_lt_u32_e32 38, v0
	s_cbranch_execz .LBB85_196
; %bb.195:
	s_waitcnt lgkmcnt(0)
	v_mul_f64 v[110:111], v[254:255], v[110:111]
	ds_read2_b64 v[176:179], v246 offset0:39 offset1:40
	s_waitcnt lgkmcnt(0)
	v_fma_f64 v[88:89], -v[110:111], v[176:177], v[88:89]
	v_fma_f64 v[164:165], -v[110:111], v[178:179], v[164:165]
	ds_read2_b64 v[176:179], v246 offset0:41 offset1:42
	s_waitcnt lgkmcnt(0)
	v_fma_f64 v[162:163], -v[110:111], v[176:177], v[162:163]
	v_fma_f64 v[166:167], -v[110:111], v[178:179], v[166:167]
.LBB85_196:
	s_or_b32 exec_lo, exec_lo, s1
	s_mov_b32 s1, exec_lo
	s_waitcnt lgkmcnt(0)
	s_barrier
	buffer_gl0_inv
	v_cmpx_eq_u32_e32 39, v0
	s_cbranch_execz .LBB85_199
; %bb.197:
	v_mov_b32_e32 v176, v164
	v_mov_b32_e32 v177, v165
	;; [unrolled: 1-line block ×4, first 2 shown]
	ds_write_b64 v1, v[88:89]
	ds_write2_b64 v246, v[176:177], v[178:179] offset0:40 offset1:41
	ds_write_b64 v246, v[166:167] offset:336
	ds_read_b64 v[176:177], v1
	s_waitcnt lgkmcnt(0)
	v_cmp_neq_f64_e32 vcc_lo, 0, v[176:177]
	s_and_b32 exec_lo, exec_lo, vcc_lo
	s_cbranch_execz .LBB85_199
; %bb.198:
	v_div_scale_f64 v[178:179], null, v[176:177], v[176:177], 1.0
	v_rcp_f64_e32 v[180:181], v[178:179]
	v_fma_f64 v[182:183], -v[178:179], v[180:181], 1.0
	v_fma_f64 v[180:181], v[180:181], v[182:183], v[180:181]
	v_fma_f64 v[182:183], -v[178:179], v[180:181], 1.0
	v_fma_f64 v[180:181], v[180:181], v[182:183], v[180:181]
	v_div_scale_f64 v[182:183], vcc_lo, 1.0, v[176:177], 1.0
	v_mul_f64 v[184:185], v[182:183], v[180:181]
	v_fma_f64 v[178:179], -v[178:179], v[184:185], v[182:183]
	v_div_fmas_f64 v[178:179], v[178:179], v[180:181], v[184:185]
	v_div_fixup_f64 v[176:177], v[178:179], v[176:177], 1.0
	ds_write_b64 v1, v[176:177]
.LBB85_199:
	s_or_b32 exec_lo, exec_lo, s1
	s_waitcnt lgkmcnt(0)
	s_barrier
	buffer_gl0_inv
	ds_read_b64 v[176:177], v1
	s_mov_b32 s1, exec_lo
	v_cmpx_lt_u32_e32 39, v0
	s_cbranch_execz .LBB85_201
; %bb.200:
	s_waitcnt lgkmcnt(0)
	v_mul_f64 v[88:89], v[176:177], v[88:89]
	ds_read2_b64 v[178:181], v246 offset0:40 offset1:41
	s_waitcnt lgkmcnt(0)
	v_fma_f64 v[164:165], -v[88:89], v[178:179], v[164:165]
	ds_read_b64 v[178:179], v246 offset:336
	v_fma_f64 v[162:163], -v[88:89], v[180:181], v[162:163]
	s_waitcnt lgkmcnt(0)
	v_fma_f64 v[166:167], -v[88:89], v[178:179], v[166:167]
.LBB85_201:
	s_or_b32 exec_lo, exec_lo, s1
	s_mov_b32 s1, exec_lo
	s_waitcnt lgkmcnt(0)
	s_barrier
	buffer_gl0_inv
	v_cmpx_eq_u32_e32 40, v0
	s_cbranch_execz .LBB85_204
; %bb.202:
	ds_write_b64 v1, v[164:165]
	ds_write2_b64 v246, v[162:163], v[166:167] offset0:41 offset1:42
	ds_read_b64 v[178:179], v1
	s_waitcnt lgkmcnt(0)
	v_cmp_neq_f64_e32 vcc_lo, 0, v[178:179]
	s_and_b32 exec_lo, exec_lo, vcc_lo
	s_cbranch_execz .LBB85_204
; %bb.203:
	v_div_scale_f64 v[180:181], null, v[178:179], v[178:179], 1.0
	v_mov_b32_e32 v213, v211
	v_mov_b32_e32 v212, v210
	;; [unrolled: 1-line block ×20, first 2 shown]
	v_rcp_f64_e32 v[182:183], v[180:181]
	v_mov_b32_e32 v193, v191
	v_mov_b32_e32 v192, v190
	;; [unrolled: 1-line block ×6, first 2 shown]
	v_fma_f64 v[184:185], -v[180:181], v[182:183], 1.0
	v_fma_f64 v[182:183], v[182:183], v[184:185], v[182:183]
	v_fma_f64 v[184:185], -v[180:181], v[182:183], 1.0
	v_fma_f64 v[182:183], v[182:183], v[184:185], v[182:183]
	v_div_scale_f64 v[184:185], vcc_lo, 1.0, v[178:179], 1.0
	v_mul_f64 v[186:187], v[184:185], v[182:183]
	v_fma_f64 v[180:181], -v[180:181], v[186:187], v[184:185]
	v_div_fmas_f64 v[180:181], v[180:181], v[182:183], v[186:187]
	v_mov_b32_e32 v186, v188
	v_mov_b32_e32 v187, v189
	;; [unrolled: 1-line block ×21, first 2 shown]
	v_div_fixup_f64 v[178:179], v[180:181], v[178:179], 1.0
	v_mov_b32_e32 v207, v209
	v_mov_b32_e32 v208, v210
	;; [unrolled: 1-line block ×5, first 2 shown]
	ds_write_b64 v1, v[178:179]
.LBB85_204:
	s_or_b32 exec_lo, exec_lo, s1
	s_waitcnt lgkmcnt(0)
	s_barrier
	buffer_gl0_inv
	ds_read_b64 v[178:179], v1
	s_mov_b32 s1, exec_lo
	v_cmpx_lt_u32_e32 40, v0
	s_cbranch_execz .LBB85_206
; %bb.205:
	s_waitcnt lgkmcnt(0)
	v_mul_f64 v[164:165], v[178:179], v[164:165]
	ds_read2_b64 v[180:183], v246 offset0:41 offset1:42
	s_waitcnt lgkmcnt(0)
	v_fma_f64 v[162:163], -v[164:165], v[180:181], v[162:163]
	v_fma_f64 v[166:167], -v[164:165], v[182:183], v[166:167]
.LBB85_206:
	s_or_b32 exec_lo, exec_lo, s1
	s_mov_b32 s1, exec_lo
	s_waitcnt lgkmcnt(0)
	s_barrier
	buffer_gl0_inv
	v_cmpx_eq_u32_e32 41, v0
	s_cbranch_execz .LBB85_209
; %bb.207:
	ds_write_b64 v1, v[162:163]
	ds_write_b64 v246, v[166:167] offset:336
	ds_read_b64 v[180:181], v1
	s_waitcnt lgkmcnt(0)
	v_cmp_neq_f64_e32 vcc_lo, 0, v[180:181]
	s_and_b32 exec_lo, exec_lo, vcc_lo
	s_cbranch_execz .LBB85_209
; %bb.208:
	buffer_store_dword v124, off, s[12:15], 0 offset:48 ; 4-byte Folded Spill
	buffer_store_dword v125, off, s[12:15], 0 offset:52 ; 4-byte Folded Spill
	v_mov_b32_e32 v124, v178
	v_mov_b32_e32 v125, v179
	;; [unrolled: 1-line block ×101, first 2 shown]
	v_div_scale_f64 v[182:183], null, v[180:181], v[180:181], 1.0
	v_mov_b32_e32 v84, v82
	v_mov_b32_e32 v83, v81
	;; [unrolled: 1-line block ×44, first 2 shown]
	v_rcp_f64_e32 v[184:185], v[182:183]
	v_mov_b32_e32 v40, v38
	v_mov_b32_e32 v39, v37
	;; [unrolled: 1-line block ×49, first 2 shown]
	v_fma_f64 v[186:187], -v[182:183], v[184:185], 1.0
	v_mov_b32_e32 v213, v209
	v_mov_b32_e32 v212, v208
	;; [unrolled: 1-line block ×12, first 2 shown]
	v_fma_f64 v[184:185], v[184:185], v[186:187], v[184:185]
	v_fma_f64 v[186:187], -v[182:183], v[184:185], 1.0
	v_fma_f64 v[184:185], v[184:185], v[186:187], v[184:185]
	v_div_scale_f64 v[186:187], vcc_lo, 1.0, v[180:181], 1.0
	v_mul_f64 v[188:189], v[186:187], v[184:185]
	v_fma_f64 v[182:183], -v[182:183], v[188:189], v[186:187]
	v_mov_b32_e32 v186, v190
	v_mov_b32_e32 v187, v191
	;; [unrolled: 1-line block ×194, first 2 shown]
	s_clause 0x1
	buffer_load_dword v124, off, s[12:15], 0 offset:48
	buffer_load_dword v125, off, s[12:15], 0 offset:52
	v_div_fmas_f64 v[182:183], v[182:183], v[184:185], v[188:189]
	v_mov_b32_e32 v188, v192
	v_mov_b32_e32 v189, v193
	;; [unrolled: 1-line block ×12, first 2 shown]
	v_div_fixup_f64 v[180:181], v[182:183], v[180:181], 1.0
	ds_write_b64 v1, v[180:181]
.LBB85_209:
	s_or_b32 exec_lo, exec_lo, s1
	s_waitcnt vmcnt(0) lgkmcnt(0)
	s_waitcnt_vscnt null, 0x0
	s_barrier
	buffer_gl0_inv
	ds_read_b64 v[180:181], v1
	s_mov_b32 s1, exec_lo
	v_cmpx_lt_u32_e32 41, v0
	s_cbranch_execz .LBB85_211
; %bb.210:
	s_waitcnt lgkmcnt(0)
	v_mul_f64 v[162:163], v[180:181], v[162:163]
	ds_read_b64 v[182:183], v246 offset:336
	s_waitcnt lgkmcnt(0)
	v_fma_f64 v[166:167], -v[162:163], v[182:183], v[166:167]
.LBB85_211:
	s_or_b32 exec_lo, exec_lo, s1
	s_mov_b32 s1, exec_lo
	s_waitcnt lgkmcnt(0)
	s_barrier
	buffer_gl0_inv
	v_cmpx_eq_u32_e32 42, v0
	s_cbranch_execz .LBB85_214
; %bb.212:
	v_cmp_neq_f64_e32 vcc_lo, 0, v[166:167]
	ds_write_b64 v1, v[166:167]
	s_and_b32 exec_lo, exec_lo, vcc_lo
	s_cbranch_execz .LBB85_214
; %bb.213:
	v_mov_b32_e32 v247, v173
	v_mov_b32_e32 v246, v172
	;; [unrolled: 1-line block ×45, first 2 shown]
	v_div_scale_f64 v[182:183], null, v[166:167], v[166:167], 1.0
	v_mov_b32_e32 v84, v82
	v_mov_b32_e32 v83, v81
	v_mov_b32_e32 v82, v80
	v_mov_b32_e32 v81, v79
	v_mov_b32_e32 v80, v78
	v_mov_b32_e32 v79, v77
	v_mov_b32_e32 v78, v76
	v_mov_b32_e32 v77, v75
	v_mov_b32_e32 v76, v74
	v_mov_b32_e32 v75, v73
	v_mov_b32_e32 v74, v72
	v_mov_b32_e32 v73, v71
	v_mov_b32_e32 v72, v70
	v_mov_b32_e32 v71, v69
	v_mov_b32_e32 v70, v68
	v_mov_b32_e32 v69, v67
	v_mov_b32_e32 v68, v66
	v_mov_b32_e32 v67, v65
	v_mov_b32_e32 v66, v64
	v_mov_b32_e32 v65, v63
	v_mov_b32_e32 v64, v62
	v_mov_b32_e32 v63, v61
	v_mov_b32_e32 v62, v60
	v_mov_b32_e32 v61, v59
	v_mov_b32_e32 v60, v58
	v_mov_b32_e32 v59, v57
	v_mov_b32_e32 v58, v56
	v_mov_b32_e32 v57, v55
	v_mov_b32_e32 v56, v54
	v_mov_b32_e32 v55, v53
	v_mov_b32_e32 v54, v52
	v_mov_b32_e32 v53, v51
	v_mov_b32_e32 v52, v50
	v_mov_b32_e32 v51, v49
	v_mov_b32_e32 v50, v48
	v_mov_b32_e32 v49, v47
	v_mov_b32_e32 v48, v46
	v_mov_b32_e32 v47, v45
	v_mov_b32_e32 v46, v44
	v_mov_b32_e32 v45, v43
	v_mov_b32_e32 v44, v42
	v_mov_b32_e32 v43, v41
	v_mov_b32_e32 v42, v40
	v_mov_b32_e32 v41, v39
	v_rcp_f64_e32 v[184:185], v[182:183]
	v_mov_b32_e32 v40, v38
	v_mov_b32_e32 v39, v37
	;; [unrolled: 1-line block ×49, first 2 shown]
	v_fma_f64 v[186:187], -v[182:183], v[184:185], 1.0
	v_mov_b32_e32 v213, v209
	v_mov_b32_e32 v212, v208
	;; [unrolled: 1-line block ×12, first 2 shown]
	v_fma_f64 v[184:185], v[184:185], v[186:187], v[184:185]
	v_fma_f64 v[186:187], -v[182:183], v[184:185], 1.0
	v_fma_f64 v[184:185], v[184:185], v[186:187], v[184:185]
	v_div_scale_f64 v[186:187], vcc_lo, 1.0, v[166:167], 1.0
	v_mul_f64 v[188:189], v[186:187], v[184:185]
	v_fma_f64 v[182:183], -v[182:183], v[188:189], v[186:187]
	v_mov_b32_e32 v186, v190
	v_mov_b32_e32 v187, v191
	;; [unrolled: 1-line block ×61, first 2 shown]
	v_div_fmas_f64 v[182:183], v[182:183], v[184:185], v[188:189]
	v_mov_b32_e32 v51, v53
	v_mov_b32_e32 v52, v54
	;; [unrolled: 1-line block ×44, first 2 shown]
	v_div_fixup_f64 v[182:183], v[182:183], v[166:167], 1.0
	v_mov_b32_e32 v220, v86
	v_mov_b32_e32 v86, v222
	;; [unrolled: 1-line block ×45, first 2 shown]
	ds_write_b64 v1, v[182:183]
.LBB85_214:
	s_or_b32 exec_lo, exec_lo, s1
	s_waitcnt lgkmcnt(0)
	s_barrier
	buffer_gl0_inv
	ds_read_b64 v[246:247], v1
	s_waitcnt lgkmcnt(0)
	s_barrier
	buffer_gl0_inv
	s_and_saveexec_b32 s1, s0
	s_cbranch_execz .LBB85_217
; %bb.215:
	s_clause 0x1
	buffer_load_dword v182, off, s[12:15], 0
	buffer_load_dword v183, off, s[12:15], 0 offset:4
	s_load_dwordx2 s[2:3], s[4:5], 0x28
	s_waitcnt vmcnt(0)
	v_cmp_eq_f64_e32 vcc_lo, 0, v[182:183]
	s_clause 0x1
	buffer_load_dword v182, off, s[12:15], 0 offset:8
	buffer_load_dword v183, off, s[12:15], 0 offset:12
	v_cndmask_b32_e64 v1, 0, 1, vcc_lo
	s_waitcnt vmcnt(0)
	v_cmp_neq_f64_e64 s0, 0, v[182:183]
	s_clause 0x1
	buffer_load_dword v182, off, s[12:15], 0 offset:16
	buffer_load_dword v183, off, s[12:15], 0 offset:20
	s_or_b32 vcc_lo, s0, vcc_lo
	v_cndmask_b32_e32 v1, 2, v1, vcc_lo
	v_cmp_eq_u32_e64 s0, 0, v1
	s_waitcnt vmcnt(0)
	v_cmp_eq_f64_e32 vcc_lo, 0, v[182:183]
	s_clause 0x1
	buffer_load_dword v182, off, s[12:15], 0 offset:24
	buffer_load_dword v183, off, s[12:15], 0 offset:28
	s_and_b32 s0, vcc_lo, s0
	v_cndmask_b32_e64 v1, v1, 3, s0
	v_cmp_eq_u32_e64 s0, 0, v1
	s_waitcnt vmcnt(0)
	v_cmp_eq_f64_e32 vcc_lo, 0, v[182:183]
	s_clause 0x1
	buffer_load_dword v182, off, s[12:15], 0 offset:32
	buffer_load_dword v183, off, s[12:15], 0 offset:36
	s_and_b32 s0, vcc_lo, s0
	v_cndmask_b32_e64 v1, v1, 4, s0
	v_cmp_eq_u32_e64 s0, 0, v1
	s_waitcnt vmcnt(0)
	v_cmp_eq_f64_e32 vcc_lo, 0, v[182:183]
	s_and_b32 s0, vcc_lo, s0
	v_cmp_eq_f64_e32 vcc_lo, 0, v[186:187]
	v_cndmask_b32_e64 v1, v1, 5, s0
	v_cmp_eq_u32_e64 s0, 0, v1
	s_and_b32 s0, vcc_lo, s0
	v_cmp_eq_f64_e32 vcc_lo, 0, v[188:189]
	v_cndmask_b32_e64 v1, v1, 6, s0
	v_cmp_eq_u32_e64 s0, 0, v1
	;; [unrolled: 4-line block ×38, first 2 shown]
	s_and_b32 s0, vcc_lo, s0
	v_cndmask_b32_e64 v176, v1, 43, s0
	v_lshlrev_b64 v[1:2], 2, v[2:3]
	v_cmp_ne_u32_e64 s0, 0, v176
	s_waitcnt lgkmcnt(0)
	v_add_co_u32 v1, vcc_lo, s2, v1
	v_add_co_ci_u32_e64 v2, null, s3, v2, vcc_lo
	global_load_dword v3, v[1:2], off
	s_waitcnt vmcnt(0)
	v_cmp_eq_u32_e32 vcc_lo, 0, v3
	s_and_b32 s0, vcc_lo, s0
	s_and_b32 exec_lo, exec_lo, s0
	s_cbranch_execz .LBB85_217
; %bb.216:
	v_add_nc_u32_e32 v3, s9, v176
	global_store_dword v[1:2], v3, off
.LBB85_217:
	s_or_b32 exec_lo, exec_lo, s1
	flat_store_dwordx2 v[86:87], v[168:169]
	flat_store_dwordx2 v[160:161], v[172:173]
	;; [unrolled: 1-line block ×18, first 2 shown]
	s_clause 0x1
	buffer_load_dword v3, off, s[12:15], 0 offset:40
	buffer_load_dword v4, off, s[12:15], 0 offset:44
	v_mul_f64 v[1:2], v[246:247], v[166:167]
	v_cmp_lt_u32_e32 vcc_lo, 42, v0
	v_cndmask_b32_e32 v2, v167, v2, vcc_lo
	v_cndmask_b32_e32 v1, v166, v1, vcc_lo
	s_waitcnt vmcnt(0)
	flat_store_dwordx2 v[3:4], v[144:145]
	flat_store_dwordx2 v[36:37], v[108:109]
	;; [unrolled: 1-line block ×25, first 2 shown]
.LBB85_218:
	s_endpgm
	.section	.rodata,"a",@progbits
	.p2align	6, 0x0
	.amdhsa_kernel _ZN9rocsolver6v33100L23getf2_npvt_small_kernelILi43EdiiPKPdEEvT1_T3_lS5_lPT2_S5_S5_
		.amdhsa_group_segment_fixed_size 0
		.amdhsa_private_segment_fixed_size 60
		.amdhsa_kernarg_size 312
		.amdhsa_user_sgpr_count 6
		.amdhsa_user_sgpr_private_segment_buffer 1
		.amdhsa_user_sgpr_dispatch_ptr 0
		.amdhsa_user_sgpr_queue_ptr 0
		.amdhsa_user_sgpr_kernarg_segment_ptr 1
		.amdhsa_user_sgpr_dispatch_id 0
		.amdhsa_user_sgpr_flat_scratch_init 0
		.amdhsa_user_sgpr_private_segment_size 0
		.amdhsa_wavefront_size32 1
		.amdhsa_uses_dynamic_stack 0
		.amdhsa_system_sgpr_private_segment_wavefront_offset 1
		.amdhsa_system_sgpr_workgroup_id_x 1
		.amdhsa_system_sgpr_workgroup_id_y 1
		.amdhsa_system_sgpr_workgroup_id_z 0
		.amdhsa_system_sgpr_workgroup_info 0
		.amdhsa_system_vgpr_workitem_id 1
		.amdhsa_next_free_vgpr 256
		.amdhsa_next_free_sgpr 16
		.amdhsa_reserve_vcc 1
		.amdhsa_reserve_flat_scratch 1
		.amdhsa_float_round_mode_32 0
		.amdhsa_float_round_mode_16_64 0
		.amdhsa_float_denorm_mode_32 3
		.amdhsa_float_denorm_mode_16_64 3
		.amdhsa_dx10_clamp 1
		.amdhsa_ieee_mode 1
		.amdhsa_fp16_overflow 0
		.amdhsa_workgroup_processor_mode 1
		.amdhsa_memory_ordered 1
		.amdhsa_forward_progress 1
		.amdhsa_shared_vgpr_count 0
		.amdhsa_exception_fp_ieee_invalid_op 0
		.amdhsa_exception_fp_denorm_src 0
		.amdhsa_exception_fp_ieee_div_zero 0
		.amdhsa_exception_fp_ieee_overflow 0
		.amdhsa_exception_fp_ieee_underflow 0
		.amdhsa_exception_fp_ieee_inexact 0
		.amdhsa_exception_int_div_zero 0
	.end_amdhsa_kernel
	.section	.text._ZN9rocsolver6v33100L23getf2_npvt_small_kernelILi43EdiiPKPdEEvT1_T3_lS5_lPT2_S5_S5_,"axG",@progbits,_ZN9rocsolver6v33100L23getf2_npvt_small_kernelILi43EdiiPKPdEEvT1_T3_lS5_lPT2_S5_S5_,comdat
.Lfunc_end85:
	.size	_ZN9rocsolver6v33100L23getf2_npvt_small_kernelILi43EdiiPKPdEEvT1_T3_lS5_lPT2_S5_S5_, .Lfunc_end85-_ZN9rocsolver6v33100L23getf2_npvt_small_kernelILi43EdiiPKPdEEvT1_T3_lS5_lPT2_S5_S5_
                                        ; -- End function
	.set _ZN9rocsolver6v33100L23getf2_npvt_small_kernelILi43EdiiPKPdEEvT1_T3_lS5_lPT2_S5_S5_.num_vgpr, 256
	.set _ZN9rocsolver6v33100L23getf2_npvt_small_kernelILi43EdiiPKPdEEvT1_T3_lS5_lPT2_S5_S5_.num_agpr, 0
	.set _ZN9rocsolver6v33100L23getf2_npvt_small_kernelILi43EdiiPKPdEEvT1_T3_lS5_lPT2_S5_S5_.numbered_sgpr, 16
	.set _ZN9rocsolver6v33100L23getf2_npvt_small_kernelILi43EdiiPKPdEEvT1_T3_lS5_lPT2_S5_S5_.num_named_barrier, 0
	.set _ZN9rocsolver6v33100L23getf2_npvt_small_kernelILi43EdiiPKPdEEvT1_T3_lS5_lPT2_S5_S5_.private_seg_size, 60
	.set _ZN9rocsolver6v33100L23getf2_npvt_small_kernelILi43EdiiPKPdEEvT1_T3_lS5_lPT2_S5_S5_.uses_vcc, 1
	.set _ZN9rocsolver6v33100L23getf2_npvt_small_kernelILi43EdiiPKPdEEvT1_T3_lS5_lPT2_S5_S5_.uses_flat_scratch, 1
	.set _ZN9rocsolver6v33100L23getf2_npvt_small_kernelILi43EdiiPKPdEEvT1_T3_lS5_lPT2_S5_S5_.has_dyn_sized_stack, 0
	.set _ZN9rocsolver6v33100L23getf2_npvt_small_kernelILi43EdiiPKPdEEvT1_T3_lS5_lPT2_S5_S5_.has_recursion, 0
	.set _ZN9rocsolver6v33100L23getf2_npvt_small_kernelILi43EdiiPKPdEEvT1_T3_lS5_lPT2_S5_S5_.has_indirect_call, 0
	.section	.AMDGPU.csdata,"",@progbits
; Kernel info:
; codeLenInByte = 35576
; TotalNumSgprs: 18
; NumVgprs: 256
; ScratchSize: 60
; MemoryBound: 0
; FloatMode: 240
; IeeeMode: 1
; LDSByteSize: 0 bytes/workgroup (compile time only)
; SGPRBlocks: 0
; VGPRBlocks: 31
; NumSGPRsForWavesPerEU: 18
; NumVGPRsForWavesPerEU: 256
; Occupancy: 4
; WaveLimiterHint : 1
; COMPUTE_PGM_RSRC2:SCRATCH_EN: 1
; COMPUTE_PGM_RSRC2:USER_SGPR: 6
; COMPUTE_PGM_RSRC2:TRAP_HANDLER: 0
; COMPUTE_PGM_RSRC2:TGID_X_EN: 1
; COMPUTE_PGM_RSRC2:TGID_Y_EN: 1
; COMPUTE_PGM_RSRC2:TGID_Z_EN: 0
; COMPUTE_PGM_RSRC2:TIDIG_COMP_CNT: 1
	.section	.text._ZN9rocsolver6v33100L18getf2_small_kernelILi44EdiiPKPdEEvT1_T3_lS5_lPS5_llPT2_S5_S5_S7_l,"axG",@progbits,_ZN9rocsolver6v33100L18getf2_small_kernelILi44EdiiPKPdEEvT1_T3_lS5_lPS5_llPT2_S5_S5_S7_l,comdat
	.globl	_ZN9rocsolver6v33100L18getf2_small_kernelILi44EdiiPKPdEEvT1_T3_lS5_lPS5_llPT2_S5_S5_S7_l ; -- Begin function _ZN9rocsolver6v33100L18getf2_small_kernelILi44EdiiPKPdEEvT1_T3_lS5_lPS5_llPT2_S5_S5_S7_l
	.p2align	8
	.type	_ZN9rocsolver6v33100L18getf2_small_kernelILi44EdiiPKPdEEvT1_T3_lS5_lPS5_llPT2_S5_S5_S7_l,@function
_ZN9rocsolver6v33100L18getf2_small_kernelILi44EdiiPKPdEEvT1_T3_lS5_lPS5_llPT2_S5_S5_S7_l: ; @_ZN9rocsolver6v33100L18getf2_small_kernelILi44EdiiPKPdEEvT1_T3_lS5_lPS5_llPT2_S5_S5_S7_l
; %bb.0:
	s_clause 0x1
	s_load_dword s0, s[4:5], 0x6c
	s_load_dwordx2 s[12:13], s[4:5], 0x48
	s_waitcnt lgkmcnt(0)
	s_lshr_b32 s0, s0, 16
	v_mad_u64_u32 v[2:3], null, s7, s0, v[1:2]
	s_mov_b32 s0, exec_lo
	v_cmpx_gt_i32_e64 s12, v2
	s_cbranch_execz .LBB86_745
; %bb.1:
	s_clause 0x1
	s_load_dwordx4 s[0:3], s[4:5], 0x8
	s_load_dwordx4 s[8:11], s[4:5], 0x50
	v_ashrrev_i32_e32 v3, 31, v2
	v_lshlrev_b64 v[4:5], 3, v[2:3]
	s_waitcnt lgkmcnt(0)
	v_add_co_u32 v4, vcc_lo, s0, v4
	v_add_co_ci_u32_e64 v5, null, s1, v5, vcc_lo
	s_cmp_eq_u64 s[8:9], 0
	s_cselect_b32 s6, -1, 0
	global_load_dwordx2 v[6:7], v[4:5], off
	v_mov_b32_e32 v4, 0
	v_mov_b32_e32 v5, 0
	s_and_b32 vcc_lo, exec_lo, s6
	s_cbranch_vccnz .LBB86_3
; %bb.2:
	v_mul_lo_u32 v8, s11, v2
	v_mul_lo_u32 v9, s10, v3
	v_mad_u64_u32 v[4:5], null, s10, v2, 0
	v_add3_u32 v5, v5, v9, v8
	v_lshlrev_b64 v[4:5], 2, v[4:5]
	v_add_co_u32 v4, vcc_lo, s8, v4
	v_add_co_ci_u32_e64 v5, null, s9, v5, vcc_lo
.LBB86_3:
	s_clause 0x1
	s_load_dword s8, s[4:5], 0x18
	s_load_dword s7, s[4:5], 0x0
	s_lshl_b64 s[0:1], s[2:3], 3
	v_lshlrev_b32_e32 v136, 3, v0
	s_waitcnt vmcnt(0)
	v_add_co_u32 v98, vcc_lo, v6, s0
	v_add_co_ci_u32_e64 v99, null, s1, v7, vcc_lo
	s_waitcnt lgkmcnt(0)
	v_add3_u32 v8, s8, s8, v0
	s_ashr_i32 s9, s8, 31
	s_max_i32 s0, s7, 44
	s_lshl_b64 s[10:11], s[8:9], 3
	v_mul_lo_u32 v1, s0, v1
	v_add_nc_u32_e32 v10, s8, v8
	v_ashrrev_i32_e32 v9, 31, v8
	s_cmp_lt_i32 s7, 2
	v_ashrrev_i32_e32 v11, 31, v10
	v_add_nc_u32_e32 v12, s8, v10
	v_lshlrev_b64 v[8:9], 3, v[8:9]
	v_lshlrev_b64 v[6:7], 3, v[10:11]
	v_add_nc_u32_e32 v10, s8, v12
	v_ashrrev_i32_e32 v13, 31, v12
	v_add_co_u32 v8, vcc_lo, v98, v8
	v_add_co_ci_u32_e64 v9, null, v99, v9, vcc_lo
	v_add_nc_u32_e32 v14, s8, v10
	v_ashrrev_i32_e32 v11, 31, v10
	v_lshlrev_b64 v[12:13], 3, v[12:13]
	v_add_co_u32 v6, vcc_lo, v98, v6
	v_add_nc_u32_e32 v16, s8, v14
	v_ashrrev_i32_e32 v15, 31, v14
	v_lshlrev_b64 v[10:11], 3, v[10:11]
	v_add_co_ci_u32_e64 v7, null, v99, v7, vcc_lo
	v_add_nc_u32_e32 v18, s8, v16
	v_ashrrev_i32_e32 v17, 31, v16
	v_lshlrev_b64 v[14:15], 3, v[14:15]
	v_add_co_u32 v12, vcc_lo, v98, v12
	v_add_nc_u32_e32 v20, s8, v18
	v_ashrrev_i32_e32 v19, 31, v18
	v_lshlrev_b64 v[16:17], 3, v[16:17]
	v_add_co_ci_u32_e64 v13, null, v99, v13, vcc_lo
	v_add_nc_u32_e32 v22, s8, v20
	v_ashrrev_i32_e32 v21, 31, v20
	v_add_co_u32 v10, vcc_lo, v98, v10
	v_lshlrev_b64 v[18:19], 3, v[18:19]
	v_add_nc_u32_e32 v24, s8, v22
	v_ashrrev_i32_e32 v23, 31, v22
	v_add_co_ci_u32_e64 v11, null, v99, v11, vcc_lo
	v_add_co_u32 v14, vcc_lo, v98, v14
	v_add_nc_u32_e32 v26, s8, v24
	v_ashrrev_i32_e32 v25, 31, v24
	v_lshlrev_b64 v[20:21], 3, v[20:21]
	v_add_co_ci_u32_e64 v15, null, v99, v15, vcc_lo
	v_add_nc_u32_e32 v28, s8, v26
	v_ashrrev_i32_e32 v27, 31, v26
	v_add_co_u32 v16, vcc_lo, v98, v16
	v_lshlrev_b64 v[22:23], 3, v[22:23]
	v_add_nc_u32_e32 v30, s8, v28
	v_ashrrev_i32_e32 v29, 31, v28
	v_add_co_ci_u32_e64 v17, null, v99, v17, vcc_lo
	v_add_co_u32 v18, vcc_lo, v98, v18
	v_add_nc_u32_e32 v32, s8, v30
	v_lshlrev_b64 v[24:25], 3, v[24:25]
	v_ashrrev_i32_e32 v31, 31, v30
	v_add_co_ci_u32_e64 v19, null, v99, v19, vcc_lo
	v_add_nc_u32_e32 v34, s8, v32
	v_add_co_u32 v20, vcc_lo, v98, v20
	v_lshlrev_b64 v[26:27], 3, v[26:27]
	v_ashrrev_i32_e32 v33, 31, v32
	v_add_nc_u32_e32 v36, s8, v34
	v_add_co_ci_u32_e64 v21, null, v99, v21, vcc_lo
	v_add_co_u32 v22, vcc_lo, v98, v22
	v_add_nc_u32_e32 v38, s8, v36
	v_lshlrev_b64 v[28:29], 3, v[28:29]
	v_ashrrev_i32_e32 v35, 31, v34
	v_add_co_ci_u32_e64 v23, null, v99, v23, vcc_lo
	v_add_nc_u32_e32 v40, s8, v38
	v_add_co_u32 v24, vcc_lo, v98, v24
	v_lshlrev_b64 v[30:31], 3, v[30:31]
	v_ashrrev_i32_e32 v37, 31, v36
	v_add_nc_u32_e32 v42, s8, v40
	v_add_co_ci_u32_e64 v25, null, v99, v25, vcc_lo
	v_add_co_u32 v26, vcc_lo, v98, v26
	v_add_nc_u32_e32 v44, s8, v42
	v_lshlrev_b64 v[32:33], 3, v[32:33]
	v_ashrrev_i32_e32 v39, 31, v38
	v_add_co_ci_u32_e64 v27, null, v99, v27, vcc_lo
	v_add_nc_u32_e32 v46, s8, v44
	v_add_co_u32 v28, vcc_lo, v98, v28
	v_lshlrev_b64 v[34:35], 3, v[34:35]
	v_ashrrev_i32_e32 v41, 31, v40
	v_add_co_ci_u32_e64 v29, null, v99, v29, vcc_lo
	v_add_co_u32 v30, vcc_lo, v98, v30
	v_lshlrev_b64 v[36:37], 3, v[36:37]
	v_add_nc_u32_e32 v48, s8, v46
	v_ashrrev_i32_e32 v43, 31, v42
	v_add_co_ci_u32_e64 v31, null, v99, v31, vcc_lo
	v_add_co_u32 v32, vcc_lo, v98, v32
	v_lshlrev_b64 v[38:39], 3, v[38:39]
	v_ashrrev_i32_e32 v45, 31, v44
	v_add_co_ci_u32_e64 v33, null, v99, v33, vcc_lo
	v_add_co_u32 v34, vcc_lo, v98, v34
	v_lshlrev_b64 v[40:41], 3, v[40:41]
	v_ashrrev_i32_e32 v47, 31, v46
	v_add_nc_u32_e32 v50, s8, v48
	v_add_co_ci_u32_e64 v35, null, v99, v35, vcc_lo
	v_add_co_u32 v36, vcc_lo, v98, v36
	v_lshlrev_b64 v[42:43], 3, v[42:43]
	v_ashrrev_i32_e32 v49, 31, v48
	v_add_co_ci_u32_e64 v37, null, v99, v37, vcc_lo
	v_add_co_u32 v38, vcc_lo, v98, v38
	v_lshlrev_b64 v[44:45], 3, v[44:45]
	v_add_co_ci_u32_e64 v39, null, v99, v39, vcc_lo
	v_add_co_u32 v40, vcc_lo, v98, v40
	v_lshlrev_b64 v[46:47], 3, v[46:47]
	v_add_nc_u32_e32 v52, s8, v50
	v_add_co_ci_u32_e64 v41, null, v99, v41, vcc_lo
	v_add_co_u32 v42, vcc_lo, v98, v42
	v_lshlrev_b64 v[48:49], 3, v[48:49]
	v_ashrrev_i32_e32 v51, 31, v50
	v_add_co_ci_u32_e64 v43, null, v99, v43, vcc_lo
	v_add_co_u32 v44, vcc_lo, v98, v44
	v_ashrrev_i32_e32 v53, 31, v52
	v_add_nc_u32_e32 v54, s8, v52
	v_add_co_ci_u32_e64 v45, null, v99, v45, vcc_lo
	v_add_co_u32 v46, vcc_lo, v98, v46
	v_lshlrev_b64 v[50:51], 3, v[50:51]
	v_add_co_ci_u32_e64 v47, null, v99, v47, vcc_lo
	v_add_co_u32 v92, vcc_lo, v98, v48
	v_add_co_ci_u32_e64 v93, null, v99, v49, vcc_lo
	v_lshlrev_b64 v[48:49], 3, v[52:53]
	v_ashrrev_i32_e32 v55, 31, v54
	v_add_nc_u32_e32 v52, s8, v54
	v_add_co_u32 v94, vcc_lo, v98, v50
	v_add_co_ci_u32_e64 v95, null, v99, v51, vcc_lo
	v_lshlrev_b64 v[50:51], 3, v[54:55]
	v_ashrrev_i32_e32 v53, 31, v52
	v_add_nc_u32_e32 v54, s8, v52
	;; [unrolled: 5-line block ×15, first 2 shown]
	v_add_co_u32 v124, vcc_lo, v98, v50
	v_add_co_ci_u32_e64 v125, null, v99, v51, vcc_lo
	v_lshlrev_b64 v[50:51], 3, v[54:55]
	v_add_nc_u32_e32 v54, s8, v52
	v_ashrrev_i32_e32 v53, 31, v52
	v_add_co_u32 v126, vcc_lo, v98, v48
	v_add_co_ci_u32_e64 v127, null, v99, v49, vcc_lo
	v_ashrrev_i32_e32 v55, 31, v54
	v_lshlrev_b64 v[48:49], 3, v[52:53]
	v_add_co_u32 v128, vcc_lo, v98, v50
	v_add_co_ci_u32_e64 v129, null, v99, v51, vcc_lo
	v_lshlrev_b64 v[50:51], 3, v[54:55]
	v_add_nc_u32_e32 v52, s8, v54
	v_add_co_u32 v130, vcc_lo, v98, v48
	v_add_co_ci_u32_e64 v131, null, v99, v49, vcc_lo
	v_ashrrev_i32_e32 v53, 31, v52
	v_add_co_u32 v132, vcc_lo, v98, v50
	v_add_co_ci_u32_e64 v133, null, v99, v51, vcc_lo
	v_add_co_u32 v50, vcc_lo, v98, v136
	v_add_co_ci_u32_e64 v51, null, 0, v99, vcc_lo
	v_lshlrev_b64 v[48:49], 3, v[52:53]
	v_add_co_u32 v52, vcc_lo, v50, s10
	v_add_co_ci_u32_e64 v53, null, s11, v51, vcc_lo
	v_add_co_u32 v134, vcc_lo, v98, v48
	v_add_co_ci_u32_e64 v135, null, v99, v49, vcc_lo
	s_clause 0x2b
	flat_load_dwordx2 v[90:91], v[50:51]
	flat_load_dwordx2 v[88:89], v[52:53]
	;; [unrolled: 1-line block ×44, first 2 shown]
	v_lshl_add_u32 v100, v1, 3, 0
	v_lshlrev_b32_e32 v101, 3, v1
	v_mov_b32_e32 v96, 0
	v_add_nc_u32_e32 v94, v100, v136
	s_waitcnt vmcnt(43) lgkmcnt(43)
	ds_write_b64 v94, v[90:91]
	s_waitcnt vmcnt(0) lgkmcnt(0)
	s_barrier
	buffer_gl0_inv
	ds_read_b64 v[94:95], v100
	s_cbranch_scc1 .LBB86_6
; %bb.4:
	v_add3_u32 v1, v101, 0, 8
	v_mov_b32_e32 v96, 0
	s_mov_b32 s0, 1
.LBB86_5:                               ; =>This Inner Loop Header: Depth=1
	ds_read_b64 v[102:103], v1
	v_add_nc_u32_e32 v1, 8, v1
	s_waitcnt lgkmcnt(0)
	v_cmp_lt_f64_e64 vcc_lo, |v[94:95]|, |v[102:103]|
	v_cndmask_b32_e32 v95, v95, v103, vcc_lo
	v_cndmask_b32_e32 v94, v94, v102, vcc_lo
	v_cndmask_b32_e64 v96, v96, s0, vcc_lo
	s_add_i32 s0, s0, 1
	s_cmp_eq_u32 s7, s0
	s_cbranch_scc0 .LBB86_5
.LBB86_6:
	s_mov_b32 s0, exec_lo
                                        ; implicit-def: $vgpr103
	v_cmpx_ne_u32_e64 v0, v96
	s_xor_b32 s0, exec_lo, s0
	s_cbranch_execz .LBB86_12
; %bb.7:
	s_mov_b32 s1, exec_lo
	v_cmpx_eq_u32_e32 0, v0
	s_cbranch_execz .LBB86_11
; %bb.8:
	v_cmp_ne_u32_e32 vcc_lo, 0, v96
	s_xor_b32 s2, s6, -1
	s_and_b32 s3, s2, vcc_lo
	s_and_saveexec_b32 s2, s3
	s_cbranch_execz .LBB86_10
; %bb.9:
	v_ashrrev_i32_e32 v97, 31, v96
	v_lshlrev_b64 v[0:1], 2, v[96:97]
	v_add_co_u32 v0, vcc_lo, v4, v0
	v_add_co_ci_u32_e64 v1, null, v5, v1, vcc_lo
	s_clause 0x1
	global_load_dword v97, v[0:1], off
	global_load_dword v102, v[4:5], off
	s_waitcnt vmcnt(1)
	global_store_dword v[4:5], v97, off
	s_waitcnt vmcnt(0)
	global_store_dword v[0:1], v102, off
.LBB86_10:
	s_or_b32 exec_lo, exec_lo, s2
	v_mov_b32_e32 v0, v96
.LBB86_11:
	s_or_b32 exec_lo, exec_lo, s1
	v_mov_b32_e32 v103, v0
                                        ; implicit-def: $vgpr0
.LBB86_12:
	s_or_saveexec_b32 s0, s0
	v_mov_b32_e32 v102, v103
	s_xor_b32 exec_lo, exec_lo, s0
	s_cbranch_execz .LBB86_14
; %bb.13:
	v_mov_b32_e32 v103, 0
	v_mov_b32_e32 v102, v0
	ds_write2_b64 v100, v[88:89], v[86:87] offset0:1 offset1:2
	ds_write2_b64 v100, v[84:85], v[82:83] offset0:3 offset1:4
	;; [unrolled: 1-line block ×21, first 2 shown]
	ds_write_b64 v100, v[92:93] offset:344
.LBB86_14:
	s_or_b32 exec_lo, exec_lo, s0
	s_waitcnt lgkmcnt(0)
	v_cmp_eq_f64_e64 s0, 0, v[94:95]
	s_mov_b32 s1, exec_lo
	s_waitcnt_vscnt null, 0x0
	s_barrier
	buffer_gl0_inv
	v_cmpx_lt_i32_e32 0, v103
	s_cbranch_execz .LBB86_16
; %bb.15:
	v_div_scale_f64 v[0:1], null, v[94:95], v[94:95], 1.0
	v_div_scale_f64 v[106:107], vcc_lo, 1.0, v[94:95], 1.0
	v_rcp_f64_e32 v[96:97], v[0:1]
	v_fma_f64 v[104:105], -v[0:1], v[96:97], 1.0
	v_fma_f64 v[96:97], v[96:97], v[104:105], v[96:97]
	v_fma_f64 v[104:105], -v[0:1], v[96:97], 1.0
	v_fma_f64 v[96:97], v[96:97], v[104:105], v[96:97]
	v_mul_f64 v[104:105], v[106:107], v[96:97]
	v_fma_f64 v[0:1], -v[0:1], v[104:105], v[106:107]
	v_div_fmas_f64 v[0:1], v[0:1], v[96:97], v[104:105]
	v_div_fixup_f64 v[0:1], v[0:1], v[94:95], 1.0
	v_cndmask_b32_e64 v1, v1, v95, s0
	v_cndmask_b32_e64 v0, v0, v94, s0
	ds_read2_b64 v[94:97], v100 offset0:1 offset1:2
	ds_read2_b64 v[104:107], v100 offset0:3 offset1:4
	;; [unrolled: 1-line block ×16, first 2 shown]
	v_mul_f64 v[90:91], v[0:1], v[90:91]
	s_waitcnt lgkmcnt(15)
	v_fma_f64 v[88:89], -v[90:91], v[94:95], v[88:89]
	v_fma_f64 v[86:87], -v[90:91], v[96:97], v[86:87]
	s_waitcnt lgkmcnt(14)
	v_fma_f64 v[84:85], -v[90:91], v[104:105], v[84:85]
	v_fma_f64 v[82:83], -v[90:91], v[106:107], v[82:83]
	ds_read2_b64 v[94:97], v100 offset0:33 offset1:34
	ds_read2_b64 v[104:107], v100 offset0:35 offset1:36
	s_waitcnt lgkmcnt(15)
	v_fma_f64 v[78:79], -v[90:91], v[108:109], v[78:79]
	v_fma_f64 v[80:81], -v[90:91], v[110:111], v[80:81]
	s_waitcnt lgkmcnt(14)
	v_fma_f64 v[74:75], -v[90:91], v[112:113], v[74:75]
	v_fma_f64 v[76:77], -v[90:91], v[114:115], v[76:77]
	ds_read2_b64 v[108:111], v100 offset0:37 offset1:38
	ds_read2_b64 v[112:115], v100 offset0:39 offset1:40
	s_waitcnt lgkmcnt(15)
	v_fma_f64 v[72:73], -v[90:91], v[116:117], v[72:73]
	v_fma_f64 v[70:71], -v[90:91], v[118:119], v[70:71]
	ds_read2_b64 v[116:119], v100 offset0:41 offset1:42
	ds_read_b64 v[0:1], v100 offset:344
	s_waitcnt lgkmcnt(16)
	v_fma_f64 v[68:69], -v[90:91], v[120:121], v[68:69]
	v_fma_f64 v[66:67], -v[90:91], v[122:123], v[66:67]
	s_waitcnt lgkmcnt(15)
	v_fma_f64 v[64:65], -v[90:91], v[124:125], v[64:65]
	v_fma_f64 v[62:63], -v[90:91], v[126:127], v[62:63]
	;; [unrolled: 3-line block ×16, first 2 shown]
	s_waitcnt lgkmcnt(0)
	v_fma_f64 v[92:93], -v[90:91], v[0:1], v[92:93]
.LBB86_16:
	s_or_b32 exec_lo, exec_lo, s1
	v_lshl_add_u32 v0, v103, 3, v100
	s_barrier
	buffer_gl0_inv
	v_mov_b32_e32 v94, 1
	ds_write_b64 v0, v[88:89]
	s_waitcnt lgkmcnt(0)
	s_barrier
	buffer_gl0_inv
	ds_read_b64 v[0:1], v100 offset:8
	s_cmp_lt_i32 s7, 3
	s_cbranch_scc1 .LBB86_19
; %bb.17:
	v_add3_u32 v95, v101, 0, 16
	v_mov_b32_e32 v94, 1
	s_mov_b32 s1, 2
.LBB86_18:                              ; =>This Inner Loop Header: Depth=1
	ds_read_b64 v[96:97], v95
	v_add_nc_u32_e32 v95, 8, v95
	s_waitcnt lgkmcnt(0)
	v_cmp_lt_f64_e64 vcc_lo, |v[0:1]|, |v[96:97]|
	v_cndmask_b32_e32 v1, v1, v97, vcc_lo
	v_cndmask_b32_e32 v0, v0, v96, vcc_lo
	v_cndmask_b32_e64 v94, v94, s1, vcc_lo
	s_add_i32 s1, s1, 1
	s_cmp_lg_u32 s7, s1
	s_cbranch_scc1 .LBB86_18
.LBB86_19:
	s_mov_b32 s1, exec_lo
	v_cmpx_ne_u32_e64 v103, v94
	s_xor_b32 s1, exec_lo, s1
	s_cbranch_execz .LBB86_25
; %bb.20:
	s_mov_b32 s2, exec_lo
	v_cmpx_eq_u32_e32 1, v103
	s_cbranch_execz .LBB86_24
; %bb.21:
	v_cmp_ne_u32_e32 vcc_lo, 1, v94
	s_xor_b32 s3, s6, -1
	s_and_b32 s9, s3, vcc_lo
	s_and_saveexec_b32 s3, s9
	s_cbranch_execz .LBB86_23
; %bb.22:
	v_ashrrev_i32_e32 v95, 31, v94
	v_lshlrev_b64 v[95:96], 2, v[94:95]
	v_add_co_u32 v95, vcc_lo, v4, v95
	v_add_co_ci_u32_e64 v96, null, v5, v96, vcc_lo
	s_clause 0x1
	global_load_dword v97, v[95:96], off
	global_load_dword v102, v[4:5], off offset:4
	s_waitcnt vmcnt(1)
	global_store_dword v[4:5], v97, off offset:4
	s_waitcnt vmcnt(0)
	global_store_dword v[95:96], v102, off
.LBB86_23:
	s_or_b32 exec_lo, exec_lo, s3
	v_mov_b32_e32 v102, v94
	v_mov_b32_e32 v103, v94
.LBB86_24:
	s_or_b32 exec_lo, exec_lo, s2
.LBB86_25:
	s_andn2_saveexec_b32 s1, s1
	s_cbranch_execz .LBB86_27
; %bb.26:
	v_mov_b32_e32 v94, v86
	v_mov_b32_e32 v95, v87
	;; [unrolled: 1-line block ×8, first 2 shown]
	ds_write2_b64 v100, v[94:95], v[96:97] offset0:2 offset1:3
	ds_write2_b64 v100, v[103:104], v[105:106] offset0:4 offset1:5
	v_mov_b32_e32 v94, v80
	v_mov_b32_e32 v95, v81
	v_mov_b32_e32 v96, v74
	v_mov_b32_e32 v97, v75
	v_mov_b32_e32 v103, v76
	v_mov_b32_e32 v104, v77
	v_mov_b32_e32 v105, v72
	v_mov_b32_e32 v106, v73
	v_mov_b32_e32 v107, v70
	v_mov_b32_e32 v108, v71
	v_mov_b32_e32 v109, v68
	v_mov_b32_e32 v110, v69
	v_mov_b32_e32 v111, v66
	v_mov_b32_e32 v112, v67
	v_mov_b32_e32 v113, v64
	v_mov_b32_e32 v114, v65
	v_mov_b32_e32 v115, v62
	v_mov_b32_e32 v116, v63
	v_mov_b32_e32 v117, v58
	v_mov_b32_e32 v118, v59
	ds_write2_b64 v100, v[94:95], v[96:97] offset0:6 offset1:7
	ds_write2_b64 v100, v[103:104], v[105:106] offset0:8 offset1:9
	ds_write2_b64 v100, v[107:108], v[109:110] offset0:10 offset1:11
	ds_write2_b64 v100, v[111:112], v[113:114] offset0:12 offset1:13
	ds_write2_b64 v100, v[115:116], v[117:118] offset0:14 offset1:15
	v_mov_b32_e32 v94, v60
	v_mov_b32_e32 v95, v61
	v_mov_b32_e32 v96, v54
	v_mov_b32_e32 v97, v55
	v_mov_b32_e32 v103, v56
	v_mov_b32_e32 v104, v57
	v_mov_b32_e32 v105, v52
	v_mov_b32_e32 v106, v53
	v_mov_b32_e32 v107, v50
	v_mov_b32_e32 v108, v51
	v_mov_b32_e32 v109, v48
	v_mov_b32_e32 v110, v49
	v_mov_b32_e32 v111, v46
	v_mov_b32_e32 v112, v47
	v_mov_b32_e32 v113, v44
	v_mov_b32_e32 v114, v45
	v_mov_b32_e32 v115, v42
	v_mov_b32_e32 v116, v43
	v_mov_b32_e32 v117, v38
	v_mov_b32_e32 v118, v39
	ds_write2_b64 v100, v[94:95], v[96:97] offset0:16 offset1:17
	ds_write2_b64 v100, v[103:104], v[105:106] offset0:18 offset1:19
	ds_write2_b64 v100, v[107:108], v[109:110] offset0:20 offset1:21
	;; [unrolled: 25-line block ×3, first 2 shown]
	ds_write2_b64 v100, v[111:112], v[113:114] offset0:32 offset1:33
	ds_write2_b64 v100, v[115:116], v[117:118] offset0:34 offset1:35
	v_mov_b32_e32 v94, v20
	v_mov_b32_e32 v95, v21
	v_mov_b32_e32 v96, v16
	v_mov_b32_e32 v97, v17
	v_mov_b32_e32 v103, 1
	v_mov_b32_e32 v104, v14
	v_mov_b32_e32 v105, v15
	v_mov_b32_e32 v106, v8
	v_mov_b32_e32 v107, v9
	v_mov_b32_e32 v108, v12
	v_mov_b32_e32 v109, v13
	v_mov_b32_e32 v110, v6
	v_mov_b32_e32 v111, v7
	v_mov_b32_e32 v112, v10
	v_mov_b32_e32 v113, v11
	ds_write2_b64 v100, v[94:95], v[96:97] offset0:36 offset1:37
	ds_write2_b64 v100, v[104:105], v[106:107] offset0:38 offset1:39
	;; [unrolled: 1-line block ×4, first 2 shown]
.LBB86_27:
	s_or_b32 exec_lo, exec_lo, s1
	s_waitcnt lgkmcnt(0)
	v_cmp_neq_f64_e64 s1, 0, v[0:1]
	s_mov_b32 s2, exec_lo
	s_waitcnt_vscnt null, 0x0
	s_barrier
	buffer_gl0_inv
	v_cmpx_lt_i32_e32 1, v103
	s_cbranch_execz .LBB86_29
; %bb.28:
	v_div_scale_f64 v[94:95], null, v[0:1], v[0:1], 1.0
	v_div_scale_f64 v[106:107], vcc_lo, 1.0, v[0:1], 1.0
	v_rcp_f64_e32 v[96:97], v[94:95]
	v_fma_f64 v[104:105], -v[94:95], v[96:97], 1.0
	v_fma_f64 v[96:97], v[96:97], v[104:105], v[96:97]
	v_fma_f64 v[104:105], -v[94:95], v[96:97], 1.0
	v_fma_f64 v[96:97], v[96:97], v[104:105], v[96:97]
	v_mul_f64 v[104:105], v[106:107], v[96:97]
	v_fma_f64 v[94:95], -v[94:95], v[104:105], v[106:107]
	v_div_fmas_f64 v[94:95], v[94:95], v[96:97], v[104:105]
	v_div_fixup_f64 v[94:95], v[94:95], v[0:1], 1.0
	v_cndmask_b32_e64 v1, v1, v95, s1
	v_cndmask_b32_e64 v0, v0, v94, s1
	ds_read2_b64 v[94:97], v100 offset0:2 offset1:3
	ds_read2_b64 v[104:107], v100 offset0:4 offset1:5
	;; [unrolled: 1-line block ×21, first 2 shown]
	v_mul_f64 v[88:89], v[0:1], v[88:89]
	s_waitcnt lgkmcnt(20)
	v_fma_f64 v[86:87], -v[88:89], v[94:95], v[86:87]
	v_fma_f64 v[84:85], -v[88:89], v[96:97], v[84:85]
	s_waitcnt lgkmcnt(19)
	v_fma_f64 v[82:83], -v[88:89], v[104:105], v[82:83]
	v_fma_f64 v[78:79], -v[88:89], v[106:107], v[78:79]
	;; [unrolled: 3-line block ×21, first 2 shown]
.LBB86_29:
	s_or_b32 exec_lo, exec_lo, s2
	v_lshl_add_u32 v0, v103, 3, v100
	s_barrier
	buffer_gl0_inv
	v_mov_b32_e32 v94, 2
	ds_write_b64 v0, v[86:87]
	s_waitcnt lgkmcnt(0)
	s_barrier
	buffer_gl0_inv
	ds_read_b64 v[0:1], v100 offset:16
	s_cmp_lt_i32 s7, 4
	s_mov_b32 s2, 3
	s_cbranch_scc1 .LBB86_32
; %bb.30:
	v_add3_u32 v95, v101, 0, 24
	v_mov_b32_e32 v94, 2
.LBB86_31:                              ; =>This Inner Loop Header: Depth=1
	ds_read_b64 v[96:97], v95
	v_add_nc_u32_e32 v95, 8, v95
	s_waitcnt lgkmcnt(0)
	v_cmp_lt_f64_e64 vcc_lo, |v[0:1]|, |v[96:97]|
	v_cndmask_b32_e32 v1, v1, v97, vcc_lo
	v_cndmask_b32_e32 v0, v0, v96, vcc_lo
	v_cndmask_b32_e64 v94, v94, s2, vcc_lo
	s_add_i32 s2, s2, 1
	s_cmp_lg_u32 s7, s2
	s_cbranch_scc1 .LBB86_31
.LBB86_32:
	v_cndmask_b32_e64 v95, 2, 1, s0
	v_cndmask_b32_e64 v96, 0, 1, s0
	s_mov_b32 s0, exec_lo
	v_cndmask_b32_e64 v97, v95, v96, s1
	s_waitcnt lgkmcnt(0)
	v_cmpx_eq_f64_e32 0, v[0:1]
	s_xor_b32 s0, exec_lo, s0
; %bb.33:
	v_cmp_ne_u32_e32 vcc_lo, 0, v97
	v_cndmask_b32_e32 v97, 3, v97, vcc_lo
; %bb.34:
	s_andn2_saveexec_b32 s0, s0
	s_cbranch_execz .LBB86_36
; %bb.35:
	v_div_scale_f64 v[95:96], null, v[0:1], v[0:1], 1.0
	v_rcp_f64_e32 v[104:105], v[95:96]
	v_fma_f64 v[106:107], -v[95:96], v[104:105], 1.0
	v_fma_f64 v[104:105], v[104:105], v[106:107], v[104:105]
	v_fma_f64 v[106:107], -v[95:96], v[104:105], 1.0
	v_fma_f64 v[104:105], v[104:105], v[106:107], v[104:105]
	v_div_scale_f64 v[106:107], vcc_lo, 1.0, v[0:1], 1.0
	v_mul_f64 v[108:109], v[106:107], v[104:105]
	v_fma_f64 v[95:96], -v[95:96], v[108:109], v[106:107]
	v_div_fmas_f64 v[95:96], v[95:96], v[104:105], v[108:109]
	v_div_fixup_f64 v[0:1], v[95:96], v[0:1], 1.0
.LBB86_36:
	s_or_b32 exec_lo, exec_lo, s0
	s_mov_b32 s0, exec_lo
	v_cmpx_ne_u32_e64 v103, v94
	s_xor_b32 s0, exec_lo, s0
	s_cbranch_execz .LBB86_42
; %bb.37:
	s_mov_b32 s1, exec_lo
	v_cmpx_eq_u32_e32 2, v103
	s_cbranch_execz .LBB86_41
; %bb.38:
	v_cmp_ne_u32_e32 vcc_lo, 2, v94
	s_xor_b32 s2, s6, -1
	s_and_b32 s3, s2, vcc_lo
	s_and_saveexec_b32 s2, s3
	s_cbranch_execz .LBB86_40
; %bb.39:
	v_ashrrev_i32_e32 v95, 31, v94
	v_lshlrev_b64 v[95:96], 2, v[94:95]
	v_add_co_u32 v95, vcc_lo, v4, v95
	v_add_co_ci_u32_e64 v96, null, v5, v96, vcc_lo
	s_clause 0x1
	global_load_dword v102, v[95:96], off
	global_load_dword v103, v[4:5], off offset:8
	s_waitcnt vmcnt(1)
	global_store_dword v[4:5], v102, off offset:8
	s_waitcnt vmcnt(0)
	global_store_dword v[95:96], v103, off
.LBB86_40:
	s_or_b32 exec_lo, exec_lo, s2
	v_mov_b32_e32 v102, v94
	v_mov_b32_e32 v103, v94
.LBB86_41:
	s_or_b32 exec_lo, exec_lo, s1
.LBB86_42:
	s_andn2_saveexec_b32 s0, s0
	s_cbranch_execz .LBB86_44
; %bb.43:
	v_mov_b32_e32 v103, 2
	ds_write2_b64 v100, v[84:85], v[82:83] offset0:3 offset1:4
	ds_write2_b64 v100, v[78:79], v[80:81] offset0:5 offset1:6
	ds_write2_b64 v100, v[74:75], v[76:77] offset0:7 offset1:8
	ds_write2_b64 v100, v[72:73], v[70:71] offset0:9 offset1:10
	ds_write2_b64 v100, v[68:69], v[66:67] offset0:11 offset1:12
	ds_write2_b64 v100, v[64:65], v[62:63] offset0:13 offset1:14
	ds_write2_b64 v100, v[58:59], v[60:61] offset0:15 offset1:16
	ds_write2_b64 v100, v[54:55], v[56:57] offset0:17 offset1:18
	ds_write2_b64 v100, v[52:53], v[50:51] offset0:19 offset1:20
	ds_write2_b64 v100, v[48:49], v[46:47] offset0:21 offset1:22
	ds_write2_b64 v100, v[44:45], v[42:43] offset0:23 offset1:24
	ds_write2_b64 v100, v[38:39], v[40:41] offset0:25 offset1:26
	ds_write2_b64 v100, v[34:35], v[36:37] offset0:27 offset1:28
	ds_write2_b64 v100, v[32:33], v[30:31] offset0:29 offset1:30
	ds_write2_b64 v100, v[28:29], v[26:27] offset0:31 offset1:32
	ds_write2_b64 v100, v[24:25], v[22:23] offset0:33 offset1:34
	ds_write2_b64 v100, v[18:19], v[20:21] offset0:35 offset1:36
	ds_write2_b64 v100, v[16:17], v[14:15] offset0:37 offset1:38
	ds_write2_b64 v100, v[8:9], v[12:13] offset0:39 offset1:40
	ds_write2_b64 v100, v[6:7], v[10:11] offset0:41 offset1:42
	ds_write_b64 v100, v[92:93] offset:344
.LBB86_44:
	s_or_b32 exec_lo, exec_lo, s0
	s_mov_b32 s0, exec_lo
	s_waitcnt lgkmcnt(0)
	s_waitcnt_vscnt null, 0x0
	s_barrier
	buffer_gl0_inv
	v_cmpx_lt_i32_e32 2, v103
	s_cbranch_execz .LBB86_46
; %bb.45:
	v_mul_f64 v[86:87], v[0:1], v[86:87]
	ds_read2_b64 v[104:107], v100 offset0:3 offset1:4
	ds_read2_b64 v[108:111], v100 offset0:5 offset1:6
	;; [unrolled: 1-line block ×11, first 2 shown]
	ds_read_b64 v[0:1], v100 offset:344
	s_waitcnt lgkmcnt(11)
	v_fma_f64 v[84:85], -v[86:87], v[104:105], v[84:85]
	v_fma_f64 v[82:83], -v[86:87], v[106:107], v[82:83]
	s_waitcnt lgkmcnt(10)
	v_fma_f64 v[78:79], -v[86:87], v[108:109], v[78:79]
	v_fma_f64 v[80:81], -v[86:87], v[110:111], v[80:81]
	;; [unrolled: 3-line block ×6, first 2 shown]
	ds_read2_b64 v[104:107], v100 offset0:25 offset1:26
	ds_read2_b64 v[108:111], v100 offset0:27 offset1:28
	s_waitcnt lgkmcnt(7)
	v_fma_f64 v[58:59], -v[86:87], v[128:129], v[58:59]
	v_fma_f64 v[60:61], -v[86:87], v[130:131], v[60:61]
	ds_read2_b64 v[112:115], v100 offset0:29 offset1:30
	ds_read2_b64 v[116:119], v100 offset0:31 offset1:32
	s_waitcnt lgkmcnt(8)
	v_fma_f64 v[54:55], -v[86:87], v[132:133], v[54:55]
	v_fma_f64 v[56:57], -v[86:87], v[134:135], v[56:57]
	;; [unrolled: 5-line block ×3, first 2 shown]
	ds_read2_b64 v[128:131], v100 offset0:37 offset1:38
	ds_read2_b64 v[132:135], v100 offset0:39 offset1:40
	;; [unrolled: 1-line block ×3, first 2 shown]
	s_waitcnt lgkmcnt(11)
	v_fma_f64 v[48:49], -v[86:87], v[140:141], v[48:49]
	v_fma_f64 v[46:47], -v[86:87], v[142:143], v[46:47]
	s_waitcnt lgkmcnt(10)
	v_fma_f64 v[44:45], -v[86:87], v[144:145], v[44:45]
	v_fma_f64 v[42:43], -v[86:87], v[146:147], v[42:43]
	s_waitcnt lgkmcnt(9)
	v_fma_f64 v[92:93], -v[86:87], v[0:1], v[92:93]
	s_waitcnt lgkmcnt(8)
	v_fma_f64 v[38:39], -v[86:87], v[104:105], v[38:39]
	v_fma_f64 v[40:41], -v[86:87], v[106:107], v[40:41]
	s_waitcnt lgkmcnt(7)
	v_fma_f64 v[34:35], -v[86:87], v[108:109], v[34:35]
	;; [unrolled: 3-line block ×9, first 2 shown]
	v_fma_f64 v[10:11], -v[86:87], v[138:139], v[10:11]
.LBB86_46:
	s_or_b32 exec_lo, exec_lo, s0
	v_lshl_add_u32 v0, v103, 3, v100
	s_barrier
	buffer_gl0_inv
	v_mov_b32_e32 v94, 3
	ds_write_b64 v0, v[84:85]
	s_waitcnt lgkmcnt(0)
	s_barrier
	buffer_gl0_inv
	ds_read_b64 v[0:1], v100 offset:24
	s_cmp_lt_i32 s7, 5
	s_cbranch_scc1 .LBB86_49
; %bb.47:
	v_mov_b32_e32 v94, 3
	v_add3_u32 v95, v101, 0, 32
	s_mov_b32 s0, 4
.LBB86_48:                              ; =>This Inner Loop Header: Depth=1
	ds_read_b64 v[104:105], v95
	v_add_nc_u32_e32 v95, 8, v95
	s_waitcnt lgkmcnt(0)
	v_cmp_lt_f64_e64 vcc_lo, |v[0:1]|, |v[104:105]|
	v_cndmask_b32_e32 v1, v1, v105, vcc_lo
	v_cndmask_b32_e32 v0, v0, v104, vcc_lo
	v_cndmask_b32_e64 v94, v94, s0, vcc_lo
	s_add_i32 s0, s0, 1
	s_cmp_lg_u32 s7, s0
	s_cbranch_scc1 .LBB86_48
.LBB86_49:
	s_mov_b32 s0, exec_lo
	s_waitcnt lgkmcnt(0)
	v_cmpx_eq_f64_e32 0, v[0:1]
	s_xor_b32 s0, exec_lo, s0
; %bb.50:
	v_cmp_ne_u32_e32 vcc_lo, 0, v97
	v_cndmask_b32_e32 v97, 4, v97, vcc_lo
; %bb.51:
	s_andn2_saveexec_b32 s0, s0
	s_cbranch_execz .LBB86_53
; %bb.52:
	v_div_scale_f64 v[95:96], null, v[0:1], v[0:1], 1.0
	v_rcp_f64_e32 v[104:105], v[95:96]
	v_fma_f64 v[106:107], -v[95:96], v[104:105], 1.0
	v_fma_f64 v[104:105], v[104:105], v[106:107], v[104:105]
	v_fma_f64 v[106:107], -v[95:96], v[104:105], 1.0
	v_fma_f64 v[104:105], v[104:105], v[106:107], v[104:105]
	v_div_scale_f64 v[106:107], vcc_lo, 1.0, v[0:1], 1.0
	v_mul_f64 v[108:109], v[106:107], v[104:105]
	v_fma_f64 v[95:96], -v[95:96], v[108:109], v[106:107]
	v_div_fmas_f64 v[95:96], v[95:96], v[104:105], v[108:109]
	v_div_fixup_f64 v[0:1], v[95:96], v[0:1], 1.0
.LBB86_53:
	s_or_b32 exec_lo, exec_lo, s0
	s_mov_b32 s0, exec_lo
	v_cmpx_ne_u32_e64 v103, v94
	s_xor_b32 s0, exec_lo, s0
	s_cbranch_execz .LBB86_59
; %bb.54:
	s_mov_b32 s1, exec_lo
	v_cmpx_eq_u32_e32 3, v103
	s_cbranch_execz .LBB86_58
; %bb.55:
	v_cmp_ne_u32_e32 vcc_lo, 3, v94
	s_xor_b32 s2, s6, -1
	s_and_b32 s3, s2, vcc_lo
	s_and_saveexec_b32 s2, s3
	s_cbranch_execz .LBB86_57
; %bb.56:
	v_ashrrev_i32_e32 v95, 31, v94
	v_lshlrev_b64 v[95:96], 2, v[94:95]
	v_add_co_u32 v95, vcc_lo, v4, v95
	v_add_co_ci_u32_e64 v96, null, v5, v96, vcc_lo
	s_clause 0x1
	global_load_dword v102, v[95:96], off
	global_load_dword v103, v[4:5], off offset:12
	s_waitcnt vmcnt(1)
	global_store_dword v[4:5], v102, off offset:12
	s_waitcnt vmcnt(0)
	global_store_dword v[95:96], v103, off
.LBB86_57:
	s_or_b32 exec_lo, exec_lo, s2
	v_mov_b32_e32 v102, v94
	v_mov_b32_e32 v103, v94
.LBB86_58:
	s_or_b32 exec_lo, exec_lo, s1
.LBB86_59:
	s_andn2_saveexec_b32 s0, s0
	s_cbranch_execz .LBB86_61
; %bb.60:
	v_mov_b32_e32 v94, v82
	v_mov_b32_e32 v95, v83
	;; [unrolled: 1-line block ×8, first 2 shown]
	ds_write2_b64 v100, v[94:95], v[103:104] offset0:4 offset1:5
	v_mov_b32_e32 v94, v74
	v_mov_b32_e32 v95, v75
	v_mov_b32_e32 v103, v76
	v_mov_b32_e32 v104, v77
	v_mov_b32_e32 v109, v70
	v_mov_b32_e32 v110, v71
	v_mov_b32_e32 v111, v68
	v_mov_b32_e32 v112, v69
	v_mov_b32_e32 v113, v66
	v_mov_b32_e32 v114, v67
	v_mov_b32_e32 v115, v64
	v_mov_b32_e32 v116, v65
	v_mov_b32_e32 v117, v62
	v_mov_b32_e32 v118, v63
	v_mov_b32_e32 v119, v58
	v_mov_b32_e32 v120, v59
	ds_write2_b64 v100, v[105:106], v[94:95] offset0:6 offset1:7
	ds_write2_b64 v100, v[103:104], v[107:108] offset0:8 offset1:9
	ds_write2_b64 v100, v[109:110], v[111:112] offset0:10 offset1:11
	ds_write2_b64 v100, v[113:114], v[115:116] offset0:12 offset1:13
	ds_write2_b64 v100, v[117:118], v[119:120] offset0:14 offset1:15
	v_mov_b32_e32 v94, v60
	v_mov_b32_e32 v95, v61
	v_mov_b32_e32 v103, v54
	v_mov_b32_e32 v104, v55
	v_mov_b32_e32 v105, v56
	v_mov_b32_e32 v106, v57
	v_mov_b32_e32 v107, v52
	v_mov_b32_e32 v108, v53
	v_mov_b32_e32 v109, v50
	v_mov_b32_e32 v110, v51
	v_mov_b32_e32 v111, v48
	v_mov_b32_e32 v112, v49
	v_mov_b32_e32 v113, v46
	v_mov_b32_e32 v114, v47
	v_mov_b32_e32 v115, v44
	v_mov_b32_e32 v116, v45
	v_mov_b32_e32 v117, v42
	v_mov_b32_e32 v118, v43
	v_mov_b32_e32 v119, v38
	v_mov_b32_e32 v120, v39
	ds_write2_b64 v100, v[94:95], v[103:104] offset0:16 offset1:17
	ds_write2_b64 v100, v[105:106], v[107:108] offset0:18 offset1:19
	ds_write2_b64 v100, v[109:110], v[111:112] offset0:20 offset1:21
	ds_write2_b64 v100, v[113:114], v[115:116] offset0:22 offset1:23
	ds_write2_b64 v100, v[117:118], v[119:120] offset0:24 offset1:25
	v_mov_b32_e32 v94, v40
	v_mov_b32_e32 v95, v41
	v_mov_b32_e32 v103, v34
	v_mov_b32_e32 v104, v35
	;; [unrolled: 25-line block ×3, first 2 shown]
	v_mov_b32_e32 v103, 3
	v_mov_b32_e32 v106, v14
	;; [unrolled: 1-line block ×11, first 2 shown]
	ds_write2_b64 v100, v[94:95], v[104:105] offset0:36 offset1:37
	ds_write2_b64 v100, v[106:107], v[108:109] offset0:38 offset1:39
	;; [unrolled: 1-line block ×4, first 2 shown]
.LBB86_61:
	s_or_b32 exec_lo, exec_lo, s0
	s_mov_b32 s0, exec_lo
	s_waitcnt lgkmcnt(0)
	s_waitcnt_vscnt null, 0x0
	s_barrier
	buffer_gl0_inv
	v_cmpx_lt_i32_e32 3, v103
	s_cbranch_execz .LBB86_63
; %bb.62:
	v_mul_f64 v[84:85], v[0:1], v[84:85]
	ds_read2_b64 v[104:107], v100 offset0:4 offset1:5
	ds_read2_b64 v[108:111], v100 offset0:6 offset1:7
	;; [unrolled: 1-line block ×11, first 2 shown]
	s_waitcnt lgkmcnt(10)
	v_fma_f64 v[82:83], -v[84:85], v[104:105], v[82:83]
	v_fma_f64 v[78:79], -v[84:85], v[106:107], v[78:79]
	s_waitcnt lgkmcnt(9)
	v_fma_f64 v[80:81], -v[84:85], v[108:109], v[80:81]
	v_fma_f64 v[74:75], -v[84:85], v[110:111], v[74:75]
	;; [unrolled: 3-line block ×5, first 2 shown]
	s_waitcnt lgkmcnt(5)
	v_fma_f64 v[62:63], -v[84:85], v[124:125], v[62:63]
	ds_read2_b64 v[104:107], v100 offset0:26 offset1:27
	ds_read2_b64 v[108:111], v100 offset0:28 offset1:29
	v_fma_f64 v[58:59], -v[84:85], v[126:127], v[58:59]
	s_waitcnt lgkmcnt(6)
	v_fma_f64 v[60:61], -v[84:85], v[128:129], v[60:61]
	ds_read2_b64 v[112:115], v100 offset0:30 offset1:31
	ds_read2_b64 v[116:119], v100 offset0:32 offset1:33
	v_fma_f64 v[54:55], -v[84:85], v[130:131], v[54:55]
	;; [unrolled: 5-line block ×4, first 2 shown]
	ds_read2_b64 v[136:139], v100 offset0:42 offset1:43
	s_waitcnt lgkmcnt(10)
	v_fma_f64 v[46:47], -v[84:85], v[140:141], v[46:47]
	v_fma_f64 v[44:45], -v[84:85], v[142:143], v[44:45]
	s_waitcnt lgkmcnt(9)
	v_fma_f64 v[42:43], -v[84:85], v[144:145], v[42:43]
	v_fma_f64 v[38:39], -v[84:85], v[146:147], v[38:39]
	;; [unrolled: 3-line block ×11, first 2 shown]
.LBB86_63:
	s_or_b32 exec_lo, exec_lo, s0
	v_lshl_add_u32 v0, v103, 3, v100
	s_barrier
	buffer_gl0_inv
	v_mov_b32_e32 v94, 4
	ds_write_b64 v0, v[82:83]
	s_waitcnt lgkmcnt(0)
	s_barrier
	buffer_gl0_inv
	ds_read_b64 v[0:1], v100 offset:32
	s_cmp_lt_i32 s7, 6
	s_cbranch_scc1 .LBB86_66
; %bb.64:
	v_add3_u32 v95, v101, 0, 40
	v_mov_b32_e32 v94, 4
	s_mov_b32 s0, 5
.LBB86_65:                              ; =>This Inner Loop Header: Depth=1
	ds_read_b64 v[104:105], v95
	v_add_nc_u32_e32 v95, 8, v95
	s_waitcnt lgkmcnt(0)
	v_cmp_lt_f64_e64 vcc_lo, |v[0:1]|, |v[104:105]|
	v_cndmask_b32_e32 v1, v1, v105, vcc_lo
	v_cndmask_b32_e32 v0, v0, v104, vcc_lo
	v_cndmask_b32_e64 v94, v94, s0, vcc_lo
	s_add_i32 s0, s0, 1
	s_cmp_lg_u32 s7, s0
	s_cbranch_scc1 .LBB86_65
.LBB86_66:
	s_mov_b32 s0, exec_lo
	s_waitcnt lgkmcnt(0)
	v_cmpx_eq_f64_e32 0, v[0:1]
	s_xor_b32 s0, exec_lo, s0
; %bb.67:
	v_cmp_ne_u32_e32 vcc_lo, 0, v97
	v_cndmask_b32_e32 v97, 5, v97, vcc_lo
; %bb.68:
	s_andn2_saveexec_b32 s0, s0
	s_cbranch_execz .LBB86_70
; %bb.69:
	v_div_scale_f64 v[95:96], null, v[0:1], v[0:1], 1.0
	v_rcp_f64_e32 v[104:105], v[95:96]
	v_fma_f64 v[106:107], -v[95:96], v[104:105], 1.0
	v_fma_f64 v[104:105], v[104:105], v[106:107], v[104:105]
	v_fma_f64 v[106:107], -v[95:96], v[104:105], 1.0
	v_fma_f64 v[104:105], v[104:105], v[106:107], v[104:105]
	v_div_scale_f64 v[106:107], vcc_lo, 1.0, v[0:1], 1.0
	v_mul_f64 v[108:109], v[106:107], v[104:105]
	v_fma_f64 v[95:96], -v[95:96], v[108:109], v[106:107]
	v_div_fmas_f64 v[95:96], v[95:96], v[104:105], v[108:109]
	v_div_fixup_f64 v[0:1], v[95:96], v[0:1], 1.0
.LBB86_70:
	s_or_b32 exec_lo, exec_lo, s0
	s_mov_b32 s0, exec_lo
	v_cmpx_ne_u32_e64 v103, v94
	s_xor_b32 s0, exec_lo, s0
	s_cbranch_execz .LBB86_76
; %bb.71:
	s_mov_b32 s1, exec_lo
	v_cmpx_eq_u32_e32 4, v103
	s_cbranch_execz .LBB86_75
; %bb.72:
	v_cmp_ne_u32_e32 vcc_lo, 4, v94
	s_xor_b32 s2, s6, -1
	s_and_b32 s3, s2, vcc_lo
	s_and_saveexec_b32 s2, s3
	s_cbranch_execz .LBB86_74
; %bb.73:
	v_ashrrev_i32_e32 v95, 31, v94
	v_lshlrev_b64 v[95:96], 2, v[94:95]
	v_add_co_u32 v95, vcc_lo, v4, v95
	v_add_co_ci_u32_e64 v96, null, v5, v96, vcc_lo
	s_clause 0x1
	global_load_dword v102, v[95:96], off
	global_load_dword v103, v[4:5], off offset:16
	s_waitcnt vmcnt(1)
	global_store_dword v[4:5], v102, off offset:16
	s_waitcnt vmcnt(0)
	global_store_dword v[95:96], v103, off
.LBB86_74:
	s_or_b32 exec_lo, exec_lo, s2
	v_mov_b32_e32 v102, v94
	v_mov_b32_e32 v103, v94
.LBB86_75:
	s_or_b32 exec_lo, exec_lo, s1
.LBB86_76:
	s_andn2_saveexec_b32 s0, s0
	s_cbranch_execz .LBB86_78
; %bb.77:
	v_mov_b32_e32 v103, 4
	ds_write2_b64 v100, v[78:79], v[80:81] offset0:5 offset1:6
	ds_write2_b64 v100, v[74:75], v[76:77] offset0:7 offset1:8
	;; [unrolled: 1-line block ×19, first 2 shown]
	ds_write_b64 v100, v[92:93] offset:344
.LBB86_78:
	s_or_b32 exec_lo, exec_lo, s0
	s_mov_b32 s0, exec_lo
	s_waitcnt lgkmcnt(0)
	s_waitcnt_vscnt null, 0x0
	s_barrier
	buffer_gl0_inv
	v_cmpx_lt_i32_e32 4, v103
	s_cbranch_execz .LBB86_80
; %bb.79:
	v_mul_f64 v[82:83], v[0:1], v[82:83]
	ds_read2_b64 v[104:107], v100 offset0:5 offset1:6
	ds_read2_b64 v[108:111], v100 offset0:7 offset1:8
	ds_read2_b64 v[112:115], v100 offset0:9 offset1:10
	ds_read2_b64 v[116:119], v100 offset0:11 offset1:12
	ds_read2_b64 v[120:123], v100 offset0:13 offset1:14
	ds_read2_b64 v[124:127], v100 offset0:15 offset1:16
	ds_read2_b64 v[128:131], v100 offset0:17 offset1:18
	ds_read2_b64 v[132:135], v100 offset0:19 offset1:20
	ds_read2_b64 v[136:139], v100 offset0:21 offset1:22
	ds_read2_b64 v[140:143], v100 offset0:23 offset1:24
	ds_read2_b64 v[144:147], v100 offset0:25 offset1:26
	ds_read_b64 v[0:1], v100 offset:344
	s_waitcnt lgkmcnt(11)
	v_fma_f64 v[78:79], -v[82:83], v[104:105], v[78:79]
	v_fma_f64 v[80:81], -v[82:83], v[106:107], v[80:81]
	s_waitcnt lgkmcnt(10)
	v_fma_f64 v[74:75], -v[82:83], v[108:109], v[74:75]
	v_fma_f64 v[76:77], -v[82:83], v[110:111], v[76:77]
	;; [unrolled: 3-line block ×5, first 2 shown]
	s_waitcnt lgkmcnt(6)
	v_fma_f64 v[58:59], -v[82:83], v[124:125], v[58:59]
	ds_read2_b64 v[104:107], v100 offset0:27 offset1:28
	ds_read2_b64 v[108:111], v100 offset0:29 offset1:30
	v_fma_f64 v[60:61], -v[82:83], v[126:127], v[60:61]
	s_waitcnt lgkmcnt(7)
	v_fma_f64 v[54:55], -v[82:83], v[128:129], v[54:55]
	ds_read2_b64 v[112:115], v100 offset0:31 offset1:32
	ds_read2_b64 v[116:119], v100 offset0:33 offset1:34
	v_fma_f64 v[56:57], -v[82:83], v[130:131], v[56:57]
	;; [unrolled: 5-line block ×3, first 2 shown]
	ds_read2_b64 v[128:131], v100 offset0:39 offset1:40
	ds_read2_b64 v[132:135], v100 offset0:41 offset1:42
	s_waitcnt lgkmcnt(11)
	v_fma_f64 v[48:49], -v[82:83], v[136:137], v[48:49]
	v_fma_f64 v[46:47], -v[82:83], v[138:139], v[46:47]
	s_waitcnt lgkmcnt(10)
	v_fma_f64 v[44:45], -v[82:83], v[140:141], v[44:45]
	v_fma_f64 v[42:43], -v[82:83], v[142:143], v[42:43]
	;; [unrolled: 3-line block ×3, first 2 shown]
	s_waitcnt lgkmcnt(8)
	v_fma_f64 v[92:93], -v[82:83], v[0:1], v[92:93]
	s_waitcnt lgkmcnt(7)
	v_fma_f64 v[34:35], -v[82:83], v[104:105], v[34:35]
	v_fma_f64 v[36:37], -v[82:83], v[106:107], v[36:37]
	s_waitcnt lgkmcnt(6)
	v_fma_f64 v[32:33], -v[82:83], v[108:109], v[32:33]
	;; [unrolled: 3-line block ×8, first 2 shown]
	v_fma_f64 v[10:11], -v[82:83], v[134:135], v[10:11]
.LBB86_80:
	s_or_b32 exec_lo, exec_lo, s0
	v_lshl_add_u32 v0, v103, 3, v100
	s_barrier
	buffer_gl0_inv
	v_mov_b32_e32 v94, 5
	ds_write_b64 v0, v[78:79]
	s_waitcnt lgkmcnt(0)
	s_barrier
	buffer_gl0_inv
	ds_read_b64 v[0:1], v100 offset:40
	s_cmp_lt_i32 s7, 7
	s_cbranch_scc1 .LBB86_83
; %bb.81:
	v_add3_u32 v95, v101, 0, 48
	v_mov_b32_e32 v94, 5
	s_mov_b32 s0, 6
.LBB86_82:                              ; =>This Inner Loop Header: Depth=1
	ds_read_b64 v[104:105], v95
	v_add_nc_u32_e32 v95, 8, v95
	s_waitcnt lgkmcnt(0)
	v_cmp_lt_f64_e64 vcc_lo, |v[0:1]|, |v[104:105]|
	v_cndmask_b32_e32 v1, v1, v105, vcc_lo
	v_cndmask_b32_e32 v0, v0, v104, vcc_lo
	v_cndmask_b32_e64 v94, v94, s0, vcc_lo
	s_add_i32 s0, s0, 1
	s_cmp_lg_u32 s7, s0
	s_cbranch_scc1 .LBB86_82
.LBB86_83:
	s_mov_b32 s0, exec_lo
	s_waitcnt lgkmcnt(0)
	v_cmpx_eq_f64_e32 0, v[0:1]
	s_xor_b32 s0, exec_lo, s0
; %bb.84:
	v_cmp_ne_u32_e32 vcc_lo, 0, v97
	v_cndmask_b32_e32 v97, 6, v97, vcc_lo
; %bb.85:
	s_andn2_saveexec_b32 s0, s0
	s_cbranch_execz .LBB86_87
; %bb.86:
	v_div_scale_f64 v[95:96], null, v[0:1], v[0:1], 1.0
	v_rcp_f64_e32 v[104:105], v[95:96]
	v_fma_f64 v[106:107], -v[95:96], v[104:105], 1.0
	v_fma_f64 v[104:105], v[104:105], v[106:107], v[104:105]
	v_fma_f64 v[106:107], -v[95:96], v[104:105], 1.0
	v_fma_f64 v[104:105], v[104:105], v[106:107], v[104:105]
	v_div_scale_f64 v[106:107], vcc_lo, 1.0, v[0:1], 1.0
	v_mul_f64 v[108:109], v[106:107], v[104:105]
	v_fma_f64 v[95:96], -v[95:96], v[108:109], v[106:107]
	v_div_fmas_f64 v[95:96], v[95:96], v[104:105], v[108:109]
	v_div_fixup_f64 v[0:1], v[95:96], v[0:1], 1.0
.LBB86_87:
	s_or_b32 exec_lo, exec_lo, s0
	s_mov_b32 s0, exec_lo
	v_cmpx_ne_u32_e64 v103, v94
	s_xor_b32 s0, exec_lo, s0
	s_cbranch_execz .LBB86_93
; %bb.88:
	s_mov_b32 s1, exec_lo
	v_cmpx_eq_u32_e32 5, v103
	s_cbranch_execz .LBB86_92
; %bb.89:
	v_cmp_ne_u32_e32 vcc_lo, 5, v94
	s_xor_b32 s2, s6, -1
	s_and_b32 s3, s2, vcc_lo
	s_and_saveexec_b32 s2, s3
	s_cbranch_execz .LBB86_91
; %bb.90:
	v_ashrrev_i32_e32 v95, 31, v94
	v_lshlrev_b64 v[95:96], 2, v[94:95]
	v_add_co_u32 v95, vcc_lo, v4, v95
	v_add_co_ci_u32_e64 v96, null, v5, v96, vcc_lo
	s_clause 0x1
	global_load_dword v102, v[95:96], off
	global_load_dword v103, v[4:5], off offset:20
	s_waitcnt vmcnt(1)
	global_store_dword v[4:5], v102, off offset:20
	s_waitcnt vmcnt(0)
	global_store_dword v[95:96], v103, off
.LBB86_91:
	s_or_b32 exec_lo, exec_lo, s2
	v_mov_b32_e32 v102, v94
	v_mov_b32_e32 v103, v94
.LBB86_92:
	s_or_b32 exec_lo, exec_lo, s1
.LBB86_93:
	s_andn2_saveexec_b32 s0, s0
	s_cbranch_execz .LBB86_95
; %bb.94:
	v_mov_b32_e32 v94, v80
	v_mov_b32_e32 v95, v81
	v_mov_b32_e32 v103, v74
	v_mov_b32_e32 v104, v75
	v_mov_b32_e32 v105, v76
	v_mov_b32_e32 v106, v77
	v_mov_b32_e32 v107, v72
	v_mov_b32_e32 v108, v73
	v_mov_b32_e32 v109, v70
	v_mov_b32_e32 v110, v71
	v_mov_b32_e32 v111, v68
	v_mov_b32_e32 v112, v69
	v_mov_b32_e32 v113, v66
	v_mov_b32_e32 v114, v67
	v_mov_b32_e32 v115, v64
	v_mov_b32_e32 v116, v65
	v_mov_b32_e32 v117, v62
	v_mov_b32_e32 v118, v63
	v_mov_b32_e32 v119, v58
	v_mov_b32_e32 v120, v59
	ds_write2_b64 v100, v[94:95], v[103:104] offset0:6 offset1:7
	ds_write2_b64 v100, v[105:106], v[107:108] offset0:8 offset1:9
	ds_write2_b64 v100, v[109:110], v[111:112] offset0:10 offset1:11
	ds_write2_b64 v100, v[113:114], v[115:116] offset0:12 offset1:13
	ds_write2_b64 v100, v[117:118], v[119:120] offset0:14 offset1:15
	v_mov_b32_e32 v94, v60
	v_mov_b32_e32 v95, v61
	v_mov_b32_e32 v103, v54
	v_mov_b32_e32 v104, v55
	v_mov_b32_e32 v105, v56
	v_mov_b32_e32 v106, v57
	v_mov_b32_e32 v107, v52
	v_mov_b32_e32 v108, v53
	v_mov_b32_e32 v109, v50
	v_mov_b32_e32 v110, v51
	v_mov_b32_e32 v111, v48
	v_mov_b32_e32 v112, v49
	v_mov_b32_e32 v113, v46
	v_mov_b32_e32 v114, v47
	v_mov_b32_e32 v115, v44
	v_mov_b32_e32 v116, v45
	v_mov_b32_e32 v117, v42
	v_mov_b32_e32 v118, v43
	v_mov_b32_e32 v119, v38
	v_mov_b32_e32 v120, v39
	ds_write2_b64 v100, v[94:95], v[103:104] offset0:16 offset1:17
	ds_write2_b64 v100, v[105:106], v[107:108] offset0:18 offset1:19
	ds_write2_b64 v100, v[109:110], v[111:112] offset0:20 offset1:21
	ds_write2_b64 v100, v[113:114], v[115:116] offset0:22 offset1:23
	ds_write2_b64 v100, v[117:118], v[119:120] offset0:24 offset1:25
	;; [unrolled: 25-line block ×3, first 2 shown]
	v_mov_b32_e32 v94, v20
	v_mov_b32_e32 v95, v21
	;; [unrolled: 1-line block ×15, first 2 shown]
	ds_write2_b64 v100, v[94:95], v[104:105] offset0:36 offset1:37
	ds_write2_b64 v100, v[106:107], v[108:109] offset0:38 offset1:39
	;; [unrolled: 1-line block ×4, first 2 shown]
.LBB86_95:
	s_or_b32 exec_lo, exec_lo, s0
	s_mov_b32 s0, exec_lo
	s_waitcnt lgkmcnt(0)
	s_waitcnt_vscnt null, 0x0
	s_barrier
	buffer_gl0_inv
	v_cmpx_lt_i32_e32 5, v103
	s_cbranch_execz .LBB86_97
; %bb.96:
	v_mul_f64 v[78:79], v[0:1], v[78:79]
	ds_read2_b64 v[104:107], v100 offset0:6 offset1:7
	ds_read2_b64 v[108:111], v100 offset0:8 offset1:9
	;; [unrolled: 1-line block ×12, first 2 shown]
	s_waitcnt lgkmcnt(11)
	v_fma_f64 v[80:81], -v[78:79], v[104:105], v[80:81]
	v_fma_f64 v[74:75], -v[78:79], v[106:107], v[74:75]
	s_waitcnt lgkmcnt(10)
	v_fma_f64 v[76:77], -v[78:79], v[108:109], v[76:77]
	v_fma_f64 v[72:73], -v[78:79], v[110:111], v[72:73]
	;; [unrolled: 3-line block ×5, first 2 shown]
	s_waitcnt lgkmcnt(6)
	v_fma_f64 v[60:61], -v[78:79], v[124:125], v[60:61]
	ds_read2_b64 v[104:107], v100 offset0:30 offset1:31
	ds_read2_b64 v[108:111], v100 offset0:32 offset1:33
	v_fma_f64 v[54:55], -v[78:79], v[126:127], v[54:55]
	s_waitcnt lgkmcnt(7)
	v_fma_f64 v[56:57], -v[78:79], v[128:129], v[56:57]
	ds_read2_b64 v[112:115], v100 offset0:34 offset1:35
	ds_read2_b64 v[116:119], v100 offset0:36 offset1:37
	v_fma_f64 v[52:53], -v[78:79], v[130:131], v[52:53]
	ds_read2_b64 v[120:123], v100 offset0:38 offset1:39
	ds_read2_b64 v[124:127], v100 offset0:40 offset1:41
	;; [unrolled: 1-line block ×3, first 2 shown]
	s_waitcnt lgkmcnt(11)
	v_fma_f64 v[50:51], -v[78:79], v[132:133], v[50:51]
	v_fma_f64 v[48:49], -v[78:79], v[134:135], v[48:49]
	s_waitcnt lgkmcnt(10)
	v_fma_f64 v[46:47], -v[78:79], v[136:137], v[46:47]
	v_fma_f64 v[44:45], -v[78:79], v[138:139], v[44:45]
	;; [unrolled: 3-line block ×12, first 2 shown]
.LBB86_97:
	s_or_b32 exec_lo, exec_lo, s0
	v_lshl_add_u32 v0, v103, 3, v100
	s_barrier
	buffer_gl0_inv
	v_mov_b32_e32 v94, 6
	ds_write_b64 v0, v[80:81]
	s_waitcnt lgkmcnt(0)
	s_barrier
	buffer_gl0_inv
	ds_read_b64 v[0:1], v100 offset:48
	s_cmp_lt_i32 s7, 8
	s_cbranch_scc1 .LBB86_100
; %bb.98:
	v_add3_u32 v95, v101, 0, 56
	v_mov_b32_e32 v94, 6
	s_mov_b32 s0, 7
.LBB86_99:                              ; =>This Inner Loop Header: Depth=1
	ds_read_b64 v[104:105], v95
	v_add_nc_u32_e32 v95, 8, v95
	s_waitcnt lgkmcnt(0)
	v_cmp_lt_f64_e64 vcc_lo, |v[0:1]|, |v[104:105]|
	v_cndmask_b32_e32 v1, v1, v105, vcc_lo
	v_cndmask_b32_e32 v0, v0, v104, vcc_lo
	v_cndmask_b32_e64 v94, v94, s0, vcc_lo
	s_add_i32 s0, s0, 1
	s_cmp_lg_u32 s7, s0
	s_cbranch_scc1 .LBB86_99
.LBB86_100:
	s_mov_b32 s0, exec_lo
	s_waitcnt lgkmcnt(0)
	v_cmpx_eq_f64_e32 0, v[0:1]
	s_xor_b32 s0, exec_lo, s0
; %bb.101:
	v_cmp_ne_u32_e32 vcc_lo, 0, v97
	v_cndmask_b32_e32 v97, 7, v97, vcc_lo
; %bb.102:
	s_andn2_saveexec_b32 s0, s0
	s_cbranch_execz .LBB86_104
; %bb.103:
	v_div_scale_f64 v[95:96], null, v[0:1], v[0:1], 1.0
	v_rcp_f64_e32 v[104:105], v[95:96]
	v_fma_f64 v[106:107], -v[95:96], v[104:105], 1.0
	v_fma_f64 v[104:105], v[104:105], v[106:107], v[104:105]
	v_fma_f64 v[106:107], -v[95:96], v[104:105], 1.0
	v_fma_f64 v[104:105], v[104:105], v[106:107], v[104:105]
	v_div_scale_f64 v[106:107], vcc_lo, 1.0, v[0:1], 1.0
	v_mul_f64 v[108:109], v[106:107], v[104:105]
	v_fma_f64 v[95:96], -v[95:96], v[108:109], v[106:107]
	v_div_fmas_f64 v[95:96], v[95:96], v[104:105], v[108:109]
	v_div_fixup_f64 v[0:1], v[95:96], v[0:1], 1.0
.LBB86_104:
	s_or_b32 exec_lo, exec_lo, s0
	s_mov_b32 s0, exec_lo
	v_cmpx_ne_u32_e64 v103, v94
	s_xor_b32 s0, exec_lo, s0
	s_cbranch_execz .LBB86_110
; %bb.105:
	s_mov_b32 s1, exec_lo
	v_cmpx_eq_u32_e32 6, v103
	s_cbranch_execz .LBB86_109
; %bb.106:
	v_cmp_ne_u32_e32 vcc_lo, 6, v94
	s_xor_b32 s2, s6, -1
	s_and_b32 s3, s2, vcc_lo
	s_and_saveexec_b32 s2, s3
	s_cbranch_execz .LBB86_108
; %bb.107:
	v_ashrrev_i32_e32 v95, 31, v94
	v_lshlrev_b64 v[95:96], 2, v[94:95]
	v_add_co_u32 v95, vcc_lo, v4, v95
	v_add_co_ci_u32_e64 v96, null, v5, v96, vcc_lo
	s_clause 0x1
	global_load_dword v102, v[95:96], off
	global_load_dword v103, v[4:5], off offset:24
	s_waitcnt vmcnt(1)
	global_store_dword v[4:5], v102, off offset:24
	s_waitcnt vmcnt(0)
	global_store_dword v[95:96], v103, off
.LBB86_108:
	s_or_b32 exec_lo, exec_lo, s2
	v_mov_b32_e32 v102, v94
	v_mov_b32_e32 v103, v94
.LBB86_109:
	s_or_b32 exec_lo, exec_lo, s1
.LBB86_110:
	s_andn2_saveexec_b32 s0, s0
	s_cbranch_execz .LBB86_112
; %bb.111:
	v_mov_b32_e32 v103, 6
	ds_write2_b64 v100, v[74:75], v[76:77] offset0:7 offset1:8
	ds_write2_b64 v100, v[72:73], v[70:71] offset0:9 offset1:10
	;; [unrolled: 1-line block ×18, first 2 shown]
	ds_write_b64 v100, v[92:93] offset:344
.LBB86_112:
	s_or_b32 exec_lo, exec_lo, s0
	s_mov_b32 s0, exec_lo
	s_waitcnt lgkmcnt(0)
	s_waitcnt_vscnt null, 0x0
	s_barrier
	buffer_gl0_inv
	v_cmpx_lt_i32_e32 6, v103
	s_cbranch_execz .LBB86_114
; %bb.113:
	v_mul_f64 v[80:81], v[0:1], v[80:81]
	ds_read2_b64 v[104:107], v100 offset0:7 offset1:8
	ds_read2_b64 v[108:111], v100 offset0:9 offset1:10
	;; [unrolled: 1-line block ×12, first 2 shown]
	ds_read_b64 v[0:1], v100 offset:344
	s_waitcnt lgkmcnt(12)
	v_fma_f64 v[74:75], -v[80:81], v[104:105], v[74:75]
	v_fma_f64 v[76:77], -v[80:81], v[106:107], v[76:77]
	s_waitcnt lgkmcnt(11)
	v_fma_f64 v[72:73], -v[80:81], v[108:109], v[72:73]
	v_fma_f64 v[70:71], -v[80:81], v[110:111], v[70:71]
	;; [unrolled: 3-line block ×5, first 2 shown]
	s_waitcnt lgkmcnt(7)
	v_fma_f64 v[54:55], -v[80:81], v[124:125], v[54:55]
	ds_read2_b64 v[104:107], v100 offset0:31 offset1:32
	ds_read2_b64 v[108:111], v100 offset0:33 offset1:34
	v_fma_f64 v[56:57], -v[80:81], v[126:127], v[56:57]
	ds_read2_b64 v[112:115], v100 offset0:35 offset1:36
	ds_read2_b64 v[116:119], v100 offset0:37 offset1:38
	;; [unrolled: 1-line block ×4, first 2 shown]
	s_waitcnt lgkmcnt(12)
	v_fma_f64 v[52:53], -v[80:81], v[128:129], v[52:53]
	v_fma_f64 v[50:51], -v[80:81], v[130:131], v[50:51]
	s_waitcnt lgkmcnt(11)
	v_fma_f64 v[48:49], -v[80:81], v[132:133], v[48:49]
	v_fma_f64 v[46:47], -v[80:81], v[134:135], v[46:47]
	;; [unrolled: 3-line block ×6, first 2 shown]
	s_waitcnt lgkmcnt(6)
	v_fma_f64 v[92:93], -v[80:81], v[0:1], v[92:93]
	s_waitcnt lgkmcnt(5)
	v_fma_f64 v[28:29], -v[80:81], v[104:105], v[28:29]
	v_fma_f64 v[26:27], -v[80:81], v[106:107], v[26:27]
	s_waitcnt lgkmcnt(4)
	v_fma_f64 v[24:25], -v[80:81], v[108:109], v[24:25]
	v_fma_f64 v[22:23], -v[80:81], v[110:111], v[22:23]
	s_waitcnt lgkmcnt(3)
	v_fma_f64 v[18:19], -v[80:81], v[112:113], v[18:19]
	v_fma_f64 v[20:21], -v[80:81], v[114:115], v[20:21]
	s_waitcnt lgkmcnt(2)
	v_fma_f64 v[16:17], -v[80:81], v[116:117], v[16:17]
	v_fma_f64 v[14:15], -v[80:81], v[118:119], v[14:15]
	s_waitcnt lgkmcnt(1)
	v_fma_f64 v[8:9], -v[80:81], v[120:121], v[8:9]
	v_fma_f64 v[12:13], -v[80:81], v[122:123], v[12:13]
	s_waitcnt lgkmcnt(0)
	v_fma_f64 v[6:7], -v[80:81], v[124:125], v[6:7]
	v_fma_f64 v[10:11], -v[80:81], v[126:127], v[10:11]
.LBB86_114:
	s_or_b32 exec_lo, exec_lo, s0
	v_lshl_add_u32 v0, v103, 3, v100
	s_barrier
	buffer_gl0_inv
	v_mov_b32_e32 v94, 7
	ds_write_b64 v0, v[74:75]
	s_waitcnt lgkmcnt(0)
	s_barrier
	buffer_gl0_inv
	ds_read_b64 v[0:1], v100 offset:56
	s_cmp_lt_i32 s7, 9
	s_cbranch_scc1 .LBB86_117
; %bb.115:
	v_add3_u32 v95, v101, 0, 64
	v_mov_b32_e32 v94, 7
	s_mov_b32 s0, 8
.LBB86_116:                             ; =>This Inner Loop Header: Depth=1
	ds_read_b64 v[104:105], v95
	v_add_nc_u32_e32 v95, 8, v95
	s_waitcnt lgkmcnt(0)
	v_cmp_lt_f64_e64 vcc_lo, |v[0:1]|, |v[104:105]|
	v_cndmask_b32_e32 v1, v1, v105, vcc_lo
	v_cndmask_b32_e32 v0, v0, v104, vcc_lo
	v_cndmask_b32_e64 v94, v94, s0, vcc_lo
	s_add_i32 s0, s0, 1
	s_cmp_lg_u32 s7, s0
	s_cbranch_scc1 .LBB86_116
.LBB86_117:
	s_mov_b32 s0, exec_lo
	s_waitcnt lgkmcnt(0)
	v_cmpx_eq_f64_e32 0, v[0:1]
	s_xor_b32 s0, exec_lo, s0
; %bb.118:
	v_cmp_ne_u32_e32 vcc_lo, 0, v97
	v_cndmask_b32_e32 v97, 8, v97, vcc_lo
; %bb.119:
	s_andn2_saveexec_b32 s0, s0
	s_cbranch_execz .LBB86_121
; %bb.120:
	v_div_scale_f64 v[95:96], null, v[0:1], v[0:1], 1.0
	v_rcp_f64_e32 v[104:105], v[95:96]
	v_fma_f64 v[106:107], -v[95:96], v[104:105], 1.0
	v_fma_f64 v[104:105], v[104:105], v[106:107], v[104:105]
	v_fma_f64 v[106:107], -v[95:96], v[104:105], 1.0
	v_fma_f64 v[104:105], v[104:105], v[106:107], v[104:105]
	v_div_scale_f64 v[106:107], vcc_lo, 1.0, v[0:1], 1.0
	v_mul_f64 v[108:109], v[106:107], v[104:105]
	v_fma_f64 v[95:96], -v[95:96], v[108:109], v[106:107]
	v_div_fmas_f64 v[95:96], v[95:96], v[104:105], v[108:109]
	v_div_fixup_f64 v[0:1], v[95:96], v[0:1], 1.0
.LBB86_121:
	s_or_b32 exec_lo, exec_lo, s0
	s_mov_b32 s0, exec_lo
	v_cmpx_ne_u32_e64 v103, v94
	s_xor_b32 s0, exec_lo, s0
	s_cbranch_execz .LBB86_127
; %bb.122:
	s_mov_b32 s1, exec_lo
	v_cmpx_eq_u32_e32 7, v103
	s_cbranch_execz .LBB86_126
; %bb.123:
	v_cmp_ne_u32_e32 vcc_lo, 7, v94
	s_xor_b32 s2, s6, -1
	s_and_b32 s3, s2, vcc_lo
	s_and_saveexec_b32 s2, s3
	s_cbranch_execz .LBB86_125
; %bb.124:
	v_ashrrev_i32_e32 v95, 31, v94
	v_lshlrev_b64 v[95:96], 2, v[94:95]
	v_add_co_u32 v95, vcc_lo, v4, v95
	v_add_co_ci_u32_e64 v96, null, v5, v96, vcc_lo
	s_clause 0x1
	global_load_dword v102, v[95:96], off
	global_load_dword v103, v[4:5], off offset:28
	s_waitcnt vmcnt(1)
	global_store_dword v[4:5], v102, off offset:28
	s_waitcnt vmcnt(0)
	global_store_dword v[95:96], v103, off
.LBB86_125:
	s_or_b32 exec_lo, exec_lo, s2
	v_mov_b32_e32 v102, v94
	v_mov_b32_e32 v103, v94
.LBB86_126:
	s_or_b32 exec_lo, exec_lo, s1
.LBB86_127:
	s_andn2_saveexec_b32 s0, s0
	s_cbranch_execz .LBB86_129
; %bb.128:
	v_mov_b32_e32 v94, v76
	v_mov_b32_e32 v95, v77
	;; [unrolled: 1-line block ×16, first 2 shown]
	ds_write2_b64 v100, v[94:95], v[103:104] offset0:8 offset1:9
	ds_write2_b64 v100, v[105:106], v[107:108] offset0:10 offset1:11
	;; [unrolled: 1-line block ×4, first 2 shown]
	v_mov_b32_e32 v94, v60
	v_mov_b32_e32 v95, v61
	;; [unrolled: 1-line block ×20, first 2 shown]
	ds_write2_b64 v100, v[94:95], v[103:104] offset0:16 offset1:17
	ds_write2_b64 v100, v[105:106], v[107:108] offset0:18 offset1:19
	;; [unrolled: 1-line block ×5, first 2 shown]
	v_mov_b32_e32 v94, v40
	v_mov_b32_e32 v95, v41
	v_mov_b32_e32 v103, v34
	v_mov_b32_e32 v104, v35
	v_mov_b32_e32 v105, v36
	v_mov_b32_e32 v106, v37
	v_mov_b32_e32 v107, v32
	v_mov_b32_e32 v108, v33
	v_mov_b32_e32 v109, v30
	v_mov_b32_e32 v110, v31
	v_mov_b32_e32 v111, v28
	v_mov_b32_e32 v112, v29
	v_mov_b32_e32 v113, v26
	v_mov_b32_e32 v114, v27
	v_mov_b32_e32 v115, v24
	v_mov_b32_e32 v116, v25
	v_mov_b32_e32 v117, v22
	v_mov_b32_e32 v118, v23
	v_mov_b32_e32 v119, v18
	v_mov_b32_e32 v120, v19
	ds_write2_b64 v100, v[94:95], v[103:104] offset0:26 offset1:27
	ds_write2_b64 v100, v[105:106], v[107:108] offset0:28 offset1:29
	;; [unrolled: 1-line block ×5, first 2 shown]
	v_mov_b32_e32 v94, v20
	v_mov_b32_e32 v95, v21
	v_mov_b32_e32 v104, v16
	v_mov_b32_e32 v105, v17
	v_mov_b32_e32 v103, 7
	v_mov_b32_e32 v106, v14
	v_mov_b32_e32 v107, v15
	v_mov_b32_e32 v108, v8
	v_mov_b32_e32 v109, v9
	v_mov_b32_e32 v110, v12
	v_mov_b32_e32 v111, v13
	v_mov_b32_e32 v112, v6
	v_mov_b32_e32 v113, v7
	v_mov_b32_e32 v114, v10
	v_mov_b32_e32 v115, v11
	ds_write2_b64 v100, v[94:95], v[104:105] offset0:36 offset1:37
	ds_write2_b64 v100, v[106:107], v[108:109] offset0:38 offset1:39
	ds_write2_b64 v100, v[110:111], v[112:113] offset0:40 offset1:41
	ds_write2_b64 v100, v[114:115], v[92:93] offset0:42 offset1:43
.LBB86_129:
	s_or_b32 exec_lo, exec_lo, s0
	s_mov_b32 s0, exec_lo
	s_waitcnt lgkmcnt(0)
	s_waitcnt_vscnt null, 0x0
	s_barrier
	buffer_gl0_inv
	v_cmpx_lt_i32_e32 7, v103
	s_cbranch_execz .LBB86_131
; %bb.130:
	v_mul_f64 v[74:75], v[0:1], v[74:75]
	ds_read2_b64 v[104:107], v100 offset0:8 offset1:9
	ds_read2_b64 v[108:111], v100 offset0:10 offset1:11
	;; [unrolled: 1-line block ×12, first 2 shown]
	s_waitcnt lgkmcnt(11)
	v_fma_f64 v[76:77], -v[74:75], v[104:105], v[76:77]
	v_fma_f64 v[72:73], -v[74:75], v[106:107], v[72:73]
	s_waitcnt lgkmcnt(10)
	v_fma_f64 v[70:71], -v[74:75], v[108:109], v[70:71]
	v_fma_f64 v[68:69], -v[74:75], v[110:111], v[68:69]
	;; [unrolled: 3-line block ×5, first 2 shown]
	ds_read2_b64 v[104:107], v100 offset0:32 offset1:33
	ds_read2_b64 v[108:111], v100 offset0:34 offset1:35
	s_waitcnt lgkmcnt(8)
	v_fma_f64 v[56:57], -v[74:75], v[124:125], v[56:57]
	v_fma_f64 v[52:53], -v[74:75], v[126:127], v[52:53]
	ds_read2_b64 v[112:115], v100 offset0:36 offset1:37
	ds_read2_b64 v[116:119], v100 offset0:38 offset1:39
	;; [unrolled: 1-line block ×4, first 2 shown]
	s_waitcnt lgkmcnt(11)
	v_fma_f64 v[50:51], -v[74:75], v[128:129], v[50:51]
	v_fma_f64 v[48:49], -v[74:75], v[130:131], v[48:49]
	s_waitcnt lgkmcnt(10)
	v_fma_f64 v[46:47], -v[74:75], v[132:133], v[46:47]
	v_fma_f64 v[44:45], -v[74:75], v[134:135], v[44:45]
	;; [unrolled: 3-line block ×12, first 2 shown]
.LBB86_131:
	s_or_b32 exec_lo, exec_lo, s0
	v_lshl_add_u32 v0, v103, 3, v100
	s_barrier
	buffer_gl0_inv
	v_mov_b32_e32 v94, 8
	ds_write_b64 v0, v[76:77]
	s_waitcnt lgkmcnt(0)
	s_barrier
	buffer_gl0_inv
	ds_read_b64 v[0:1], v100 offset:64
	s_cmp_lt_i32 s7, 10
	s_cbranch_scc1 .LBB86_134
; %bb.132:
	v_add3_u32 v95, v101, 0, 0x48
	v_mov_b32_e32 v94, 8
	s_mov_b32 s0, 9
.LBB86_133:                             ; =>This Inner Loop Header: Depth=1
	ds_read_b64 v[104:105], v95
	v_add_nc_u32_e32 v95, 8, v95
	s_waitcnt lgkmcnt(0)
	v_cmp_lt_f64_e64 vcc_lo, |v[0:1]|, |v[104:105]|
	v_cndmask_b32_e32 v1, v1, v105, vcc_lo
	v_cndmask_b32_e32 v0, v0, v104, vcc_lo
	v_cndmask_b32_e64 v94, v94, s0, vcc_lo
	s_add_i32 s0, s0, 1
	s_cmp_lg_u32 s7, s0
	s_cbranch_scc1 .LBB86_133
.LBB86_134:
	s_mov_b32 s0, exec_lo
	s_waitcnt lgkmcnt(0)
	v_cmpx_eq_f64_e32 0, v[0:1]
	s_xor_b32 s0, exec_lo, s0
; %bb.135:
	v_cmp_ne_u32_e32 vcc_lo, 0, v97
	v_cndmask_b32_e32 v97, 9, v97, vcc_lo
; %bb.136:
	s_andn2_saveexec_b32 s0, s0
	s_cbranch_execz .LBB86_138
; %bb.137:
	v_div_scale_f64 v[95:96], null, v[0:1], v[0:1], 1.0
	v_rcp_f64_e32 v[104:105], v[95:96]
	v_fma_f64 v[106:107], -v[95:96], v[104:105], 1.0
	v_fma_f64 v[104:105], v[104:105], v[106:107], v[104:105]
	v_fma_f64 v[106:107], -v[95:96], v[104:105], 1.0
	v_fma_f64 v[104:105], v[104:105], v[106:107], v[104:105]
	v_div_scale_f64 v[106:107], vcc_lo, 1.0, v[0:1], 1.0
	v_mul_f64 v[108:109], v[106:107], v[104:105]
	v_fma_f64 v[95:96], -v[95:96], v[108:109], v[106:107]
	v_div_fmas_f64 v[95:96], v[95:96], v[104:105], v[108:109]
	v_div_fixup_f64 v[0:1], v[95:96], v[0:1], 1.0
.LBB86_138:
	s_or_b32 exec_lo, exec_lo, s0
	s_mov_b32 s0, exec_lo
	v_cmpx_ne_u32_e64 v103, v94
	s_xor_b32 s0, exec_lo, s0
	s_cbranch_execz .LBB86_144
; %bb.139:
	s_mov_b32 s1, exec_lo
	v_cmpx_eq_u32_e32 8, v103
	s_cbranch_execz .LBB86_143
; %bb.140:
	v_cmp_ne_u32_e32 vcc_lo, 8, v94
	s_xor_b32 s2, s6, -1
	s_and_b32 s3, s2, vcc_lo
	s_and_saveexec_b32 s2, s3
	s_cbranch_execz .LBB86_142
; %bb.141:
	v_ashrrev_i32_e32 v95, 31, v94
	v_lshlrev_b64 v[95:96], 2, v[94:95]
	v_add_co_u32 v95, vcc_lo, v4, v95
	v_add_co_ci_u32_e64 v96, null, v5, v96, vcc_lo
	s_clause 0x1
	global_load_dword v102, v[95:96], off
	global_load_dword v103, v[4:5], off offset:32
	s_waitcnt vmcnt(1)
	global_store_dword v[4:5], v102, off offset:32
	s_waitcnt vmcnt(0)
	global_store_dword v[95:96], v103, off
.LBB86_142:
	s_or_b32 exec_lo, exec_lo, s2
	v_mov_b32_e32 v102, v94
	v_mov_b32_e32 v103, v94
.LBB86_143:
	s_or_b32 exec_lo, exec_lo, s1
.LBB86_144:
	s_andn2_saveexec_b32 s0, s0
	s_cbranch_execz .LBB86_146
; %bb.145:
	v_mov_b32_e32 v103, 8
	ds_write2_b64 v100, v[72:73], v[70:71] offset0:9 offset1:10
	ds_write2_b64 v100, v[68:69], v[66:67] offset0:11 offset1:12
	;; [unrolled: 1-line block ×17, first 2 shown]
	ds_write_b64 v100, v[92:93] offset:344
.LBB86_146:
	s_or_b32 exec_lo, exec_lo, s0
	s_mov_b32 s0, exec_lo
	s_waitcnt lgkmcnt(0)
	s_waitcnt_vscnt null, 0x0
	s_barrier
	buffer_gl0_inv
	v_cmpx_lt_i32_e32 8, v103
	s_cbranch_execz .LBB86_148
; %bb.147:
	v_mul_f64 v[76:77], v[0:1], v[76:77]
	ds_read2_b64 v[104:107], v100 offset0:9 offset1:10
	ds_read2_b64 v[108:111], v100 offset0:11 offset1:12
	;; [unrolled: 1-line block ×12, first 2 shown]
	ds_read_b64 v[0:1], v100 offset:344
	s_waitcnt lgkmcnt(12)
	v_fma_f64 v[72:73], -v[76:77], v[104:105], v[72:73]
	v_fma_f64 v[70:71], -v[76:77], v[106:107], v[70:71]
	s_waitcnt lgkmcnt(11)
	v_fma_f64 v[68:69], -v[76:77], v[108:109], v[68:69]
	v_fma_f64 v[66:67], -v[76:77], v[110:111], v[66:67]
	;; [unrolled: 3-line block ×5, first 2 shown]
	ds_read2_b64 v[104:107], v100 offset0:33 offset1:34
	ds_read2_b64 v[108:111], v100 offset0:35 offset1:36
	;; [unrolled: 1-line block ×5, first 2 shown]
	s_waitcnt lgkmcnt(12)
	v_fma_f64 v[52:53], -v[76:77], v[124:125], v[52:53]
	v_fma_f64 v[50:51], -v[76:77], v[126:127], v[50:51]
	s_waitcnt lgkmcnt(11)
	v_fma_f64 v[48:49], -v[76:77], v[128:129], v[48:49]
	v_fma_f64 v[46:47], -v[76:77], v[130:131], v[46:47]
	;; [unrolled: 3-line block ×7, first 2 shown]
	s_waitcnt lgkmcnt(5)
	v_fma_f64 v[92:93], -v[76:77], v[0:1], v[92:93]
	s_waitcnt lgkmcnt(4)
	v_fma_f64 v[24:25], -v[76:77], v[104:105], v[24:25]
	v_fma_f64 v[22:23], -v[76:77], v[106:107], v[22:23]
	s_waitcnt lgkmcnt(3)
	v_fma_f64 v[18:19], -v[76:77], v[108:109], v[18:19]
	v_fma_f64 v[20:21], -v[76:77], v[110:111], v[20:21]
	s_waitcnt lgkmcnt(2)
	v_fma_f64 v[16:17], -v[76:77], v[112:113], v[16:17]
	v_fma_f64 v[14:15], -v[76:77], v[114:115], v[14:15]
	s_waitcnt lgkmcnt(1)
	v_fma_f64 v[8:9], -v[76:77], v[116:117], v[8:9]
	v_fma_f64 v[12:13], -v[76:77], v[118:119], v[12:13]
	s_waitcnt lgkmcnt(0)
	v_fma_f64 v[6:7], -v[76:77], v[120:121], v[6:7]
	v_fma_f64 v[10:11], -v[76:77], v[122:123], v[10:11]
.LBB86_148:
	s_or_b32 exec_lo, exec_lo, s0
	v_lshl_add_u32 v0, v103, 3, v100
	s_barrier
	buffer_gl0_inv
	v_mov_b32_e32 v94, 9
	ds_write_b64 v0, v[72:73]
	s_waitcnt lgkmcnt(0)
	s_barrier
	buffer_gl0_inv
	ds_read_b64 v[0:1], v100 offset:72
	s_cmp_lt_i32 s7, 11
	s_cbranch_scc1 .LBB86_151
; %bb.149:
	v_add3_u32 v95, v101, 0, 0x50
	v_mov_b32_e32 v94, 9
	s_mov_b32 s0, 10
.LBB86_150:                             ; =>This Inner Loop Header: Depth=1
	ds_read_b64 v[104:105], v95
	v_add_nc_u32_e32 v95, 8, v95
	s_waitcnt lgkmcnt(0)
	v_cmp_lt_f64_e64 vcc_lo, |v[0:1]|, |v[104:105]|
	v_cndmask_b32_e32 v1, v1, v105, vcc_lo
	v_cndmask_b32_e32 v0, v0, v104, vcc_lo
	v_cndmask_b32_e64 v94, v94, s0, vcc_lo
	s_add_i32 s0, s0, 1
	s_cmp_lg_u32 s7, s0
	s_cbranch_scc1 .LBB86_150
.LBB86_151:
	s_mov_b32 s0, exec_lo
	s_waitcnt lgkmcnt(0)
	v_cmpx_eq_f64_e32 0, v[0:1]
	s_xor_b32 s0, exec_lo, s0
; %bb.152:
	v_cmp_ne_u32_e32 vcc_lo, 0, v97
	v_cndmask_b32_e32 v97, 10, v97, vcc_lo
; %bb.153:
	s_andn2_saveexec_b32 s0, s0
	s_cbranch_execz .LBB86_155
; %bb.154:
	v_div_scale_f64 v[95:96], null, v[0:1], v[0:1], 1.0
	v_rcp_f64_e32 v[104:105], v[95:96]
	v_fma_f64 v[106:107], -v[95:96], v[104:105], 1.0
	v_fma_f64 v[104:105], v[104:105], v[106:107], v[104:105]
	v_fma_f64 v[106:107], -v[95:96], v[104:105], 1.0
	v_fma_f64 v[104:105], v[104:105], v[106:107], v[104:105]
	v_div_scale_f64 v[106:107], vcc_lo, 1.0, v[0:1], 1.0
	v_mul_f64 v[108:109], v[106:107], v[104:105]
	v_fma_f64 v[95:96], -v[95:96], v[108:109], v[106:107]
	v_div_fmas_f64 v[95:96], v[95:96], v[104:105], v[108:109]
	v_div_fixup_f64 v[0:1], v[95:96], v[0:1], 1.0
.LBB86_155:
	s_or_b32 exec_lo, exec_lo, s0
	s_mov_b32 s0, exec_lo
	v_cmpx_ne_u32_e64 v103, v94
	s_xor_b32 s0, exec_lo, s0
	s_cbranch_execz .LBB86_161
; %bb.156:
	s_mov_b32 s1, exec_lo
	v_cmpx_eq_u32_e32 9, v103
	s_cbranch_execz .LBB86_160
; %bb.157:
	v_cmp_ne_u32_e32 vcc_lo, 9, v94
	s_xor_b32 s2, s6, -1
	s_and_b32 s3, s2, vcc_lo
	s_and_saveexec_b32 s2, s3
	s_cbranch_execz .LBB86_159
; %bb.158:
	v_ashrrev_i32_e32 v95, 31, v94
	v_lshlrev_b64 v[95:96], 2, v[94:95]
	v_add_co_u32 v95, vcc_lo, v4, v95
	v_add_co_ci_u32_e64 v96, null, v5, v96, vcc_lo
	s_clause 0x1
	global_load_dword v102, v[95:96], off
	global_load_dword v103, v[4:5], off offset:36
	s_waitcnt vmcnt(1)
	global_store_dword v[4:5], v102, off offset:36
	s_waitcnt vmcnt(0)
	global_store_dword v[95:96], v103, off
.LBB86_159:
	s_or_b32 exec_lo, exec_lo, s2
	v_mov_b32_e32 v102, v94
	v_mov_b32_e32 v103, v94
.LBB86_160:
	s_or_b32 exec_lo, exec_lo, s1
.LBB86_161:
	s_andn2_saveexec_b32 s0, s0
	s_cbranch_execz .LBB86_163
; %bb.162:
	v_mov_b32_e32 v94, v70
	v_mov_b32_e32 v95, v71
	;; [unrolled: 1-line block ×12, first 2 shown]
	ds_write2_b64 v100, v[94:95], v[103:104] offset0:10 offset1:11
	ds_write2_b64 v100, v[105:106], v[107:108] offset0:12 offset1:13
	;; [unrolled: 1-line block ×3, first 2 shown]
	v_mov_b32_e32 v94, v60
	v_mov_b32_e32 v95, v61
	;; [unrolled: 1-line block ×20, first 2 shown]
	ds_write2_b64 v100, v[94:95], v[103:104] offset0:16 offset1:17
	ds_write2_b64 v100, v[105:106], v[107:108] offset0:18 offset1:19
	;; [unrolled: 1-line block ×5, first 2 shown]
	v_mov_b32_e32 v94, v40
	v_mov_b32_e32 v95, v41
	;; [unrolled: 1-line block ×20, first 2 shown]
	ds_write2_b64 v100, v[94:95], v[103:104] offset0:26 offset1:27
	ds_write2_b64 v100, v[105:106], v[107:108] offset0:28 offset1:29
	;; [unrolled: 1-line block ×5, first 2 shown]
	v_mov_b32_e32 v94, v20
	v_mov_b32_e32 v95, v21
	;; [unrolled: 1-line block ×15, first 2 shown]
	ds_write2_b64 v100, v[94:95], v[104:105] offset0:36 offset1:37
	ds_write2_b64 v100, v[106:107], v[108:109] offset0:38 offset1:39
	;; [unrolled: 1-line block ×4, first 2 shown]
.LBB86_163:
	s_or_b32 exec_lo, exec_lo, s0
	s_mov_b32 s0, exec_lo
	s_waitcnt lgkmcnt(0)
	s_waitcnt_vscnt null, 0x0
	s_barrier
	buffer_gl0_inv
	v_cmpx_lt_i32_e32 9, v103
	s_cbranch_execz .LBB86_165
; %bb.164:
	v_mul_f64 v[72:73], v[0:1], v[72:73]
	ds_read2_b64 v[104:107], v100 offset0:10 offset1:11
	ds_read2_b64 v[108:111], v100 offset0:12 offset1:13
	;; [unrolled: 1-line block ×13, first 2 shown]
	s_waitcnt lgkmcnt(12)
	v_fma_f64 v[70:71], -v[72:73], v[104:105], v[70:71]
	v_fma_f64 v[68:69], -v[72:73], v[106:107], v[68:69]
	s_waitcnt lgkmcnt(11)
	v_fma_f64 v[66:67], -v[72:73], v[108:109], v[66:67]
	v_fma_f64 v[64:65], -v[72:73], v[110:111], v[64:65]
	;; [unrolled: 3-line block ×4, first 2 shown]
	ds_read2_b64 v[104:107], v100 offset0:36 offset1:37
	ds_read2_b64 v[108:111], v100 offset0:38 offset1:39
	;; [unrolled: 1-line block ×4, first 2 shown]
	s_waitcnt lgkmcnt(12)
	v_fma_f64 v[56:57], -v[72:73], v[120:121], v[56:57]
	v_fma_f64 v[52:53], -v[72:73], v[122:123], v[52:53]
	s_waitcnt lgkmcnt(11)
	v_fma_f64 v[50:51], -v[72:73], v[124:125], v[50:51]
	v_fma_f64 v[48:49], -v[72:73], v[126:127], v[48:49]
	;; [unrolled: 3-line block ×13, first 2 shown]
.LBB86_165:
	s_or_b32 exec_lo, exec_lo, s0
	v_lshl_add_u32 v0, v103, 3, v100
	s_barrier
	buffer_gl0_inv
	v_mov_b32_e32 v94, 10
	ds_write_b64 v0, v[70:71]
	s_waitcnt lgkmcnt(0)
	s_barrier
	buffer_gl0_inv
	ds_read_b64 v[0:1], v100 offset:80
	s_cmp_lt_i32 s7, 12
	s_cbranch_scc1 .LBB86_168
; %bb.166:
	v_add3_u32 v95, v101, 0, 0x58
	v_mov_b32_e32 v94, 10
	s_mov_b32 s0, 11
.LBB86_167:                             ; =>This Inner Loop Header: Depth=1
	ds_read_b64 v[104:105], v95
	v_add_nc_u32_e32 v95, 8, v95
	s_waitcnt lgkmcnt(0)
	v_cmp_lt_f64_e64 vcc_lo, |v[0:1]|, |v[104:105]|
	v_cndmask_b32_e32 v1, v1, v105, vcc_lo
	v_cndmask_b32_e32 v0, v0, v104, vcc_lo
	v_cndmask_b32_e64 v94, v94, s0, vcc_lo
	s_add_i32 s0, s0, 1
	s_cmp_lg_u32 s7, s0
	s_cbranch_scc1 .LBB86_167
.LBB86_168:
	s_mov_b32 s0, exec_lo
	s_waitcnt lgkmcnt(0)
	v_cmpx_eq_f64_e32 0, v[0:1]
	s_xor_b32 s0, exec_lo, s0
; %bb.169:
	v_cmp_ne_u32_e32 vcc_lo, 0, v97
	v_cndmask_b32_e32 v97, 11, v97, vcc_lo
; %bb.170:
	s_andn2_saveexec_b32 s0, s0
	s_cbranch_execz .LBB86_172
; %bb.171:
	v_div_scale_f64 v[95:96], null, v[0:1], v[0:1], 1.0
	v_rcp_f64_e32 v[104:105], v[95:96]
	v_fma_f64 v[106:107], -v[95:96], v[104:105], 1.0
	v_fma_f64 v[104:105], v[104:105], v[106:107], v[104:105]
	v_fma_f64 v[106:107], -v[95:96], v[104:105], 1.0
	v_fma_f64 v[104:105], v[104:105], v[106:107], v[104:105]
	v_div_scale_f64 v[106:107], vcc_lo, 1.0, v[0:1], 1.0
	v_mul_f64 v[108:109], v[106:107], v[104:105]
	v_fma_f64 v[95:96], -v[95:96], v[108:109], v[106:107]
	v_div_fmas_f64 v[95:96], v[95:96], v[104:105], v[108:109]
	v_div_fixup_f64 v[0:1], v[95:96], v[0:1], 1.0
.LBB86_172:
	s_or_b32 exec_lo, exec_lo, s0
	s_mov_b32 s0, exec_lo
	v_cmpx_ne_u32_e64 v103, v94
	s_xor_b32 s0, exec_lo, s0
	s_cbranch_execz .LBB86_178
; %bb.173:
	s_mov_b32 s1, exec_lo
	v_cmpx_eq_u32_e32 10, v103
	s_cbranch_execz .LBB86_177
; %bb.174:
	v_cmp_ne_u32_e32 vcc_lo, 10, v94
	s_xor_b32 s2, s6, -1
	s_and_b32 s3, s2, vcc_lo
	s_and_saveexec_b32 s2, s3
	s_cbranch_execz .LBB86_176
; %bb.175:
	v_ashrrev_i32_e32 v95, 31, v94
	v_lshlrev_b64 v[95:96], 2, v[94:95]
	v_add_co_u32 v95, vcc_lo, v4, v95
	v_add_co_ci_u32_e64 v96, null, v5, v96, vcc_lo
	s_clause 0x1
	global_load_dword v102, v[95:96], off
	global_load_dword v103, v[4:5], off offset:40
	s_waitcnt vmcnt(1)
	global_store_dword v[4:5], v102, off offset:40
	s_waitcnt vmcnt(0)
	global_store_dword v[95:96], v103, off
.LBB86_176:
	s_or_b32 exec_lo, exec_lo, s2
	v_mov_b32_e32 v102, v94
	v_mov_b32_e32 v103, v94
.LBB86_177:
	s_or_b32 exec_lo, exec_lo, s1
.LBB86_178:
	s_andn2_saveexec_b32 s0, s0
	s_cbranch_execz .LBB86_180
; %bb.179:
	v_mov_b32_e32 v103, 10
	ds_write2_b64 v100, v[68:69], v[66:67] offset0:11 offset1:12
	ds_write2_b64 v100, v[64:65], v[62:63] offset0:13 offset1:14
	;; [unrolled: 1-line block ×16, first 2 shown]
	ds_write_b64 v100, v[92:93] offset:344
.LBB86_180:
	s_or_b32 exec_lo, exec_lo, s0
	s_mov_b32 s0, exec_lo
	s_waitcnt lgkmcnt(0)
	s_waitcnt_vscnt null, 0x0
	s_barrier
	buffer_gl0_inv
	v_cmpx_lt_i32_e32 10, v103
	s_cbranch_execz .LBB86_182
; %bb.181:
	v_mul_f64 v[70:71], v[0:1], v[70:71]
	ds_read2_b64 v[104:107], v100 offset0:11 offset1:12
	ds_read2_b64 v[108:111], v100 offset0:13 offset1:14
	;; [unrolled: 1-line block ×13, first 2 shown]
	ds_read_b64 v[0:1], v100 offset:344
	s_waitcnt lgkmcnt(13)
	v_fma_f64 v[68:69], -v[70:71], v[104:105], v[68:69]
	v_fma_f64 v[66:67], -v[70:71], v[106:107], v[66:67]
	s_waitcnt lgkmcnt(12)
	v_fma_f64 v[64:65], -v[70:71], v[108:109], v[64:65]
	v_fma_f64 v[62:63], -v[70:71], v[110:111], v[62:63]
	;; [unrolled: 3-line block ×3, first 2 shown]
	ds_read2_b64 v[104:107], v100 offset0:37 offset1:38
	ds_read2_b64 v[108:111], v100 offset0:39 offset1:40
	;; [unrolled: 1-line block ×3, first 2 shown]
	s_waitcnt lgkmcnt(13)
	v_fma_f64 v[54:55], -v[70:71], v[116:117], v[54:55]
	v_fma_f64 v[56:57], -v[70:71], v[118:119], v[56:57]
	s_waitcnt lgkmcnt(12)
	v_fma_f64 v[52:53], -v[70:71], v[120:121], v[52:53]
	v_fma_f64 v[50:51], -v[70:71], v[122:123], v[50:51]
	;; [unrolled: 3-line block ×13, first 2 shown]
	v_fma_f64 v[92:93], -v[70:71], v[0:1], v[92:93]
.LBB86_182:
	s_or_b32 exec_lo, exec_lo, s0
	v_lshl_add_u32 v0, v103, 3, v100
	s_barrier
	buffer_gl0_inv
	v_mov_b32_e32 v94, 11
	ds_write_b64 v0, v[68:69]
	s_waitcnt lgkmcnt(0)
	s_barrier
	buffer_gl0_inv
	ds_read_b64 v[0:1], v100 offset:88
	s_cmp_lt_i32 s7, 13
	s_cbranch_scc1 .LBB86_185
; %bb.183:
	v_add3_u32 v95, v101, 0, 0x60
	v_mov_b32_e32 v94, 11
	s_mov_b32 s0, 12
.LBB86_184:                             ; =>This Inner Loop Header: Depth=1
	ds_read_b64 v[104:105], v95
	v_add_nc_u32_e32 v95, 8, v95
	s_waitcnt lgkmcnt(0)
	v_cmp_lt_f64_e64 vcc_lo, |v[0:1]|, |v[104:105]|
	v_cndmask_b32_e32 v1, v1, v105, vcc_lo
	v_cndmask_b32_e32 v0, v0, v104, vcc_lo
	v_cndmask_b32_e64 v94, v94, s0, vcc_lo
	s_add_i32 s0, s0, 1
	s_cmp_lg_u32 s7, s0
	s_cbranch_scc1 .LBB86_184
.LBB86_185:
	s_mov_b32 s0, exec_lo
	s_waitcnt lgkmcnt(0)
	v_cmpx_eq_f64_e32 0, v[0:1]
	s_xor_b32 s0, exec_lo, s0
; %bb.186:
	v_cmp_ne_u32_e32 vcc_lo, 0, v97
	v_cndmask_b32_e32 v97, 12, v97, vcc_lo
; %bb.187:
	s_andn2_saveexec_b32 s0, s0
	s_cbranch_execz .LBB86_189
; %bb.188:
	v_div_scale_f64 v[95:96], null, v[0:1], v[0:1], 1.0
	v_rcp_f64_e32 v[104:105], v[95:96]
	v_fma_f64 v[106:107], -v[95:96], v[104:105], 1.0
	v_fma_f64 v[104:105], v[104:105], v[106:107], v[104:105]
	v_fma_f64 v[106:107], -v[95:96], v[104:105], 1.0
	v_fma_f64 v[104:105], v[104:105], v[106:107], v[104:105]
	v_div_scale_f64 v[106:107], vcc_lo, 1.0, v[0:1], 1.0
	v_mul_f64 v[108:109], v[106:107], v[104:105]
	v_fma_f64 v[95:96], -v[95:96], v[108:109], v[106:107]
	v_div_fmas_f64 v[95:96], v[95:96], v[104:105], v[108:109]
	v_div_fixup_f64 v[0:1], v[95:96], v[0:1], 1.0
.LBB86_189:
	s_or_b32 exec_lo, exec_lo, s0
	s_mov_b32 s0, exec_lo
	v_cmpx_ne_u32_e64 v103, v94
	s_xor_b32 s0, exec_lo, s0
	s_cbranch_execz .LBB86_195
; %bb.190:
	s_mov_b32 s1, exec_lo
	v_cmpx_eq_u32_e32 11, v103
	s_cbranch_execz .LBB86_194
; %bb.191:
	v_cmp_ne_u32_e32 vcc_lo, 11, v94
	s_xor_b32 s2, s6, -1
	s_and_b32 s3, s2, vcc_lo
	s_and_saveexec_b32 s2, s3
	s_cbranch_execz .LBB86_193
; %bb.192:
	v_ashrrev_i32_e32 v95, 31, v94
	v_lshlrev_b64 v[95:96], 2, v[94:95]
	v_add_co_u32 v95, vcc_lo, v4, v95
	v_add_co_ci_u32_e64 v96, null, v5, v96, vcc_lo
	s_clause 0x1
	global_load_dword v102, v[95:96], off
	global_load_dword v103, v[4:5], off offset:44
	s_waitcnt vmcnt(1)
	global_store_dword v[4:5], v102, off offset:44
	s_waitcnt vmcnt(0)
	global_store_dword v[95:96], v103, off
.LBB86_193:
	s_or_b32 exec_lo, exec_lo, s2
	v_mov_b32_e32 v102, v94
	v_mov_b32_e32 v103, v94
.LBB86_194:
	s_or_b32 exec_lo, exec_lo, s1
.LBB86_195:
	s_andn2_saveexec_b32 s0, s0
	s_cbranch_execz .LBB86_197
; %bb.196:
	v_mov_b32_e32 v94, v66
	v_mov_b32_e32 v95, v67
	;; [unrolled: 1-line block ×8, first 2 shown]
	ds_write2_b64 v100, v[94:95], v[103:104] offset0:12 offset1:13
	ds_write2_b64 v100, v[105:106], v[107:108] offset0:14 offset1:15
	v_mov_b32_e32 v94, v60
	v_mov_b32_e32 v95, v61
	;; [unrolled: 1-line block ×20, first 2 shown]
	ds_write2_b64 v100, v[94:95], v[103:104] offset0:16 offset1:17
	ds_write2_b64 v100, v[105:106], v[107:108] offset0:18 offset1:19
	;; [unrolled: 1-line block ×5, first 2 shown]
	v_mov_b32_e32 v94, v40
	v_mov_b32_e32 v95, v41
	;; [unrolled: 1-line block ×20, first 2 shown]
	ds_write2_b64 v100, v[94:95], v[103:104] offset0:26 offset1:27
	ds_write2_b64 v100, v[105:106], v[107:108] offset0:28 offset1:29
	;; [unrolled: 1-line block ×5, first 2 shown]
	v_mov_b32_e32 v94, v20
	v_mov_b32_e32 v95, v21
	;; [unrolled: 1-line block ×15, first 2 shown]
	ds_write2_b64 v100, v[94:95], v[104:105] offset0:36 offset1:37
	ds_write2_b64 v100, v[106:107], v[108:109] offset0:38 offset1:39
	;; [unrolled: 1-line block ×4, first 2 shown]
.LBB86_197:
	s_or_b32 exec_lo, exec_lo, s0
	s_mov_b32 s0, exec_lo
	s_waitcnt lgkmcnt(0)
	s_waitcnt_vscnt null, 0x0
	s_barrier
	buffer_gl0_inv
	v_cmpx_lt_i32_e32 11, v103
	s_cbranch_execz .LBB86_199
; %bb.198:
	v_mul_f64 v[68:69], v[0:1], v[68:69]
	ds_read2_b64 v[104:107], v100 offset0:12 offset1:13
	ds_read2_b64 v[108:111], v100 offset0:14 offset1:15
	;; [unrolled: 1-line block ×13, first 2 shown]
	s_waitcnt lgkmcnt(12)
	v_fma_f64 v[66:67], -v[68:69], v[104:105], v[66:67]
	v_fma_f64 v[64:65], -v[68:69], v[106:107], v[64:65]
	s_waitcnt lgkmcnt(11)
	v_fma_f64 v[62:63], -v[68:69], v[108:109], v[62:63]
	v_fma_f64 v[58:59], -v[68:69], v[110:111], v[58:59]
	;; [unrolled: 3-line block ×3, first 2 shown]
	ds_read2_b64 v[104:107], v100 offset0:38 offset1:39
	ds_read2_b64 v[108:111], v100 offset0:40 offset1:41
	;; [unrolled: 1-line block ×3, first 2 shown]
	s_waitcnt lgkmcnt(12)
	v_fma_f64 v[56:57], -v[68:69], v[116:117], v[56:57]
	v_fma_f64 v[52:53], -v[68:69], v[118:119], v[52:53]
	s_waitcnt lgkmcnt(11)
	v_fma_f64 v[50:51], -v[68:69], v[120:121], v[50:51]
	v_fma_f64 v[48:49], -v[68:69], v[122:123], v[48:49]
	;; [unrolled: 3-line block ×13, first 2 shown]
.LBB86_199:
	s_or_b32 exec_lo, exec_lo, s0
	v_lshl_add_u32 v0, v103, 3, v100
	s_barrier
	buffer_gl0_inv
	v_mov_b32_e32 v94, 12
	ds_write_b64 v0, v[66:67]
	s_waitcnt lgkmcnt(0)
	s_barrier
	buffer_gl0_inv
	ds_read_b64 v[0:1], v100 offset:96
	s_cmp_lt_i32 s7, 14
	s_cbranch_scc1 .LBB86_202
; %bb.200:
	v_add3_u32 v95, v101, 0, 0x68
	v_mov_b32_e32 v94, 12
	s_mov_b32 s0, 13
.LBB86_201:                             ; =>This Inner Loop Header: Depth=1
	ds_read_b64 v[104:105], v95
	v_add_nc_u32_e32 v95, 8, v95
	s_waitcnt lgkmcnt(0)
	v_cmp_lt_f64_e64 vcc_lo, |v[0:1]|, |v[104:105]|
	v_cndmask_b32_e32 v1, v1, v105, vcc_lo
	v_cndmask_b32_e32 v0, v0, v104, vcc_lo
	v_cndmask_b32_e64 v94, v94, s0, vcc_lo
	s_add_i32 s0, s0, 1
	s_cmp_lg_u32 s7, s0
	s_cbranch_scc1 .LBB86_201
.LBB86_202:
	s_mov_b32 s0, exec_lo
	s_waitcnt lgkmcnt(0)
	v_cmpx_eq_f64_e32 0, v[0:1]
	s_xor_b32 s0, exec_lo, s0
; %bb.203:
	v_cmp_ne_u32_e32 vcc_lo, 0, v97
	v_cndmask_b32_e32 v97, 13, v97, vcc_lo
; %bb.204:
	s_andn2_saveexec_b32 s0, s0
	s_cbranch_execz .LBB86_206
; %bb.205:
	v_div_scale_f64 v[95:96], null, v[0:1], v[0:1], 1.0
	v_rcp_f64_e32 v[104:105], v[95:96]
	v_fma_f64 v[106:107], -v[95:96], v[104:105], 1.0
	v_fma_f64 v[104:105], v[104:105], v[106:107], v[104:105]
	v_fma_f64 v[106:107], -v[95:96], v[104:105], 1.0
	v_fma_f64 v[104:105], v[104:105], v[106:107], v[104:105]
	v_div_scale_f64 v[106:107], vcc_lo, 1.0, v[0:1], 1.0
	v_mul_f64 v[108:109], v[106:107], v[104:105]
	v_fma_f64 v[95:96], -v[95:96], v[108:109], v[106:107]
	v_div_fmas_f64 v[95:96], v[95:96], v[104:105], v[108:109]
	v_div_fixup_f64 v[0:1], v[95:96], v[0:1], 1.0
.LBB86_206:
	s_or_b32 exec_lo, exec_lo, s0
	s_mov_b32 s0, exec_lo
	v_cmpx_ne_u32_e64 v103, v94
	s_xor_b32 s0, exec_lo, s0
	s_cbranch_execz .LBB86_212
; %bb.207:
	s_mov_b32 s1, exec_lo
	v_cmpx_eq_u32_e32 12, v103
	s_cbranch_execz .LBB86_211
; %bb.208:
	v_cmp_ne_u32_e32 vcc_lo, 12, v94
	s_xor_b32 s2, s6, -1
	s_and_b32 s3, s2, vcc_lo
	s_and_saveexec_b32 s2, s3
	s_cbranch_execz .LBB86_210
; %bb.209:
	v_ashrrev_i32_e32 v95, 31, v94
	v_lshlrev_b64 v[95:96], 2, v[94:95]
	v_add_co_u32 v95, vcc_lo, v4, v95
	v_add_co_ci_u32_e64 v96, null, v5, v96, vcc_lo
	s_clause 0x1
	global_load_dword v102, v[95:96], off
	global_load_dword v103, v[4:5], off offset:48
	s_waitcnt vmcnt(1)
	global_store_dword v[4:5], v102, off offset:48
	s_waitcnt vmcnt(0)
	global_store_dword v[95:96], v103, off
.LBB86_210:
	s_or_b32 exec_lo, exec_lo, s2
	v_mov_b32_e32 v102, v94
	v_mov_b32_e32 v103, v94
.LBB86_211:
	s_or_b32 exec_lo, exec_lo, s1
.LBB86_212:
	s_andn2_saveexec_b32 s0, s0
	s_cbranch_execz .LBB86_214
; %bb.213:
	v_mov_b32_e32 v103, 12
	ds_write2_b64 v100, v[64:65], v[62:63] offset0:13 offset1:14
	ds_write2_b64 v100, v[58:59], v[60:61] offset0:15 offset1:16
	ds_write2_b64 v100, v[54:55], v[56:57] offset0:17 offset1:18
	ds_write2_b64 v100, v[52:53], v[50:51] offset0:19 offset1:20
	ds_write2_b64 v100, v[48:49], v[46:47] offset0:21 offset1:22
	ds_write2_b64 v100, v[44:45], v[42:43] offset0:23 offset1:24
	ds_write2_b64 v100, v[38:39], v[40:41] offset0:25 offset1:26
	ds_write2_b64 v100, v[34:35], v[36:37] offset0:27 offset1:28
	ds_write2_b64 v100, v[32:33], v[30:31] offset0:29 offset1:30
	ds_write2_b64 v100, v[28:29], v[26:27] offset0:31 offset1:32
	ds_write2_b64 v100, v[24:25], v[22:23] offset0:33 offset1:34
	ds_write2_b64 v100, v[18:19], v[20:21] offset0:35 offset1:36
	ds_write2_b64 v100, v[16:17], v[14:15] offset0:37 offset1:38
	ds_write2_b64 v100, v[8:9], v[12:13] offset0:39 offset1:40
	ds_write2_b64 v100, v[6:7], v[10:11] offset0:41 offset1:42
	ds_write_b64 v100, v[92:93] offset:344
.LBB86_214:
	s_or_b32 exec_lo, exec_lo, s0
	s_mov_b32 s0, exec_lo
	s_waitcnt lgkmcnt(0)
	s_waitcnt_vscnt null, 0x0
	s_barrier
	buffer_gl0_inv
	v_cmpx_lt_i32_e32 12, v103
	s_cbranch_execz .LBB86_216
; %bb.215:
	v_mul_f64 v[66:67], v[0:1], v[66:67]
	ds_read2_b64 v[104:107], v100 offset0:13 offset1:14
	ds_read2_b64 v[108:111], v100 offset0:15 offset1:16
	ds_read2_b64 v[112:115], v100 offset0:17 offset1:18
	ds_read2_b64 v[116:119], v100 offset0:19 offset1:20
	ds_read2_b64 v[120:123], v100 offset0:21 offset1:22
	ds_read2_b64 v[124:127], v100 offset0:23 offset1:24
	ds_read2_b64 v[128:131], v100 offset0:25 offset1:26
	ds_read2_b64 v[132:135], v100 offset0:27 offset1:28
	ds_read2_b64 v[136:139], v100 offset0:29 offset1:30
	ds_read2_b64 v[140:143], v100 offset0:31 offset1:32
	ds_read2_b64 v[144:147], v100 offset0:33 offset1:34
	ds_read2_b64 v[148:151], v100 offset0:35 offset1:36
	ds_read2_b64 v[152:155], v100 offset0:37 offset1:38
	ds_read_b64 v[0:1], v100 offset:344
	s_waitcnt lgkmcnt(13)
	v_fma_f64 v[64:65], -v[66:67], v[104:105], v[64:65]
	v_fma_f64 v[62:63], -v[66:67], v[106:107], v[62:63]
	s_waitcnt lgkmcnt(12)
	v_fma_f64 v[58:59], -v[66:67], v[108:109], v[58:59]
	v_fma_f64 v[60:61], -v[66:67], v[110:111], v[60:61]
	ds_read2_b64 v[104:107], v100 offset0:39 offset1:40
	ds_read2_b64 v[108:111], v100 offset0:41 offset1:42
	s_waitcnt lgkmcnt(13)
	v_fma_f64 v[54:55], -v[66:67], v[112:113], v[54:55]
	v_fma_f64 v[56:57], -v[66:67], v[114:115], v[56:57]
	s_waitcnt lgkmcnt(12)
	v_fma_f64 v[52:53], -v[66:67], v[116:117], v[52:53]
	v_fma_f64 v[50:51], -v[66:67], v[118:119], v[50:51]
	;; [unrolled: 3-line block ×13, first 2 shown]
	v_fma_f64 v[92:93], -v[66:67], v[0:1], v[92:93]
.LBB86_216:
	s_or_b32 exec_lo, exec_lo, s0
	v_lshl_add_u32 v0, v103, 3, v100
	s_barrier
	buffer_gl0_inv
	v_mov_b32_e32 v94, 13
	ds_write_b64 v0, v[64:65]
	s_waitcnt lgkmcnt(0)
	s_barrier
	buffer_gl0_inv
	ds_read_b64 v[0:1], v100 offset:104
	s_cmp_lt_i32 s7, 15
	s_cbranch_scc1 .LBB86_219
; %bb.217:
	v_add3_u32 v95, v101, 0, 0x70
	v_mov_b32_e32 v94, 13
	s_mov_b32 s0, 14
.LBB86_218:                             ; =>This Inner Loop Header: Depth=1
	ds_read_b64 v[104:105], v95
	v_add_nc_u32_e32 v95, 8, v95
	s_waitcnt lgkmcnt(0)
	v_cmp_lt_f64_e64 vcc_lo, |v[0:1]|, |v[104:105]|
	v_cndmask_b32_e32 v1, v1, v105, vcc_lo
	v_cndmask_b32_e32 v0, v0, v104, vcc_lo
	v_cndmask_b32_e64 v94, v94, s0, vcc_lo
	s_add_i32 s0, s0, 1
	s_cmp_lg_u32 s7, s0
	s_cbranch_scc1 .LBB86_218
.LBB86_219:
	s_mov_b32 s0, exec_lo
	s_waitcnt lgkmcnt(0)
	v_cmpx_eq_f64_e32 0, v[0:1]
	s_xor_b32 s0, exec_lo, s0
; %bb.220:
	v_cmp_ne_u32_e32 vcc_lo, 0, v97
	v_cndmask_b32_e32 v97, 14, v97, vcc_lo
; %bb.221:
	s_andn2_saveexec_b32 s0, s0
	s_cbranch_execz .LBB86_223
; %bb.222:
	v_div_scale_f64 v[95:96], null, v[0:1], v[0:1], 1.0
	v_rcp_f64_e32 v[104:105], v[95:96]
	v_fma_f64 v[106:107], -v[95:96], v[104:105], 1.0
	v_fma_f64 v[104:105], v[104:105], v[106:107], v[104:105]
	v_fma_f64 v[106:107], -v[95:96], v[104:105], 1.0
	v_fma_f64 v[104:105], v[104:105], v[106:107], v[104:105]
	v_div_scale_f64 v[106:107], vcc_lo, 1.0, v[0:1], 1.0
	v_mul_f64 v[108:109], v[106:107], v[104:105]
	v_fma_f64 v[95:96], -v[95:96], v[108:109], v[106:107]
	v_div_fmas_f64 v[95:96], v[95:96], v[104:105], v[108:109]
	v_div_fixup_f64 v[0:1], v[95:96], v[0:1], 1.0
.LBB86_223:
	s_or_b32 exec_lo, exec_lo, s0
	s_mov_b32 s0, exec_lo
	v_cmpx_ne_u32_e64 v103, v94
	s_xor_b32 s0, exec_lo, s0
	s_cbranch_execz .LBB86_229
; %bb.224:
	s_mov_b32 s1, exec_lo
	v_cmpx_eq_u32_e32 13, v103
	s_cbranch_execz .LBB86_228
; %bb.225:
	v_cmp_ne_u32_e32 vcc_lo, 13, v94
	s_xor_b32 s2, s6, -1
	s_and_b32 s3, s2, vcc_lo
	s_and_saveexec_b32 s2, s3
	s_cbranch_execz .LBB86_227
; %bb.226:
	v_ashrrev_i32_e32 v95, 31, v94
	v_lshlrev_b64 v[95:96], 2, v[94:95]
	v_add_co_u32 v95, vcc_lo, v4, v95
	v_add_co_ci_u32_e64 v96, null, v5, v96, vcc_lo
	s_clause 0x1
	global_load_dword v102, v[95:96], off
	global_load_dword v103, v[4:5], off offset:52
	s_waitcnt vmcnt(1)
	global_store_dword v[4:5], v102, off offset:52
	s_waitcnt vmcnt(0)
	global_store_dword v[95:96], v103, off
.LBB86_227:
	s_or_b32 exec_lo, exec_lo, s2
	v_mov_b32_e32 v102, v94
	v_mov_b32_e32 v103, v94
.LBB86_228:
	s_or_b32 exec_lo, exec_lo, s1
.LBB86_229:
	s_andn2_saveexec_b32 s0, s0
	s_cbranch_execz .LBB86_231
; %bb.230:
	v_mov_b32_e32 v94, v62
	v_mov_b32_e32 v95, v63
	;; [unrolled: 1-line block ×8, first 2 shown]
	ds_write2_b64 v100, v[94:95], v[103:104] offset0:14 offset1:15
	v_mov_b32_e32 v94, v54
	v_mov_b32_e32 v95, v55
	;; [unrolled: 1-line block ×16, first 2 shown]
	ds_write2_b64 v100, v[105:106], v[94:95] offset0:16 offset1:17
	ds_write2_b64 v100, v[103:104], v[107:108] offset0:18 offset1:19
	;; [unrolled: 1-line block ×5, first 2 shown]
	v_mov_b32_e32 v94, v40
	v_mov_b32_e32 v95, v41
	;; [unrolled: 1-line block ×20, first 2 shown]
	ds_write2_b64 v100, v[94:95], v[103:104] offset0:26 offset1:27
	ds_write2_b64 v100, v[105:106], v[107:108] offset0:28 offset1:29
	;; [unrolled: 1-line block ×5, first 2 shown]
	v_mov_b32_e32 v94, v20
	v_mov_b32_e32 v95, v21
	;; [unrolled: 1-line block ×15, first 2 shown]
	ds_write2_b64 v100, v[94:95], v[104:105] offset0:36 offset1:37
	ds_write2_b64 v100, v[106:107], v[108:109] offset0:38 offset1:39
	ds_write2_b64 v100, v[110:111], v[112:113] offset0:40 offset1:41
	ds_write2_b64 v100, v[114:115], v[92:93] offset0:42 offset1:43
.LBB86_231:
	s_or_b32 exec_lo, exec_lo, s0
	s_mov_b32 s0, exec_lo
	s_waitcnt lgkmcnt(0)
	s_waitcnt_vscnt null, 0x0
	s_barrier
	buffer_gl0_inv
	v_cmpx_lt_i32_e32 13, v103
	s_cbranch_execz .LBB86_233
; %bb.232:
	v_mul_f64 v[64:65], v[0:1], v[64:65]
	ds_read2_b64 v[104:107], v100 offset0:14 offset1:15
	ds_read2_b64 v[108:111], v100 offset0:16 offset1:17
	;; [unrolled: 1-line block ×14, first 2 shown]
	s_waitcnt lgkmcnt(13)
	v_fma_f64 v[62:63], -v[64:65], v[104:105], v[62:63]
	v_fma_f64 v[58:59], -v[64:65], v[106:107], v[58:59]
	ds_read2_b64 v[104:107], v100 offset0:42 offset1:43
	s_waitcnt lgkmcnt(13)
	v_fma_f64 v[60:61], -v[64:65], v[108:109], v[60:61]
	v_fma_f64 v[54:55], -v[64:65], v[110:111], v[54:55]
	s_waitcnt lgkmcnt(12)
	v_fma_f64 v[56:57], -v[64:65], v[112:113], v[56:57]
	v_fma_f64 v[52:53], -v[64:65], v[114:115], v[52:53]
	s_waitcnt lgkmcnt(11)
	v_fma_f64 v[50:51], -v[64:65], v[116:117], v[50:51]
	v_fma_f64 v[48:49], -v[64:65], v[118:119], v[48:49]
	s_waitcnt lgkmcnt(10)
	v_fma_f64 v[46:47], -v[64:65], v[120:121], v[46:47]
	v_fma_f64 v[44:45], -v[64:65], v[122:123], v[44:45]
	s_waitcnt lgkmcnt(9)
	v_fma_f64 v[42:43], -v[64:65], v[124:125], v[42:43]
	v_fma_f64 v[38:39], -v[64:65], v[126:127], v[38:39]
	s_waitcnt lgkmcnt(8)
	v_fma_f64 v[40:41], -v[64:65], v[128:129], v[40:41]
	v_fma_f64 v[34:35], -v[64:65], v[130:131], v[34:35]
	s_waitcnt lgkmcnt(7)
	v_fma_f64 v[36:37], -v[64:65], v[132:133], v[36:37]
	v_fma_f64 v[32:33], -v[64:65], v[134:135], v[32:33]
	s_waitcnt lgkmcnt(6)
	v_fma_f64 v[30:31], -v[64:65], v[136:137], v[30:31]
	v_fma_f64 v[28:29], -v[64:65], v[138:139], v[28:29]
	s_waitcnt lgkmcnt(5)
	v_fma_f64 v[26:27], -v[64:65], v[140:141], v[26:27]
	v_fma_f64 v[24:25], -v[64:65], v[142:143], v[24:25]
	s_waitcnt lgkmcnt(4)
	v_fma_f64 v[22:23], -v[64:65], v[144:145], v[22:23]
	v_fma_f64 v[18:19], -v[64:65], v[146:147], v[18:19]
	s_waitcnt lgkmcnt(3)
	v_fma_f64 v[20:21], -v[64:65], v[148:149], v[20:21]
	v_fma_f64 v[16:17], -v[64:65], v[150:151], v[16:17]
	s_waitcnt lgkmcnt(2)
	v_fma_f64 v[14:15], -v[64:65], v[152:153], v[14:15]
	v_fma_f64 v[8:9], -v[64:65], v[154:155], v[8:9]
	s_waitcnt lgkmcnt(1)
	v_fma_f64 v[12:13], -v[64:65], v[156:157], v[12:13]
	v_fma_f64 v[6:7], -v[64:65], v[158:159], v[6:7]
	s_waitcnt lgkmcnt(0)
	v_fma_f64 v[10:11], -v[64:65], v[104:105], v[10:11]
	v_fma_f64 v[92:93], -v[64:65], v[106:107], v[92:93]
.LBB86_233:
	s_or_b32 exec_lo, exec_lo, s0
	v_lshl_add_u32 v0, v103, 3, v100
	s_barrier
	buffer_gl0_inv
	v_mov_b32_e32 v94, 14
	ds_write_b64 v0, v[62:63]
	s_waitcnt lgkmcnt(0)
	s_barrier
	buffer_gl0_inv
	ds_read_b64 v[0:1], v100 offset:112
	s_cmp_lt_i32 s7, 16
	s_cbranch_scc1 .LBB86_236
; %bb.234:
	v_add3_u32 v95, v101, 0, 0x78
	v_mov_b32_e32 v94, 14
	s_mov_b32 s0, 15
.LBB86_235:                             ; =>This Inner Loop Header: Depth=1
	ds_read_b64 v[104:105], v95
	v_add_nc_u32_e32 v95, 8, v95
	s_waitcnt lgkmcnt(0)
	v_cmp_lt_f64_e64 vcc_lo, |v[0:1]|, |v[104:105]|
	v_cndmask_b32_e32 v1, v1, v105, vcc_lo
	v_cndmask_b32_e32 v0, v0, v104, vcc_lo
	v_cndmask_b32_e64 v94, v94, s0, vcc_lo
	s_add_i32 s0, s0, 1
	s_cmp_lg_u32 s7, s0
	s_cbranch_scc1 .LBB86_235
.LBB86_236:
	s_mov_b32 s0, exec_lo
	s_waitcnt lgkmcnt(0)
	v_cmpx_eq_f64_e32 0, v[0:1]
	s_xor_b32 s0, exec_lo, s0
; %bb.237:
	v_cmp_ne_u32_e32 vcc_lo, 0, v97
	v_cndmask_b32_e32 v97, 15, v97, vcc_lo
; %bb.238:
	s_andn2_saveexec_b32 s0, s0
	s_cbranch_execz .LBB86_240
; %bb.239:
	v_div_scale_f64 v[95:96], null, v[0:1], v[0:1], 1.0
	v_rcp_f64_e32 v[104:105], v[95:96]
	v_fma_f64 v[106:107], -v[95:96], v[104:105], 1.0
	v_fma_f64 v[104:105], v[104:105], v[106:107], v[104:105]
	v_fma_f64 v[106:107], -v[95:96], v[104:105], 1.0
	v_fma_f64 v[104:105], v[104:105], v[106:107], v[104:105]
	v_div_scale_f64 v[106:107], vcc_lo, 1.0, v[0:1], 1.0
	v_mul_f64 v[108:109], v[106:107], v[104:105]
	v_fma_f64 v[95:96], -v[95:96], v[108:109], v[106:107]
	v_div_fmas_f64 v[95:96], v[95:96], v[104:105], v[108:109]
	v_div_fixup_f64 v[0:1], v[95:96], v[0:1], 1.0
.LBB86_240:
	s_or_b32 exec_lo, exec_lo, s0
	s_mov_b32 s0, exec_lo
	v_cmpx_ne_u32_e64 v103, v94
	s_xor_b32 s0, exec_lo, s0
	s_cbranch_execz .LBB86_246
; %bb.241:
	s_mov_b32 s1, exec_lo
	v_cmpx_eq_u32_e32 14, v103
	s_cbranch_execz .LBB86_245
; %bb.242:
	v_cmp_ne_u32_e32 vcc_lo, 14, v94
	s_xor_b32 s2, s6, -1
	s_and_b32 s3, s2, vcc_lo
	s_and_saveexec_b32 s2, s3
	s_cbranch_execz .LBB86_244
; %bb.243:
	v_ashrrev_i32_e32 v95, 31, v94
	v_lshlrev_b64 v[95:96], 2, v[94:95]
	v_add_co_u32 v95, vcc_lo, v4, v95
	v_add_co_ci_u32_e64 v96, null, v5, v96, vcc_lo
	s_clause 0x1
	global_load_dword v102, v[95:96], off
	global_load_dword v103, v[4:5], off offset:56
	s_waitcnt vmcnt(1)
	global_store_dword v[4:5], v102, off offset:56
	s_waitcnt vmcnt(0)
	global_store_dword v[95:96], v103, off
.LBB86_244:
	s_or_b32 exec_lo, exec_lo, s2
	v_mov_b32_e32 v102, v94
	v_mov_b32_e32 v103, v94
.LBB86_245:
	s_or_b32 exec_lo, exec_lo, s1
.LBB86_246:
	s_andn2_saveexec_b32 s0, s0
	s_cbranch_execz .LBB86_248
; %bb.247:
	v_mov_b32_e32 v103, 14
	ds_write2_b64 v100, v[58:59], v[60:61] offset0:15 offset1:16
	ds_write2_b64 v100, v[54:55], v[56:57] offset0:17 offset1:18
	;; [unrolled: 1-line block ×14, first 2 shown]
	ds_write_b64 v100, v[92:93] offset:344
.LBB86_248:
	s_or_b32 exec_lo, exec_lo, s0
	s_mov_b32 s0, exec_lo
	s_waitcnt lgkmcnt(0)
	s_waitcnt_vscnt null, 0x0
	s_barrier
	buffer_gl0_inv
	v_cmpx_lt_i32_e32 14, v103
	s_cbranch_execz .LBB86_250
; %bb.249:
	v_mul_f64 v[62:63], v[0:1], v[62:63]
	ds_read2_b64 v[104:107], v100 offset0:15 offset1:16
	ds_read2_b64 v[108:111], v100 offset0:17 offset1:18
	;; [unrolled: 1-line block ×14, first 2 shown]
	ds_read_b64 v[0:1], v100 offset:344
	s_waitcnt lgkmcnt(14)
	v_fma_f64 v[58:59], -v[62:63], v[104:105], v[58:59]
	v_fma_f64 v[60:61], -v[62:63], v[106:107], v[60:61]
	s_waitcnt lgkmcnt(13)
	v_fma_f64 v[54:55], -v[62:63], v[108:109], v[54:55]
	v_fma_f64 v[56:57], -v[62:63], v[110:111], v[56:57]
	;; [unrolled: 3-line block ×14, first 2 shown]
	s_waitcnt lgkmcnt(0)
	v_fma_f64 v[92:93], -v[62:63], v[0:1], v[92:93]
.LBB86_250:
	s_or_b32 exec_lo, exec_lo, s0
	v_lshl_add_u32 v0, v103, 3, v100
	s_barrier
	buffer_gl0_inv
	v_mov_b32_e32 v94, 15
	ds_write_b64 v0, v[58:59]
	s_waitcnt lgkmcnt(0)
	s_barrier
	buffer_gl0_inv
	ds_read_b64 v[0:1], v100 offset:120
	s_cmp_lt_i32 s7, 17
	s_cbranch_scc1 .LBB86_253
; %bb.251:
	v_add3_u32 v95, v101, 0, 0x80
	v_mov_b32_e32 v94, 15
	s_mov_b32 s0, 16
.LBB86_252:                             ; =>This Inner Loop Header: Depth=1
	ds_read_b64 v[104:105], v95
	v_add_nc_u32_e32 v95, 8, v95
	s_waitcnt lgkmcnt(0)
	v_cmp_lt_f64_e64 vcc_lo, |v[0:1]|, |v[104:105]|
	v_cndmask_b32_e32 v1, v1, v105, vcc_lo
	v_cndmask_b32_e32 v0, v0, v104, vcc_lo
	v_cndmask_b32_e64 v94, v94, s0, vcc_lo
	s_add_i32 s0, s0, 1
	s_cmp_lg_u32 s7, s0
	s_cbranch_scc1 .LBB86_252
.LBB86_253:
	s_mov_b32 s0, exec_lo
	s_waitcnt lgkmcnt(0)
	v_cmpx_eq_f64_e32 0, v[0:1]
	s_xor_b32 s0, exec_lo, s0
; %bb.254:
	v_cmp_ne_u32_e32 vcc_lo, 0, v97
	v_cndmask_b32_e32 v97, 16, v97, vcc_lo
; %bb.255:
	s_andn2_saveexec_b32 s0, s0
	s_cbranch_execz .LBB86_257
; %bb.256:
	v_div_scale_f64 v[95:96], null, v[0:1], v[0:1], 1.0
	v_rcp_f64_e32 v[104:105], v[95:96]
	v_fma_f64 v[106:107], -v[95:96], v[104:105], 1.0
	v_fma_f64 v[104:105], v[104:105], v[106:107], v[104:105]
	v_fma_f64 v[106:107], -v[95:96], v[104:105], 1.0
	v_fma_f64 v[104:105], v[104:105], v[106:107], v[104:105]
	v_div_scale_f64 v[106:107], vcc_lo, 1.0, v[0:1], 1.0
	v_mul_f64 v[108:109], v[106:107], v[104:105]
	v_fma_f64 v[95:96], -v[95:96], v[108:109], v[106:107]
	v_div_fmas_f64 v[95:96], v[95:96], v[104:105], v[108:109]
	v_div_fixup_f64 v[0:1], v[95:96], v[0:1], 1.0
.LBB86_257:
	s_or_b32 exec_lo, exec_lo, s0
	s_mov_b32 s0, exec_lo
	v_cmpx_ne_u32_e64 v103, v94
	s_xor_b32 s0, exec_lo, s0
	s_cbranch_execz .LBB86_263
; %bb.258:
	s_mov_b32 s1, exec_lo
	v_cmpx_eq_u32_e32 15, v103
	s_cbranch_execz .LBB86_262
; %bb.259:
	v_cmp_ne_u32_e32 vcc_lo, 15, v94
	s_xor_b32 s2, s6, -1
	s_and_b32 s3, s2, vcc_lo
	s_and_saveexec_b32 s2, s3
	s_cbranch_execz .LBB86_261
; %bb.260:
	v_ashrrev_i32_e32 v95, 31, v94
	v_lshlrev_b64 v[95:96], 2, v[94:95]
	v_add_co_u32 v95, vcc_lo, v4, v95
	v_add_co_ci_u32_e64 v96, null, v5, v96, vcc_lo
	s_clause 0x1
	global_load_dword v102, v[95:96], off
	global_load_dword v103, v[4:5], off offset:60
	s_waitcnt vmcnt(1)
	global_store_dword v[4:5], v102, off offset:60
	s_waitcnt vmcnt(0)
	global_store_dword v[95:96], v103, off
.LBB86_261:
	s_or_b32 exec_lo, exec_lo, s2
	v_mov_b32_e32 v102, v94
	v_mov_b32_e32 v103, v94
.LBB86_262:
	s_or_b32 exec_lo, exec_lo, s1
.LBB86_263:
	s_andn2_saveexec_b32 s0, s0
	s_cbranch_execz .LBB86_265
; %bb.264:
	v_mov_b32_e32 v94, v60
	v_mov_b32_e32 v95, v61
	;; [unrolled: 1-line block ×20, first 2 shown]
	ds_write2_b64 v100, v[94:95], v[103:104] offset0:16 offset1:17
	ds_write2_b64 v100, v[105:106], v[107:108] offset0:18 offset1:19
	;; [unrolled: 1-line block ×5, first 2 shown]
	v_mov_b32_e32 v94, v40
	v_mov_b32_e32 v95, v41
	;; [unrolled: 1-line block ×20, first 2 shown]
	ds_write2_b64 v100, v[94:95], v[103:104] offset0:26 offset1:27
	ds_write2_b64 v100, v[105:106], v[107:108] offset0:28 offset1:29
	;; [unrolled: 1-line block ×5, first 2 shown]
	v_mov_b32_e32 v94, v20
	v_mov_b32_e32 v95, v21
	;; [unrolled: 1-line block ×15, first 2 shown]
	ds_write2_b64 v100, v[94:95], v[104:105] offset0:36 offset1:37
	ds_write2_b64 v100, v[106:107], v[108:109] offset0:38 offset1:39
	;; [unrolled: 1-line block ×4, first 2 shown]
.LBB86_265:
	s_or_b32 exec_lo, exec_lo, s0
	s_mov_b32 s0, exec_lo
	s_waitcnt lgkmcnt(0)
	s_waitcnt_vscnt null, 0x0
	s_barrier
	buffer_gl0_inv
	v_cmpx_lt_i32_e32 15, v103
	s_cbranch_execz .LBB86_267
; %bb.266:
	v_mul_f64 v[58:59], v[0:1], v[58:59]
	ds_read2_b64 v[104:107], v100 offset0:16 offset1:17
	ds_read2_b64 v[108:111], v100 offset0:18 offset1:19
	;; [unrolled: 1-line block ×14, first 2 shown]
	s_waitcnt lgkmcnt(13)
	v_fma_f64 v[60:61], -v[58:59], v[104:105], v[60:61]
	v_fma_f64 v[54:55], -v[58:59], v[106:107], v[54:55]
	s_waitcnt lgkmcnt(12)
	v_fma_f64 v[56:57], -v[58:59], v[108:109], v[56:57]
	v_fma_f64 v[52:53], -v[58:59], v[110:111], v[52:53]
	;; [unrolled: 3-line block ×14, first 2 shown]
.LBB86_267:
	s_or_b32 exec_lo, exec_lo, s0
	v_lshl_add_u32 v0, v103, 3, v100
	s_barrier
	buffer_gl0_inv
	v_mov_b32_e32 v94, 16
	ds_write_b64 v0, v[60:61]
	s_waitcnt lgkmcnt(0)
	s_barrier
	buffer_gl0_inv
	ds_read_b64 v[0:1], v100 offset:128
	s_cmp_lt_i32 s7, 18
	s_cbranch_scc1 .LBB86_270
; %bb.268:
	v_add3_u32 v95, v101, 0, 0x88
	v_mov_b32_e32 v94, 16
	s_mov_b32 s0, 17
.LBB86_269:                             ; =>This Inner Loop Header: Depth=1
	ds_read_b64 v[104:105], v95
	v_add_nc_u32_e32 v95, 8, v95
	s_waitcnt lgkmcnt(0)
	v_cmp_lt_f64_e64 vcc_lo, |v[0:1]|, |v[104:105]|
	v_cndmask_b32_e32 v1, v1, v105, vcc_lo
	v_cndmask_b32_e32 v0, v0, v104, vcc_lo
	v_cndmask_b32_e64 v94, v94, s0, vcc_lo
	s_add_i32 s0, s0, 1
	s_cmp_lg_u32 s7, s0
	s_cbranch_scc1 .LBB86_269
.LBB86_270:
	s_mov_b32 s0, exec_lo
	s_waitcnt lgkmcnt(0)
	v_cmpx_eq_f64_e32 0, v[0:1]
	s_xor_b32 s0, exec_lo, s0
; %bb.271:
	v_cmp_ne_u32_e32 vcc_lo, 0, v97
	v_cndmask_b32_e32 v97, 17, v97, vcc_lo
; %bb.272:
	s_andn2_saveexec_b32 s0, s0
	s_cbranch_execz .LBB86_274
; %bb.273:
	v_div_scale_f64 v[95:96], null, v[0:1], v[0:1], 1.0
	v_rcp_f64_e32 v[104:105], v[95:96]
	v_fma_f64 v[106:107], -v[95:96], v[104:105], 1.0
	v_fma_f64 v[104:105], v[104:105], v[106:107], v[104:105]
	v_fma_f64 v[106:107], -v[95:96], v[104:105], 1.0
	v_fma_f64 v[104:105], v[104:105], v[106:107], v[104:105]
	v_div_scale_f64 v[106:107], vcc_lo, 1.0, v[0:1], 1.0
	v_mul_f64 v[108:109], v[106:107], v[104:105]
	v_fma_f64 v[95:96], -v[95:96], v[108:109], v[106:107]
	v_div_fmas_f64 v[95:96], v[95:96], v[104:105], v[108:109]
	v_div_fixup_f64 v[0:1], v[95:96], v[0:1], 1.0
.LBB86_274:
	s_or_b32 exec_lo, exec_lo, s0
	s_mov_b32 s0, exec_lo
	v_cmpx_ne_u32_e64 v103, v94
	s_xor_b32 s0, exec_lo, s0
	s_cbranch_execz .LBB86_280
; %bb.275:
	s_mov_b32 s1, exec_lo
	v_cmpx_eq_u32_e32 16, v103
	s_cbranch_execz .LBB86_279
; %bb.276:
	v_cmp_ne_u32_e32 vcc_lo, 16, v94
	s_xor_b32 s2, s6, -1
	s_and_b32 s3, s2, vcc_lo
	s_and_saveexec_b32 s2, s3
	s_cbranch_execz .LBB86_278
; %bb.277:
	v_ashrrev_i32_e32 v95, 31, v94
	v_lshlrev_b64 v[95:96], 2, v[94:95]
	v_add_co_u32 v95, vcc_lo, v4, v95
	v_add_co_ci_u32_e64 v96, null, v5, v96, vcc_lo
	s_clause 0x1
	global_load_dword v102, v[95:96], off
	global_load_dword v103, v[4:5], off offset:64
	s_waitcnt vmcnt(1)
	global_store_dword v[4:5], v102, off offset:64
	s_waitcnt vmcnt(0)
	global_store_dword v[95:96], v103, off
.LBB86_278:
	s_or_b32 exec_lo, exec_lo, s2
	v_mov_b32_e32 v102, v94
	v_mov_b32_e32 v103, v94
.LBB86_279:
	s_or_b32 exec_lo, exec_lo, s1
.LBB86_280:
	s_andn2_saveexec_b32 s0, s0
	s_cbranch_execz .LBB86_282
; %bb.281:
	v_mov_b32_e32 v103, 16
	ds_write2_b64 v100, v[54:55], v[56:57] offset0:17 offset1:18
	ds_write2_b64 v100, v[52:53], v[50:51] offset0:19 offset1:20
	;; [unrolled: 1-line block ×13, first 2 shown]
	ds_write_b64 v100, v[92:93] offset:344
.LBB86_282:
	s_or_b32 exec_lo, exec_lo, s0
	s_mov_b32 s0, exec_lo
	s_waitcnt lgkmcnt(0)
	s_waitcnt_vscnt null, 0x0
	s_barrier
	buffer_gl0_inv
	v_cmpx_lt_i32_e32 16, v103
	s_cbranch_execz .LBB86_284
; %bb.283:
	v_mul_f64 v[60:61], v[0:1], v[60:61]
	ds_read2_b64 v[104:107], v100 offset0:17 offset1:18
	ds_read2_b64 v[108:111], v100 offset0:19 offset1:20
	;; [unrolled: 1-line block ×13, first 2 shown]
	ds_read_b64 v[0:1], v100 offset:344
	s_waitcnt lgkmcnt(13)
	v_fma_f64 v[54:55], -v[60:61], v[104:105], v[54:55]
	v_fma_f64 v[56:57], -v[60:61], v[106:107], v[56:57]
	s_waitcnt lgkmcnt(12)
	v_fma_f64 v[52:53], -v[60:61], v[108:109], v[52:53]
	v_fma_f64 v[50:51], -v[60:61], v[110:111], v[50:51]
	;; [unrolled: 3-line block ×13, first 2 shown]
	s_waitcnt lgkmcnt(0)
	v_fma_f64 v[92:93], -v[60:61], v[0:1], v[92:93]
.LBB86_284:
	s_or_b32 exec_lo, exec_lo, s0
	v_lshl_add_u32 v0, v103, 3, v100
	s_barrier
	buffer_gl0_inv
	v_mov_b32_e32 v94, 17
	ds_write_b64 v0, v[54:55]
	s_waitcnt lgkmcnt(0)
	s_barrier
	buffer_gl0_inv
	ds_read_b64 v[0:1], v100 offset:136
	s_cmp_lt_i32 s7, 19
	s_cbranch_scc1 .LBB86_287
; %bb.285:
	v_add3_u32 v95, v101, 0, 0x90
	v_mov_b32_e32 v94, 17
	s_mov_b32 s0, 18
.LBB86_286:                             ; =>This Inner Loop Header: Depth=1
	ds_read_b64 v[104:105], v95
	v_add_nc_u32_e32 v95, 8, v95
	s_waitcnt lgkmcnt(0)
	v_cmp_lt_f64_e64 vcc_lo, |v[0:1]|, |v[104:105]|
	v_cndmask_b32_e32 v1, v1, v105, vcc_lo
	v_cndmask_b32_e32 v0, v0, v104, vcc_lo
	v_cndmask_b32_e64 v94, v94, s0, vcc_lo
	s_add_i32 s0, s0, 1
	s_cmp_lg_u32 s7, s0
	s_cbranch_scc1 .LBB86_286
.LBB86_287:
	s_mov_b32 s0, exec_lo
	s_waitcnt lgkmcnt(0)
	v_cmpx_eq_f64_e32 0, v[0:1]
	s_xor_b32 s0, exec_lo, s0
; %bb.288:
	v_cmp_ne_u32_e32 vcc_lo, 0, v97
	v_cndmask_b32_e32 v97, 18, v97, vcc_lo
; %bb.289:
	s_andn2_saveexec_b32 s0, s0
	s_cbranch_execz .LBB86_291
; %bb.290:
	v_div_scale_f64 v[95:96], null, v[0:1], v[0:1], 1.0
	v_rcp_f64_e32 v[104:105], v[95:96]
	v_fma_f64 v[106:107], -v[95:96], v[104:105], 1.0
	v_fma_f64 v[104:105], v[104:105], v[106:107], v[104:105]
	v_fma_f64 v[106:107], -v[95:96], v[104:105], 1.0
	v_fma_f64 v[104:105], v[104:105], v[106:107], v[104:105]
	v_div_scale_f64 v[106:107], vcc_lo, 1.0, v[0:1], 1.0
	v_mul_f64 v[108:109], v[106:107], v[104:105]
	v_fma_f64 v[95:96], -v[95:96], v[108:109], v[106:107]
	v_div_fmas_f64 v[95:96], v[95:96], v[104:105], v[108:109]
	v_div_fixup_f64 v[0:1], v[95:96], v[0:1], 1.0
.LBB86_291:
	s_or_b32 exec_lo, exec_lo, s0
	s_mov_b32 s0, exec_lo
	v_cmpx_ne_u32_e64 v103, v94
	s_xor_b32 s0, exec_lo, s0
	s_cbranch_execz .LBB86_297
; %bb.292:
	s_mov_b32 s1, exec_lo
	v_cmpx_eq_u32_e32 17, v103
	s_cbranch_execz .LBB86_296
; %bb.293:
	v_cmp_ne_u32_e32 vcc_lo, 17, v94
	s_xor_b32 s2, s6, -1
	s_and_b32 s3, s2, vcc_lo
	s_and_saveexec_b32 s2, s3
	s_cbranch_execz .LBB86_295
; %bb.294:
	v_ashrrev_i32_e32 v95, 31, v94
	v_lshlrev_b64 v[95:96], 2, v[94:95]
	v_add_co_u32 v95, vcc_lo, v4, v95
	v_add_co_ci_u32_e64 v96, null, v5, v96, vcc_lo
	s_clause 0x1
	global_load_dword v102, v[95:96], off
	global_load_dword v103, v[4:5], off offset:68
	s_waitcnt vmcnt(1)
	global_store_dword v[4:5], v102, off offset:68
	s_waitcnt vmcnt(0)
	global_store_dword v[95:96], v103, off
.LBB86_295:
	s_or_b32 exec_lo, exec_lo, s2
	v_mov_b32_e32 v102, v94
	v_mov_b32_e32 v103, v94
.LBB86_296:
	s_or_b32 exec_lo, exec_lo, s1
.LBB86_297:
	s_andn2_saveexec_b32 s0, s0
	s_cbranch_execz .LBB86_299
; %bb.298:
	v_mov_b32_e32 v94, v56
	v_mov_b32_e32 v95, v57
	;; [unrolled: 1-line block ×16, first 2 shown]
	ds_write2_b64 v100, v[94:95], v[103:104] offset0:18 offset1:19
	ds_write2_b64 v100, v[105:106], v[107:108] offset0:20 offset1:21
	;; [unrolled: 1-line block ×4, first 2 shown]
	v_mov_b32_e32 v94, v40
	v_mov_b32_e32 v95, v41
	;; [unrolled: 1-line block ×20, first 2 shown]
	ds_write2_b64 v100, v[94:95], v[103:104] offset0:26 offset1:27
	ds_write2_b64 v100, v[105:106], v[107:108] offset0:28 offset1:29
	ds_write2_b64 v100, v[109:110], v[111:112] offset0:30 offset1:31
	ds_write2_b64 v100, v[113:114], v[115:116] offset0:32 offset1:33
	ds_write2_b64 v100, v[117:118], v[119:120] offset0:34 offset1:35
	v_mov_b32_e32 v94, v20
	v_mov_b32_e32 v95, v21
	;; [unrolled: 1-line block ×15, first 2 shown]
	ds_write2_b64 v100, v[94:95], v[104:105] offset0:36 offset1:37
	ds_write2_b64 v100, v[106:107], v[108:109] offset0:38 offset1:39
	;; [unrolled: 1-line block ×4, first 2 shown]
.LBB86_299:
	s_or_b32 exec_lo, exec_lo, s0
	s_mov_b32 s0, exec_lo
	s_waitcnt lgkmcnt(0)
	s_waitcnt_vscnt null, 0x0
	s_barrier
	buffer_gl0_inv
	v_cmpx_lt_i32_e32 17, v103
	s_cbranch_execz .LBB86_301
; %bb.300:
	v_mul_f64 v[54:55], v[0:1], v[54:55]
	ds_read2_b64 v[104:107], v100 offset0:18 offset1:19
	ds_read2_b64 v[108:111], v100 offset0:20 offset1:21
	;; [unrolled: 1-line block ×13, first 2 shown]
	s_waitcnt lgkmcnt(12)
	v_fma_f64 v[56:57], -v[54:55], v[104:105], v[56:57]
	v_fma_f64 v[52:53], -v[54:55], v[106:107], v[52:53]
	s_waitcnt lgkmcnt(11)
	v_fma_f64 v[50:51], -v[54:55], v[108:109], v[50:51]
	v_fma_f64 v[48:49], -v[54:55], v[110:111], v[48:49]
	s_waitcnt lgkmcnt(10)
	v_fma_f64 v[46:47], -v[54:55], v[112:113], v[46:47]
	v_fma_f64 v[44:45], -v[54:55], v[114:115], v[44:45]
	s_waitcnt lgkmcnt(9)
	v_fma_f64 v[42:43], -v[54:55], v[116:117], v[42:43]
	v_fma_f64 v[38:39], -v[54:55], v[118:119], v[38:39]
	s_waitcnt lgkmcnt(8)
	v_fma_f64 v[40:41], -v[54:55], v[120:121], v[40:41]
	v_fma_f64 v[34:35], -v[54:55], v[122:123], v[34:35]
	s_waitcnt lgkmcnt(7)
	v_fma_f64 v[36:37], -v[54:55], v[124:125], v[36:37]
	v_fma_f64 v[32:33], -v[54:55], v[126:127], v[32:33]
	s_waitcnt lgkmcnt(6)
	v_fma_f64 v[30:31], -v[54:55], v[128:129], v[30:31]
	v_fma_f64 v[28:29], -v[54:55], v[130:131], v[28:29]
	s_waitcnt lgkmcnt(5)
	v_fma_f64 v[26:27], -v[54:55], v[132:133], v[26:27]
	v_fma_f64 v[24:25], -v[54:55], v[134:135], v[24:25]
	s_waitcnt lgkmcnt(4)
	v_fma_f64 v[22:23], -v[54:55], v[136:137], v[22:23]
	v_fma_f64 v[18:19], -v[54:55], v[138:139], v[18:19]
	s_waitcnt lgkmcnt(3)
	v_fma_f64 v[20:21], -v[54:55], v[140:141], v[20:21]
	v_fma_f64 v[16:17], -v[54:55], v[142:143], v[16:17]
	s_waitcnt lgkmcnt(2)
	v_fma_f64 v[14:15], -v[54:55], v[144:145], v[14:15]
	v_fma_f64 v[8:9], -v[54:55], v[146:147], v[8:9]
	s_waitcnt lgkmcnt(1)
	v_fma_f64 v[12:13], -v[54:55], v[148:149], v[12:13]
	v_fma_f64 v[6:7], -v[54:55], v[150:151], v[6:7]
	s_waitcnt lgkmcnt(0)
	v_fma_f64 v[10:11], -v[54:55], v[152:153], v[10:11]
	v_fma_f64 v[92:93], -v[54:55], v[154:155], v[92:93]
.LBB86_301:
	s_or_b32 exec_lo, exec_lo, s0
	v_lshl_add_u32 v0, v103, 3, v100
	s_barrier
	buffer_gl0_inv
	v_mov_b32_e32 v94, 18
	ds_write_b64 v0, v[56:57]
	s_waitcnt lgkmcnt(0)
	s_barrier
	buffer_gl0_inv
	ds_read_b64 v[0:1], v100 offset:144
	s_cmp_lt_i32 s7, 20
	s_cbranch_scc1 .LBB86_304
; %bb.302:
	v_add3_u32 v95, v101, 0, 0x98
	v_mov_b32_e32 v94, 18
	s_mov_b32 s0, 19
.LBB86_303:                             ; =>This Inner Loop Header: Depth=1
	ds_read_b64 v[104:105], v95
	v_add_nc_u32_e32 v95, 8, v95
	s_waitcnt lgkmcnt(0)
	v_cmp_lt_f64_e64 vcc_lo, |v[0:1]|, |v[104:105]|
	v_cndmask_b32_e32 v1, v1, v105, vcc_lo
	v_cndmask_b32_e32 v0, v0, v104, vcc_lo
	v_cndmask_b32_e64 v94, v94, s0, vcc_lo
	s_add_i32 s0, s0, 1
	s_cmp_lg_u32 s7, s0
	s_cbranch_scc1 .LBB86_303
.LBB86_304:
	s_mov_b32 s0, exec_lo
	s_waitcnt lgkmcnt(0)
	v_cmpx_eq_f64_e32 0, v[0:1]
	s_xor_b32 s0, exec_lo, s0
; %bb.305:
	v_cmp_ne_u32_e32 vcc_lo, 0, v97
	v_cndmask_b32_e32 v97, 19, v97, vcc_lo
; %bb.306:
	s_andn2_saveexec_b32 s0, s0
	s_cbranch_execz .LBB86_308
; %bb.307:
	v_div_scale_f64 v[95:96], null, v[0:1], v[0:1], 1.0
	v_rcp_f64_e32 v[104:105], v[95:96]
	v_fma_f64 v[106:107], -v[95:96], v[104:105], 1.0
	v_fma_f64 v[104:105], v[104:105], v[106:107], v[104:105]
	v_fma_f64 v[106:107], -v[95:96], v[104:105], 1.0
	v_fma_f64 v[104:105], v[104:105], v[106:107], v[104:105]
	v_div_scale_f64 v[106:107], vcc_lo, 1.0, v[0:1], 1.0
	v_mul_f64 v[108:109], v[106:107], v[104:105]
	v_fma_f64 v[95:96], -v[95:96], v[108:109], v[106:107]
	v_div_fmas_f64 v[95:96], v[95:96], v[104:105], v[108:109]
	v_div_fixup_f64 v[0:1], v[95:96], v[0:1], 1.0
.LBB86_308:
	s_or_b32 exec_lo, exec_lo, s0
	s_mov_b32 s0, exec_lo
	v_cmpx_ne_u32_e64 v103, v94
	s_xor_b32 s0, exec_lo, s0
	s_cbranch_execz .LBB86_314
; %bb.309:
	s_mov_b32 s1, exec_lo
	v_cmpx_eq_u32_e32 18, v103
	s_cbranch_execz .LBB86_313
; %bb.310:
	v_cmp_ne_u32_e32 vcc_lo, 18, v94
	s_xor_b32 s2, s6, -1
	s_and_b32 s3, s2, vcc_lo
	s_and_saveexec_b32 s2, s3
	s_cbranch_execz .LBB86_312
; %bb.311:
	v_ashrrev_i32_e32 v95, 31, v94
	v_lshlrev_b64 v[95:96], 2, v[94:95]
	v_add_co_u32 v95, vcc_lo, v4, v95
	v_add_co_ci_u32_e64 v96, null, v5, v96, vcc_lo
	s_clause 0x1
	global_load_dword v102, v[95:96], off
	global_load_dword v103, v[4:5], off offset:72
	s_waitcnt vmcnt(1)
	global_store_dword v[4:5], v102, off offset:72
	s_waitcnt vmcnt(0)
	global_store_dword v[95:96], v103, off
.LBB86_312:
	s_or_b32 exec_lo, exec_lo, s2
	v_mov_b32_e32 v102, v94
	v_mov_b32_e32 v103, v94
.LBB86_313:
	s_or_b32 exec_lo, exec_lo, s1
.LBB86_314:
	s_andn2_saveexec_b32 s0, s0
	s_cbranch_execz .LBB86_316
; %bb.315:
	v_mov_b32_e32 v103, 18
	ds_write2_b64 v100, v[52:53], v[50:51] offset0:19 offset1:20
	ds_write2_b64 v100, v[48:49], v[46:47] offset0:21 offset1:22
	ds_write2_b64 v100, v[44:45], v[42:43] offset0:23 offset1:24
	ds_write2_b64 v100, v[38:39], v[40:41] offset0:25 offset1:26
	ds_write2_b64 v100, v[34:35], v[36:37] offset0:27 offset1:28
	ds_write2_b64 v100, v[32:33], v[30:31] offset0:29 offset1:30
	ds_write2_b64 v100, v[28:29], v[26:27] offset0:31 offset1:32
	ds_write2_b64 v100, v[24:25], v[22:23] offset0:33 offset1:34
	ds_write2_b64 v100, v[18:19], v[20:21] offset0:35 offset1:36
	ds_write2_b64 v100, v[16:17], v[14:15] offset0:37 offset1:38
	ds_write2_b64 v100, v[8:9], v[12:13] offset0:39 offset1:40
	ds_write2_b64 v100, v[6:7], v[10:11] offset0:41 offset1:42
	ds_write_b64 v100, v[92:93] offset:344
.LBB86_316:
	s_or_b32 exec_lo, exec_lo, s0
	s_mov_b32 s0, exec_lo
	s_waitcnt lgkmcnt(0)
	s_waitcnt_vscnt null, 0x0
	s_barrier
	buffer_gl0_inv
	v_cmpx_lt_i32_e32 18, v103
	s_cbranch_execz .LBB86_318
; %bb.317:
	v_mul_f64 v[56:57], v[0:1], v[56:57]
	ds_read2_b64 v[104:107], v100 offset0:19 offset1:20
	ds_read2_b64 v[108:111], v100 offset0:21 offset1:22
	;; [unrolled: 1-line block ×12, first 2 shown]
	ds_read_b64 v[0:1], v100 offset:344
	s_waitcnt lgkmcnt(12)
	v_fma_f64 v[52:53], -v[56:57], v[104:105], v[52:53]
	v_fma_f64 v[50:51], -v[56:57], v[106:107], v[50:51]
	s_waitcnt lgkmcnt(11)
	v_fma_f64 v[48:49], -v[56:57], v[108:109], v[48:49]
	v_fma_f64 v[46:47], -v[56:57], v[110:111], v[46:47]
	;; [unrolled: 3-line block ×12, first 2 shown]
	s_waitcnt lgkmcnt(0)
	v_fma_f64 v[92:93], -v[56:57], v[0:1], v[92:93]
.LBB86_318:
	s_or_b32 exec_lo, exec_lo, s0
	v_lshl_add_u32 v0, v103, 3, v100
	s_barrier
	buffer_gl0_inv
	v_mov_b32_e32 v94, 19
	ds_write_b64 v0, v[52:53]
	s_waitcnt lgkmcnt(0)
	s_barrier
	buffer_gl0_inv
	ds_read_b64 v[0:1], v100 offset:152
	s_cmp_lt_i32 s7, 21
	s_cbranch_scc1 .LBB86_321
; %bb.319:
	v_add3_u32 v95, v101, 0, 0xa0
	v_mov_b32_e32 v94, 19
	s_mov_b32 s0, 20
.LBB86_320:                             ; =>This Inner Loop Header: Depth=1
	ds_read_b64 v[104:105], v95
	v_add_nc_u32_e32 v95, 8, v95
	s_waitcnt lgkmcnt(0)
	v_cmp_lt_f64_e64 vcc_lo, |v[0:1]|, |v[104:105]|
	v_cndmask_b32_e32 v1, v1, v105, vcc_lo
	v_cndmask_b32_e32 v0, v0, v104, vcc_lo
	v_cndmask_b32_e64 v94, v94, s0, vcc_lo
	s_add_i32 s0, s0, 1
	s_cmp_lg_u32 s7, s0
	s_cbranch_scc1 .LBB86_320
.LBB86_321:
	s_mov_b32 s0, exec_lo
	s_waitcnt lgkmcnt(0)
	v_cmpx_eq_f64_e32 0, v[0:1]
	s_xor_b32 s0, exec_lo, s0
; %bb.322:
	v_cmp_ne_u32_e32 vcc_lo, 0, v97
	v_cndmask_b32_e32 v97, 20, v97, vcc_lo
; %bb.323:
	s_andn2_saveexec_b32 s0, s0
	s_cbranch_execz .LBB86_325
; %bb.324:
	v_div_scale_f64 v[95:96], null, v[0:1], v[0:1], 1.0
	v_rcp_f64_e32 v[104:105], v[95:96]
	v_fma_f64 v[106:107], -v[95:96], v[104:105], 1.0
	v_fma_f64 v[104:105], v[104:105], v[106:107], v[104:105]
	v_fma_f64 v[106:107], -v[95:96], v[104:105], 1.0
	v_fma_f64 v[104:105], v[104:105], v[106:107], v[104:105]
	v_div_scale_f64 v[106:107], vcc_lo, 1.0, v[0:1], 1.0
	v_mul_f64 v[108:109], v[106:107], v[104:105]
	v_fma_f64 v[95:96], -v[95:96], v[108:109], v[106:107]
	v_div_fmas_f64 v[95:96], v[95:96], v[104:105], v[108:109]
	v_div_fixup_f64 v[0:1], v[95:96], v[0:1], 1.0
.LBB86_325:
	s_or_b32 exec_lo, exec_lo, s0
	s_mov_b32 s0, exec_lo
	v_cmpx_ne_u32_e64 v103, v94
	s_xor_b32 s0, exec_lo, s0
	s_cbranch_execz .LBB86_331
; %bb.326:
	s_mov_b32 s1, exec_lo
	v_cmpx_eq_u32_e32 19, v103
	s_cbranch_execz .LBB86_330
; %bb.327:
	v_cmp_ne_u32_e32 vcc_lo, 19, v94
	s_xor_b32 s2, s6, -1
	s_and_b32 s3, s2, vcc_lo
	s_and_saveexec_b32 s2, s3
	s_cbranch_execz .LBB86_329
; %bb.328:
	v_ashrrev_i32_e32 v95, 31, v94
	v_lshlrev_b64 v[95:96], 2, v[94:95]
	v_add_co_u32 v95, vcc_lo, v4, v95
	v_add_co_ci_u32_e64 v96, null, v5, v96, vcc_lo
	s_clause 0x1
	global_load_dword v102, v[95:96], off
	global_load_dword v103, v[4:5], off offset:76
	s_waitcnt vmcnt(1)
	global_store_dword v[4:5], v102, off offset:76
	s_waitcnt vmcnt(0)
	global_store_dword v[95:96], v103, off
.LBB86_329:
	s_or_b32 exec_lo, exec_lo, s2
	v_mov_b32_e32 v102, v94
	v_mov_b32_e32 v103, v94
.LBB86_330:
	s_or_b32 exec_lo, exec_lo, s1
.LBB86_331:
	s_andn2_saveexec_b32 s0, s0
	s_cbranch_execz .LBB86_333
; %bb.332:
	v_mov_b32_e32 v94, v50
	v_mov_b32_e32 v95, v51
	v_mov_b32_e32 v103, v48
	v_mov_b32_e32 v104, v49
	v_mov_b32_e32 v105, v46
	v_mov_b32_e32 v106, v47
	v_mov_b32_e32 v107, v44
	v_mov_b32_e32 v108, v45
	v_mov_b32_e32 v109, v42
	v_mov_b32_e32 v110, v43
	v_mov_b32_e32 v111, v38
	v_mov_b32_e32 v112, v39
	ds_write2_b64 v100, v[94:95], v[103:104] offset0:20 offset1:21
	ds_write2_b64 v100, v[105:106], v[107:108] offset0:22 offset1:23
	;; [unrolled: 1-line block ×3, first 2 shown]
	v_mov_b32_e32 v94, v40
	v_mov_b32_e32 v95, v41
	;; [unrolled: 1-line block ×20, first 2 shown]
	ds_write2_b64 v100, v[94:95], v[103:104] offset0:26 offset1:27
	ds_write2_b64 v100, v[105:106], v[107:108] offset0:28 offset1:29
	;; [unrolled: 1-line block ×5, first 2 shown]
	v_mov_b32_e32 v94, v20
	v_mov_b32_e32 v95, v21
	;; [unrolled: 1-line block ×15, first 2 shown]
	ds_write2_b64 v100, v[94:95], v[104:105] offset0:36 offset1:37
	ds_write2_b64 v100, v[106:107], v[108:109] offset0:38 offset1:39
	ds_write2_b64 v100, v[110:111], v[112:113] offset0:40 offset1:41
	ds_write2_b64 v100, v[114:115], v[92:93] offset0:42 offset1:43
.LBB86_333:
	s_or_b32 exec_lo, exec_lo, s0
	s_mov_b32 s0, exec_lo
	s_waitcnt lgkmcnt(0)
	s_waitcnt_vscnt null, 0x0
	s_barrier
	buffer_gl0_inv
	v_cmpx_lt_i32_e32 19, v103
	s_cbranch_execz .LBB86_335
; %bb.334:
	v_mul_f64 v[52:53], v[0:1], v[52:53]
	ds_read2_b64 v[104:107], v100 offset0:20 offset1:21
	ds_read2_b64 v[108:111], v100 offset0:22 offset1:23
	;; [unrolled: 1-line block ×12, first 2 shown]
	s_waitcnt lgkmcnt(11)
	v_fma_f64 v[50:51], -v[52:53], v[104:105], v[50:51]
	v_fma_f64 v[48:49], -v[52:53], v[106:107], v[48:49]
	s_waitcnt lgkmcnt(10)
	v_fma_f64 v[46:47], -v[52:53], v[108:109], v[46:47]
	v_fma_f64 v[44:45], -v[52:53], v[110:111], v[44:45]
	;; [unrolled: 3-line block ×12, first 2 shown]
.LBB86_335:
	s_or_b32 exec_lo, exec_lo, s0
	v_lshl_add_u32 v0, v103, 3, v100
	s_barrier
	buffer_gl0_inv
	v_mov_b32_e32 v94, 20
	ds_write_b64 v0, v[50:51]
	s_waitcnt lgkmcnt(0)
	s_barrier
	buffer_gl0_inv
	ds_read_b64 v[0:1], v100 offset:160
	s_cmp_lt_i32 s7, 22
	s_cbranch_scc1 .LBB86_338
; %bb.336:
	v_add3_u32 v95, v101, 0, 0xa8
	v_mov_b32_e32 v94, 20
	s_mov_b32 s0, 21
.LBB86_337:                             ; =>This Inner Loop Header: Depth=1
	ds_read_b64 v[104:105], v95
	v_add_nc_u32_e32 v95, 8, v95
	s_waitcnt lgkmcnt(0)
	v_cmp_lt_f64_e64 vcc_lo, |v[0:1]|, |v[104:105]|
	v_cndmask_b32_e32 v1, v1, v105, vcc_lo
	v_cndmask_b32_e32 v0, v0, v104, vcc_lo
	v_cndmask_b32_e64 v94, v94, s0, vcc_lo
	s_add_i32 s0, s0, 1
	s_cmp_lg_u32 s7, s0
	s_cbranch_scc1 .LBB86_337
.LBB86_338:
	s_mov_b32 s0, exec_lo
	s_waitcnt lgkmcnt(0)
	v_cmpx_eq_f64_e32 0, v[0:1]
	s_xor_b32 s0, exec_lo, s0
; %bb.339:
	v_cmp_ne_u32_e32 vcc_lo, 0, v97
	v_cndmask_b32_e32 v97, 21, v97, vcc_lo
; %bb.340:
	s_andn2_saveexec_b32 s0, s0
	s_cbranch_execz .LBB86_342
; %bb.341:
	v_div_scale_f64 v[95:96], null, v[0:1], v[0:1], 1.0
	v_rcp_f64_e32 v[104:105], v[95:96]
	v_fma_f64 v[106:107], -v[95:96], v[104:105], 1.0
	v_fma_f64 v[104:105], v[104:105], v[106:107], v[104:105]
	v_fma_f64 v[106:107], -v[95:96], v[104:105], 1.0
	v_fma_f64 v[104:105], v[104:105], v[106:107], v[104:105]
	v_div_scale_f64 v[106:107], vcc_lo, 1.0, v[0:1], 1.0
	v_mul_f64 v[108:109], v[106:107], v[104:105]
	v_fma_f64 v[95:96], -v[95:96], v[108:109], v[106:107]
	v_div_fmas_f64 v[95:96], v[95:96], v[104:105], v[108:109]
	v_div_fixup_f64 v[0:1], v[95:96], v[0:1], 1.0
.LBB86_342:
	s_or_b32 exec_lo, exec_lo, s0
	s_mov_b32 s0, exec_lo
	v_cmpx_ne_u32_e64 v103, v94
	s_xor_b32 s0, exec_lo, s0
	s_cbranch_execz .LBB86_348
; %bb.343:
	s_mov_b32 s1, exec_lo
	v_cmpx_eq_u32_e32 20, v103
	s_cbranch_execz .LBB86_347
; %bb.344:
	v_cmp_ne_u32_e32 vcc_lo, 20, v94
	s_xor_b32 s2, s6, -1
	s_and_b32 s3, s2, vcc_lo
	s_and_saveexec_b32 s2, s3
	s_cbranch_execz .LBB86_346
; %bb.345:
	v_ashrrev_i32_e32 v95, 31, v94
	v_lshlrev_b64 v[95:96], 2, v[94:95]
	v_add_co_u32 v95, vcc_lo, v4, v95
	v_add_co_ci_u32_e64 v96, null, v5, v96, vcc_lo
	s_clause 0x1
	global_load_dword v102, v[95:96], off
	global_load_dword v103, v[4:5], off offset:80
	s_waitcnt vmcnt(1)
	global_store_dword v[4:5], v102, off offset:80
	s_waitcnt vmcnt(0)
	global_store_dword v[95:96], v103, off
.LBB86_346:
	s_or_b32 exec_lo, exec_lo, s2
	v_mov_b32_e32 v102, v94
	v_mov_b32_e32 v103, v94
.LBB86_347:
	s_or_b32 exec_lo, exec_lo, s1
.LBB86_348:
	s_andn2_saveexec_b32 s0, s0
	s_cbranch_execz .LBB86_350
; %bb.349:
	v_mov_b32_e32 v103, 20
	ds_write2_b64 v100, v[48:49], v[46:47] offset0:21 offset1:22
	ds_write2_b64 v100, v[44:45], v[42:43] offset0:23 offset1:24
	;; [unrolled: 1-line block ×11, first 2 shown]
	ds_write_b64 v100, v[92:93] offset:344
.LBB86_350:
	s_or_b32 exec_lo, exec_lo, s0
	s_mov_b32 s0, exec_lo
	s_waitcnt lgkmcnt(0)
	s_waitcnt_vscnt null, 0x0
	s_barrier
	buffer_gl0_inv
	v_cmpx_lt_i32_e32 20, v103
	s_cbranch_execz .LBB86_352
; %bb.351:
	v_mul_f64 v[50:51], v[0:1], v[50:51]
	ds_read2_b64 v[104:107], v100 offset0:21 offset1:22
	ds_read2_b64 v[108:111], v100 offset0:23 offset1:24
	;; [unrolled: 1-line block ×11, first 2 shown]
	ds_read_b64 v[0:1], v100 offset:344
	s_waitcnt lgkmcnt(11)
	v_fma_f64 v[48:49], -v[50:51], v[104:105], v[48:49]
	v_fma_f64 v[46:47], -v[50:51], v[106:107], v[46:47]
	s_waitcnt lgkmcnt(10)
	v_fma_f64 v[44:45], -v[50:51], v[108:109], v[44:45]
	v_fma_f64 v[42:43], -v[50:51], v[110:111], v[42:43]
	;; [unrolled: 3-line block ×11, first 2 shown]
	s_waitcnt lgkmcnt(0)
	v_fma_f64 v[92:93], -v[50:51], v[0:1], v[92:93]
.LBB86_352:
	s_or_b32 exec_lo, exec_lo, s0
	v_lshl_add_u32 v0, v103, 3, v100
	s_barrier
	buffer_gl0_inv
	v_mov_b32_e32 v94, 21
	ds_write_b64 v0, v[48:49]
	s_waitcnt lgkmcnt(0)
	s_barrier
	buffer_gl0_inv
	ds_read_b64 v[0:1], v100 offset:168
	s_cmp_lt_i32 s7, 23
	s_cbranch_scc1 .LBB86_355
; %bb.353:
	v_add3_u32 v95, v101, 0, 0xb0
	v_mov_b32_e32 v94, 21
	s_mov_b32 s0, 22
.LBB86_354:                             ; =>This Inner Loop Header: Depth=1
	ds_read_b64 v[104:105], v95
	v_add_nc_u32_e32 v95, 8, v95
	s_waitcnt lgkmcnt(0)
	v_cmp_lt_f64_e64 vcc_lo, |v[0:1]|, |v[104:105]|
	v_cndmask_b32_e32 v1, v1, v105, vcc_lo
	v_cndmask_b32_e32 v0, v0, v104, vcc_lo
	v_cndmask_b32_e64 v94, v94, s0, vcc_lo
	s_add_i32 s0, s0, 1
	s_cmp_lg_u32 s7, s0
	s_cbranch_scc1 .LBB86_354
.LBB86_355:
	s_mov_b32 s0, exec_lo
	s_waitcnt lgkmcnt(0)
	v_cmpx_eq_f64_e32 0, v[0:1]
	s_xor_b32 s0, exec_lo, s0
; %bb.356:
	v_cmp_ne_u32_e32 vcc_lo, 0, v97
	v_cndmask_b32_e32 v97, 22, v97, vcc_lo
; %bb.357:
	s_andn2_saveexec_b32 s0, s0
	s_cbranch_execz .LBB86_359
; %bb.358:
	v_div_scale_f64 v[95:96], null, v[0:1], v[0:1], 1.0
	v_rcp_f64_e32 v[104:105], v[95:96]
	v_fma_f64 v[106:107], -v[95:96], v[104:105], 1.0
	v_fma_f64 v[104:105], v[104:105], v[106:107], v[104:105]
	v_fma_f64 v[106:107], -v[95:96], v[104:105], 1.0
	v_fma_f64 v[104:105], v[104:105], v[106:107], v[104:105]
	v_div_scale_f64 v[106:107], vcc_lo, 1.0, v[0:1], 1.0
	v_mul_f64 v[108:109], v[106:107], v[104:105]
	v_fma_f64 v[95:96], -v[95:96], v[108:109], v[106:107]
	v_div_fmas_f64 v[95:96], v[95:96], v[104:105], v[108:109]
	v_div_fixup_f64 v[0:1], v[95:96], v[0:1], 1.0
.LBB86_359:
	s_or_b32 exec_lo, exec_lo, s0
	s_mov_b32 s0, exec_lo
	v_cmpx_ne_u32_e64 v103, v94
	s_xor_b32 s0, exec_lo, s0
	s_cbranch_execz .LBB86_365
; %bb.360:
	s_mov_b32 s1, exec_lo
	v_cmpx_eq_u32_e32 21, v103
	s_cbranch_execz .LBB86_364
; %bb.361:
	v_cmp_ne_u32_e32 vcc_lo, 21, v94
	s_xor_b32 s2, s6, -1
	s_and_b32 s3, s2, vcc_lo
	s_and_saveexec_b32 s2, s3
	s_cbranch_execz .LBB86_363
; %bb.362:
	v_ashrrev_i32_e32 v95, 31, v94
	v_lshlrev_b64 v[95:96], 2, v[94:95]
	v_add_co_u32 v95, vcc_lo, v4, v95
	v_add_co_ci_u32_e64 v96, null, v5, v96, vcc_lo
	s_clause 0x1
	global_load_dword v102, v[95:96], off
	global_load_dword v103, v[4:5], off offset:84
	s_waitcnt vmcnt(1)
	global_store_dword v[4:5], v102, off offset:84
	s_waitcnt vmcnt(0)
	global_store_dword v[95:96], v103, off
.LBB86_363:
	s_or_b32 exec_lo, exec_lo, s2
	v_mov_b32_e32 v102, v94
	v_mov_b32_e32 v103, v94
.LBB86_364:
	s_or_b32 exec_lo, exec_lo, s1
.LBB86_365:
	s_andn2_saveexec_b32 s0, s0
	s_cbranch_execz .LBB86_367
; %bb.366:
	v_mov_b32_e32 v94, v46
	v_mov_b32_e32 v95, v47
	;; [unrolled: 1-line block ×8, first 2 shown]
	ds_write2_b64 v100, v[94:95], v[103:104] offset0:22 offset1:23
	ds_write2_b64 v100, v[105:106], v[107:108] offset0:24 offset1:25
	v_mov_b32_e32 v94, v40
	v_mov_b32_e32 v95, v41
	;; [unrolled: 1-line block ×20, first 2 shown]
	ds_write2_b64 v100, v[94:95], v[103:104] offset0:26 offset1:27
	ds_write2_b64 v100, v[105:106], v[107:108] offset0:28 offset1:29
	;; [unrolled: 1-line block ×5, first 2 shown]
	v_mov_b32_e32 v94, v20
	v_mov_b32_e32 v95, v21
	;; [unrolled: 1-line block ×15, first 2 shown]
	ds_write2_b64 v100, v[94:95], v[104:105] offset0:36 offset1:37
	ds_write2_b64 v100, v[106:107], v[108:109] offset0:38 offset1:39
	;; [unrolled: 1-line block ×4, first 2 shown]
.LBB86_367:
	s_or_b32 exec_lo, exec_lo, s0
	s_mov_b32 s0, exec_lo
	s_waitcnt lgkmcnt(0)
	s_waitcnt_vscnt null, 0x0
	s_barrier
	buffer_gl0_inv
	v_cmpx_lt_i32_e32 21, v103
	s_cbranch_execz .LBB86_369
; %bb.368:
	v_mul_f64 v[48:49], v[0:1], v[48:49]
	ds_read2_b64 v[104:107], v100 offset0:22 offset1:23
	ds_read2_b64 v[108:111], v100 offset0:24 offset1:25
	;; [unrolled: 1-line block ×11, first 2 shown]
	s_waitcnt lgkmcnt(10)
	v_fma_f64 v[46:47], -v[48:49], v[104:105], v[46:47]
	v_fma_f64 v[44:45], -v[48:49], v[106:107], v[44:45]
	s_waitcnt lgkmcnt(9)
	v_fma_f64 v[42:43], -v[48:49], v[108:109], v[42:43]
	v_fma_f64 v[38:39], -v[48:49], v[110:111], v[38:39]
	;; [unrolled: 3-line block ×11, first 2 shown]
.LBB86_369:
	s_or_b32 exec_lo, exec_lo, s0
	v_lshl_add_u32 v0, v103, 3, v100
	s_barrier
	buffer_gl0_inv
	v_mov_b32_e32 v94, 22
	ds_write_b64 v0, v[46:47]
	s_waitcnt lgkmcnt(0)
	s_barrier
	buffer_gl0_inv
	ds_read_b64 v[0:1], v100 offset:176
	s_cmp_lt_i32 s7, 24
	s_cbranch_scc1 .LBB86_372
; %bb.370:
	v_add3_u32 v95, v101, 0, 0xb8
	v_mov_b32_e32 v94, 22
	s_mov_b32 s0, 23
.LBB86_371:                             ; =>This Inner Loop Header: Depth=1
	ds_read_b64 v[104:105], v95
	v_add_nc_u32_e32 v95, 8, v95
	s_waitcnt lgkmcnt(0)
	v_cmp_lt_f64_e64 vcc_lo, |v[0:1]|, |v[104:105]|
	v_cndmask_b32_e32 v1, v1, v105, vcc_lo
	v_cndmask_b32_e32 v0, v0, v104, vcc_lo
	v_cndmask_b32_e64 v94, v94, s0, vcc_lo
	s_add_i32 s0, s0, 1
	s_cmp_lg_u32 s7, s0
	s_cbranch_scc1 .LBB86_371
.LBB86_372:
	s_mov_b32 s0, exec_lo
	s_waitcnt lgkmcnt(0)
	v_cmpx_eq_f64_e32 0, v[0:1]
	s_xor_b32 s0, exec_lo, s0
; %bb.373:
	v_cmp_ne_u32_e32 vcc_lo, 0, v97
	v_cndmask_b32_e32 v97, 23, v97, vcc_lo
; %bb.374:
	s_andn2_saveexec_b32 s0, s0
	s_cbranch_execz .LBB86_376
; %bb.375:
	v_div_scale_f64 v[95:96], null, v[0:1], v[0:1], 1.0
	v_rcp_f64_e32 v[104:105], v[95:96]
	v_fma_f64 v[106:107], -v[95:96], v[104:105], 1.0
	v_fma_f64 v[104:105], v[104:105], v[106:107], v[104:105]
	v_fma_f64 v[106:107], -v[95:96], v[104:105], 1.0
	v_fma_f64 v[104:105], v[104:105], v[106:107], v[104:105]
	v_div_scale_f64 v[106:107], vcc_lo, 1.0, v[0:1], 1.0
	v_mul_f64 v[108:109], v[106:107], v[104:105]
	v_fma_f64 v[95:96], -v[95:96], v[108:109], v[106:107]
	v_div_fmas_f64 v[95:96], v[95:96], v[104:105], v[108:109]
	v_div_fixup_f64 v[0:1], v[95:96], v[0:1], 1.0
.LBB86_376:
	s_or_b32 exec_lo, exec_lo, s0
	s_mov_b32 s0, exec_lo
	v_cmpx_ne_u32_e64 v103, v94
	s_xor_b32 s0, exec_lo, s0
	s_cbranch_execz .LBB86_382
; %bb.377:
	s_mov_b32 s1, exec_lo
	v_cmpx_eq_u32_e32 22, v103
	s_cbranch_execz .LBB86_381
; %bb.378:
	v_cmp_ne_u32_e32 vcc_lo, 22, v94
	s_xor_b32 s2, s6, -1
	s_and_b32 s3, s2, vcc_lo
	s_and_saveexec_b32 s2, s3
	s_cbranch_execz .LBB86_380
; %bb.379:
	v_ashrrev_i32_e32 v95, 31, v94
	v_lshlrev_b64 v[95:96], 2, v[94:95]
	v_add_co_u32 v95, vcc_lo, v4, v95
	v_add_co_ci_u32_e64 v96, null, v5, v96, vcc_lo
	s_clause 0x1
	global_load_dword v102, v[95:96], off
	global_load_dword v103, v[4:5], off offset:88
	s_waitcnt vmcnt(1)
	global_store_dword v[4:5], v102, off offset:88
	s_waitcnt vmcnt(0)
	global_store_dword v[95:96], v103, off
.LBB86_380:
	s_or_b32 exec_lo, exec_lo, s2
	v_mov_b32_e32 v102, v94
	v_mov_b32_e32 v103, v94
.LBB86_381:
	s_or_b32 exec_lo, exec_lo, s1
.LBB86_382:
	s_andn2_saveexec_b32 s0, s0
	s_cbranch_execz .LBB86_384
; %bb.383:
	v_mov_b32_e32 v103, 22
	ds_write2_b64 v100, v[44:45], v[42:43] offset0:23 offset1:24
	ds_write2_b64 v100, v[38:39], v[40:41] offset0:25 offset1:26
	;; [unrolled: 1-line block ×10, first 2 shown]
	ds_write_b64 v100, v[92:93] offset:344
.LBB86_384:
	s_or_b32 exec_lo, exec_lo, s0
	s_mov_b32 s0, exec_lo
	s_waitcnt lgkmcnt(0)
	s_waitcnt_vscnt null, 0x0
	s_barrier
	buffer_gl0_inv
	v_cmpx_lt_i32_e32 22, v103
	s_cbranch_execz .LBB86_386
; %bb.385:
	v_mul_f64 v[46:47], v[0:1], v[46:47]
	ds_read2_b64 v[104:107], v100 offset0:23 offset1:24
	ds_read2_b64 v[108:111], v100 offset0:25 offset1:26
	;; [unrolled: 1-line block ×10, first 2 shown]
	ds_read_b64 v[0:1], v100 offset:344
	s_waitcnt lgkmcnt(10)
	v_fma_f64 v[44:45], -v[46:47], v[104:105], v[44:45]
	v_fma_f64 v[42:43], -v[46:47], v[106:107], v[42:43]
	s_waitcnt lgkmcnt(9)
	v_fma_f64 v[38:39], -v[46:47], v[108:109], v[38:39]
	v_fma_f64 v[40:41], -v[46:47], v[110:111], v[40:41]
	;; [unrolled: 3-line block ×10, first 2 shown]
	s_waitcnt lgkmcnt(0)
	v_fma_f64 v[92:93], -v[46:47], v[0:1], v[92:93]
.LBB86_386:
	s_or_b32 exec_lo, exec_lo, s0
	v_lshl_add_u32 v0, v103, 3, v100
	s_barrier
	buffer_gl0_inv
	v_mov_b32_e32 v94, 23
	ds_write_b64 v0, v[44:45]
	s_waitcnt lgkmcnt(0)
	s_barrier
	buffer_gl0_inv
	ds_read_b64 v[0:1], v100 offset:184
	s_cmp_lt_i32 s7, 25
	s_cbranch_scc1 .LBB86_389
; %bb.387:
	v_add3_u32 v95, v101, 0, 0xc0
	v_mov_b32_e32 v94, 23
	s_mov_b32 s0, 24
.LBB86_388:                             ; =>This Inner Loop Header: Depth=1
	ds_read_b64 v[104:105], v95
	v_add_nc_u32_e32 v95, 8, v95
	s_waitcnt lgkmcnt(0)
	v_cmp_lt_f64_e64 vcc_lo, |v[0:1]|, |v[104:105]|
	v_cndmask_b32_e32 v1, v1, v105, vcc_lo
	v_cndmask_b32_e32 v0, v0, v104, vcc_lo
	v_cndmask_b32_e64 v94, v94, s0, vcc_lo
	s_add_i32 s0, s0, 1
	s_cmp_lg_u32 s7, s0
	s_cbranch_scc1 .LBB86_388
.LBB86_389:
	s_mov_b32 s0, exec_lo
	s_waitcnt lgkmcnt(0)
	v_cmpx_eq_f64_e32 0, v[0:1]
	s_xor_b32 s0, exec_lo, s0
; %bb.390:
	v_cmp_ne_u32_e32 vcc_lo, 0, v97
	v_cndmask_b32_e32 v97, 24, v97, vcc_lo
; %bb.391:
	s_andn2_saveexec_b32 s0, s0
	s_cbranch_execz .LBB86_393
; %bb.392:
	v_div_scale_f64 v[95:96], null, v[0:1], v[0:1], 1.0
	v_rcp_f64_e32 v[104:105], v[95:96]
	v_fma_f64 v[106:107], -v[95:96], v[104:105], 1.0
	v_fma_f64 v[104:105], v[104:105], v[106:107], v[104:105]
	v_fma_f64 v[106:107], -v[95:96], v[104:105], 1.0
	v_fma_f64 v[104:105], v[104:105], v[106:107], v[104:105]
	v_div_scale_f64 v[106:107], vcc_lo, 1.0, v[0:1], 1.0
	v_mul_f64 v[108:109], v[106:107], v[104:105]
	v_fma_f64 v[95:96], -v[95:96], v[108:109], v[106:107]
	v_div_fmas_f64 v[95:96], v[95:96], v[104:105], v[108:109]
	v_div_fixup_f64 v[0:1], v[95:96], v[0:1], 1.0
.LBB86_393:
	s_or_b32 exec_lo, exec_lo, s0
	s_mov_b32 s0, exec_lo
	v_cmpx_ne_u32_e64 v103, v94
	s_xor_b32 s0, exec_lo, s0
	s_cbranch_execz .LBB86_399
; %bb.394:
	s_mov_b32 s1, exec_lo
	v_cmpx_eq_u32_e32 23, v103
	s_cbranch_execz .LBB86_398
; %bb.395:
	v_cmp_ne_u32_e32 vcc_lo, 23, v94
	s_xor_b32 s2, s6, -1
	s_and_b32 s3, s2, vcc_lo
	s_and_saveexec_b32 s2, s3
	s_cbranch_execz .LBB86_397
; %bb.396:
	v_ashrrev_i32_e32 v95, 31, v94
	v_lshlrev_b64 v[95:96], 2, v[94:95]
	v_add_co_u32 v95, vcc_lo, v4, v95
	v_add_co_ci_u32_e64 v96, null, v5, v96, vcc_lo
	s_clause 0x1
	global_load_dword v102, v[95:96], off
	global_load_dword v103, v[4:5], off offset:92
	s_waitcnt vmcnt(1)
	global_store_dword v[4:5], v102, off offset:92
	s_waitcnt vmcnt(0)
	global_store_dword v[95:96], v103, off
.LBB86_397:
	s_or_b32 exec_lo, exec_lo, s2
	v_mov_b32_e32 v102, v94
	v_mov_b32_e32 v103, v94
.LBB86_398:
	s_or_b32 exec_lo, exec_lo, s1
.LBB86_399:
	s_andn2_saveexec_b32 s0, s0
	s_cbranch_execz .LBB86_401
; %bb.400:
	v_mov_b32_e32 v94, v42
	v_mov_b32_e32 v95, v43
	;; [unrolled: 1-line block ×8, first 2 shown]
	ds_write2_b64 v100, v[94:95], v[103:104] offset0:24 offset1:25
	v_mov_b32_e32 v94, v34
	v_mov_b32_e32 v95, v35
	v_mov_b32_e32 v103, v36
	v_mov_b32_e32 v104, v37
	v_mov_b32_e32 v109, v30
	v_mov_b32_e32 v110, v31
	v_mov_b32_e32 v111, v28
	v_mov_b32_e32 v112, v29
	v_mov_b32_e32 v113, v26
	v_mov_b32_e32 v114, v27
	v_mov_b32_e32 v115, v24
	v_mov_b32_e32 v116, v25
	v_mov_b32_e32 v117, v22
	v_mov_b32_e32 v118, v23
	v_mov_b32_e32 v119, v18
	v_mov_b32_e32 v120, v19
	ds_write2_b64 v100, v[105:106], v[94:95] offset0:26 offset1:27
	ds_write2_b64 v100, v[103:104], v[107:108] offset0:28 offset1:29
	;; [unrolled: 1-line block ×5, first 2 shown]
	v_mov_b32_e32 v94, v20
	v_mov_b32_e32 v95, v21
	;; [unrolled: 1-line block ×15, first 2 shown]
	ds_write2_b64 v100, v[94:95], v[104:105] offset0:36 offset1:37
	ds_write2_b64 v100, v[106:107], v[108:109] offset0:38 offset1:39
	;; [unrolled: 1-line block ×4, first 2 shown]
.LBB86_401:
	s_or_b32 exec_lo, exec_lo, s0
	s_mov_b32 s0, exec_lo
	s_waitcnt lgkmcnt(0)
	s_waitcnt_vscnt null, 0x0
	s_barrier
	buffer_gl0_inv
	v_cmpx_lt_i32_e32 23, v103
	s_cbranch_execz .LBB86_403
; %bb.402:
	v_mul_f64 v[44:45], v[0:1], v[44:45]
	ds_read2_b64 v[104:107], v100 offset0:24 offset1:25
	ds_read2_b64 v[108:111], v100 offset0:26 offset1:27
	;; [unrolled: 1-line block ×10, first 2 shown]
	s_waitcnt lgkmcnt(9)
	v_fma_f64 v[42:43], -v[44:45], v[104:105], v[42:43]
	v_fma_f64 v[38:39], -v[44:45], v[106:107], v[38:39]
	s_waitcnt lgkmcnt(8)
	v_fma_f64 v[40:41], -v[44:45], v[108:109], v[40:41]
	v_fma_f64 v[34:35], -v[44:45], v[110:111], v[34:35]
	;; [unrolled: 3-line block ×10, first 2 shown]
.LBB86_403:
	s_or_b32 exec_lo, exec_lo, s0
	v_lshl_add_u32 v0, v103, 3, v100
	s_barrier
	buffer_gl0_inv
	v_mov_b32_e32 v94, 24
	ds_write_b64 v0, v[42:43]
	s_waitcnt lgkmcnt(0)
	s_barrier
	buffer_gl0_inv
	ds_read_b64 v[0:1], v100 offset:192
	s_cmp_lt_i32 s7, 26
	s_cbranch_scc1 .LBB86_406
; %bb.404:
	v_add3_u32 v95, v101, 0, 0xc8
	v_mov_b32_e32 v94, 24
	s_mov_b32 s0, 25
.LBB86_405:                             ; =>This Inner Loop Header: Depth=1
	ds_read_b64 v[104:105], v95
	v_add_nc_u32_e32 v95, 8, v95
	s_waitcnt lgkmcnt(0)
	v_cmp_lt_f64_e64 vcc_lo, |v[0:1]|, |v[104:105]|
	v_cndmask_b32_e32 v1, v1, v105, vcc_lo
	v_cndmask_b32_e32 v0, v0, v104, vcc_lo
	v_cndmask_b32_e64 v94, v94, s0, vcc_lo
	s_add_i32 s0, s0, 1
	s_cmp_lg_u32 s7, s0
	s_cbranch_scc1 .LBB86_405
.LBB86_406:
	s_mov_b32 s0, exec_lo
	s_waitcnt lgkmcnt(0)
	v_cmpx_eq_f64_e32 0, v[0:1]
	s_xor_b32 s0, exec_lo, s0
; %bb.407:
	v_cmp_ne_u32_e32 vcc_lo, 0, v97
	v_cndmask_b32_e32 v97, 25, v97, vcc_lo
; %bb.408:
	s_andn2_saveexec_b32 s0, s0
	s_cbranch_execz .LBB86_410
; %bb.409:
	v_div_scale_f64 v[95:96], null, v[0:1], v[0:1], 1.0
	v_rcp_f64_e32 v[104:105], v[95:96]
	v_fma_f64 v[106:107], -v[95:96], v[104:105], 1.0
	v_fma_f64 v[104:105], v[104:105], v[106:107], v[104:105]
	v_fma_f64 v[106:107], -v[95:96], v[104:105], 1.0
	v_fma_f64 v[104:105], v[104:105], v[106:107], v[104:105]
	v_div_scale_f64 v[106:107], vcc_lo, 1.0, v[0:1], 1.0
	v_mul_f64 v[108:109], v[106:107], v[104:105]
	v_fma_f64 v[95:96], -v[95:96], v[108:109], v[106:107]
	v_div_fmas_f64 v[95:96], v[95:96], v[104:105], v[108:109]
	v_div_fixup_f64 v[0:1], v[95:96], v[0:1], 1.0
.LBB86_410:
	s_or_b32 exec_lo, exec_lo, s0
	s_mov_b32 s0, exec_lo
	v_cmpx_ne_u32_e64 v103, v94
	s_xor_b32 s0, exec_lo, s0
	s_cbranch_execz .LBB86_416
; %bb.411:
	s_mov_b32 s1, exec_lo
	v_cmpx_eq_u32_e32 24, v103
	s_cbranch_execz .LBB86_415
; %bb.412:
	v_cmp_ne_u32_e32 vcc_lo, 24, v94
	s_xor_b32 s2, s6, -1
	s_and_b32 s3, s2, vcc_lo
	s_and_saveexec_b32 s2, s3
	s_cbranch_execz .LBB86_414
; %bb.413:
	v_ashrrev_i32_e32 v95, 31, v94
	v_lshlrev_b64 v[95:96], 2, v[94:95]
	v_add_co_u32 v95, vcc_lo, v4, v95
	v_add_co_ci_u32_e64 v96, null, v5, v96, vcc_lo
	s_clause 0x1
	global_load_dword v102, v[95:96], off
	global_load_dword v103, v[4:5], off offset:96
	s_waitcnt vmcnt(1)
	global_store_dword v[4:5], v102, off offset:96
	s_waitcnt vmcnt(0)
	global_store_dword v[95:96], v103, off
.LBB86_414:
	s_or_b32 exec_lo, exec_lo, s2
	v_mov_b32_e32 v102, v94
	v_mov_b32_e32 v103, v94
.LBB86_415:
	s_or_b32 exec_lo, exec_lo, s1
.LBB86_416:
	s_andn2_saveexec_b32 s0, s0
	s_cbranch_execz .LBB86_418
; %bb.417:
	v_mov_b32_e32 v103, 24
	ds_write2_b64 v100, v[38:39], v[40:41] offset0:25 offset1:26
	ds_write2_b64 v100, v[34:35], v[36:37] offset0:27 offset1:28
	ds_write2_b64 v100, v[32:33], v[30:31] offset0:29 offset1:30
	ds_write2_b64 v100, v[28:29], v[26:27] offset0:31 offset1:32
	ds_write2_b64 v100, v[24:25], v[22:23] offset0:33 offset1:34
	ds_write2_b64 v100, v[18:19], v[20:21] offset0:35 offset1:36
	ds_write2_b64 v100, v[16:17], v[14:15] offset0:37 offset1:38
	ds_write2_b64 v100, v[8:9], v[12:13] offset0:39 offset1:40
	ds_write2_b64 v100, v[6:7], v[10:11] offset0:41 offset1:42
	ds_write_b64 v100, v[92:93] offset:344
.LBB86_418:
	s_or_b32 exec_lo, exec_lo, s0
	s_mov_b32 s0, exec_lo
	s_waitcnt lgkmcnt(0)
	s_waitcnt_vscnt null, 0x0
	s_barrier
	buffer_gl0_inv
	v_cmpx_lt_i32_e32 24, v103
	s_cbranch_execz .LBB86_420
; %bb.419:
	v_mul_f64 v[42:43], v[0:1], v[42:43]
	ds_read2_b64 v[104:107], v100 offset0:25 offset1:26
	ds_read2_b64 v[108:111], v100 offset0:27 offset1:28
	;; [unrolled: 1-line block ×9, first 2 shown]
	ds_read_b64 v[0:1], v100 offset:344
	s_waitcnt lgkmcnt(9)
	v_fma_f64 v[38:39], -v[42:43], v[104:105], v[38:39]
	v_fma_f64 v[40:41], -v[42:43], v[106:107], v[40:41]
	s_waitcnt lgkmcnt(8)
	v_fma_f64 v[34:35], -v[42:43], v[108:109], v[34:35]
	v_fma_f64 v[36:37], -v[42:43], v[110:111], v[36:37]
	;; [unrolled: 3-line block ×9, first 2 shown]
	s_waitcnt lgkmcnt(0)
	v_fma_f64 v[92:93], -v[42:43], v[0:1], v[92:93]
.LBB86_420:
	s_or_b32 exec_lo, exec_lo, s0
	v_lshl_add_u32 v0, v103, 3, v100
	s_barrier
	buffer_gl0_inv
	v_mov_b32_e32 v94, 25
	ds_write_b64 v0, v[38:39]
	s_waitcnt lgkmcnt(0)
	s_barrier
	buffer_gl0_inv
	ds_read_b64 v[0:1], v100 offset:200
	s_cmp_lt_i32 s7, 27
	s_cbranch_scc1 .LBB86_423
; %bb.421:
	v_add3_u32 v95, v101, 0, 0xd0
	v_mov_b32_e32 v94, 25
	s_mov_b32 s0, 26
.LBB86_422:                             ; =>This Inner Loop Header: Depth=1
	ds_read_b64 v[104:105], v95
	v_add_nc_u32_e32 v95, 8, v95
	s_waitcnt lgkmcnt(0)
	v_cmp_lt_f64_e64 vcc_lo, |v[0:1]|, |v[104:105]|
	v_cndmask_b32_e32 v1, v1, v105, vcc_lo
	v_cndmask_b32_e32 v0, v0, v104, vcc_lo
	v_cndmask_b32_e64 v94, v94, s0, vcc_lo
	s_add_i32 s0, s0, 1
	s_cmp_lg_u32 s7, s0
	s_cbranch_scc1 .LBB86_422
.LBB86_423:
	s_mov_b32 s0, exec_lo
	s_waitcnt lgkmcnt(0)
	v_cmpx_eq_f64_e32 0, v[0:1]
	s_xor_b32 s0, exec_lo, s0
; %bb.424:
	v_cmp_ne_u32_e32 vcc_lo, 0, v97
	v_cndmask_b32_e32 v97, 26, v97, vcc_lo
; %bb.425:
	s_andn2_saveexec_b32 s0, s0
	s_cbranch_execz .LBB86_427
; %bb.426:
	v_div_scale_f64 v[95:96], null, v[0:1], v[0:1], 1.0
	v_rcp_f64_e32 v[104:105], v[95:96]
	v_fma_f64 v[106:107], -v[95:96], v[104:105], 1.0
	v_fma_f64 v[104:105], v[104:105], v[106:107], v[104:105]
	v_fma_f64 v[106:107], -v[95:96], v[104:105], 1.0
	v_fma_f64 v[104:105], v[104:105], v[106:107], v[104:105]
	v_div_scale_f64 v[106:107], vcc_lo, 1.0, v[0:1], 1.0
	v_mul_f64 v[108:109], v[106:107], v[104:105]
	v_fma_f64 v[95:96], -v[95:96], v[108:109], v[106:107]
	v_div_fmas_f64 v[95:96], v[95:96], v[104:105], v[108:109]
	v_div_fixup_f64 v[0:1], v[95:96], v[0:1], 1.0
.LBB86_427:
	s_or_b32 exec_lo, exec_lo, s0
	s_mov_b32 s0, exec_lo
	v_cmpx_ne_u32_e64 v103, v94
	s_xor_b32 s0, exec_lo, s0
	s_cbranch_execz .LBB86_433
; %bb.428:
	s_mov_b32 s1, exec_lo
	v_cmpx_eq_u32_e32 25, v103
	s_cbranch_execz .LBB86_432
; %bb.429:
	v_cmp_ne_u32_e32 vcc_lo, 25, v94
	s_xor_b32 s2, s6, -1
	s_and_b32 s3, s2, vcc_lo
	s_and_saveexec_b32 s2, s3
	s_cbranch_execz .LBB86_431
; %bb.430:
	v_ashrrev_i32_e32 v95, 31, v94
	v_lshlrev_b64 v[95:96], 2, v[94:95]
	v_add_co_u32 v95, vcc_lo, v4, v95
	v_add_co_ci_u32_e64 v96, null, v5, v96, vcc_lo
	s_clause 0x1
	global_load_dword v102, v[95:96], off
	global_load_dword v103, v[4:5], off offset:100
	s_waitcnt vmcnt(1)
	global_store_dword v[4:5], v102, off offset:100
	s_waitcnt vmcnt(0)
	global_store_dword v[95:96], v103, off
.LBB86_431:
	s_or_b32 exec_lo, exec_lo, s2
	v_mov_b32_e32 v102, v94
	v_mov_b32_e32 v103, v94
.LBB86_432:
	s_or_b32 exec_lo, exec_lo, s1
.LBB86_433:
	s_andn2_saveexec_b32 s0, s0
	s_cbranch_execz .LBB86_435
; %bb.434:
	v_mov_b32_e32 v94, v40
	v_mov_b32_e32 v95, v41
	;; [unrolled: 1-line block ×20, first 2 shown]
	ds_write2_b64 v100, v[94:95], v[103:104] offset0:26 offset1:27
	ds_write2_b64 v100, v[105:106], v[107:108] offset0:28 offset1:29
	;; [unrolled: 1-line block ×5, first 2 shown]
	v_mov_b32_e32 v94, v20
	v_mov_b32_e32 v95, v21
	;; [unrolled: 1-line block ×15, first 2 shown]
	ds_write2_b64 v100, v[94:95], v[104:105] offset0:36 offset1:37
	ds_write2_b64 v100, v[106:107], v[108:109] offset0:38 offset1:39
	;; [unrolled: 1-line block ×4, first 2 shown]
.LBB86_435:
	s_or_b32 exec_lo, exec_lo, s0
	s_mov_b32 s0, exec_lo
	s_waitcnt lgkmcnt(0)
	s_waitcnt_vscnt null, 0x0
	s_barrier
	buffer_gl0_inv
	v_cmpx_lt_i32_e32 25, v103
	s_cbranch_execz .LBB86_437
; %bb.436:
	v_mul_f64 v[38:39], v[0:1], v[38:39]
	ds_read2_b64 v[104:107], v100 offset0:26 offset1:27
	ds_read2_b64 v[108:111], v100 offset0:28 offset1:29
	;; [unrolled: 1-line block ×9, first 2 shown]
	s_waitcnt lgkmcnt(8)
	v_fma_f64 v[40:41], -v[38:39], v[104:105], v[40:41]
	v_fma_f64 v[34:35], -v[38:39], v[106:107], v[34:35]
	s_waitcnt lgkmcnt(7)
	v_fma_f64 v[36:37], -v[38:39], v[108:109], v[36:37]
	v_fma_f64 v[32:33], -v[38:39], v[110:111], v[32:33]
	;; [unrolled: 3-line block ×9, first 2 shown]
.LBB86_437:
	s_or_b32 exec_lo, exec_lo, s0
	v_lshl_add_u32 v0, v103, 3, v100
	s_barrier
	buffer_gl0_inv
	v_mov_b32_e32 v94, 26
	ds_write_b64 v0, v[40:41]
	s_waitcnt lgkmcnt(0)
	s_barrier
	buffer_gl0_inv
	ds_read_b64 v[0:1], v100 offset:208
	s_cmp_lt_i32 s7, 28
	s_cbranch_scc1 .LBB86_440
; %bb.438:
	v_add3_u32 v95, v101, 0, 0xd8
	v_mov_b32_e32 v94, 26
	s_mov_b32 s0, 27
.LBB86_439:                             ; =>This Inner Loop Header: Depth=1
	ds_read_b64 v[104:105], v95
	v_add_nc_u32_e32 v95, 8, v95
	s_waitcnt lgkmcnt(0)
	v_cmp_lt_f64_e64 vcc_lo, |v[0:1]|, |v[104:105]|
	v_cndmask_b32_e32 v1, v1, v105, vcc_lo
	v_cndmask_b32_e32 v0, v0, v104, vcc_lo
	v_cndmask_b32_e64 v94, v94, s0, vcc_lo
	s_add_i32 s0, s0, 1
	s_cmp_lg_u32 s7, s0
	s_cbranch_scc1 .LBB86_439
.LBB86_440:
	s_mov_b32 s0, exec_lo
	s_waitcnt lgkmcnt(0)
	v_cmpx_eq_f64_e32 0, v[0:1]
	s_xor_b32 s0, exec_lo, s0
; %bb.441:
	v_cmp_ne_u32_e32 vcc_lo, 0, v97
	v_cndmask_b32_e32 v97, 27, v97, vcc_lo
; %bb.442:
	s_andn2_saveexec_b32 s0, s0
	s_cbranch_execz .LBB86_444
; %bb.443:
	v_div_scale_f64 v[95:96], null, v[0:1], v[0:1], 1.0
	v_rcp_f64_e32 v[104:105], v[95:96]
	v_fma_f64 v[106:107], -v[95:96], v[104:105], 1.0
	v_fma_f64 v[104:105], v[104:105], v[106:107], v[104:105]
	v_fma_f64 v[106:107], -v[95:96], v[104:105], 1.0
	v_fma_f64 v[104:105], v[104:105], v[106:107], v[104:105]
	v_div_scale_f64 v[106:107], vcc_lo, 1.0, v[0:1], 1.0
	v_mul_f64 v[108:109], v[106:107], v[104:105]
	v_fma_f64 v[95:96], -v[95:96], v[108:109], v[106:107]
	v_div_fmas_f64 v[95:96], v[95:96], v[104:105], v[108:109]
	v_div_fixup_f64 v[0:1], v[95:96], v[0:1], 1.0
.LBB86_444:
	s_or_b32 exec_lo, exec_lo, s0
	s_mov_b32 s0, exec_lo
	v_cmpx_ne_u32_e64 v103, v94
	s_xor_b32 s0, exec_lo, s0
	s_cbranch_execz .LBB86_450
; %bb.445:
	s_mov_b32 s1, exec_lo
	v_cmpx_eq_u32_e32 26, v103
	s_cbranch_execz .LBB86_449
; %bb.446:
	v_cmp_ne_u32_e32 vcc_lo, 26, v94
	s_xor_b32 s2, s6, -1
	s_and_b32 s3, s2, vcc_lo
	s_and_saveexec_b32 s2, s3
	s_cbranch_execz .LBB86_448
; %bb.447:
	v_ashrrev_i32_e32 v95, 31, v94
	v_lshlrev_b64 v[95:96], 2, v[94:95]
	v_add_co_u32 v95, vcc_lo, v4, v95
	v_add_co_ci_u32_e64 v96, null, v5, v96, vcc_lo
	s_clause 0x1
	global_load_dword v102, v[95:96], off
	global_load_dword v103, v[4:5], off offset:104
	s_waitcnt vmcnt(1)
	global_store_dword v[4:5], v102, off offset:104
	s_waitcnt vmcnt(0)
	global_store_dword v[95:96], v103, off
.LBB86_448:
	s_or_b32 exec_lo, exec_lo, s2
	v_mov_b32_e32 v102, v94
	v_mov_b32_e32 v103, v94
.LBB86_449:
	s_or_b32 exec_lo, exec_lo, s1
.LBB86_450:
	s_andn2_saveexec_b32 s0, s0
	s_cbranch_execz .LBB86_452
; %bb.451:
	v_mov_b32_e32 v103, 26
	ds_write2_b64 v100, v[34:35], v[36:37] offset0:27 offset1:28
	ds_write2_b64 v100, v[32:33], v[30:31] offset0:29 offset1:30
	;; [unrolled: 1-line block ×8, first 2 shown]
	ds_write_b64 v100, v[92:93] offset:344
.LBB86_452:
	s_or_b32 exec_lo, exec_lo, s0
	s_mov_b32 s0, exec_lo
	s_waitcnt lgkmcnt(0)
	s_waitcnt_vscnt null, 0x0
	s_barrier
	buffer_gl0_inv
	v_cmpx_lt_i32_e32 26, v103
	s_cbranch_execz .LBB86_454
; %bb.453:
	v_mul_f64 v[40:41], v[0:1], v[40:41]
	ds_read2_b64 v[104:107], v100 offset0:27 offset1:28
	ds_read2_b64 v[108:111], v100 offset0:29 offset1:30
	;; [unrolled: 1-line block ×8, first 2 shown]
	ds_read_b64 v[0:1], v100 offset:344
	s_waitcnt lgkmcnt(8)
	v_fma_f64 v[34:35], -v[40:41], v[104:105], v[34:35]
	v_fma_f64 v[36:37], -v[40:41], v[106:107], v[36:37]
	s_waitcnt lgkmcnt(7)
	v_fma_f64 v[32:33], -v[40:41], v[108:109], v[32:33]
	v_fma_f64 v[30:31], -v[40:41], v[110:111], v[30:31]
	;; [unrolled: 3-line block ×8, first 2 shown]
	s_waitcnt lgkmcnt(0)
	v_fma_f64 v[92:93], -v[40:41], v[0:1], v[92:93]
.LBB86_454:
	s_or_b32 exec_lo, exec_lo, s0
	v_lshl_add_u32 v0, v103, 3, v100
	s_barrier
	buffer_gl0_inv
	v_mov_b32_e32 v94, 27
	ds_write_b64 v0, v[34:35]
	s_waitcnt lgkmcnt(0)
	s_barrier
	buffer_gl0_inv
	ds_read_b64 v[0:1], v100 offset:216
	s_cmp_lt_i32 s7, 29
	s_cbranch_scc1 .LBB86_457
; %bb.455:
	v_add3_u32 v95, v101, 0, 0xe0
	v_mov_b32_e32 v94, 27
	s_mov_b32 s0, 28
.LBB86_456:                             ; =>This Inner Loop Header: Depth=1
	ds_read_b64 v[104:105], v95
	v_add_nc_u32_e32 v95, 8, v95
	s_waitcnt lgkmcnt(0)
	v_cmp_lt_f64_e64 vcc_lo, |v[0:1]|, |v[104:105]|
	v_cndmask_b32_e32 v1, v1, v105, vcc_lo
	v_cndmask_b32_e32 v0, v0, v104, vcc_lo
	v_cndmask_b32_e64 v94, v94, s0, vcc_lo
	s_add_i32 s0, s0, 1
	s_cmp_lg_u32 s7, s0
	s_cbranch_scc1 .LBB86_456
.LBB86_457:
	s_mov_b32 s0, exec_lo
	s_waitcnt lgkmcnt(0)
	v_cmpx_eq_f64_e32 0, v[0:1]
	s_xor_b32 s0, exec_lo, s0
; %bb.458:
	v_cmp_ne_u32_e32 vcc_lo, 0, v97
	v_cndmask_b32_e32 v97, 28, v97, vcc_lo
; %bb.459:
	s_andn2_saveexec_b32 s0, s0
	s_cbranch_execz .LBB86_461
; %bb.460:
	v_div_scale_f64 v[95:96], null, v[0:1], v[0:1], 1.0
	v_rcp_f64_e32 v[104:105], v[95:96]
	v_fma_f64 v[106:107], -v[95:96], v[104:105], 1.0
	v_fma_f64 v[104:105], v[104:105], v[106:107], v[104:105]
	v_fma_f64 v[106:107], -v[95:96], v[104:105], 1.0
	v_fma_f64 v[104:105], v[104:105], v[106:107], v[104:105]
	v_div_scale_f64 v[106:107], vcc_lo, 1.0, v[0:1], 1.0
	v_mul_f64 v[108:109], v[106:107], v[104:105]
	v_fma_f64 v[95:96], -v[95:96], v[108:109], v[106:107]
	v_div_fmas_f64 v[95:96], v[95:96], v[104:105], v[108:109]
	v_div_fixup_f64 v[0:1], v[95:96], v[0:1], 1.0
.LBB86_461:
	s_or_b32 exec_lo, exec_lo, s0
	s_mov_b32 s0, exec_lo
	v_cmpx_ne_u32_e64 v103, v94
	s_xor_b32 s0, exec_lo, s0
	s_cbranch_execz .LBB86_467
; %bb.462:
	s_mov_b32 s1, exec_lo
	v_cmpx_eq_u32_e32 27, v103
	s_cbranch_execz .LBB86_466
; %bb.463:
	v_cmp_ne_u32_e32 vcc_lo, 27, v94
	s_xor_b32 s2, s6, -1
	s_and_b32 s3, s2, vcc_lo
	s_and_saveexec_b32 s2, s3
	s_cbranch_execz .LBB86_465
; %bb.464:
	v_ashrrev_i32_e32 v95, 31, v94
	v_lshlrev_b64 v[95:96], 2, v[94:95]
	v_add_co_u32 v95, vcc_lo, v4, v95
	v_add_co_ci_u32_e64 v96, null, v5, v96, vcc_lo
	s_clause 0x1
	global_load_dword v102, v[95:96], off
	global_load_dword v103, v[4:5], off offset:108
	s_waitcnt vmcnt(1)
	global_store_dword v[4:5], v102, off offset:108
	s_waitcnt vmcnt(0)
	global_store_dword v[95:96], v103, off
.LBB86_465:
	s_or_b32 exec_lo, exec_lo, s2
	v_mov_b32_e32 v102, v94
	v_mov_b32_e32 v103, v94
.LBB86_466:
	s_or_b32 exec_lo, exec_lo, s1
.LBB86_467:
	s_andn2_saveexec_b32 s0, s0
	s_cbranch_execz .LBB86_469
; %bb.468:
	v_mov_b32_e32 v94, v36
	v_mov_b32_e32 v95, v37
	;; [unrolled: 1-line block ×16, first 2 shown]
	ds_write2_b64 v100, v[94:95], v[103:104] offset0:28 offset1:29
	ds_write2_b64 v100, v[105:106], v[107:108] offset0:30 offset1:31
	;; [unrolled: 1-line block ×4, first 2 shown]
	v_mov_b32_e32 v94, v20
	v_mov_b32_e32 v95, v21
	;; [unrolled: 1-line block ×15, first 2 shown]
	ds_write2_b64 v100, v[94:95], v[104:105] offset0:36 offset1:37
	ds_write2_b64 v100, v[106:107], v[108:109] offset0:38 offset1:39
	;; [unrolled: 1-line block ×4, first 2 shown]
.LBB86_469:
	s_or_b32 exec_lo, exec_lo, s0
	s_mov_b32 s0, exec_lo
	s_waitcnt lgkmcnt(0)
	s_waitcnt_vscnt null, 0x0
	s_barrier
	buffer_gl0_inv
	v_cmpx_lt_i32_e32 27, v103
	s_cbranch_execz .LBB86_471
; %bb.470:
	v_mul_f64 v[34:35], v[0:1], v[34:35]
	ds_read2_b64 v[104:107], v100 offset0:28 offset1:29
	ds_read2_b64 v[108:111], v100 offset0:30 offset1:31
	;; [unrolled: 1-line block ×8, first 2 shown]
	s_waitcnt lgkmcnt(7)
	v_fma_f64 v[36:37], -v[34:35], v[104:105], v[36:37]
	v_fma_f64 v[32:33], -v[34:35], v[106:107], v[32:33]
	s_waitcnt lgkmcnt(6)
	v_fma_f64 v[30:31], -v[34:35], v[108:109], v[30:31]
	v_fma_f64 v[28:29], -v[34:35], v[110:111], v[28:29]
	;; [unrolled: 3-line block ×8, first 2 shown]
.LBB86_471:
	s_or_b32 exec_lo, exec_lo, s0
	v_lshl_add_u32 v0, v103, 3, v100
	s_barrier
	buffer_gl0_inv
	v_mov_b32_e32 v94, 28
	ds_write_b64 v0, v[36:37]
	s_waitcnt lgkmcnt(0)
	s_barrier
	buffer_gl0_inv
	ds_read_b64 v[0:1], v100 offset:224
	s_cmp_lt_i32 s7, 30
	s_cbranch_scc1 .LBB86_474
; %bb.472:
	v_add3_u32 v95, v101, 0, 0xe8
	v_mov_b32_e32 v94, 28
	s_mov_b32 s0, 29
.LBB86_473:                             ; =>This Inner Loop Header: Depth=1
	ds_read_b64 v[104:105], v95
	v_add_nc_u32_e32 v95, 8, v95
	s_waitcnt lgkmcnt(0)
	v_cmp_lt_f64_e64 vcc_lo, |v[0:1]|, |v[104:105]|
	v_cndmask_b32_e32 v1, v1, v105, vcc_lo
	v_cndmask_b32_e32 v0, v0, v104, vcc_lo
	v_cndmask_b32_e64 v94, v94, s0, vcc_lo
	s_add_i32 s0, s0, 1
	s_cmp_lg_u32 s7, s0
	s_cbranch_scc1 .LBB86_473
.LBB86_474:
	s_mov_b32 s0, exec_lo
	s_waitcnt lgkmcnt(0)
	v_cmpx_eq_f64_e32 0, v[0:1]
	s_xor_b32 s0, exec_lo, s0
; %bb.475:
	v_cmp_ne_u32_e32 vcc_lo, 0, v97
	v_cndmask_b32_e32 v97, 29, v97, vcc_lo
; %bb.476:
	s_andn2_saveexec_b32 s0, s0
	s_cbranch_execz .LBB86_478
; %bb.477:
	v_div_scale_f64 v[95:96], null, v[0:1], v[0:1], 1.0
	v_rcp_f64_e32 v[104:105], v[95:96]
	v_fma_f64 v[106:107], -v[95:96], v[104:105], 1.0
	v_fma_f64 v[104:105], v[104:105], v[106:107], v[104:105]
	v_fma_f64 v[106:107], -v[95:96], v[104:105], 1.0
	v_fma_f64 v[104:105], v[104:105], v[106:107], v[104:105]
	v_div_scale_f64 v[106:107], vcc_lo, 1.0, v[0:1], 1.0
	v_mul_f64 v[108:109], v[106:107], v[104:105]
	v_fma_f64 v[95:96], -v[95:96], v[108:109], v[106:107]
	v_div_fmas_f64 v[95:96], v[95:96], v[104:105], v[108:109]
	v_div_fixup_f64 v[0:1], v[95:96], v[0:1], 1.0
.LBB86_478:
	s_or_b32 exec_lo, exec_lo, s0
	s_mov_b32 s0, exec_lo
	v_cmpx_ne_u32_e64 v103, v94
	s_xor_b32 s0, exec_lo, s0
	s_cbranch_execz .LBB86_484
; %bb.479:
	s_mov_b32 s1, exec_lo
	v_cmpx_eq_u32_e32 28, v103
	s_cbranch_execz .LBB86_483
; %bb.480:
	v_cmp_ne_u32_e32 vcc_lo, 28, v94
	s_xor_b32 s2, s6, -1
	s_and_b32 s3, s2, vcc_lo
	s_and_saveexec_b32 s2, s3
	s_cbranch_execz .LBB86_482
; %bb.481:
	v_ashrrev_i32_e32 v95, 31, v94
	v_lshlrev_b64 v[95:96], 2, v[94:95]
	v_add_co_u32 v95, vcc_lo, v4, v95
	v_add_co_ci_u32_e64 v96, null, v5, v96, vcc_lo
	s_clause 0x1
	global_load_dword v102, v[95:96], off
	global_load_dword v103, v[4:5], off offset:112
	s_waitcnt vmcnt(1)
	global_store_dword v[4:5], v102, off offset:112
	s_waitcnt vmcnt(0)
	global_store_dword v[95:96], v103, off
.LBB86_482:
	s_or_b32 exec_lo, exec_lo, s2
	v_mov_b32_e32 v102, v94
	v_mov_b32_e32 v103, v94
.LBB86_483:
	s_or_b32 exec_lo, exec_lo, s1
.LBB86_484:
	s_andn2_saveexec_b32 s0, s0
	s_cbranch_execz .LBB86_486
; %bb.485:
	v_mov_b32_e32 v103, 28
	ds_write2_b64 v100, v[32:33], v[30:31] offset0:29 offset1:30
	ds_write2_b64 v100, v[28:29], v[26:27] offset0:31 offset1:32
	;; [unrolled: 1-line block ×7, first 2 shown]
	ds_write_b64 v100, v[92:93] offset:344
.LBB86_486:
	s_or_b32 exec_lo, exec_lo, s0
	s_mov_b32 s0, exec_lo
	s_waitcnt lgkmcnt(0)
	s_waitcnt_vscnt null, 0x0
	s_barrier
	buffer_gl0_inv
	v_cmpx_lt_i32_e32 28, v103
	s_cbranch_execz .LBB86_488
; %bb.487:
	v_mul_f64 v[36:37], v[0:1], v[36:37]
	ds_read2_b64 v[104:107], v100 offset0:29 offset1:30
	ds_read2_b64 v[108:111], v100 offset0:31 offset1:32
	;; [unrolled: 1-line block ×7, first 2 shown]
	ds_read_b64 v[0:1], v100 offset:344
	s_waitcnt lgkmcnt(7)
	v_fma_f64 v[32:33], -v[36:37], v[104:105], v[32:33]
	v_fma_f64 v[30:31], -v[36:37], v[106:107], v[30:31]
	s_waitcnt lgkmcnt(6)
	v_fma_f64 v[28:29], -v[36:37], v[108:109], v[28:29]
	v_fma_f64 v[26:27], -v[36:37], v[110:111], v[26:27]
	;; [unrolled: 3-line block ×7, first 2 shown]
	s_waitcnt lgkmcnt(0)
	v_fma_f64 v[92:93], -v[36:37], v[0:1], v[92:93]
.LBB86_488:
	s_or_b32 exec_lo, exec_lo, s0
	v_lshl_add_u32 v0, v103, 3, v100
	s_barrier
	buffer_gl0_inv
	v_mov_b32_e32 v94, 29
	ds_write_b64 v0, v[32:33]
	s_waitcnt lgkmcnt(0)
	s_barrier
	buffer_gl0_inv
	ds_read_b64 v[0:1], v100 offset:232
	s_cmp_lt_i32 s7, 31
	s_cbranch_scc1 .LBB86_491
; %bb.489:
	v_add3_u32 v95, v101, 0, 0xf0
	v_mov_b32_e32 v94, 29
	s_mov_b32 s0, 30
.LBB86_490:                             ; =>This Inner Loop Header: Depth=1
	ds_read_b64 v[104:105], v95
	v_add_nc_u32_e32 v95, 8, v95
	s_waitcnt lgkmcnt(0)
	v_cmp_lt_f64_e64 vcc_lo, |v[0:1]|, |v[104:105]|
	v_cndmask_b32_e32 v1, v1, v105, vcc_lo
	v_cndmask_b32_e32 v0, v0, v104, vcc_lo
	v_cndmask_b32_e64 v94, v94, s0, vcc_lo
	s_add_i32 s0, s0, 1
	s_cmp_lg_u32 s7, s0
	s_cbranch_scc1 .LBB86_490
.LBB86_491:
	s_mov_b32 s0, exec_lo
	s_waitcnt lgkmcnt(0)
	v_cmpx_eq_f64_e32 0, v[0:1]
	s_xor_b32 s0, exec_lo, s0
; %bb.492:
	v_cmp_ne_u32_e32 vcc_lo, 0, v97
	v_cndmask_b32_e32 v97, 30, v97, vcc_lo
; %bb.493:
	s_andn2_saveexec_b32 s0, s0
	s_cbranch_execz .LBB86_495
; %bb.494:
	v_div_scale_f64 v[95:96], null, v[0:1], v[0:1], 1.0
	v_rcp_f64_e32 v[104:105], v[95:96]
	v_fma_f64 v[106:107], -v[95:96], v[104:105], 1.0
	v_fma_f64 v[104:105], v[104:105], v[106:107], v[104:105]
	v_fma_f64 v[106:107], -v[95:96], v[104:105], 1.0
	v_fma_f64 v[104:105], v[104:105], v[106:107], v[104:105]
	v_div_scale_f64 v[106:107], vcc_lo, 1.0, v[0:1], 1.0
	v_mul_f64 v[108:109], v[106:107], v[104:105]
	v_fma_f64 v[95:96], -v[95:96], v[108:109], v[106:107]
	v_div_fmas_f64 v[95:96], v[95:96], v[104:105], v[108:109]
	v_div_fixup_f64 v[0:1], v[95:96], v[0:1], 1.0
.LBB86_495:
	s_or_b32 exec_lo, exec_lo, s0
	s_mov_b32 s0, exec_lo
	v_cmpx_ne_u32_e64 v103, v94
	s_xor_b32 s0, exec_lo, s0
	s_cbranch_execz .LBB86_501
; %bb.496:
	s_mov_b32 s1, exec_lo
	v_cmpx_eq_u32_e32 29, v103
	s_cbranch_execz .LBB86_500
; %bb.497:
	v_cmp_ne_u32_e32 vcc_lo, 29, v94
	s_xor_b32 s2, s6, -1
	s_and_b32 s3, s2, vcc_lo
	s_and_saveexec_b32 s2, s3
	s_cbranch_execz .LBB86_499
; %bb.498:
	v_ashrrev_i32_e32 v95, 31, v94
	v_lshlrev_b64 v[95:96], 2, v[94:95]
	v_add_co_u32 v95, vcc_lo, v4, v95
	v_add_co_ci_u32_e64 v96, null, v5, v96, vcc_lo
	s_clause 0x1
	global_load_dword v102, v[95:96], off
	global_load_dword v103, v[4:5], off offset:116
	s_waitcnt vmcnt(1)
	global_store_dword v[4:5], v102, off offset:116
	s_waitcnt vmcnt(0)
	global_store_dword v[95:96], v103, off
.LBB86_499:
	s_or_b32 exec_lo, exec_lo, s2
	v_mov_b32_e32 v102, v94
	v_mov_b32_e32 v103, v94
.LBB86_500:
	s_or_b32 exec_lo, exec_lo, s1
.LBB86_501:
	s_andn2_saveexec_b32 s0, s0
	s_cbranch_execz .LBB86_503
; %bb.502:
	v_mov_b32_e32 v94, v30
	v_mov_b32_e32 v95, v31
	;; [unrolled: 1-line block ×12, first 2 shown]
	ds_write2_b64 v100, v[94:95], v[103:104] offset0:30 offset1:31
	ds_write2_b64 v100, v[105:106], v[107:108] offset0:32 offset1:33
	;; [unrolled: 1-line block ×3, first 2 shown]
	v_mov_b32_e32 v94, v20
	v_mov_b32_e32 v95, v21
	;; [unrolled: 1-line block ×15, first 2 shown]
	ds_write2_b64 v100, v[94:95], v[104:105] offset0:36 offset1:37
	ds_write2_b64 v100, v[106:107], v[108:109] offset0:38 offset1:39
	;; [unrolled: 1-line block ×4, first 2 shown]
.LBB86_503:
	s_or_b32 exec_lo, exec_lo, s0
	s_mov_b32 s0, exec_lo
	s_waitcnt lgkmcnt(0)
	s_waitcnt_vscnt null, 0x0
	s_barrier
	buffer_gl0_inv
	v_cmpx_lt_i32_e32 29, v103
	s_cbranch_execz .LBB86_505
; %bb.504:
	v_mul_f64 v[32:33], v[0:1], v[32:33]
	ds_read2_b64 v[104:107], v100 offset0:30 offset1:31
	ds_read2_b64 v[108:111], v100 offset0:32 offset1:33
	ds_read2_b64 v[112:115], v100 offset0:34 offset1:35
	ds_read2_b64 v[116:119], v100 offset0:36 offset1:37
	ds_read2_b64 v[120:123], v100 offset0:38 offset1:39
	ds_read2_b64 v[124:127], v100 offset0:40 offset1:41
	ds_read2_b64 v[128:131], v100 offset0:42 offset1:43
	s_waitcnt lgkmcnt(6)
	v_fma_f64 v[30:31], -v[32:33], v[104:105], v[30:31]
	v_fma_f64 v[28:29], -v[32:33], v[106:107], v[28:29]
	s_waitcnt lgkmcnt(5)
	v_fma_f64 v[26:27], -v[32:33], v[108:109], v[26:27]
	v_fma_f64 v[24:25], -v[32:33], v[110:111], v[24:25]
	s_waitcnt lgkmcnt(4)
	v_fma_f64 v[22:23], -v[32:33], v[112:113], v[22:23]
	v_fma_f64 v[18:19], -v[32:33], v[114:115], v[18:19]
	s_waitcnt lgkmcnt(3)
	v_fma_f64 v[20:21], -v[32:33], v[116:117], v[20:21]
	v_fma_f64 v[16:17], -v[32:33], v[118:119], v[16:17]
	s_waitcnt lgkmcnt(2)
	v_fma_f64 v[14:15], -v[32:33], v[120:121], v[14:15]
	v_fma_f64 v[8:9], -v[32:33], v[122:123], v[8:9]
	s_waitcnt lgkmcnt(1)
	v_fma_f64 v[12:13], -v[32:33], v[124:125], v[12:13]
	v_fma_f64 v[6:7], -v[32:33], v[126:127], v[6:7]
	s_waitcnt lgkmcnt(0)
	v_fma_f64 v[10:11], -v[32:33], v[128:129], v[10:11]
	v_fma_f64 v[92:93], -v[32:33], v[130:131], v[92:93]
.LBB86_505:
	s_or_b32 exec_lo, exec_lo, s0
	v_lshl_add_u32 v0, v103, 3, v100
	s_barrier
	buffer_gl0_inv
	v_mov_b32_e32 v94, 30
	ds_write_b64 v0, v[30:31]
	s_waitcnt lgkmcnt(0)
	s_barrier
	buffer_gl0_inv
	ds_read_b64 v[0:1], v100 offset:240
	s_cmp_lt_i32 s7, 32
	s_cbranch_scc1 .LBB86_508
; %bb.506:
	v_add3_u32 v95, v101, 0, 0xf8
	v_mov_b32_e32 v94, 30
	s_mov_b32 s0, 31
.LBB86_507:                             ; =>This Inner Loop Header: Depth=1
	ds_read_b64 v[104:105], v95
	v_add_nc_u32_e32 v95, 8, v95
	s_waitcnt lgkmcnt(0)
	v_cmp_lt_f64_e64 vcc_lo, |v[0:1]|, |v[104:105]|
	v_cndmask_b32_e32 v1, v1, v105, vcc_lo
	v_cndmask_b32_e32 v0, v0, v104, vcc_lo
	v_cndmask_b32_e64 v94, v94, s0, vcc_lo
	s_add_i32 s0, s0, 1
	s_cmp_lg_u32 s7, s0
	s_cbranch_scc1 .LBB86_507
.LBB86_508:
	s_mov_b32 s0, exec_lo
	s_waitcnt lgkmcnt(0)
	v_cmpx_eq_f64_e32 0, v[0:1]
	s_xor_b32 s0, exec_lo, s0
; %bb.509:
	v_cmp_ne_u32_e32 vcc_lo, 0, v97
	v_cndmask_b32_e32 v97, 31, v97, vcc_lo
; %bb.510:
	s_andn2_saveexec_b32 s0, s0
	s_cbranch_execz .LBB86_512
; %bb.511:
	v_div_scale_f64 v[95:96], null, v[0:1], v[0:1], 1.0
	v_rcp_f64_e32 v[104:105], v[95:96]
	v_fma_f64 v[106:107], -v[95:96], v[104:105], 1.0
	v_fma_f64 v[104:105], v[104:105], v[106:107], v[104:105]
	v_fma_f64 v[106:107], -v[95:96], v[104:105], 1.0
	v_fma_f64 v[104:105], v[104:105], v[106:107], v[104:105]
	v_div_scale_f64 v[106:107], vcc_lo, 1.0, v[0:1], 1.0
	v_mul_f64 v[108:109], v[106:107], v[104:105]
	v_fma_f64 v[95:96], -v[95:96], v[108:109], v[106:107]
	v_div_fmas_f64 v[95:96], v[95:96], v[104:105], v[108:109]
	v_div_fixup_f64 v[0:1], v[95:96], v[0:1], 1.0
.LBB86_512:
	s_or_b32 exec_lo, exec_lo, s0
	s_mov_b32 s0, exec_lo
	v_cmpx_ne_u32_e64 v103, v94
	s_xor_b32 s0, exec_lo, s0
	s_cbranch_execz .LBB86_518
; %bb.513:
	s_mov_b32 s1, exec_lo
	v_cmpx_eq_u32_e32 30, v103
	s_cbranch_execz .LBB86_517
; %bb.514:
	v_cmp_ne_u32_e32 vcc_lo, 30, v94
	s_xor_b32 s2, s6, -1
	s_and_b32 s3, s2, vcc_lo
	s_and_saveexec_b32 s2, s3
	s_cbranch_execz .LBB86_516
; %bb.515:
	v_ashrrev_i32_e32 v95, 31, v94
	v_lshlrev_b64 v[95:96], 2, v[94:95]
	v_add_co_u32 v95, vcc_lo, v4, v95
	v_add_co_ci_u32_e64 v96, null, v5, v96, vcc_lo
	s_clause 0x1
	global_load_dword v102, v[95:96], off
	global_load_dword v103, v[4:5], off offset:120
	s_waitcnt vmcnt(1)
	global_store_dword v[4:5], v102, off offset:120
	s_waitcnt vmcnt(0)
	global_store_dword v[95:96], v103, off
.LBB86_516:
	s_or_b32 exec_lo, exec_lo, s2
	v_mov_b32_e32 v102, v94
	v_mov_b32_e32 v103, v94
.LBB86_517:
	s_or_b32 exec_lo, exec_lo, s1
.LBB86_518:
	s_andn2_saveexec_b32 s0, s0
	s_cbranch_execz .LBB86_520
; %bb.519:
	v_mov_b32_e32 v103, 30
	ds_write2_b64 v100, v[28:29], v[26:27] offset0:31 offset1:32
	ds_write2_b64 v100, v[24:25], v[22:23] offset0:33 offset1:34
	;; [unrolled: 1-line block ×6, first 2 shown]
	ds_write_b64 v100, v[92:93] offset:344
.LBB86_520:
	s_or_b32 exec_lo, exec_lo, s0
	s_mov_b32 s0, exec_lo
	s_waitcnt lgkmcnt(0)
	s_waitcnt_vscnt null, 0x0
	s_barrier
	buffer_gl0_inv
	v_cmpx_lt_i32_e32 30, v103
	s_cbranch_execz .LBB86_522
; %bb.521:
	v_mul_f64 v[30:31], v[0:1], v[30:31]
	ds_read2_b64 v[104:107], v100 offset0:31 offset1:32
	ds_read2_b64 v[108:111], v100 offset0:33 offset1:34
	;; [unrolled: 1-line block ×6, first 2 shown]
	ds_read_b64 v[0:1], v100 offset:344
	s_waitcnt lgkmcnt(6)
	v_fma_f64 v[28:29], -v[30:31], v[104:105], v[28:29]
	v_fma_f64 v[26:27], -v[30:31], v[106:107], v[26:27]
	s_waitcnt lgkmcnt(5)
	v_fma_f64 v[24:25], -v[30:31], v[108:109], v[24:25]
	v_fma_f64 v[22:23], -v[30:31], v[110:111], v[22:23]
	;; [unrolled: 3-line block ×6, first 2 shown]
	s_waitcnt lgkmcnt(0)
	v_fma_f64 v[92:93], -v[30:31], v[0:1], v[92:93]
.LBB86_522:
	s_or_b32 exec_lo, exec_lo, s0
	v_lshl_add_u32 v0, v103, 3, v100
	s_barrier
	buffer_gl0_inv
	v_mov_b32_e32 v94, 31
	ds_write_b64 v0, v[28:29]
	s_waitcnt lgkmcnt(0)
	s_barrier
	buffer_gl0_inv
	ds_read_b64 v[0:1], v100 offset:248
	s_cmp_lt_i32 s7, 33
	s_cbranch_scc1 .LBB86_525
; %bb.523:
	v_add3_u32 v95, v101, 0, 0x100
	v_mov_b32_e32 v94, 31
	s_mov_b32 s0, 32
.LBB86_524:                             ; =>This Inner Loop Header: Depth=1
	ds_read_b64 v[104:105], v95
	v_add_nc_u32_e32 v95, 8, v95
	s_waitcnt lgkmcnt(0)
	v_cmp_lt_f64_e64 vcc_lo, |v[0:1]|, |v[104:105]|
	v_cndmask_b32_e32 v1, v1, v105, vcc_lo
	v_cndmask_b32_e32 v0, v0, v104, vcc_lo
	v_cndmask_b32_e64 v94, v94, s0, vcc_lo
	s_add_i32 s0, s0, 1
	s_cmp_lg_u32 s7, s0
	s_cbranch_scc1 .LBB86_524
.LBB86_525:
	s_mov_b32 s0, exec_lo
	s_waitcnt lgkmcnt(0)
	v_cmpx_eq_f64_e32 0, v[0:1]
	s_xor_b32 s0, exec_lo, s0
; %bb.526:
	v_cmp_ne_u32_e32 vcc_lo, 0, v97
	v_cndmask_b32_e32 v97, 32, v97, vcc_lo
; %bb.527:
	s_andn2_saveexec_b32 s0, s0
	s_cbranch_execz .LBB86_529
; %bb.528:
	v_div_scale_f64 v[95:96], null, v[0:1], v[0:1], 1.0
	v_rcp_f64_e32 v[104:105], v[95:96]
	v_fma_f64 v[106:107], -v[95:96], v[104:105], 1.0
	v_fma_f64 v[104:105], v[104:105], v[106:107], v[104:105]
	v_fma_f64 v[106:107], -v[95:96], v[104:105], 1.0
	v_fma_f64 v[104:105], v[104:105], v[106:107], v[104:105]
	v_div_scale_f64 v[106:107], vcc_lo, 1.0, v[0:1], 1.0
	v_mul_f64 v[108:109], v[106:107], v[104:105]
	v_fma_f64 v[95:96], -v[95:96], v[108:109], v[106:107]
	v_div_fmas_f64 v[95:96], v[95:96], v[104:105], v[108:109]
	v_div_fixup_f64 v[0:1], v[95:96], v[0:1], 1.0
.LBB86_529:
	s_or_b32 exec_lo, exec_lo, s0
	s_mov_b32 s0, exec_lo
	v_cmpx_ne_u32_e64 v103, v94
	s_xor_b32 s0, exec_lo, s0
	s_cbranch_execz .LBB86_535
; %bb.530:
	s_mov_b32 s1, exec_lo
	v_cmpx_eq_u32_e32 31, v103
	s_cbranch_execz .LBB86_534
; %bb.531:
	v_cmp_ne_u32_e32 vcc_lo, 31, v94
	s_xor_b32 s2, s6, -1
	s_and_b32 s3, s2, vcc_lo
	s_and_saveexec_b32 s2, s3
	s_cbranch_execz .LBB86_533
; %bb.532:
	v_ashrrev_i32_e32 v95, 31, v94
	v_lshlrev_b64 v[95:96], 2, v[94:95]
	v_add_co_u32 v95, vcc_lo, v4, v95
	v_add_co_ci_u32_e64 v96, null, v5, v96, vcc_lo
	s_clause 0x1
	global_load_dword v102, v[95:96], off
	global_load_dword v103, v[4:5], off offset:124
	s_waitcnt vmcnt(1)
	global_store_dword v[4:5], v102, off offset:124
	s_waitcnt vmcnt(0)
	global_store_dword v[95:96], v103, off
.LBB86_533:
	s_or_b32 exec_lo, exec_lo, s2
	v_mov_b32_e32 v102, v94
	v_mov_b32_e32 v103, v94
.LBB86_534:
	s_or_b32 exec_lo, exec_lo, s1
.LBB86_535:
	s_andn2_saveexec_b32 s0, s0
	s_cbranch_execz .LBB86_537
; %bb.536:
	v_mov_b32_e32 v94, v26
	v_mov_b32_e32 v95, v27
	;; [unrolled: 1-line block ×8, first 2 shown]
	ds_write2_b64 v100, v[94:95], v[103:104] offset0:32 offset1:33
	ds_write2_b64 v100, v[105:106], v[107:108] offset0:34 offset1:35
	v_mov_b32_e32 v94, v20
	v_mov_b32_e32 v95, v21
	;; [unrolled: 1-line block ×15, first 2 shown]
	ds_write2_b64 v100, v[94:95], v[104:105] offset0:36 offset1:37
	ds_write2_b64 v100, v[106:107], v[108:109] offset0:38 offset1:39
	;; [unrolled: 1-line block ×4, first 2 shown]
.LBB86_537:
	s_or_b32 exec_lo, exec_lo, s0
	s_mov_b32 s0, exec_lo
	s_waitcnt lgkmcnt(0)
	s_waitcnt_vscnt null, 0x0
	s_barrier
	buffer_gl0_inv
	v_cmpx_lt_i32_e32 31, v103
	s_cbranch_execz .LBB86_539
; %bb.538:
	v_mul_f64 v[28:29], v[0:1], v[28:29]
	ds_read2_b64 v[104:107], v100 offset0:32 offset1:33
	ds_read2_b64 v[108:111], v100 offset0:34 offset1:35
	;; [unrolled: 1-line block ×6, first 2 shown]
	s_waitcnt lgkmcnt(5)
	v_fma_f64 v[26:27], -v[28:29], v[104:105], v[26:27]
	v_fma_f64 v[24:25], -v[28:29], v[106:107], v[24:25]
	s_waitcnt lgkmcnt(4)
	v_fma_f64 v[22:23], -v[28:29], v[108:109], v[22:23]
	v_fma_f64 v[18:19], -v[28:29], v[110:111], v[18:19]
	s_waitcnt lgkmcnt(3)
	v_fma_f64 v[20:21], -v[28:29], v[112:113], v[20:21]
	v_fma_f64 v[16:17], -v[28:29], v[114:115], v[16:17]
	s_waitcnt lgkmcnt(2)
	v_fma_f64 v[14:15], -v[28:29], v[116:117], v[14:15]
	v_fma_f64 v[8:9], -v[28:29], v[118:119], v[8:9]
	s_waitcnt lgkmcnt(1)
	v_fma_f64 v[12:13], -v[28:29], v[120:121], v[12:13]
	v_fma_f64 v[6:7], -v[28:29], v[122:123], v[6:7]
	s_waitcnt lgkmcnt(0)
	v_fma_f64 v[10:11], -v[28:29], v[124:125], v[10:11]
	v_fma_f64 v[92:93], -v[28:29], v[126:127], v[92:93]
.LBB86_539:
	s_or_b32 exec_lo, exec_lo, s0
	v_lshl_add_u32 v0, v103, 3, v100
	s_barrier
	buffer_gl0_inv
	v_mov_b32_e32 v94, 32
	ds_write_b64 v0, v[26:27]
	s_waitcnt lgkmcnt(0)
	s_barrier
	buffer_gl0_inv
	ds_read_b64 v[0:1], v100 offset:256
	s_cmp_lt_i32 s7, 34
	s_cbranch_scc1 .LBB86_542
; %bb.540:
	v_add3_u32 v95, v101, 0, 0x108
	v_mov_b32_e32 v94, 32
	s_mov_b32 s0, 33
.LBB86_541:                             ; =>This Inner Loop Header: Depth=1
	ds_read_b64 v[104:105], v95
	v_add_nc_u32_e32 v95, 8, v95
	s_waitcnt lgkmcnt(0)
	v_cmp_lt_f64_e64 vcc_lo, |v[0:1]|, |v[104:105]|
	v_cndmask_b32_e32 v1, v1, v105, vcc_lo
	v_cndmask_b32_e32 v0, v0, v104, vcc_lo
	v_cndmask_b32_e64 v94, v94, s0, vcc_lo
	s_add_i32 s0, s0, 1
	s_cmp_lg_u32 s7, s0
	s_cbranch_scc1 .LBB86_541
.LBB86_542:
	s_mov_b32 s0, exec_lo
	s_waitcnt lgkmcnt(0)
	v_cmpx_eq_f64_e32 0, v[0:1]
	s_xor_b32 s0, exec_lo, s0
; %bb.543:
	v_cmp_ne_u32_e32 vcc_lo, 0, v97
	v_cndmask_b32_e32 v97, 33, v97, vcc_lo
; %bb.544:
	s_andn2_saveexec_b32 s0, s0
	s_cbranch_execz .LBB86_546
; %bb.545:
	v_div_scale_f64 v[95:96], null, v[0:1], v[0:1], 1.0
	v_rcp_f64_e32 v[104:105], v[95:96]
	v_fma_f64 v[106:107], -v[95:96], v[104:105], 1.0
	v_fma_f64 v[104:105], v[104:105], v[106:107], v[104:105]
	v_fma_f64 v[106:107], -v[95:96], v[104:105], 1.0
	v_fma_f64 v[104:105], v[104:105], v[106:107], v[104:105]
	v_div_scale_f64 v[106:107], vcc_lo, 1.0, v[0:1], 1.0
	v_mul_f64 v[108:109], v[106:107], v[104:105]
	v_fma_f64 v[95:96], -v[95:96], v[108:109], v[106:107]
	v_div_fmas_f64 v[95:96], v[95:96], v[104:105], v[108:109]
	v_div_fixup_f64 v[0:1], v[95:96], v[0:1], 1.0
.LBB86_546:
	s_or_b32 exec_lo, exec_lo, s0
	s_mov_b32 s0, exec_lo
	v_cmpx_ne_u32_e64 v103, v94
	s_xor_b32 s0, exec_lo, s0
	s_cbranch_execz .LBB86_552
; %bb.547:
	s_mov_b32 s1, exec_lo
	v_cmpx_eq_u32_e32 32, v103
	s_cbranch_execz .LBB86_551
; %bb.548:
	v_cmp_ne_u32_e32 vcc_lo, 32, v94
	s_xor_b32 s2, s6, -1
	s_and_b32 s3, s2, vcc_lo
	s_and_saveexec_b32 s2, s3
	s_cbranch_execz .LBB86_550
; %bb.549:
	v_ashrrev_i32_e32 v95, 31, v94
	v_lshlrev_b64 v[95:96], 2, v[94:95]
	v_add_co_u32 v95, vcc_lo, v4, v95
	v_add_co_ci_u32_e64 v96, null, v5, v96, vcc_lo
	s_clause 0x1
	global_load_dword v102, v[95:96], off
	global_load_dword v103, v[4:5], off offset:128
	s_waitcnt vmcnt(1)
	global_store_dword v[4:5], v102, off offset:128
	s_waitcnt vmcnt(0)
	global_store_dword v[95:96], v103, off
.LBB86_550:
	s_or_b32 exec_lo, exec_lo, s2
	v_mov_b32_e32 v102, v94
	v_mov_b32_e32 v103, v94
.LBB86_551:
	s_or_b32 exec_lo, exec_lo, s1
.LBB86_552:
	s_andn2_saveexec_b32 s0, s0
	s_cbranch_execz .LBB86_554
; %bb.553:
	v_mov_b32_e32 v103, 32
	ds_write2_b64 v100, v[24:25], v[22:23] offset0:33 offset1:34
	ds_write2_b64 v100, v[18:19], v[20:21] offset0:35 offset1:36
	;; [unrolled: 1-line block ×5, first 2 shown]
	ds_write_b64 v100, v[92:93] offset:344
.LBB86_554:
	s_or_b32 exec_lo, exec_lo, s0
	s_mov_b32 s0, exec_lo
	s_waitcnt lgkmcnt(0)
	s_waitcnt_vscnt null, 0x0
	s_barrier
	buffer_gl0_inv
	v_cmpx_lt_i32_e32 32, v103
	s_cbranch_execz .LBB86_556
; %bb.555:
	v_mul_f64 v[26:27], v[0:1], v[26:27]
	ds_read2_b64 v[104:107], v100 offset0:33 offset1:34
	ds_read2_b64 v[108:111], v100 offset0:35 offset1:36
	;; [unrolled: 1-line block ×5, first 2 shown]
	ds_read_b64 v[0:1], v100 offset:344
	s_waitcnt lgkmcnt(5)
	v_fma_f64 v[24:25], -v[26:27], v[104:105], v[24:25]
	v_fma_f64 v[22:23], -v[26:27], v[106:107], v[22:23]
	s_waitcnt lgkmcnt(4)
	v_fma_f64 v[18:19], -v[26:27], v[108:109], v[18:19]
	v_fma_f64 v[20:21], -v[26:27], v[110:111], v[20:21]
	;; [unrolled: 3-line block ×5, first 2 shown]
	s_waitcnt lgkmcnt(0)
	v_fma_f64 v[92:93], -v[26:27], v[0:1], v[92:93]
.LBB86_556:
	s_or_b32 exec_lo, exec_lo, s0
	v_lshl_add_u32 v0, v103, 3, v100
	s_barrier
	buffer_gl0_inv
	v_mov_b32_e32 v94, 33
	ds_write_b64 v0, v[24:25]
	s_waitcnt lgkmcnt(0)
	s_barrier
	buffer_gl0_inv
	ds_read_b64 v[0:1], v100 offset:264
	s_cmp_lt_i32 s7, 35
	s_cbranch_scc1 .LBB86_559
; %bb.557:
	v_add3_u32 v95, v101, 0, 0x110
	v_mov_b32_e32 v94, 33
	s_mov_b32 s0, 34
.LBB86_558:                             ; =>This Inner Loop Header: Depth=1
	ds_read_b64 v[104:105], v95
	v_add_nc_u32_e32 v95, 8, v95
	s_waitcnt lgkmcnt(0)
	v_cmp_lt_f64_e64 vcc_lo, |v[0:1]|, |v[104:105]|
	v_cndmask_b32_e32 v1, v1, v105, vcc_lo
	v_cndmask_b32_e32 v0, v0, v104, vcc_lo
	v_cndmask_b32_e64 v94, v94, s0, vcc_lo
	s_add_i32 s0, s0, 1
	s_cmp_lg_u32 s7, s0
	s_cbranch_scc1 .LBB86_558
.LBB86_559:
	s_mov_b32 s0, exec_lo
	s_waitcnt lgkmcnt(0)
	v_cmpx_eq_f64_e32 0, v[0:1]
	s_xor_b32 s0, exec_lo, s0
; %bb.560:
	v_cmp_ne_u32_e32 vcc_lo, 0, v97
	v_cndmask_b32_e32 v97, 34, v97, vcc_lo
; %bb.561:
	s_andn2_saveexec_b32 s0, s0
	s_cbranch_execz .LBB86_563
; %bb.562:
	v_div_scale_f64 v[95:96], null, v[0:1], v[0:1], 1.0
	v_rcp_f64_e32 v[104:105], v[95:96]
	v_fma_f64 v[106:107], -v[95:96], v[104:105], 1.0
	v_fma_f64 v[104:105], v[104:105], v[106:107], v[104:105]
	v_fma_f64 v[106:107], -v[95:96], v[104:105], 1.0
	v_fma_f64 v[104:105], v[104:105], v[106:107], v[104:105]
	v_div_scale_f64 v[106:107], vcc_lo, 1.0, v[0:1], 1.0
	v_mul_f64 v[108:109], v[106:107], v[104:105]
	v_fma_f64 v[95:96], -v[95:96], v[108:109], v[106:107]
	v_div_fmas_f64 v[95:96], v[95:96], v[104:105], v[108:109]
	v_div_fixup_f64 v[0:1], v[95:96], v[0:1], 1.0
.LBB86_563:
	s_or_b32 exec_lo, exec_lo, s0
	s_mov_b32 s0, exec_lo
	v_cmpx_ne_u32_e64 v103, v94
	s_xor_b32 s0, exec_lo, s0
	s_cbranch_execz .LBB86_569
; %bb.564:
	s_mov_b32 s1, exec_lo
	v_cmpx_eq_u32_e32 33, v103
	s_cbranch_execz .LBB86_568
; %bb.565:
	v_cmp_ne_u32_e32 vcc_lo, 33, v94
	s_xor_b32 s2, s6, -1
	s_and_b32 s3, s2, vcc_lo
	s_and_saveexec_b32 s2, s3
	s_cbranch_execz .LBB86_567
; %bb.566:
	v_ashrrev_i32_e32 v95, 31, v94
	v_lshlrev_b64 v[95:96], 2, v[94:95]
	v_add_co_u32 v95, vcc_lo, v4, v95
	v_add_co_ci_u32_e64 v96, null, v5, v96, vcc_lo
	s_clause 0x1
	global_load_dword v102, v[95:96], off
	global_load_dword v103, v[4:5], off offset:132
	s_waitcnt vmcnt(1)
	global_store_dword v[4:5], v102, off offset:132
	s_waitcnt vmcnt(0)
	global_store_dword v[95:96], v103, off
.LBB86_567:
	s_or_b32 exec_lo, exec_lo, s2
	v_mov_b32_e32 v102, v94
	v_mov_b32_e32 v103, v94
.LBB86_568:
	s_or_b32 exec_lo, exec_lo, s1
.LBB86_569:
	s_andn2_saveexec_b32 s0, s0
	s_cbranch_execz .LBB86_571
; %bb.570:
	v_mov_b32_e32 v94, v22
	v_mov_b32_e32 v95, v23
	;; [unrolled: 1-line block ×8, first 2 shown]
	ds_write2_b64 v100, v[94:95], v[103:104] offset0:34 offset1:35
	v_mov_b32_e32 v94, v16
	v_mov_b32_e32 v95, v17
	;; [unrolled: 1-line block ×11, first 2 shown]
	ds_write2_b64 v100, v[105:106], v[94:95] offset0:36 offset1:37
	ds_write2_b64 v100, v[107:108], v[109:110] offset0:38 offset1:39
	;; [unrolled: 1-line block ×4, first 2 shown]
.LBB86_571:
	s_or_b32 exec_lo, exec_lo, s0
	s_mov_b32 s0, exec_lo
	s_waitcnt lgkmcnt(0)
	s_waitcnt_vscnt null, 0x0
	s_barrier
	buffer_gl0_inv
	v_cmpx_lt_i32_e32 33, v103
	s_cbranch_execz .LBB86_573
; %bb.572:
	v_mul_f64 v[24:25], v[0:1], v[24:25]
	ds_read2_b64 v[104:107], v100 offset0:34 offset1:35
	ds_read2_b64 v[108:111], v100 offset0:36 offset1:37
	;; [unrolled: 1-line block ×5, first 2 shown]
	s_waitcnt lgkmcnt(4)
	v_fma_f64 v[22:23], -v[24:25], v[104:105], v[22:23]
	v_fma_f64 v[18:19], -v[24:25], v[106:107], v[18:19]
	s_waitcnt lgkmcnt(3)
	v_fma_f64 v[20:21], -v[24:25], v[108:109], v[20:21]
	v_fma_f64 v[16:17], -v[24:25], v[110:111], v[16:17]
	s_waitcnt lgkmcnt(2)
	v_fma_f64 v[14:15], -v[24:25], v[112:113], v[14:15]
	v_fma_f64 v[8:9], -v[24:25], v[114:115], v[8:9]
	s_waitcnt lgkmcnt(1)
	v_fma_f64 v[12:13], -v[24:25], v[116:117], v[12:13]
	v_fma_f64 v[6:7], -v[24:25], v[118:119], v[6:7]
	s_waitcnt lgkmcnt(0)
	v_fma_f64 v[10:11], -v[24:25], v[120:121], v[10:11]
	v_fma_f64 v[92:93], -v[24:25], v[122:123], v[92:93]
.LBB86_573:
	s_or_b32 exec_lo, exec_lo, s0
	v_lshl_add_u32 v0, v103, 3, v100
	s_barrier
	buffer_gl0_inv
	v_mov_b32_e32 v94, 34
	ds_write_b64 v0, v[22:23]
	s_waitcnt lgkmcnt(0)
	s_barrier
	buffer_gl0_inv
	ds_read_b64 v[0:1], v100 offset:272
	s_cmp_lt_i32 s7, 36
	s_cbranch_scc1 .LBB86_576
; %bb.574:
	v_add3_u32 v95, v101, 0, 0x118
	v_mov_b32_e32 v94, 34
	s_mov_b32 s0, 35
.LBB86_575:                             ; =>This Inner Loop Header: Depth=1
	ds_read_b64 v[104:105], v95
	v_add_nc_u32_e32 v95, 8, v95
	s_waitcnt lgkmcnt(0)
	v_cmp_lt_f64_e64 vcc_lo, |v[0:1]|, |v[104:105]|
	v_cndmask_b32_e32 v1, v1, v105, vcc_lo
	v_cndmask_b32_e32 v0, v0, v104, vcc_lo
	v_cndmask_b32_e64 v94, v94, s0, vcc_lo
	s_add_i32 s0, s0, 1
	s_cmp_lg_u32 s7, s0
	s_cbranch_scc1 .LBB86_575
.LBB86_576:
	s_mov_b32 s0, exec_lo
	s_waitcnt lgkmcnt(0)
	v_cmpx_eq_f64_e32 0, v[0:1]
	s_xor_b32 s0, exec_lo, s0
; %bb.577:
	v_cmp_ne_u32_e32 vcc_lo, 0, v97
	v_cndmask_b32_e32 v97, 35, v97, vcc_lo
; %bb.578:
	s_andn2_saveexec_b32 s0, s0
	s_cbranch_execz .LBB86_580
; %bb.579:
	v_div_scale_f64 v[95:96], null, v[0:1], v[0:1], 1.0
	v_rcp_f64_e32 v[104:105], v[95:96]
	v_fma_f64 v[106:107], -v[95:96], v[104:105], 1.0
	v_fma_f64 v[104:105], v[104:105], v[106:107], v[104:105]
	v_fma_f64 v[106:107], -v[95:96], v[104:105], 1.0
	v_fma_f64 v[104:105], v[104:105], v[106:107], v[104:105]
	v_div_scale_f64 v[106:107], vcc_lo, 1.0, v[0:1], 1.0
	v_mul_f64 v[108:109], v[106:107], v[104:105]
	v_fma_f64 v[95:96], -v[95:96], v[108:109], v[106:107]
	v_div_fmas_f64 v[95:96], v[95:96], v[104:105], v[108:109]
	v_div_fixup_f64 v[0:1], v[95:96], v[0:1], 1.0
.LBB86_580:
	s_or_b32 exec_lo, exec_lo, s0
	s_mov_b32 s0, exec_lo
	v_cmpx_ne_u32_e64 v103, v94
	s_xor_b32 s0, exec_lo, s0
	s_cbranch_execz .LBB86_586
; %bb.581:
	s_mov_b32 s1, exec_lo
	v_cmpx_eq_u32_e32 34, v103
	s_cbranch_execz .LBB86_585
; %bb.582:
	v_cmp_ne_u32_e32 vcc_lo, 34, v94
	s_xor_b32 s2, s6, -1
	s_and_b32 s3, s2, vcc_lo
	s_and_saveexec_b32 s2, s3
	s_cbranch_execz .LBB86_584
; %bb.583:
	v_ashrrev_i32_e32 v95, 31, v94
	v_lshlrev_b64 v[95:96], 2, v[94:95]
	v_add_co_u32 v95, vcc_lo, v4, v95
	v_add_co_ci_u32_e64 v96, null, v5, v96, vcc_lo
	s_clause 0x1
	global_load_dword v102, v[95:96], off
	global_load_dword v103, v[4:5], off offset:136
	s_waitcnt vmcnt(1)
	global_store_dword v[4:5], v102, off offset:136
	s_waitcnt vmcnt(0)
	global_store_dword v[95:96], v103, off
.LBB86_584:
	s_or_b32 exec_lo, exec_lo, s2
	v_mov_b32_e32 v102, v94
	v_mov_b32_e32 v103, v94
.LBB86_585:
	s_or_b32 exec_lo, exec_lo, s1
.LBB86_586:
	s_andn2_saveexec_b32 s0, s0
	s_cbranch_execz .LBB86_588
; %bb.587:
	v_mov_b32_e32 v103, 34
	ds_write2_b64 v100, v[18:19], v[20:21] offset0:35 offset1:36
	ds_write2_b64 v100, v[16:17], v[14:15] offset0:37 offset1:38
	;; [unrolled: 1-line block ×4, first 2 shown]
	ds_write_b64 v100, v[92:93] offset:344
.LBB86_588:
	s_or_b32 exec_lo, exec_lo, s0
	s_mov_b32 s0, exec_lo
	s_waitcnt lgkmcnt(0)
	s_waitcnt_vscnt null, 0x0
	s_barrier
	buffer_gl0_inv
	v_cmpx_lt_i32_e32 34, v103
	s_cbranch_execz .LBB86_590
; %bb.589:
	v_mul_f64 v[22:23], v[0:1], v[22:23]
	ds_read2_b64 v[104:107], v100 offset0:35 offset1:36
	ds_read2_b64 v[108:111], v100 offset0:37 offset1:38
	;; [unrolled: 1-line block ×4, first 2 shown]
	ds_read_b64 v[0:1], v100 offset:344
	s_waitcnt lgkmcnt(4)
	v_fma_f64 v[18:19], -v[22:23], v[104:105], v[18:19]
	v_fma_f64 v[20:21], -v[22:23], v[106:107], v[20:21]
	s_waitcnt lgkmcnt(3)
	v_fma_f64 v[16:17], -v[22:23], v[108:109], v[16:17]
	v_fma_f64 v[14:15], -v[22:23], v[110:111], v[14:15]
	;; [unrolled: 3-line block ×4, first 2 shown]
	s_waitcnt lgkmcnt(0)
	v_fma_f64 v[92:93], -v[22:23], v[0:1], v[92:93]
.LBB86_590:
	s_or_b32 exec_lo, exec_lo, s0
	v_lshl_add_u32 v0, v103, 3, v100
	s_barrier
	buffer_gl0_inv
	v_mov_b32_e32 v94, 35
	ds_write_b64 v0, v[18:19]
	s_waitcnt lgkmcnt(0)
	s_barrier
	buffer_gl0_inv
	ds_read_b64 v[0:1], v100 offset:280
	s_cmp_lt_i32 s7, 37
	s_cbranch_scc1 .LBB86_593
; %bb.591:
	v_add3_u32 v95, v101, 0, 0x120
	v_mov_b32_e32 v94, 35
	s_mov_b32 s0, 36
.LBB86_592:                             ; =>This Inner Loop Header: Depth=1
	ds_read_b64 v[104:105], v95
	v_add_nc_u32_e32 v95, 8, v95
	s_waitcnt lgkmcnt(0)
	v_cmp_lt_f64_e64 vcc_lo, |v[0:1]|, |v[104:105]|
	v_cndmask_b32_e32 v1, v1, v105, vcc_lo
	v_cndmask_b32_e32 v0, v0, v104, vcc_lo
	v_cndmask_b32_e64 v94, v94, s0, vcc_lo
	s_add_i32 s0, s0, 1
	s_cmp_lg_u32 s7, s0
	s_cbranch_scc1 .LBB86_592
.LBB86_593:
	s_mov_b32 s0, exec_lo
	s_waitcnt lgkmcnt(0)
	v_cmpx_eq_f64_e32 0, v[0:1]
	s_xor_b32 s0, exec_lo, s0
; %bb.594:
	v_cmp_ne_u32_e32 vcc_lo, 0, v97
	v_cndmask_b32_e32 v97, 36, v97, vcc_lo
; %bb.595:
	s_andn2_saveexec_b32 s0, s0
	s_cbranch_execz .LBB86_597
; %bb.596:
	v_div_scale_f64 v[95:96], null, v[0:1], v[0:1], 1.0
	v_rcp_f64_e32 v[104:105], v[95:96]
	v_fma_f64 v[106:107], -v[95:96], v[104:105], 1.0
	v_fma_f64 v[104:105], v[104:105], v[106:107], v[104:105]
	v_fma_f64 v[106:107], -v[95:96], v[104:105], 1.0
	v_fma_f64 v[104:105], v[104:105], v[106:107], v[104:105]
	v_div_scale_f64 v[106:107], vcc_lo, 1.0, v[0:1], 1.0
	v_mul_f64 v[108:109], v[106:107], v[104:105]
	v_fma_f64 v[95:96], -v[95:96], v[108:109], v[106:107]
	v_div_fmas_f64 v[95:96], v[95:96], v[104:105], v[108:109]
	v_div_fixup_f64 v[0:1], v[95:96], v[0:1], 1.0
.LBB86_597:
	s_or_b32 exec_lo, exec_lo, s0
	s_mov_b32 s0, exec_lo
	v_cmpx_ne_u32_e64 v103, v94
	s_xor_b32 s0, exec_lo, s0
	s_cbranch_execz .LBB86_603
; %bb.598:
	s_mov_b32 s1, exec_lo
	v_cmpx_eq_u32_e32 35, v103
	s_cbranch_execz .LBB86_602
; %bb.599:
	v_cmp_ne_u32_e32 vcc_lo, 35, v94
	s_xor_b32 s2, s6, -1
	s_and_b32 s3, s2, vcc_lo
	s_and_saveexec_b32 s2, s3
	s_cbranch_execz .LBB86_601
; %bb.600:
	v_ashrrev_i32_e32 v95, 31, v94
	v_lshlrev_b64 v[95:96], 2, v[94:95]
	v_add_co_u32 v95, vcc_lo, v4, v95
	v_add_co_ci_u32_e64 v96, null, v5, v96, vcc_lo
	s_clause 0x1
	global_load_dword v102, v[95:96], off
	global_load_dword v103, v[4:5], off offset:140
	s_waitcnt vmcnt(1)
	global_store_dword v[4:5], v102, off offset:140
	s_waitcnt vmcnt(0)
	global_store_dword v[95:96], v103, off
.LBB86_601:
	s_or_b32 exec_lo, exec_lo, s2
	v_mov_b32_e32 v102, v94
	v_mov_b32_e32 v103, v94
.LBB86_602:
	s_or_b32 exec_lo, exec_lo, s1
.LBB86_603:
	s_andn2_saveexec_b32 s0, s0
	s_cbranch_execz .LBB86_605
; %bb.604:
	v_mov_b32_e32 v94, v20
	v_mov_b32_e32 v95, v21
	;; [unrolled: 1-line block ×15, first 2 shown]
	ds_write2_b64 v100, v[94:95], v[104:105] offset0:36 offset1:37
	ds_write2_b64 v100, v[106:107], v[108:109] offset0:38 offset1:39
	;; [unrolled: 1-line block ×4, first 2 shown]
.LBB86_605:
	s_or_b32 exec_lo, exec_lo, s0
	s_mov_b32 s0, exec_lo
	s_waitcnt lgkmcnt(0)
	s_waitcnt_vscnt null, 0x0
	s_barrier
	buffer_gl0_inv
	v_cmpx_lt_i32_e32 35, v103
	s_cbranch_execz .LBB86_607
; %bb.606:
	v_mul_f64 v[18:19], v[0:1], v[18:19]
	ds_read2_b64 v[104:107], v100 offset0:36 offset1:37
	ds_read2_b64 v[108:111], v100 offset0:38 offset1:39
	;; [unrolled: 1-line block ×4, first 2 shown]
	s_waitcnt lgkmcnt(3)
	v_fma_f64 v[20:21], -v[18:19], v[104:105], v[20:21]
	v_fma_f64 v[16:17], -v[18:19], v[106:107], v[16:17]
	s_waitcnt lgkmcnt(2)
	v_fma_f64 v[14:15], -v[18:19], v[108:109], v[14:15]
	v_fma_f64 v[8:9], -v[18:19], v[110:111], v[8:9]
	;; [unrolled: 3-line block ×4, first 2 shown]
.LBB86_607:
	s_or_b32 exec_lo, exec_lo, s0
	v_lshl_add_u32 v0, v103, 3, v100
	s_barrier
	buffer_gl0_inv
	v_mov_b32_e32 v94, 36
	ds_write_b64 v0, v[20:21]
	s_waitcnt lgkmcnt(0)
	s_barrier
	buffer_gl0_inv
	ds_read_b64 v[0:1], v100 offset:288
	s_cmp_lt_i32 s7, 38
	s_cbranch_scc1 .LBB86_610
; %bb.608:
	v_add3_u32 v95, v101, 0, 0x128
	v_mov_b32_e32 v94, 36
	s_mov_b32 s0, 37
.LBB86_609:                             ; =>This Inner Loop Header: Depth=1
	ds_read_b64 v[104:105], v95
	v_add_nc_u32_e32 v95, 8, v95
	s_waitcnt lgkmcnt(0)
	v_cmp_lt_f64_e64 vcc_lo, |v[0:1]|, |v[104:105]|
	v_cndmask_b32_e32 v1, v1, v105, vcc_lo
	v_cndmask_b32_e32 v0, v0, v104, vcc_lo
	v_cndmask_b32_e64 v94, v94, s0, vcc_lo
	s_add_i32 s0, s0, 1
	s_cmp_lg_u32 s7, s0
	s_cbranch_scc1 .LBB86_609
.LBB86_610:
	s_mov_b32 s0, exec_lo
	s_waitcnt lgkmcnt(0)
	v_cmpx_eq_f64_e32 0, v[0:1]
	s_xor_b32 s0, exec_lo, s0
; %bb.611:
	v_cmp_ne_u32_e32 vcc_lo, 0, v97
	v_cndmask_b32_e32 v97, 37, v97, vcc_lo
; %bb.612:
	s_andn2_saveexec_b32 s0, s0
	s_cbranch_execz .LBB86_614
; %bb.613:
	v_div_scale_f64 v[95:96], null, v[0:1], v[0:1], 1.0
	v_rcp_f64_e32 v[104:105], v[95:96]
	v_fma_f64 v[106:107], -v[95:96], v[104:105], 1.0
	v_fma_f64 v[104:105], v[104:105], v[106:107], v[104:105]
	v_fma_f64 v[106:107], -v[95:96], v[104:105], 1.0
	v_fma_f64 v[104:105], v[104:105], v[106:107], v[104:105]
	v_div_scale_f64 v[106:107], vcc_lo, 1.0, v[0:1], 1.0
	v_mul_f64 v[108:109], v[106:107], v[104:105]
	v_fma_f64 v[95:96], -v[95:96], v[108:109], v[106:107]
	v_div_fmas_f64 v[95:96], v[95:96], v[104:105], v[108:109]
	v_div_fixup_f64 v[0:1], v[95:96], v[0:1], 1.0
.LBB86_614:
	s_or_b32 exec_lo, exec_lo, s0
	s_mov_b32 s0, exec_lo
	v_cmpx_ne_u32_e64 v103, v94
	s_xor_b32 s0, exec_lo, s0
	s_cbranch_execz .LBB86_620
; %bb.615:
	s_mov_b32 s1, exec_lo
	v_cmpx_eq_u32_e32 36, v103
	s_cbranch_execz .LBB86_619
; %bb.616:
	v_cmp_ne_u32_e32 vcc_lo, 36, v94
	s_xor_b32 s2, s6, -1
	s_and_b32 s3, s2, vcc_lo
	s_and_saveexec_b32 s2, s3
	s_cbranch_execz .LBB86_618
; %bb.617:
	v_ashrrev_i32_e32 v95, 31, v94
	v_lshlrev_b64 v[95:96], 2, v[94:95]
	v_add_co_u32 v95, vcc_lo, v4, v95
	v_add_co_ci_u32_e64 v96, null, v5, v96, vcc_lo
	s_clause 0x1
	global_load_dword v102, v[95:96], off
	global_load_dword v103, v[4:5], off offset:144
	s_waitcnt vmcnt(1)
	global_store_dword v[4:5], v102, off offset:144
	s_waitcnt vmcnt(0)
	global_store_dword v[95:96], v103, off
.LBB86_618:
	s_or_b32 exec_lo, exec_lo, s2
	v_mov_b32_e32 v102, v94
	v_mov_b32_e32 v103, v94
.LBB86_619:
	s_or_b32 exec_lo, exec_lo, s1
.LBB86_620:
	s_andn2_saveexec_b32 s0, s0
	s_cbranch_execz .LBB86_622
; %bb.621:
	v_mov_b32_e32 v103, 36
	ds_write2_b64 v100, v[16:17], v[14:15] offset0:37 offset1:38
	ds_write2_b64 v100, v[8:9], v[12:13] offset0:39 offset1:40
	;; [unrolled: 1-line block ×3, first 2 shown]
	ds_write_b64 v100, v[92:93] offset:344
.LBB86_622:
	s_or_b32 exec_lo, exec_lo, s0
	s_mov_b32 s0, exec_lo
	s_waitcnt lgkmcnt(0)
	s_waitcnt_vscnt null, 0x0
	s_barrier
	buffer_gl0_inv
	v_cmpx_lt_i32_e32 36, v103
	s_cbranch_execz .LBB86_624
; %bb.623:
	v_mul_f64 v[20:21], v[0:1], v[20:21]
	ds_read2_b64 v[104:107], v100 offset0:37 offset1:38
	ds_read2_b64 v[108:111], v100 offset0:39 offset1:40
	;; [unrolled: 1-line block ×3, first 2 shown]
	ds_read_b64 v[0:1], v100 offset:344
	s_waitcnt lgkmcnt(3)
	v_fma_f64 v[16:17], -v[20:21], v[104:105], v[16:17]
	v_fma_f64 v[14:15], -v[20:21], v[106:107], v[14:15]
	s_waitcnt lgkmcnt(2)
	v_fma_f64 v[8:9], -v[20:21], v[108:109], v[8:9]
	v_fma_f64 v[12:13], -v[20:21], v[110:111], v[12:13]
	s_waitcnt lgkmcnt(1)
	v_fma_f64 v[6:7], -v[20:21], v[112:113], v[6:7]
	v_fma_f64 v[10:11], -v[20:21], v[114:115], v[10:11]
	s_waitcnt lgkmcnt(0)
	v_fma_f64 v[92:93], -v[20:21], v[0:1], v[92:93]
.LBB86_624:
	s_or_b32 exec_lo, exec_lo, s0
	v_lshl_add_u32 v0, v103, 3, v100
	s_barrier
	buffer_gl0_inv
	v_mov_b32_e32 v94, 37
	ds_write_b64 v0, v[16:17]
	s_waitcnt lgkmcnt(0)
	s_barrier
	buffer_gl0_inv
	ds_read_b64 v[0:1], v100 offset:296
	s_cmp_lt_i32 s7, 39
	s_cbranch_scc1 .LBB86_627
; %bb.625:
	v_add3_u32 v95, v101, 0, 0x130
	v_mov_b32_e32 v94, 37
	s_mov_b32 s0, 38
.LBB86_626:                             ; =>This Inner Loop Header: Depth=1
	ds_read_b64 v[104:105], v95
	v_add_nc_u32_e32 v95, 8, v95
	s_waitcnt lgkmcnt(0)
	v_cmp_lt_f64_e64 vcc_lo, |v[0:1]|, |v[104:105]|
	v_cndmask_b32_e32 v1, v1, v105, vcc_lo
	v_cndmask_b32_e32 v0, v0, v104, vcc_lo
	v_cndmask_b32_e64 v94, v94, s0, vcc_lo
	s_add_i32 s0, s0, 1
	s_cmp_lg_u32 s7, s0
	s_cbranch_scc1 .LBB86_626
.LBB86_627:
	s_mov_b32 s0, exec_lo
	s_waitcnt lgkmcnt(0)
	v_cmpx_eq_f64_e32 0, v[0:1]
	s_xor_b32 s0, exec_lo, s0
; %bb.628:
	v_cmp_ne_u32_e32 vcc_lo, 0, v97
	v_cndmask_b32_e32 v97, 38, v97, vcc_lo
; %bb.629:
	s_andn2_saveexec_b32 s0, s0
	s_cbranch_execz .LBB86_631
; %bb.630:
	v_div_scale_f64 v[95:96], null, v[0:1], v[0:1], 1.0
	v_rcp_f64_e32 v[104:105], v[95:96]
	v_fma_f64 v[106:107], -v[95:96], v[104:105], 1.0
	v_fma_f64 v[104:105], v[104:105], v[106:107], v[104:105]
	v_fma_f64 v[106:107], -v[95:96], v[104:105], 1.0
	v_fma_f64 v[104:105], v[104:105], v[106:107], v[104:105]
	v_div_scale_f64 v[106:107], vcc_lo, 1.0, v[0:1], 1.0
	v_mul_f64 v[108:109], v[106:107], v[104:105]
	v_fma_f64 v[95:96], -v[95:96], v[108:109], v[106:107]
	v_div_fmas_f64 v[95:96], v[95:96], v[104:105], v[108:109]
	v_div_fixup_f64 v[0:1], v[95:96], v[0:1], 1.0
.LBB86_631:
	s_or_b32 exec_lo, exec_lo, s0
	s_mov_b32 s0, exec_lo
	v_cmpx_ne_u32_e64 v103, v94
	s_xor_b32 s0, exec_lo, s0
	s_cbranch_execz .LBB86_637
; %bb.632:
	s_mov_b32 s1, exec_lo
	v_cmpx_eq_u32_e32 37, v103
	s_cbranch_execz .LBB86_636
; %bb.633:
	v_cmp_ne_u32_e32 vcc_lo, 37, v94
	s_xor_b32 s2, s6, -1
	s_and_b32 s3, s2, vcc_lo
	s_and_saveexec_b32 s2, s3
	s_cbranch_execz .LBB86_635
; %bb.634:
	v_ashrrev_i32_e32 v95, 31, v94
	v_lshlrev_b64 v[95:96], 2, v[94:95]
	v_add_co_u32 v95, vcc_lo, v4, v95
	v_add_co_ci_u32_e64 v96, null, v5, v96, vcc_lo
	s_clause 0x1
	global_load_dword v102, v[95:96], off
	global_load_dword v103, v[4:5], off offset:148
	s_waitcnt vmcnt(1)
	global_store_dword v[4:5], v102, off offset:148
	s_waitcnt vmcnt(0)
	global_store_dword v[95:96], v103, off
.LBB86_635:
	s_or_b32 exec_lo, exec_lo, s2
	v_mov_b32_e32 v102, v94
	v_mov_b32_e32 v103, v94
.LBB86_636:
	s_or_b32 exec_lo, exec_lo, s1
.LBB86_637:
	s_andn2_saveexec_b32 s0, s0
	s_cbranch_execz .LBB86_639
; %bb.638:
	v_mov_b32_e32 v94, v14
	v_mov_b32_e32 v95, v15
	;; [unrolled: 1-line block ×11, first 2 shown]
	ds_write2_b64 v100, v[94:95], v[104:105] offset0:38 offset1:39
	ds_write2_b64 v100, v[106:107], v[108:109] offset0:40 offset1:41
	;; [unrolled: 1-line block ×3, first 2 shown]
.LBB86_639:
	s_or_b32 exec_lo, exec_lo, s0
	s_mov_b32 s0, exec_lo
	s_waitcnt lgkmcnt(0)
	s_waitcnt_vscnt null, 0x0
	s_barrier
	buffer_gl0_inv
	v_cmpx_lt_i32_e32 37, v103
	s_cbranch_execz .LBB86_641
; %bb.640:
	v_mul_f64 v[16:17], v[0:1], v[16:17]
	ds_read2_b64 v[104:107], v100 offset0:38 offset1:39
	ds_read2_b64 v[108:111], v100 offset0:40 offset1:41
	;; [unrolled: 1-line block ×3, first 2 shown]
	s_waitcnt lgkmcnt(2)
	v_fma_f64 v[14:15], -v[16:17], v[104:105], v[14:15]
	v_fma_f64 v[8:9], -v[16:17], v[106:107], v[8:9]
	s_waitcnt lgkmcnt(1)
	v_fma_f64 v[12:13], -v[16:17], v[108:109], v[12:13]
	v_fma_f64 v[6:7], -v[16:17], v[110:111], v[6:7]
	;; [unrolled: 3-line block ×3, first 2 shown]
.LBB86_641:
	s_or_b32 exec_lo, exec_lo, s0
	v_lshl_add_u32 v0, v103, 3, v100
	s_barrier
	buffer_gl0_inv
	v_mov_b32_e32 v94, 38
	ds_write_b64 v0, v[14:15]
	s_waitcnt lgkmcnt(0)
	s_barrier
	buffer_gl0_inv
	ds_read_b64 v[0:1], v100 offset:304
	s_cmp_lt_i32 s7, 40
	s_cbranch_scc1 .LBB86_644
; %bb.642:
	v_add3_u32 v95, v101, 0, 0x138
	v_mov_b32_e32 v94, 38
	s_mov_b32 s0, 39
.LBB86_643:                             ; =>This Inner Loop Header: Depth=1
	ds_read_b64 v[104:105], v95
	v_add_nc_u32_e32 v95, 8, v95
	s_waitcnt lgkmcnt(0)
	v_cmp_lt_f64_e64 vcc_lo, |v[0:1]|, |v[104:105]|
	v_cndmask_b32_e32 v1, v1, v105, vcc_lo
	v_cndmask_b32_e32 v0, v0, v104, vcc_lo
	v_cndmask_b32_e64 v94, v94, s0, vcc_lo
	s_add_i32 s0, s0, 1
	s_cmp_lg_u32 s7, s0
	s_cbranch_scc1 .LBB86_643
.LBB86_644:
	s_mov_b32 s0, exec_lo
	s_waitcnt lgkmcnt(0)
	v_cmpx_eq_f64_e32 0, v[0:1]
	s_xor_b32 s0, exec_lo, s0
; %bb.645:
	v_cmp_ne_u32_e32 vcc_lo, 0, v97
	v_cndmask_b32_e32 v97, 39, v97, vcc_lo
; %bb.646:
	s_andn2_saveexec_b32 s0, s0
	s_cbranch_execz .LBB86_648
; %bb.647:
	v_div_scale_f64 v[95:96], null, v[0:1], v[0:1], 1.0
	v_rcp_f64_e32 v[104:105], v[95:96]
	v_fma_f64 v[106:107], -v[95:96], v[104:105], 1.0
	v_fma_f64 v[104:105], v[104:105], v[106:107], v[104:105]
	v_fma_f64 v[106:107], -v[95:96], v[104:105], 1.0
	v_fma_f64 v[104:105], v[104:105], v[106:107], v[104:105]
	v_div_scale_f64 v[106:107], vcc_lo, 1.0, v[0:1], 1.0
	v_mul_f64 v[108:109], v[106:107], v[104:105]
	v_fma_f64 v[95:96], -v[95:96], v[108:109], v[106:107]
	v_div_fmas_f64 v[95:96], v[95:96], v[104:105], v[108:109]
	v_div_fixup_f64 v[0:1], v[95:96], v[0:1], 1.0
.LBB86_648:
	s_or_b32 exec_lo, exec_lo, s0
	s_mov_b32 s0, exec_lo
	v_cmpx_ne_u32_e64 v103, v94
	s_xor_b32 s0, exec_lo, s0
	s_cbranch_execz .LBB86_654
; %bb.649:
	s_mov_b32 s1, exec_lo
	v_cmpx_eq_u32_e32 38, v103
	s_cbranch_execz .LBB86_653
; %bb.650:
	v_cmp_ne_u32_e32 vcc_lo, 38, v94
	s_xor_b32 s2, s6, -1
	s_and_b32 s3, s2, vcc_lo
	s_and_saveexec_b32 s2, s3
	s_cbranch_execz .LBB86_652
; %bb.651:
	v_ashrrev_i32_e32 v95, 31, v94
	v_lshlrev_b64 v[95:96], 2, v[94:95]
	v_add_co_u32 v95, vcc_lo, v4, v95
	v_add_co_ci_u32_e64 v96, null, v5, v96, vcc_lo
	s_clause 0x1
	global_load_dword v102, v[95:96], off
	global_load_dword v103, v[4:5], off offset:152
	s_waitcnt vmcnt(1)
	global_store_dword v[4:5], v102, off offset:152
	s_waitcnt vmcnt(0)
	global_store_dword v[95:96], v103, off
.LBB86_652:
	s_or_b32 exec_lo, exec_lo, s2
	v_mov_b32_e32 v102, v94
	v_mov_b32_e32 v103, v94
.LBB86_653:
	s_or_b32 exec_lo, exec_lo, s1
.LBB86_654:
	s_andn2_saveexec_b32 s0, s0
	s_cbranch_execz .LBB86_656
; %bb.655:
	v_mov_b32_e32 v103, 38
	ds_write2_b64 v100, v[8:9], v[12:13] offset0:39 offset1:40
	ds_write2_b64 v100, v[6:7], v[10:11] offset0:41 offset1:42
	ds_write_b64 v100, v[92:93] offset:344
.LBB86_656:
	s_or_b32 exec_lo, exec_lo, s0
	s_mov_b32 s0, exec_lo
	s_waitcnt lgkmcnt(0)
	s_waitcnt_vscnt null, 0x0
	s_barrier
	buffer_gl0_inv
	v_cmpx_lt_i32_e32 38, v103
	s_cbranch_execz .LBB86_658
; %bb.657:
	v_mul_f64 v[14:15], v[0:1], v[14:15]
	ds_read2_b64 v[104:107], v100 offset0:39 offset1:40
	ds_read2_b64 v[108:111], v100 offset0:41 offset1:42
	ds_read_b64 v[0:1], v100 offset:344
	s_waitcnt lgkmcnt(2)
	v_fma_f64 v[8:9], -v[14:15], v[104:105], v[8:9]
	v_fma_f64 v[12:13], -v[14:15], v[106:107], v[12:13]
	s_waitcnt lgkmcnt(1)
	v_fma_f64 v[6:7], -v[14:15], v[108:109], v[6:7]
	v_fma_f64 v[10:11], -v[14:15], v[110:111], v[10:11]
	s_waitcnt lgkmcnt(0)
	v_fma_f64 v[92:93], -v[14:15], v[0:1], v[92:93]
.LBB86_658:
	s_or_b32 exec_lo, exec_lo, s0
	v_lshl_add_u32 v0, v103, 3, v100
	s_barrier
	buffer_gl0_inv
	v_mov_b32_e32 v94, 39
	ds_write_b64 v0, v[8:9]
	s_waitcnt lgkmcnt(0)
	s_barrier
	buffer_gl0_inv
	ds_read_b64 v[0:1], v100 offset:312
	s_cmp_lt_i32 s7, 41
	s_cbranch_scc1 .LBB86_661
; %bb.659:
	v_add3_u32 v95, v101, 0, 0x140
	v_mov_b32_e32 v94, 39
	s_mov_b32 s0, 40
.LBB86_660:                             ; =>This Inner Loop Header: Depth=1
	ds_read_b64 v[104:105], v95
	v_add_nc_u32_e32 v95, 8, v95
	s_waitcnt lgkmcnt(0)
	v_cmp_lt_f64_e64 vcc_lo, |v[0:1]|, |v[104:105]|
	v_cndmask_b32_e32 v1, v1, v105, vcc_lo
	v_cndmask_b32_e32 v0, v0, v104, vcc_lo
	v_cndmask_b32_e64 v94, v94, s0, vcc_lo
	s_add_i32 s0, s0, 1
	s_cmp_lg_u32 s7, s0
	s_cbranch_scc1 .LBB86_660
.LBB86_661:
	s_mov_b32 s0, exec_lo
	s_waitcnt lgkmcnt(0)
	v_cmpx_eq_f64_e32 0, v[0:1]
	s_xor_b32 s0, exec_lo, s0
; %bb.662:
	v_cmp_ne_u32_e32 vcc_lo, 0, v97
	v_cndmask_b32_e32 v97, 40, v97, vcc_lo
; %bb.663:
	s_andn2_saveexec_b32 s0, s0
	s_cbranch_execz .LBB86_665
; %bb.664:
	v_div_scale_f64 v[95:96], null, v[0:1], v[0:1], 1.0
	v_rcp_f64_e32 v[104:105], v[95:96]
	v_fma_f64 v[106:107], -v[95:96], v[104:105], 1.0
	v_fma_f64 v[104:105], v[104:105], v[106:107], v[104:105]
	v_fma_f64 v[106:107], -v[95:96], v[104:105], 1.0
	v_fma_f64 v[104:105], v[104:105], v[106:107], v[104:105]
	v_div_scale_f64 v[106:107], vcc_lo, 1.0, v[0:1], 1.0
	v_mul_f64 v[108:109], v[106:107], v[104:105]
	v_fma_f64 v[95:96], -v[95:96], v[108:109], v[106:107]
	v_div_fmas_f64 v[95:96], v[95:96], v[104:105], v[108:109]
	v_div_fixup_f64 v[0:1], v[95:96], v[0:1], 1.0
.LBB86_665:
	s_or_b32 exec_lo, exec_lo, s0
	s_mov_b32 s0, exec_lo
	v_cmpx_ne_u32_e64 v103, v94
	s_xor_b32 s0, exec_lo, s0
	s_cbranch_execz .LBB86_671
; %bb.666:
	s_mov_b32 s1, exec_lo
	v_cmpx_eq_u32_e32 39, v103
	s_cbranch_execz .LBB86_670
; %bb.667:
	v_cmp_ne_u32_e32 vcc_lo, 39, v94
	s_xor_b32 s2, s6, -1
	s_and_b32 s3, s2, vcc_lo
	s_and_saveexec_b32 s2, s3
	s_cbranch_execz .LBB86_669
; %bb.668:
	v_ashrrev_i32_e32 v95, 31, v94
	v_lshlrev_b64 v[95:96], 2, v[94:95]
	v_add_co_u32 v95, vcc_lo, v4, v95
	v_add_co_ci_u32_e64 v96, null, v5, v96, vcc_lo
	s_clause 0x1
	global_load_dword v102, v[95:96], off
	global_load_dword v103, v[4:5], off offset:156
	s_waitcnt vmcnt(1)
	global_store_dword v[4:5], v102, off offset:156
	s_waitcnt vmcnt(0)
	global_store_dword v[95:96], v103, off
.LBB86_669:
	s_or_b32 exec_lo, exec_lo, s2
	v_mov_b32_e32 v102, v94
	v_mov_b32_e32 v103, v94
.LBB86_670:
	s_or_b32 exec_lo, exec_lo, s1
.LBB86_671:
	s_andn2_saveexec_b32 s0, s0
	s_cbranch_execz .LBB86_673
; %bb.672:
	v_mov_b32_e32 v94, v12
	v_mov_b32_e32 v95, v13
	;; [unrolled: 1-line block ×7, first 2 shown]
	ds_write2_b64 v100, v[94:95], v[104:105] offset0:40 offset1:41
	ds_write2_b64 v100, v[106:107], v[92:93] offset0:42 offset1:43
.LBB86_673:
	s_or_b32 exec_lo, exec_lo, s0
	s_mov_b32 s0, exec_lo
	s_waitcnt lgkmcnt(0)
	s_waitcnt_vscnt null, 0x0
	s_barrier
	buffer_gl0_inv
	v_cmpx_lt_i32_e32 39, v103
	s_cbranch_execz .LBB86_675
; %bb.674:
	v_mul_f64 v[8:9], v[0:1], v[8:9]
	ds_read2_b64 v[104:107], v100 offset0:40 offset1:41
	ds_read2_b64 v[108:111], v100 offset0:42 offset1:43
	s_waitcnt lgkmcnt(1)
	v_fma_f64 v[12:13], -v[8:9], v[104:105], v[12:13]
	v_fma_f64 v[6:7], -v[8:9], v[106:107], v[6:7]
	s_waitcnt lgkmcnt(0)
	v_fma_f64 v[10:11], -v[8:9], v[108:109], v[10:11]
	v_fma_f64 v[92:93], -v[8:9], v[110:111], v[92:93]
.LBB86_675:
	s_or_b32 exec_lo, exec_lo, s0
	v_lshl_add_u32 v0, v103, 3, v100
	s_barrier
	buffer_gl0_inv
	v_mov_b32_e32 v94, 40
	ds_write_b64 v0, v[12:13]
	s_waitcnt lgkmcnt(0)
	s_barrier
	buffer_gl0_inv
	ds_read_b64 v[0:1], v100 offset:320
	s_cmp_lt_i32 s7, 42
	s_cbranch_scc1 .LBB86_678
; %bb.676:
	v_add3_u32 v95, v101, 0, 0x148
	v_mov_b32_e32 v94, 40
	s_mov_b32 s0, 41
.LBB86_677:                             ; =>This Inner Loop Header: Depth=1
	ds_read_b64 v[104:105], v95
	v_add_nc_u32_e32 v95, 8, v95
	s_waitcnt lgkmcnt(0)
	v_cmp_lt_f64_e64 vcc_lo, |v[0:1]|, |v[104:105]|
	v_cndmask_b32_e32 v1, v1, v105, vcc_lo
	v_cndmask_b32_e32 v0, v0, v104, vcc_lo
	v_cndmask_b32_e64 v94, v94, s0, vcc_lo
	s_add_i32 s0, s0, 1
	s_cmp_lg_u32 s7, s0
	s_cbranch_scc1 .LBB86_677
.LBB86_678:
	s_mov_b32 s0, exec_lo
	s_waitcnt lgkmcnt(0)
	v_cmpx_eq_f64_e32 0, v[0:1]
	s_xor_b32 s0, exec_lo, s0
; %bb.679:
	v_cmp_ne_u32_e32 vcc_lo, 0, v97
	v_cndmask_b32_e32 v97, 41, v97, vcc_lo
; %bb.680:
	s_andn2_saveexec_b32 s0, s0
	s_cbranch_execz .LBB86_682
; %bb.681:
	v_div_scale_f64 v[95:96], null, v[0:1], v[0:1], 1.0
	v_rcp_f64_e32 v[104:105], v[95:96]
	v_fma_f64 v[106:107], -v[95:96], v[104:105], 1.0
	v_fma_f64 v[104:105], v[104:105], v[106:107], v[104:105]
	v_fma_f64 v[106:107], -v[95:96], v[104:105], 1.0
	v_fma_f64 v[104:105], v[104:105], v[106:107], v[104:105]
	v_div_scale_f64 v[106:107], vcc_lo, 1.0, v[0:1], 1.0
	v_mul_f64 v[108:109], v[106:107], v[104:105]
	v_fma_f64 v[95:96], -v[95:96], v[108:109], v[106:107]
	v_div_fmas_f64 v[95:96], v[95:96], v[104:105], v[108:109]
	v_div_fixup_f64 v[0:1], v[95:96], v[0:1], 1.0
.LBB86_682:
	s_or_b32 exec_lo, exec_lo, s0
	s_mov_b32 s0, exec_lo
	v_cmpx_ne_u32_e64 v103, v94
	s_xor_b32 s0, exec_lo, s0
	s_cbranch_execz .LBB86_688
; %bb.683:
	s_mov_b32 s1, exec_lo
	v_cmpx_eq_u32_e32 40, v103
	s_cbranch_execz .LBB86_687
; %bb.684:
	v_cmp_ne_u32_e32 vcc_lo, 40, v94
	s_xor_b32 s2, s6, -1
	s_and_b32 s3, s2, vcc_lo
	s_and_saveexec_b32 s2, s3
	s_cbranch_execz .LBB86_686
; %bb.685:
	v_ashrrev_i32_e32 v95, 31, v94
	v_lshlrev_b64 v[95:96], 2, v[94:95]
	v_add_co_u32 v95, vcc_lo, v4, v95
	v_add_co_ci_u32_e64 v96, null, v5, v96, vcc_lo
	s_clause 0x1
	global_load_dword v102, v[95:96], off
	global_load_dword v103, v[4:5], off offset:160
	s_waitcnt vmcnt(1)
	global_store_dword v[4:5], v102, off offset:160
	s_waitcnt vmcnt(0)
	global_store_dword v[95:96], v103, off
.LBB86_686:
	s_or_b32 exec_lo, exec_lo, s2
	v_mov_b32_e32 v102, v94
	v_mov_b32_e32 v103, v94
.LBB86_687:
	s_or_b32 exec_lo, exec_lo, s1
.LBB86_688:
	s_andn2_saveexec_b32 s0, s0
	s_cbranch_execz .LBB86_690
; %bb.689:
	v_mov_b32_e32 v103, 40
	ds_write2_b64 v100, v[6:7], v[10:11] offset0:41 offset1:42
	ds_write_b64 v100, v[92:93] offset:344
.LBB86_690:
	s_or_b32 exec_lo, exec_lo, s0
	s_mov_b32 s0, exec_lo
	s_waitcnt lgkmcnt(0)
	s_waitcnt_vscnt null, 0x0
	s_barrier
	buffer_gl0_inv
	v_cmpx_lt_i32_e32 40, v103
	s_cbranch_execz .LBB86_692
; %bb.691:
	v_mul_f64 v[12:13], v[0:1], v[12:13]
	ds_read2_b64 v[104:107], v100 offset0:41 offset1:42
	ds_read_b64 v[0:1], v100 offset:344
	s_waitcnt lgkmcnt(1)
	v_fma_f64 v[6:7], -v[12:13], v[104:105], v[6:7]
	v_fma_f64 v[10:11], -v[12:13], v[106:107], v[10:11]
	s_waitcnt lgkmcnt(0)
	v_fma_f64 v[92:93], -v[12:13], v[0:1], v[92:93]
.LBB86_692:
	s_or_b32 exec_lo, exec_lo, s0
	v_lshl_add_u32 v0, v103, 3, v100
	s_barrier
	buffer_gl0_inv
	v_mov_b32_e32 v94, 41
	ds_write_b64 v0, v[6:7]
	s_waitcnt lgkmcnt(0)
	s_barrier
	buffer_gl0_inv
	ds_read_b64 v[0:1], v100 offset:328
	s_cmp_lt_i32 s7, 43
	s_cbranch_scc1 .LBB86_695
; %bb.693:
	v_add3_u32 v95, v101, 0, 0x150
	v_mov_b32_e32 v94, 41
	s_mov_b32 s0, 42
.LBB86_694:                             ; =>This Inner Loop Header: Depth=1
	ds_read_b64 v[104:105], v95
	v_add_nc_u32_e32 v95, 8, v95
	s_waitcnt lgkmcnt(0)
	v_cmp_lt_f64_e64 vcc_lo, |v[0:1]|, |v[104:105]|
	v_cndmask_b32_e32 v1, v1, v105, vcc_lo
	v_cndmask_b32_e32 v0, v0, v104, vcc_lo
	v_cndmask_b32_e64 v94, v94, s0, vcc_lo
	s_add_i32 s0, s0, 1
	s_cmp_lg_u32 s7, s0
	s_cbranch_scc1 .LBB86_694
.LBB86_695:
	s_mov_b32 s0, exec_lo
	s_waitcnt lgkmcnt(0)
	v_cmpx_eq_f64_e32 0, v[0:1]
	s_xor_b32 s0, exec_lo, s0
; %bb.696:
	v_cmp_ne_u32_e32 vcc_lo, 0, v97
	v_cndmask_b32_e32 v97, 42, v97, vcc_lo
; %bb.697:
	s_andn2_saveexec_b32 s0, s0
	s_cbranch_execz .LBB86_699
; %bb.698:
	v_div_scale_f64 v[95:96], null, v[0:1], v[0:1], 1.0
	v_rcp_f64_e32 v[104:105], v[95:96]
	v_fma_f64 v[106:107], -v[95:96], v[104:105], 1.0
	v_fma_f64 v[104:105], v[104:105], v[106:107], v[104:105]
	v_fma_f64 v[106:107], -v[95:96], v[104:105], 1.0
	v_fma_f64 v[104:105], v[104:105], v[106:107], v[104:105]
	v_div_scale_f64 v[106:107], vcc_lo, 1.0, v[0:1], 1.0
	v_mul_f64 v[108:109], v[106:107], v[104:105]
	v_fma_f64 v[95:96], -v[95:96], v[108:109], v[106:107]
	v_div_fmas_f64 v[95:96], v[95:96], v[104:105], v[108:109]
	v_div_fixup_f64 v[0:1], v[95:96], v[0:1], 1.0
.LBB86_699:
	s_or_b32 exec_lo, exec_lo, s0
	s_mov_b32 s0, exec_lo
	v_cmpx_ne_u32_e64 v103, v94
	s_xor_b32 s0, exec_lo, s0
	s_cbranch_execz .LBB86_705
; %bb.700:
	s_mov_b32 s1, exec_lo
	v_cmpx_eq_u32_e32 41, v103
	s_cbranch_execz .LBB86_704
; %bb.701:
	v_cmp_ne_u32_e32 vcc_lo, 41, v94
	s_xor_b32 s2, s6, -1
	s_and_b32 s3, s2, vcc_lo
	s_and_saveexec_b32 s2, s3
	s_cbranch_execz .LBB86_703
; %bb.702:
	v_ashrrev_i32_e32 v95, 31, v94
	v_lshlrev_b64 v[95:96], 2, v[94:95]
	v_add_co_u32 v95, vcc_lo, v4, v95
	v_add_co_ci_u32_e64 v96, null, v5, v96, vcc_lo
	s_clause 0x1
	global_load_dword v102, v[95:96], off
	global_load_dword v103, v[4:5], off offset:164
	s_waitcnt vmcnt(1)
	global_store_dword v[4:5], v102, off offset:164
	s_waitcnt vmcnt(0)
	global_store_dword v[95:96], v103, off
.LBB86_703:
	s_or_b32 exec_lo, exec_lo, s2
	v_mov_b32_e32 v102, v94
	v_mov_b32_e32 v103, v94
.LBB86_704:
	s_or_b32 exec_lo, exec_lo, s1
.LBB86_705:
	s_andn2_saveexec_b32 s0, s0
	s_cbranch_execz .LBB86_707
; %bb.706:
	v_mov_b32_e32 v94, v10
	v_mov_b32_e32 v95, v11
	v_mov_b32_e32 v103, 41
	ds_write2_b64 v100, v[94:95], v[92:93] offset0:42 offset1:43
.LBB86_707:
	s_or_b32 exec_lo, exec_lo, s0
	s_mov_b32 s0, exec_lo
	s_waitcnt lgkmcnt(0)
	s_waitcnt_vscnt null, 0x0
	s_barrier
	buffer_gl0_inv
	v_cmpx_lt_i32_e32 41, v103
	s_cbranch_execz .LBB86_709
; %bb.708:
	v_mul_f64 v[6:7], v[0:1], v[6:7]
	ds_read2_b64 v[104:107], v100 offset0:42 offset1:43
	s_waitcnt lgkmcnt(0)
	v_fma_f64 v[10:11], -v[6:7], v[104:105], v[10:11]
	v_fma_f64 v[92:93], -v[6:7], v[106:107], v[92:93]
.LBB86_709:
	s_or_b32 exec_lo, exec_lo, s0
	v_lshl_add_u32 v0, v103, 3, v100
	s_barrier
	buffer_gl0_inv
	v_mov_b32_e32 v94, 42
	ds_write_b64 v0, v[10:11]
	s_waitcnt lgkmcnt(0)
	s_barrier
	buffer_gl0_inv
	ds_read_b64 v[0:1], v100 offset:336
	s_cmp_lt_i32 s7, 44
	s_cbranch_scc1 .LBB86_712
; %bb.710:
	v_add3_u32 v95, v101, 0, 0x158
	v_mov_b32_e32 v94, 42
	s_mov_b32 s0, 43
.LBB86_711:                             ; =>This Inner Loop Header: Depth=1
	ds_read_b64 v[104:105], v95
	v_add_nc_u32_e32 v95, 8, v95
	s_waitcnt lgkmcnt(0)
	v_cmp_lt_f64_e64 vcc_lo, |v[0:1]|, |v[104:105]|
	v_cndmask_b32_e32 v1, v1, v105, vcc_lo
	v_cndmask_b32_e32 v0, v0, v104, vcc_lo
	v_cndmask_b32_e64 v94, v94, s0, vcc_lo
	s_add_i32 s0, s0, 1
	s_cmp_lg_u32 s7, s0
	s_cbranch_scc1 .LBB86_711
.LBB86_712:
	s_mov_b32 s0, exec_lo
	s_waitcnt lgkmcnt(0)
	v_cmpx_eq_f64_e32 0, v[0:1]
	s_xor_b32 s0, exec_lo, s0
; %bb.713:
	v_cmp_ne_u32_e32 vcc_lo, 0, v97
	v_cndmask_b32_e32 v97, 43, v97, vcc_lo
; %bb.714:
	s_andn2_saveexec_b32 s0, s0
	s_cbranch_execz .LBB86_716
; %bb.715:
	v_div_scale_f64 v[95:96], null, v[0:1], v[0:1], 1.0
	v_rcp_f64_e32 v[104:105], v[95:96]
	v_fma_f64 v[106:107], -v[95:96], v[104:105], 1.0
	v_fma_f64 v[104:105], v[104:105], v[106:107], v[104:105]
	v_fma_f64 v[106:107], -v[95:96], v[104:105], 1.0
	v_fma_f64 v[104:105], v[104:105], v[106:107], v[104:105]
	v_div_scale_f64 v[106:107], vcc_lo, 1.0, v[0:1], 1.0
	v_mul_f64 v[108:109], v[106:107], v[104:105]
	v_fma_f64 v[95:96], -v[95:96], v[108:109], v[106:107]
	v_div_fmas_f64 v[95:96], v[95:96], v[104:105], v[108:109]
	v_div_fixup_f64 v[0:1], v[95:96], v[0:1], 1.0
.LBB86_716:
	s_or_b32 exec_lo, exec_lo, s0
	s_mov_b32 s0, exec_lo
	v_cmpx_ne_u32_e64 v103, v94
	s_xor_b32 s0, exec_lo, s0
	s_cbranch_execz .LBB86_722
; %bb.717:
	s_mov_b32 s1, exec_lo
	v_cmpx_eq_u32_e32 42, v103
	s_cbranch_execz .LBB86_721
; %bb.718:
	v_cmp_ne_u32_e32 vcc_lo, 42, v94
	s_xor_b32 s2, s6, -1
	s_and_b32 s3, s2, vcc_lo
	s_and_saveexec_b32 s2, s3
	s_cbranch_execz .LBB86_720
; %bb.719:
	v_ashrrev_i32_e32 v95, 31, v94
	v_lshlrev_b64 v[95:96], 2, v[94:95]
	v_add_co_u32 v95, vcc_lo, v4, v95
	v_add_co_ci_u32_e64 v96, null, v5, v96, vcc_lo
	s_clause 0x1
	global_load_dword v102, v[95:96], off
	global_load_dword v103, v[4:5], off offset:168
	s_waitcnt vmcnt(1)
	global_store_dword v[4:5], v102, off offset:168
	s_waitcnt vmcnt(0)
	global_store_dword v[95:96], v103, off
.LBB86_720:
	s_or_b32 exec_lo, exec_lo, s2
	v_mov_b32_e32 v102, v94
	v_mov_b32_e32 v103, v94
.LBB86_721:
	s_or_b32 exec_lo, exec_lo, s1
.LBB86_722:
	s_andn2_saveexec_b32 s0, s0
; %bb.723:
	v_mov_b32_e32 v103, 42
	ds_write_b64 v100, v[92:93] offset:344
; %bb.724:
	s_or_b32 exec_lo, exec_lo, s0
	s_mov_b32 s0, exec_lo
	s_waitcnt lgkmcnt(0)
	s_waitcnt_vscnt null, 0x0
	s_barrier
	buffer_gl0_inv
	v_cmpx_lt_i32_e32 42, v103
	s_cbranch_execz .LBB86_726
; %bb.725:
	v_mul_f64 v[10:11], v[0:1], v[10:11]
	ds_read_b64 v[0:1], v100 offset:344
	s_waitcnt lgkmcnt(0)
	v_fma_f64 v[92:93], -v[10:11], v[0:1], v[92:93]
.LBB86_726:
	s_or_b32 exec_lo, exec_lo, s0
	v_lshl_add_u32 v0, v103, 3, v100
	s_barrier
	buffer_gl0_inv
	v_mov_b32_e32 v94, 43
	ds_write_b64 v0, v[92:93]
	s_waitcnt lgkmcnt(0)
	s_barrier
	buffer_gl0_inv
	ds_read_b64 v[0:1], v100 offset:344
	s_cmp_lt_i32 s7, 45
	s_cbranch_scc1 .LBB86_729
; %bb.727:
	v_add3_u32 v95, v101, 0, 0x160
	v_mov_b32_e32 v94, 43
	s_mov_b32 s0, 44
.LBB86_728:                             ; =>This Inner Loop Header: Depth=1
	ds_read_b64 v[100:101], v95
	v_add_nc_u32_e32 v95, 8, v95
	s_waitcnt lgkmcnt(0)
	v_cmp_lt_f64_e64 vcc_lo, |v[0:1]|, |v[100:101]|
	v_cndmask_b32_e32 v1, v1, v101, vcc_lo
	v_cndmask_b32_e32 v0, v0, v100, vcc_lo
	v_cndmask_b32_e64 v94, v94, s0, vcc_lo
	s_add_i32 s0, s0, 1
	s_cmp_lg_u32 s7, s0
	s_cbranch_scc1 .LBB86_728
.LBB86_729:
	s_mov_b32 s0, exec_lo
	s_waitcnt lgkmcnt(0)
	v_cmpx_eq_f64_e32 0, v[0:1]
	s_xor_b32 s0, exec_lo, s0
; %bb.730:
	v_cmp_ne_u32_e32 vcc_lo, 0, v97
	v_cndmask_b32_e32 v97, 44, v97, vcc_lo
; %bb.731:
	s_andn2_saveexec_b32 s0, s0
	s_cbranch_execz .LBB86_733
; %bb.732:
	v_div_scale_f64 v[95:96], null, v[0:1], v[0:1], 1.0
	v_rcp_f64_e32 v[100:101], v[95:96]
	v_fma_f64 v[104:105], -v[95:96], v[100:101], 1.0
	v_fma_f64 v[100:101], v[100:101], v[104:105], v[100:101]
	v_fma_f64 v[104:105], -v[95:96], v[100:101], 1.0
	v_fma_f64 v[100:101], v[100:101], v[104:105], v[100:101]
	v_div_scale_f64 v[104:105], vcc_lo, 1.0, v[0:1], 1.0
	v_mul_f64 v[106:107], v[104:105], v[100:101]
	v_fma_f64 v[95:96], -v[95:96], v[106:107], v[104:105]
	v_div_fmas_f64 v[95:96], v[95:96], v[100:101], v[106:107]
	v_div_fixup_f64 v[0:1], v[95:96], v[0:1], 1.0
.LBB86_733:
	s_or_b32 exec_lo, exec_lo, s0
	v_mov_b32_e32 v95, 43
	s_mov_b32 s0, exec_lo
	v_cmpx_ne_u32_e64 v103, v94
	s_cbranch_execz .LBB86_739
; %bb.734:
	s_mov_b32 s1, exec_lo
	v_cmpx_eq_u32_e32 43, v103
	s_cbranch_execz .LBB86_738
; %bb.735:
	v_cmp_ne_u32_e32 vcc_lo, 43, v94
	s_xor_b32 s2, s6, -1
	s_and_b32 s3, s2, vcc_lo
	s_and_saveexec_b32 s2, s3
	s_cbranch_execz .LBB86_737
; %bb.736:
	v_ashrrev_i32_e32 v95, 31, v94
	v_lshlrev_b64 v[95:96], 2, v[94:95]
	v_add_co_u32 v95, vcc_lo, v4, v95
	v_add_co_ci_u32_e64 v96, null, v5, v96, vcc_lo
	s_clause 0x1
	global_load_dword v100, v[95:96], off
	global_load_dword v101, v[4:5], off offset:172
	s_waitcnt vmcnt(1)
	global_store_dword v[4:5], v100, off offset:172
	s_waitcnt vmcnt(0)
	global_store_dword v[95:96], v101, off
.LBB86_737:
	s_or_b32 exec_lo, exec_lo, s2
	v_mov_b32_e32 v102, v94
	v_mov_b32_e32 v103, v94
.LBB86_738:
	s_or_b32 exec_lo, exec_lo, s1
	v_mov_b32_e32 v95, v103
.LBB86_739:
	s_or_b32 exec_lo, exec_lo, s0
	s_load_dwordx8 s[0:7], s[4:5], 0x28
	v_ashrrev_i32_e32 v96, 31, v95
	s_mov_b32 s9, exec_lo
	s_waitcnt lgkmcnt(0)
	s_waitcnt_vscnt null, 0x0
	s_barrier
	buffer_gl0_inv
	s_barrier
	buffer_gl0_inv
	v_cmpx_gt_i32_e32 44, v95
	s_cbranch_execz .LBB86_741
; %bb.740:
	v_mul_lo_u32 v94, s5, v2
	v_mul_lo_u32 v100, s4, v3
	v_mad_u64_u32 v[4:5], null, s4, v2, 0
	s_lshl_b64 s[2:3], s[2:3], 2
	v_add3_u32 v5, v5, v100, v94
	v_lshlrev_b64 v[4:5], 2, v[4:5]
	v_add_co_u32 v94, vcc_lo, s0, v4
	v_add_co_ci_u32_e64 v100, null, s1, v5, vcc_lo
	v_lshlrev_b64 v[4:5], 2, v[95:96]
	v_add_co_u32 v94, vcc_lo, v94, s2
	v_add_co_ci_u32_e64 v100, null, s3, v100, vcc_lo
	v_add_co_u32 v4, vcc_lo, v94, v4
	v_add_co_ci_u32_e64 v5, null, v100, v5, vcc_lo
	v_add3_u32 v94, v102, s13, 1
	global_store_dword v[4:5], v94, off
.LBB86_741:
	s_or_b32 exec_lo, exec_lo, s9
	s_mov_b32 s1, exec_lo
	v_cmpx_eq_u32_e32 0, v95
	s_cbranch_execz .LBB86_744
; %bb.742:
	v_lshlrev_b64 v[2:3], 2, v[2:3]
	v_cmp_ne_u32_e64 s0, 0, v97
	v_add_co_u32 v2, vcc_lo, s6, v2
	v_add_co_ci_u32_e64 v3, null, s7, v3, vcc_lo
	global_load_dword v4, v[2:3], off
	s_waitcnt vmcnt(0)
	v_cmp_eq_u32_e32 vcc_lo, 0, v4
	s_and_b32 s0, vcc_lo, s0
	s_and_b32 exec_lo, exec_lo, s0
	s_cbranch_execz .LBB86_744
; %bb.743:
	v_add_nc_u32_e32 v4, s13, v97
	global_store_dword v[2:3], v4, off
.LBB86_744:
	s_or_b32 exec_lo, exec_lo, s1
	v_lshlrev_b64 v[4:5], 3, v[95:96]
	v_mul_f64 v[0:1], v[0:1], v[92:93]
	v_add3_u32 v2, s8, s8, v95
	v_cmp_lt_i32_e32 vcc_lo, 43, v95
	v_add_co_u32 v4, s0, v98, v4
	v_add_nc_u32_e32 v94, s8, v2
	v_add_co_ci_u32_e64 v5, null, v99, v5, s0
	v_add_co_u32 v96, s0, v4, s10
	v_ashrrev_i32_e32 v3, 31, v2
	v_add_co_ci_u32_e64 v97, null, s11, v5, s0
	v_add_nc_u32_e32 v100, s8, v94
	v_ashrrev_i32_e32 v95, 31, v94
	v_lshlrev_b64 v[2:3], 3, v[2:3]
	flat_store_dwordx2 v[4:5], v[90:91]
	flat_store_dwordx2 v[96:97], v[88:89]
	v_add_nc_u32_e32 v88, s8, v100
	v_lshlrev_b64 v[4:5], 3, v[94:95]
	v_cndmask_b32_e32 v1, v93, v1, vcc_lo
	v_cndmask_b32_e32 v0, v92, v0, vcc_lo
	v_add_co_u32 v2, vcc_lo, v98, v2
	v_add_nc_u32_e32 v90, s8, v88
	v_ashrrev_i32_e32 v101, 31, v100
	v_add_co_ci_u32_e64 v3, null, v99, v3, vcc_lo
	v_add_co_u32 v4, vcc_lo, v98, v4
	v_ashrrev_i32_e32 v89, 31, v88
	v_add_co_ci_u32_e64 v5, null, v99, v5, vcc_lo
	v_ashrrev_i32_e32 v91, 31, v90
	v_lshlrev_b64 v[92:93], 3, v[100:101]
	flat_store_dwordx2 v[2:3], v[86:87]
	flat_store_dwordx2 v[4:5], v[84:85]
	v_lshlrev_b64 v[2:3], 3, v[88:89]
	v_add_nc_u32_e32 v86, s8, v90
	v_lshlrev_b64 v[84:85], 3, v[90:91]
	v_add_co_u32 v4, vcc_lo, v98, v92
	v_add_co_ci_u32_e64 v5, null, v99, v93, vcc_lo
	v_add_co_u32 v2, vcc_lo, v98, v2
	v_add_co_ci_u32_e64 v3, null, v99, v3, vcc_lo
	v_add_co_u32 v84, vcc_lo, v98, v84
	v_add_nc_u32_e32 v88, s8, v86
	v_add_co_ci_u32_e64 v85, null, v99, v85, vcc_lo
	v_ashrrev_i32_e32 v87, 31, v86
	flat_store_dwordx2 v[4:5], v[82:83]
	flat_store_dwordx2 v[2:3], v[78:79]
	flat_store_dwordx2 v[84:85], v[80:81]
	v_add_nc_u32_e32 v78, s8, v88
	v_ashrrev_i32_e32 v89, 31, v88
	v_lshlrev_b64 v[4:5], 3, v[86:87]
	v_add_nc_u32_e32 v80, s8, v78
	v_lshlrev_b64 v[2:3], 3, v[88:89]
	v_ashrrev_i32_e32 v79, 31, v78
	v_add_co_u32 v4, vcc_lo, v98, v4
	v_add_nc_u32_e32 v82, s8, v80
	v_add_co_ci_u32_e64 v5, null, v99, v5, vcc_lo
	v_add_co_u32 v2, vcc_lo, v98, v2
	v_ashrrev_i32_e32 v81, 31, v80
	v_add_co_ci_u32_e64 v3, null, v99, v3, vcc_lo
	v_ashrrev_i32_e32 v83, 31, v82
	v_lshlrev_b64 v[78:79], 3, v[78:79]
	flat_store_dwordx2 v[4:5], v[74:75]
	flat_store_dwordx2 v[2:3], v[76:77]
	v_lshlrev_b64 v[2:3], 3, v[80:81]
	v_add_nc_u32_e32 v76, s8, v82
	v_lshlrev_b64 v[74:75], 3, v[82:83]
	v_add_co_u32 v4, vcc_lo, v98, v78
	v_add_co_ci_u32_e64 v5, null, v99, v79, vcc_lo
	v_add_co_u32 v2, vcc_lo, v98, v2
	v_add_co_ci_u32_e64 v3, null, v99, v3, vcc_lo
	v_add_co_u32 v74, vcc_lo, v98, v74
	v_add_nc_u32_e32 v78, s8, v76
	v_add_co_ci_u32_e64 v75, null, v99, v75, vcc_lo
	v_ashrrev_i32_e32 v77, 31, v76
	flat_store_dwordx2 v[4:5], v[72:73]
	flat_store_dwordx2 v[2:3], v[70:71]
	flat_store_dwordx2 v[74:75], v[68:69]
	v_add_nc_u32_e32 v68, s8, v78
	v_ashrrev_i32_e32 v79, 31, v78
	v_lshlrev_b64 v[4:5], 3, v[76:77]
	v_add_nc_u32_e32 v70, s8, v68
	v_lshlrev_b64 v[2:3], 3, v[78:79]
	v_ashrrev_i32_e32 v69, 31, v68
	v_add_co_u32 v4, vcc_lo, v98, v4
	v_add_nc_u32_e32 v72, s8, v70
	;; [unrolled: 30-line block ×6, first 2 shown]
	v_add_co_ci_u32_e64 v5, null, v99, v5, vcc_lo
	v_add_co_u32 v2, vcc_lo, v98, v2
	v_ashrrev_i32_e32 v31, 31, v30
	v_add_co_ci_u32_e64 v3, null, v99, v3, vcc_lo
	v_ashrrev_i32_e32 v33, 31, v32
	v_lshlrev_b64 v[28:29], 3, v[28:29]
	flat_store_dwordx2 v[4:5], v[26:27]
	flat_store_dwordx2 v[2:3], v[24:25]
	v_lshlrev_b64 v[2:3], 3, v[30:31]
	v_add_nc_u32_e32 v26, s8, v32
	v_lshlrev_b64 v[24:25], 3, v[32:33]
	v_add_co_u32 v4, vcc_lo, v98, v28
	v_add_co_ci_u32_e64 v5, null, v99, v29, vcc_lo
	v_add_co_u32 v2, vcc_lo, v98, v2
	v_add_nc_u32_e32 v28, s8, v26
	v_add_co_ci_u32_e64 v3, null, v99, v3, vcc_lo
	v_add_co_u32 v24, vcc_lo, v98, v24
	v_ashrrev_i32_e32 v27, 31, v26
	v_add_co_ci_u32_e64 v25, null, v99, v25, vcc_lo
	v_ashrrev_i32_e32 v29, 31, v28
	flat_store_dwordx2 v[4:5], v[22:23]
	v_lshlrev_b64 v[4:5], 3, v[26:27]
	flat_store_dwordx2 v[2:3], v[18:19]
	flat_store_dwordx2 v[24:25], v[20:21]
	v_add_nc_u32_e32 v18, s8, v28
	v_lshlrev_b64 v[2:3], 3, v[28:29]
	v_add_co_u32 v4, vcc_lo, v98, v4
	v_add_nc_u32_e32 v20, s8, v18
	v_add_co_ci_u32_e64 v5, null, v99, v5, vcc_lo
	v_add_co_u32 v2, vcc_lo, v98, v2
	v_add_co_ci_u32_e64 v3, null, v99, v3, vcc_lo
	v_add_nc_u32_e32 v22, s8, v20
	v_ashrrev_i32_e32 v19, 31, v18
	flat_store_dwordx2 v[4:5], v[16:17]
	flat_store_dwordx2 v[2:3], v[14:15]
	v_ashrrev_i32_e32 v21, 31, v20
	v_add_nc_u32_e32 v14, s8, v22
	v_lshlrev_b64 v[4:5], 3, v[18:19]
	v_ashrrev_i32_e32 v23, 31, v22
	v_lshlrev_b64 v[2:3], 3, v[20:21]
	v_add_nc_u32_e32 v18, s8, v14
	v_ashrrev_i32_e32 v15, 31, v14
	v_lshlrev_b64 v[16:17], 3, v[22:23]
	v_add_co_u32 v4, vcc_lo, v98, v4
	v_ashrrev_i32_e32 v19, 31, v18
	v_lshlrev_b64 v[14:15], 3, v[14:15]
	v_add_co_ci_u32_e64 v5, null, v99, v5, vcc_lo
	v_add_co_u32 v2, vcc_lo, v98, v2
	v_lshlrev_b64 v[18:19], 3, v[18:19]
	v_add_co_ci_u32_e64 v3, null, v99, v3, vcc_lo
	v_add_co_u32 v16, vcc_lo, v98, v16
	v_add_co_ci_u32_e64 v17, null, v99, v17, vcc_lo
	v_add_co_u32 v14, vcc_lo, v98, v14
	;; [unrolled: 2-line block ×3, first 2 shown]
	v_add_co_ci_u32_e64 v19, null, v99, v19, vcc_lo
	flat_store_dwordx2 v[4:5], v[8:9]
	flat_store_dwordx2 v[2:3], v[12:13]
	;; [unrolled: 1-line block ×5, first 2 shown]
.LBB86_745:
	s_endpgm
	.section	.rodata,"a",@progbits
	.p2align	6, 0x0
	.amdhsa_kernel _ZN9rocsolver6v33100L18getf2_small_kernelILi44EdiiPKPdEEvT1_T3_lS5_lPS5_llPT2_S5_S5_S7_l
		.amdhsa_group_segment_fixed_size 0
		.amdhsa_private_segment_fixed_size 0
		.amdhsa_kernarg_size 352
		.amdhsa_user_sgpr_count 6
		.amdhsa_user_sgpr_private_segment_buffer 1
		.amdhsa_user_sgpr_dispatch_ptr 0
		.amdhsa_user_sgpr_queue_ptr 0
		.amdhsa_user_sgpr_kernarg_segment_ptr 1
		.amdhsa_user_sgpr_dispatch_id 0
		.amdhsa_user_sgpr_flat_scratch_init 0
		.amdhsa_user_sgpr_private_segment_size 0
		.amdhsa_wavefront_size32 1
		.amdhsa_uses_dynamic_stack 0
		.amdhsa_system_sgpr_private_segment_wavefront_offset 0
		.amdhsa_system_sgpr_workgroup_id_x 1
		.amdhsa_system_sgpr_workgroup_id_y 1
		.amdhsa_system_sgpr_workgroup_id_z 0
		.amdhsa_system_sgpr_workgroup_info 0
		.amdhsa_system_vgpr_workitem_id 1
		.amdhsa_next_free_vgpr 184
		.amdhsa_next_free_sgpr 14
		.amdhsa_reserve_vcc 1
		.amdhsa_reserve_flat_scratch 1
		.amdhsa_float_round_mode_32 0
		.amdhsa_float_round_mode_16_64 0
		.amdhsa_float_denorm_mode_32 3
		.amdhsa_float_denorm_mode_16_64 3
		.amdhsa_dx10_clamp 1
		.amdhsa_ieee_mode 1
		.amdhsa_fp16_overflow 0
		.amdhsa_workgroup_processor_mode 1
		.amdhsa_memory_ordered 1
		.amdhsa_forward_progress 1
		.amdhsa_shared_vgpr_count 0
		.amdhsa_exception_fp_ieee_invalid_op 0
		.amdhsa_exception_fp_denorm_src 0
		.amdhsa_exception_fp_ieee_div_zero 0
		.amdhsa_exception_fp_ieee_overflow 0
		.amdhsa_exception_fp_ieee_underflow 0
		.amdhsa_exception_fp_ieee_inexact 0
		.amdhsa_exception_int_div_zero 0
	.end_amdhsa_kernel
	.section	.text._ZN9rocsolver6v33100L18getf2_small_kernelILi44EdiiPKPdEEvT1_T3_lS5_lPS5_llPT2_S5_S5_S7_l,"axG",@progbits,_ZN9rocsolver6v33100L18getf2_small_kernelILi44EdiiPKPdEEvT1_T3_lS5_lPS5_llPT2_S5_S5_S7_l,comdat
.Lfunc_end86:
	.size	_ZN9rocsolver6v33100L18getf2_small_kernelILi44EdiiPKPdEEvT1_T3_lS5_lPS5_llPT2_S5_S5_S7_l, .Lfunc_end86-_ZN9rocsolver6v33100L18getf2_small_kernelILi44EdiiPKPdEEvT1_T3_lS5_lPS5_llPT2_S5_S5_S7_l
                                        ; -- End function
	.set _ZN9rocsolver6v33100L18getf2_small_kernelILi44EdiiPKPdEEvT1_T3_lS5_lPS5_llPT2_S5_S5_S7_l.num_vgpr, 184
	.set _ZN9rocsolver6v33100L18getf2_small_kernelILi44EdiiPKPdEEvT1_T3_lS5_lPS5_llPT2_S5_S5_S7_l.num_agpr, 0
	.set _ZN9rocsolver6v33100L18getf2_small_kernelILi44EdiiPKPdEEvT1_T3_lS5_lPS5_llPT2_S5_S5_S7_l.numbered_sgpr, 14
	.set _ZN9rocsolver6v33100L18getf2_small_kernelILi44EdiiPKPdEEvT1_T3_lS5_lPS5_llPT2_S5_S5_S7_l.num_named_barrier, 0
	.set _ZN9rocsolver6v33100L18getf2_small_kernelILi44EdiiPKPdEEvT1_T3_lS5_lPS5_llPT2_S5_S5_S7_l.private_seg_size, 0
	.set _ZN9rocsolver6v33100L18getf2_small_kernelILi44EdiiPKPdEEvT1_T3_lS5_lPS5_llPT2_S5_S5_S7_l.uses_vcc, 1
	.set _ZN9rocsolver6v33100L18getf2_small_kernelILi44EdiiPKPdEEvT1_T3_lS5_lPS5_llPT2_S5_S5_S7_l.uses_flat_scratch, 1
	.set _ZN9rocsolver6v33100L18getf2_small_kernelILi44EdiiPKPdEEvT1_T3_lS5_lPS5_llPT2_S5_S5_S7_l.has_dyn_sized_stack, 0
	.set _ZN9rocsolver6v33100L18getf2_small_kernelILi44EdiiPKPdEEvT1_T3_lS5_lPS5_llPT2_S5_S5_S7_l.has_recursion, 0
	.set _ZN9rocsolver6v33100L18getf2_small_kernelILi44EdiiPKPdEEvT1_T3_lS5_lPS5_llPT2_S5_S5_S7_l.has_indirect_call, 0
	.section	.AMDGPU.csdata,"",@progbits
; Kernel info:
; codeLenInByte = 44784
; TotalNumSgprs: 16
; NumVgprs: 184
; ScratchSize: 0
; MemoryBound: 0
; FloatMode: 240
; IeeeMode: 1
; LDSByteSize: 0 bytes/workgroup (compile time only)
; SGPRBlocks: 0
; VGPRBlocks: 22
; NumSGPRsForWavesPerEU: 16
; NumVGPRsForWavesPerEU: 184
; Occupancy: 5
; WaveLimiterHint : 1
; COMPUTE_PGM_RSRC2:SCRATCH_EN: 0
; COMPUTE_PGM_RSRC2:USER_SGPR: 6
; COMPUTE_PGM_RSRC2:TRAP_HANDLER: 0
; COMPUTE_PGM_RSRC2:TGID_X_EN: 1
; COMPUTE_PGM_RSRC2:TGID_Y_EN: 1
; COMPUTE_PGM_RSRC2:TGID_Z_EN: 0
; COMPUTE_PGM_RSRC2:TIDIG_COMP_CNT: 1
	.section	.text._ZN9rocsolver6v33100L23getf2_npvt_small_kernelILi44EdiiPKPdEEvT1_T3_lS5_lPT2_S5_S5_,"axG",@progbits,_ZN9rocsolver6v33100L23getf2_npvt_small_kernelILi44EdiiPKPdEEvT1_T3_lS5_lPT2_S5_S5_,comdat
	.globl	_ZN9rocsolver6v33100L23getf2_npvt_small_kernelILi44EdiiPKPdEEvT1_T3_lS5_lPT2_S5_S5_ ; -- Begin function _ZN9rocsolver6v33100L23getf2_npvt_small_kernelILi44EdiiPKPdEEvT1_T3_lS5_lPT2_S5_S5_
	.p2align	8
	.type	_ZN9rocsolver6v33100L23getf2_npvt_small_kernelILi44EdiiPKPdEEvT1_T3_lS5_lPT2_S5_S5_,@function
_ZN9rocsolver6v33100L23getf2_npvt_small_kernelILi44EdiiPKPdEEvT1_T3_lS5_lPT2_S5_S5_: ; @_ZN9rocsolver6v33100L23getf2_npvt_small_kernelILi44EdiiPKPdEEvT1_T3_lS5_lPT2_S5_S5_
; %bb.0:
	s_mov_b64 s[14:15], s[2:3]
	s_mov_b64 s[12:13], s[0:1]
	s_add_u32 s12, s12, s8
	s_clause 0x1
	s_load_dword s0, s[4:5], 0x44
	s_load_dwordx2 s[8:9], s[4:5], 0x30
	s_addc_u32 s13, s13, 0
	s_waitcnt lgkmcnt(0)
	s_lshr_b32 s10, s0, 16
	s_mov_b32 s0, exec_lo
	v_mad_u64_u32 v[2:3], null, s7, s10, v[1:2]
	v_cmpx_gt_i32_e64 s8, v2
	s_cbranch_execz .LBB87_223
; %bb.1:
	s_clause 0x1
	s_load_dwordx4 s[0:3], s[4:5], 0x8
	s_load_dword s6, s[4:5], 0x18
	v_ashrrev_i32_e32 v3, 31, v2
	v_lshlrev_b32_e32 v92, 3, v0
	v_lshlrev_b32_e32 v180, 3, v1
	s_mulk_i32 s10, 0x160
	v_mad_u32_u24 v252, 0x160, v1, 0
	v_lshlrev_b64 v[4:5], 3, v[2:3]
	v_add3_u32 v1, 0, s10, v180
	s_waitcnt lgkmcnt(0)
	v_add_co_u32 v4, vcc_lo, s0, v4
	v_add_co_ci_u32_e64 v5, null, s1, v5, vcc_lo
	v_add3_u32 v6, s6, s6, v0
	s_lshl_b64 s[2:3], s[2:3], 3
	s_ashr_i32 s7, s6, 31
	global_load_dwordx2 v[4:5], v[4:5], off
	s_lshl_b64 s[0:1], s[6:7], 3
	v_add_nc_u32_e32 v8, s6, v6
	v_ashrrev_i32_e32 v7, 31, v6
	v_add_nc_u32_e32 v10, s6, v8
	v_ashrrev_i32_e32 v9, 31, v8
	v_lshlrev_b64 v[6:7], 3, v[6:7]
	v_add_nc_u32_e32 v12, s6, v10
	v_ashrrev_i32_e32 v11, 31, v10
	v_lshlrev_b64 v[8:9], 3, v[8:9]
	;; [unrolled: 3-line block ×15, first 2 shown]
	v_ashrrev_i32_e32 v39, 31, v38
	v_lshlrev_b64 v[36:37], 3, v[36:37]
	v_add_nc_u32_e32 v40, s6, v38
	v_lshlrev_b64 v[38:39], 3, v[38:39]
	v_add_nc_u32_e32 v42, s6, v40
	v_ashrrev_i32_e32 v41, 31, v40
	v_add_nc_u32_e32 v44, s6, v42
	v_ashrrev_i32_e32 v43, 31, v42
	v_lshlrev_b64 v[40:41], 3, v[40:41]
	v_add_nc_u32_e32 v46, s6, v44
	v_ashrrev_i32_e32 v45, 31, v44
	v_lshlrev_b64 v[42:43], 3, v[42:43]
	;; [unrolled: 3-line block ×22, first 2 shown]
	v_ashrrev_i32_e32 v87, 31, v86
	v_add_nc_u32_e32 v88, s6, v86
	v_lshlrev_b64 v[84:85], 3, v[84:85]
	v_lshlrev_b64 v[86:87], 3, v[86:87]
	v_ashrrev_i32_e32 v89, 31, v88
	v_lshlrev_b64 v[90:91], 3, v[88:89]
	s_waitcnt vmcnt(0)
	v_add_co_u32 v93, vcc_lo, v4, s2
	v_add_co_ci_u32_e64 v94, null, s3, v5, vcc_lo
	v_add_co_u32 v4, vcc_lo, v93, v6
	v_add_co_ci_u32_e64 v5, null, v94, v7, vcc_lo
	v_add_co_u32 v6, vcc_lo, v93, v8
	v_add_co_ci_u32_e64 v7, null, v94, v9, vcc_lo
	v_add_co_u32 v8, vcc_lo, v93, v10
	v_add_co_ci_u32_e64 v9, null, v94, v11, vcc_lo
	v_add_co_u32 v10, vcc_lo, v93, v12
	v_add_co_ci_u32_e64 v11, null, v94, v13, vcc_lo
	v_add_co_u32 v12, vcc_lo, v93, v14
	v_add_co_ci_u32_e64 v13, null, v94, v15, vcc_lo
	v_add_co_u32 v14, vcc_lo, v93, v16
	v_add_co_ci_u32_e64 v15, null, v94, v17, vcc_lo
	v_add_co_u32 v16, vcc_lo, v93, v18
	v_add_co_ci_u32_e64 v17, null, v94, v19, vcc_lo
	v_add_co_u32 v18, vcc_lo, v93, v20
	v_add_co_ci_u32_e64 v19, null, v94, v21, vcc_lo
	v_add_co_u32 v20, vcc_lo, v93, v22
	v_add_co_ci_u32_e64 v21, null, v94, v23, vcc_lo
	v_add_co_u32 v22, vcc_lo, v93, v24
	v_add_co_ci_u32_e64 v23, null, v94, v25, vcc_lo
	v_add_co_u32 v24, vcc_lo, v93, v26
	v_add_co_ci_u32_e64 v25, null, v94, v27, vcc_lo
	v_add_co_u32 v26, vcc_lo, v93, v28
	v_add_co_ci_u32_e64 v27, null, v94, v29, vcc_lo
	v_add_co_u32 v28, vcc_lo, v93, v30
	v_add_co_ci_u32_e64 v29, null, v94, v31, vcc_lo
	v_add_co_u32 v30, vcc_lo, v93, v32
	v_add_co_ci_u32_e64 v31, null, v94, v33, vcc_lo
	v_add_co_u32 v32, vcc_lo, v93, v34
	v_add_co_ci_u32_e64 v33, null, v94, v35, vcc_lo
	v_add_co_u32 v34, vcc_lo, v93, v36
	v_add_co_ci_u32_e64 v35, null, v94, v37, vcc_lo
	v_add_co_u32 v38, vcc_lo, v93, v38
	v_add_co_ci_u32_e64 v39, null, v94, v39, vcc_lo
	s_clause 0xd
	flat_load_dwordx2 v[152:153], v[8:9]
	flat_load_dwordx2 v[136:137], v[10:11]
	;; [unrolled: 1-line block ×14, first 2 shown]
	buffer_store_dword v38, off, s[12:15], 0 offset:64 ; 4-byte Folded Spill
	buffer_store_dword v39, off, s[12:15], 0 offset:68 ; 4-byte Folded Spill
	v_add_co_u32 v36, vcc_lo, v93, v40
	v_add_co_ci_u32_e64 v37, null, v94, v41, vcc_lo
	v_add_co_u32 v40, vcc_lo, v93, v42
	v_add_co_ci_u32_e64 v41, null, v94, v43, vcc_lo
	;; [unrolled: 2-line block ×27, first 2 shown]
	v_cmp_ne_u32_e64 s1, 0, v0
	v_cmp_eq_u32_e64 s0, 0, v0
	s_clause 0x1d
	flat_load_dwordx2 v[138:139], v[38:39]
	flat_load_dwordx2 v[106:107], v[36:37]
	;; [unrolled: 1-line block ×30, first 2 shown]
	s_and_saveexec_b32 s2, s0
	s_cbranch_execz .LBB87_4
; %bb.2:
	s_waitcnt vmcnt(7) lgkmcnt(7)
	ds_write_b64 v1, v[172:173]
	s_waitcnt vmcnt(5) lgkmcnt(6)
	ds_write2_b64 v252, v[176:177], v[178:179] offset0:1 offset1:2
	s_waitcnt vmcnt(4) lgkmcnt(6)
	ds_write2_b64 v252, v[174:175], v[152:153] offset0:3 offset1:4
	ds_write2_b64 v252, v[136:137], v[150:151] offset0:5 offset1:6
	;; [unrolled: 1-line block ×18, first 2 shown]
	s_waitcnt vmcnt(3) lgkmcnt(23)
	ds_write2_b64 v252, v[156:157], v[168:169] offset0:39 offset1:40
	s_waitcnt vmcnt(1) lgkmcnt(22)
	ds_write2_b64 v252, v[164:165], v[166:167] offset0:41 offset1:42
	s_waitcnt vmcnt(0) lgkmcnt(22)
	ds_write_b64 v252, v[170:171] offset:344
	ds_read_b64 v[180:181], v1
	s_waitcnt lgkmcnt(0)
	v_cmp_neq_f64_e32 vcc_lo, 0, v[180:181]
	s_and_b32 exec_lo, exec_lo, vcc_lo
	s_cbranch_execz .LBB87_4
; %bb.3:
	v_div_scale_f64 v[182:183], null, v[180:181], v[180:181], 1.0
	v_rcp_f64_e32 v[184:185], v[182:183]
	v_fma_f64 v[186:187], -v[182:183], v[184:185], 1.0
	v_fma_f64 v[184:185], v[184:185], v[186:187], v[184:185]
	v_fma_f64 v[186:187], -v[182:183], v[184:185], 1.0
	v_fma_f64 v[184:185], v[184:185], v[186:187], v[184:185]
	v_div_scale_f64 v[186:187], vcc_lo, 1.0, v[180:181], 1.0
	v_mul_f64 v[188:189], v[186:187], v[184:185]
	v_fma_f64 v[182:183], -v[182:183], v[188:189], v[186:187]
	v_div_fmas_f64 v[182:183], v[182:183], v[184:185], v[188:189]
	v_div_fixup_f64 v[180:181], v[182:183], v[180:181], 1.0
	ds_write_b64 v1, v[180:181]
.LBB87_4:
	s_or_b32 exec_lo, exec_lo, s2
	s_waitcnt vmcnt(0) lgkmcnt(0)
	s_waitcnt_vscnt null, 0x0
	s_barrier
	buffer_gl0_inv
	ds_read_b64 v[180:181], v1
	s_waitcnt lgkmcnt(0)
	buffer_store_dword v180, off, s[12:15], 0 ; 4-byte Folded Spill
	buffer_store_dword v181, off, s[12:15], 0 offset:4 ; 4-byte Folded Spill
	s_and_saveexec_b32 s2, s1
	s_cbranch_execz .LBB87_6
; %bb.5:
	s_clause 0x1
	buffer_load_dword v180, off, s[12:15], 0
	buffer_load_dword v181, off, s[12:15], 0 offset:4
	s_waitcnt vmcnt(0)
	v_mul_f64 v[172:173], v[180:181], v[172:173]
	ds_read2_b64 v[180:183], v252 offset0:1 offset1:2
	ds_read2_b64 v[184:187], v252 offset0:3 offset1:4
	ds_read2_b64 v[188:191], v252 offset0:5 offset1:6
	ds_read2_b64 v[192:195], v252 offset0:7 offset1:8
	ds_read2_b64 v[196:199], v252 offset0:9 offset1:10
	ds_read2_b64 v[200:203], v252 offset0:11 offset1:12
	ds_read2_b64 v[204:207], v252 offset0:13 offset1:14
	ds_read2_b64 v[208:211], v252 offset0:15 offset1:16
	ds_read2_b64 v[212:215], v252 offset0:17 offset1:18
	ds_read2_b64 v[216:219], v252 offset0:19 offset1:20
	ds_read2_b64 v[220:223], v252 offset0:21 offset1:22
	s_waitcnt lgkmcnt(10)
	v_fma_f64 v[176:177], -v[172:173], v[180:181], v[176:177]
	v_fma_f64 v[178:179], -v[172:173], v[182:183], v[178:179]
	ds_read2_b64 v[180:183], v252 offset0:23 offset1:24
	s_waitcnt lgkmcnt(10)
	v_fma_f64 v[174:175], -v[172:173], v[184:185], v[174:175]
	v_fma_f64 v[152:153], -v[172:173], v[186:187], v[152:153]
	s_waitcnt lgkmcnt(9)
	v_fma_f64 v[136:137], -v[172:173], v[188:189], v[136:137]
	v_fma_f64 v[150:151], -v[172:173], v[190:191], v[150:151]
	;; [unrolled: 3-line block ×6, first 2 shown]
	ds_read2_b64 v[184:187], v252 offset0:25 offset1:26
	s_waitcnt lgkmcnt(5)
	v_fma_f64 v[126:127], -v[172:173], v[208:209], v[126:127]
	ds_read2_b64 v[188:191], v252 offset0:27 offset1:28
	ds_read2_b64 v[192:195], v252 offset0:29 offset1:30
	v_fma_f64 v[140:141], -v[172:173], v[210:211], v[140:141]
	s_waitcnt lgkmcnt(6)
	v_fma_f64 v[124:125], -v[172:173], v[212:213], v[124:125]
	ds_read2_b64 v[196:199], v252 offset0:31 offset1:32
	ds_read2_b64 v[200:203], v252 offset0:33 offset1:34
	v_fma_f64 v[138:139], -v[172:173], v[214:215], v[138:139]
	;; [unrolled: 5-line block ×3, first 2 shown]
	ds_read2_b64 v[212:215], v252 offset0:39 offset1:40
	ds_read2_b64 v[216:219], v252 offset0:41 offset1:42
	s_waitcnt lgkmcnt(9)
	v_fma_f64 v[102:103], -v[172:173], v[180:181], v[102:103]
	ds_read_b64 v[180:181], v252 offset:344
	v_fma_f64 v[104:105], -v[172:173], v[220:221], v[104:105]
	v_fma_f64 v[120:121], -v[172:173], v[222:223], v[120:121]
	;; [unrolled: 1-line block ×3, first 2 shown]
	s_waitcnt lgkmcnt(9)
	v_fma_f64 v[100:101], -v[172:173], v[184:185], v[100:101]
	v_fma_f64 v[116:117], -v[172:173], v[186:187], v[116:117]
	s_waitcnt lgkmcnt(8)
	v_fma_f64 v[98:99], -v[172:173], v[188:189], v[98:99]
	v_fma_f64 v[114:115], -v[172:173], v[190:191], v[114:115]
	;; [unrolled: 3-line block ×9, first 2 shown]
	s_waitcnt lgkmcnt(0)
	v_fma_f64 v[170:171], -v[172:173], v[180:181], v[170:171]
.LBB87_6:
	s_or_b32 exec_lo, exec_lo, s2
	s_mov_b32 s1, exec_lo
	s_waitcnt_vscnt null, 0x0
	s_barrier
	buffer_gl0_inv
	v_cmpx_eq_u32_e32 1, v0
	s_cbranch_execz .LBB87_9
; %bb.7:
	v_mov_b32_e32 v180, v178
	v_mov_b32_e32 v181, v179
	;; [unrolled: 1-line block ×4, first 2 shown]
	ds_write_b64 v1, v[176:177]
	ds_write2_b64 v252, v[180:181], v[182:183] offset0:2 offset1:3
	v_mov_b32_e32 v180, v152
	v_mov_b32_e32 v181, v153
	v_mov_b32_e32 v182, v136
	v_mov_b32_e32 v183, v137
	v_mov_b32_e32 v184, v150
	v_mov_b32_e32 v185, v151
	v_mov_b32_e32 v186, v134
	v_mov_b32_e32 v187, v135
	v_mov_b32_e32 v188, v148
	v_mov_b32_e32 v189, v149
	v_mov_b32_e32 v190, v132
	v_mov_b32_e32 v191, v133
	v_mov_b32_e32 v192, v146
	v_mov_b32_e32 v193, v147
	v_mov_b32_e32 v194, v130
	v_mov_b32_e32 v195, v131
	v_mov_b32_e32 v196, v144
	v_mov_b32_e32 v197, v145
	v_mov_b32_e32 v198, v128
	v_mov_b32_e32 v199, v129
	ds_write2_b64 v252, v[180:181], v[182:183] offset0:4 offset1:5
	ds_write2_b64 v252, v[184:185], v[186:187] offset0:6 offset1:7
	ds_write2_b64 v252, v[188:189], v[190:191] offset0:8 offset1:9
	ds_write2_b64 v252, v[192:193], v[194:195] offset0:10 offset1:11
	ds_write2_b64 v252, v[196:197], v[198:199] offset0:12 offset1:13
	v_mov_b32_e32 v180, v142
	v_mov_b32_e32 v181, v143
	v_mov_b32_e32 v182, v126
	v_mov_b32_e32 v183, v127
	v_mov_b32_e32 v184, v140
	v_mov_b32_e32 v185, v141
	v_mov_b32_e32 v186, v124
	v_mov_b32_e32 v187, v125
	v_mov_b32_e32 v188, v138
	v_mov_b32_e32 v189, v139
	v_mov_b32_e32 v190, v106
	v_mov_b32_e32 v191, v107
	v_mov_b32_e32 v192, v122
	v_mov_b32_e32 v193, v123
	v_mov_b32_e32 v194, v104
	v_mov_b32_e32 v195, v105
	v_mov_b32_e32 v196, v120
	v_mov_b32_e32 v197, v121
	v_mov_b32_e32 v198, v102
	v_mov_b32_e32 v199, v103
	ds_write2_b64 v252, v[180:181], v[182:183] offset0:14 offset1:15
	ds_write2_b64 v252, v[184:185], v[186:187] offset0:16 offset1:17
	ds_write2_b64 v252, v[188:189], v[190:191] offset0:18 offset1:19
	ds_write2_b64 v252, v[192:193], v[194:195] offset0:20 offset1:21
	ds_write2_b64 v252, v[196:197], v[198:199] offset0:22 offset1:23
	v_mov_b32_e32 v180, v118
	v_mov_b32_e32 v181, v119
	v_mov_b32_e32 v182, v100
	v_mov_b32_e32 v183, v101
	v_mov_b32_e32 v184, v116
	v_mov_b32_e32 v185, v117
	v_mov_b32_e32 v186, v98
	v_mov_b32_e32 v187, v99
	v_mov_b32_e32 v188, v114
	v_mov_b32_e32 v189, v115
	v_mov_b32_e32 v190, v96
	v_mov_b32_e32 v191, v97
	v_mov_b32_e32 v192, v112
	v_mov_b32_e32 v193, v113
	v_mov_b32_e32 v194, v94
	v_mov_b32_e32 v195, v95
	v_mov_b32_e32 v196, v110
	v_mov_b32_e32 v197, v111
	v_mov_b32_e32 v198, v92
	v_mov_b32_e32 v199, v93
	ds_write2_b64 v252, v[180:181], v[182:183] offset0:24 offset1:25
	ds_write2_b64 v252, v[184:185], v[186:187] offset0:26 offset1:27
	ds_write2_b64 v252, v[188:189], v[190:191] offset0:28 offset1:29
	ds_write2_b64 v252, v[192:193], v[194:195] offset0:30 offset1:31
	ds_write2_b64 v252, v[196:197], v[198:199] offset0:32 offset1:33
	v_mov_b32_e32 v180, v108
	v_mov_b32_e32 v181, v109
	;; [unrolled: 1-line block ×18, first 2 shown]
	ds_write2_b64 v252, v[180:181], v[182:183] offset0:34 offset1:35
	ds_write2_b64 v252, v[184:185], v[186:187] offset0:36 offset1:37
	;; [unrolled: 1-line block ×5, first 2 shown]
	ds_read_b64 v[180:181], v1
	s_waitcnt lgkmcnt(0)
	v_cmp_neq_f64_e32 vcc_lo, 0, v[180:181]
	s_and_b32 exec_lo, exec_lo, vcc_lo
	s_cbranch_execz .LBB87_9
; %bb.8:
	v_div_scale_f64 v[182:183], null, v[180:181], v[180:181], 1.0
	v_rcp_f64_e32 v[184:185], v[182:183]
	v_fma_f64 v[186:187], -v[182:183], v[184:185], 1.0
	v_fma_f64 v[184:185], v[184:185], v[186:187], v[184:185]
	v_fma_f64 v[186:187], -v[182:183], v[184:185], 1.0
	v_fma_f64 v[184:185], v[184:185], v[186:187], v[184:185]
	v_div_scale_f64 v[186:187], vcc_lo, 1.0, v[180:181], 1.0
	v_mul_f64 v[188:189], v[186:187], v[184:185]
	v_fma_f64 v[182:183], -v[182:183], v[188:189], v[186:187]
	v_div_fmas_f64 v[182:183], v[182:183], v[184:185], v[188:189]
	v_div_fixup_f64 v[180:181], v[182:183], v[180:181], 1.0
	ds_write_b64 v1, v[180:181]
.LBB87_9:
	s_or_b32 exec_lo, exec_lo, s1
	s_waitcnt lgkmcnt(0)
	s_barrier
	buffer_gl0_inv
	ds_read_b64 v[180:181], v1
	s_mov_b32 s1, exec_lo
	s_waitcnt lgkmcnt(0)
	buffer_store_dword v180, off, s[12:15], 0 offset:8 ; 4-byte Folded Spill
	buffer_store_dword v181, off, s[12:15], 0 offset:12 ; 4-byte Folded Spill
	v_cmpx_lt_u32_e32 1, v0
	s_cbranch_execz .LBB87_11
; %bb.10:
	s_clause 0x1
	buffer_load_dword v180, off, s[12:15], 0 offset:8
	buffer_load_dword v181, off, s[12:15], 0 offset:12
	s_waitcnt vmcnt(0)
	v_mul_f64 v[176:177], v[180:181], v[176:177]
	ds_read2_b64 v[180:183], v252 offset0:2 offset1:3
	ds_read2_b64 v[184:187], v252 offset0:4 offset1:5
	;; [unrolled: 1-line block ×11, first 2 shown]
	s_waitcnt lgkmcnt(10)
	v_fma_f64 v[178:179], -v[176:177], v[180:181], v[178:179]
	v_fma_f64 v[174:175], -v[176:177], v[182:183], v[174:175]
	s_waitcnt lgkmcnt(9)
	v_fma_f64 v[152:153], -v[176:177], v[184:185], v[152:153]
	v_fma_f64 v[136:137], -v[176:177], v[186:187], v[136:137]
	;; [unrolled: 3-line block ×6, first 2 shown]
	ds_read2_b64 v[180:183], v252 offset0:24 offset1:25
	ds_read2_b64 v[184:187], v252 offset0:26 offset1:27
	s_waitcnt lgkmcnt(6)
	v_fma_f64 v[142:143], -v[176:177], v[204:205], v[142:143]
	v_fma_f64 v[126:127], -v[176:177], v[206:207], v[126:127]
	ds_read2_b64 v[188:191], v252 offset0:28 offset1:29
	ds_read2_b64 v[192:195], v252 offset0:30 offset1:31
	s_waitcnt lgkmcnt(7)
	v_fma_f64 v[140:141], -v[176:177], v[208:209], v[140:141]
	v_fma_f64 v[124:125], -v[176:177], v[210:211], v[124:125]
	;; [unrolled: 5-line block ×5, first 2 shown]
	s_waitcnt lgkmcnt(9)
	v_fma_f64 v[118:119], -v[176:177], v[180:181], v[118:119]
	v_fma_f64 v[100:101], -v[176:177], v[182:183], v[100:101]
	s_waitcnt lgkmcnt(8)
	v_fma_f64 v[116:117], -v[176:177], v[184:185], v[116:117]
	v_fma_f64 v[98:99], -v[176:177], v[186:187], v[98:99]
	;; [unrolled: 3-line block ×10, first 2 shown]
.LBB87_11:
	s_or_b32 exec_lo, exec_lo, s1
	s_mov_b32 s1, exec_lo
	s_waitcnt_vscnt null, 0x0
	s_barrier
	buffer_gl0_inv
	v_cmpx_eq_u32_e32 2, v0
	s_cbranch_execz .LBB87_14
; %bb.12:
	ds_write_b64 v1, v[178:179]
	ds_write2_b64 v252, v[174:175], v[152:153] offset0:3 offset1:4
	ds_write2_b64 v252, v[136:137], v[150:151] offset0:5 offset1:6
	;; [unrolled: 1-line block ×20, first 2 shown]
	ds_write_b64 v252, v[170:171] offset:344
	ds_read_b64 v[180:181], v1
	s_waitcnt lgkmcnt(0)
	v_cmp_neq_f64_e32 vcc_lo, 0, v[180:181]
	s_and_b32 exec_lo, exec_lo, vcc_lo
	s_cbranch_execz .LBB87_14
; %bb.13:
	v_div_scale_f64 v[182:183], null, v[180:181], v[180:181], 1.0
	v_rcp_f64_e32 v[184:185], v[182:183]
	v_fma_f64 v[186:187], -v[182:183], v[184:185], 1.0
	v_fma_f64 v[184:185], v[184:185], v[186:187], v[184:185]
	v_fma_f64 v[186:187], -v[182:183], v[184:185], 1.0
	v_fma_f64 v[184:185], v[184:185], v[186:187], v[184:185]
	v_div_scale_f64 v[186:187], vcc_lo, 1.0, v[180:181], 1.0
	v_mul_f64 v[188:189], v[186:187], v[184:185]
	v_fma_f64 v[182:183], -v[182:183], v[188:189], v[186:187]
	v_div_fmas_f64 v[182:183], v[182:183], v[184:185], v[188:189]
	v_div_fixup_f64 v[180:181], v[182:183], v[180:181], 1.0
	ds_write_b64 v1, v[180:181]
.LBB87_14:
	s_or_b32 exec_lo, exec_lo, s1
	s_waitcnt lgkmcnt(0)
	s_barrier
	buffer_gl0_inv
	ds_read_b64 v[180:181], v1
	s_mov_b32 s1, exec_lo
	s_waitcnt lgkmcnt(0)
	buffer_store_dword v180, off, s[12:15], 0 offset:16 ; 4-byte Folded Spill
	buffer_store_dword v181, off, s[12:15], 0 offset:20 ; 4-byte Folded Spill
	v_cmpx_lt_u32_e32 2, v0
	s_cbranch_execz .LBB87_16
; %bb.15:
	s_clause 0x1
	buffer_load_dword v180, off, s[12:15], 0 offset:16
	buffer_load_dword v181, off, s[12:15], 0 offset:20
	s_waitcnt vmcnt(0)
	v_mul_f64 v[178:179], v[180:181], v[178:179]
	ds_read2_b64 v[180:183], v252 offset0:3 offset1:4
	ds_read2_b64 v[184:187], v252 offset0:5 offset1:6
	;; [unrolled: 1-line block ×11, first 2 shown]
	s_waitcnt lgkmcnt(10)
	v_fma_f64 v[174:175], -v[178:179], v[180:181], v[174:175]
	v_fma_f64 v[152:153], -v[178:179], v[182:183], v[152:153]
	s_waitcnt lgkmcnt(9)
	v_fma_f64 v[136:137], -v[178:179], v[184:185], v[136:137]
	v_fma_f64 v[150:151], -v[178:179], v[186:187], v[150:151]
	s_waitcnt lgkmcnt(8)
	v_fma_f64 v[134:135], -v[178:179], v[188:189], v[134:135]
	v_fma_f64 v[148:149], -v[178:179], v[190:191], v[148:149]
	s_waitcnt lgkmcnt(7)
	v_fma_f64 v[132:133], -v[178:179], v[192:193], v[132:133]
	v_fma_f64 v[146:147], -v[178:179], v[194:195], v[146:147]
	s_waitcnt lgkmcnt(6)
	v_fma_f64 v[130:131], -v[178:179], v[196:197], v[130:131]
	v_fma_f64 v[144:145], -v[178:179], v[198:199], v[144:145]
	s_waitcnt lgkmcnt(5)
	v_fma_f64 v[128:129], -v[178:179], v[200:201], v[128:129]
	v_fma_f64 v[142:143], -v[178:179], v[202:203], v[142:143]
	ds_read2_b64 v[180:183], v252 offset0:25 offset1:26
	ds_read2_b64 v[184:187], v252 offset0:27 offset1:28
	s_waitcnt lgkmcnt(6)
	v_fma_f64 v[126:127], -v[178:179], v[204:205], v[126:127]
	v_fma_f64 v[140:141], -v[178:179], v[206:207], v[140:141]
	ds_read2_b64 v[188:191], v252 offset0:29 offset1:30
	ds_read2_b64 v[192:195], v252 offset0:31 offset1:32
	s_waitcnt lgkmcnt(7)
	v_fma_f64 v[124:125], -v[178:179], v[208:209], v[124:125]
	v_fma_f64 v[138:139], -v[178:179], v[210:211], v[138:139]
	;; [unrolled: 5-line block ×3, first 2 shown]
	ds_read2_b64 v[204:207], v252 offset0:37 offset1:38
	ds_read2_b64 v[208:211], v252 offset0:39 offset1:40
	s_waitcnt lgkmcnt(9)
	v_fma_f64 v[104:105], -v[178:179], v[216:217], v[104:105]
	ds_read2_b64 v[212:215], v252 offset0:41 offset1:42
	ds_read_b64 v[216:217], v252 offset:344
	v_fma_f64 v[120:121], -v[178:179], v[218:219], v[120:121]
	s_waitcnt lgkmcnt(10)
	v_fma_f64 v[102:103], -v[178:179], v[220:221], v[102:103]
	v_fma_f64 v[118:119], -v[178:179], v[222:223], v[118:119]
	s_waitcnt lgkmcnt(9)
	v_fma_f64 v[100:101], -v[178:179], v[180:181], v[100:101]
	;; [unrolled: 3-line block ×11, first 2 shown]
.LBB87_16:
	s_or_b32 exec_lo, exec_lo, s1
	s_mov_b32 s1, exec_lo
	s_waitcnt_vscnt null, 0x0
	s_barrier
	buffer_gl0_inv
	v_cmpx_eq_u32_e32 3, v0
	s_cbranch_execz .LBB87_19
; %bb.17:
	v_mov_b32_e32 v180, v152
	v_mov_b32_e32 v181, v153
	;; [unrolled: 1-line block ×20, first 2 shown]
	ds_write_b64 v1, v[174:175]
	ds_write2_b64 v252, v[180:181], v[182:183] offset0:4 offset1:5
	ds_write2_b64 v252, v[184:185], v[186:187] offset0:6 offset1:7
	;; [unrolled: 1-line block ×5, first 2 shown]
	v_mov_b32_e32 v180, v142
	v_mov_b32_e32 v181, v143
	;; [unrolled: 1-line block ×20, first 2 shown]
	ds_write2_b64 v252, v[180:181], v[182:183] offset0:14 offset1:15
	ds_write2_b64 v252, v[184:185], v[186:187] offset0:16 offset1:17
	ds_write2_b64 v252, v[188:189], v[190:191] offset0:18 offset1:19
	ds_write2_b64 v252, v[192:193], v[194:195] offset0:20 offset1:21
	ds_write2_b64 v252, v[196:197], v[198:199] offset0:22 offset1:23
	v_mov_b32_e32 v180, v118
	v_mov_b32_e32 v181, v119
	;; [unrolled: 1-line block ×20, first 2 shown]
	ds_write2_b64 v252, v[180:181], v[182:183] offset0:24 offset1:25
	ds_write2_b64 v252, v[184:185], v[186:187] offset0:26 offset1:27
	;; [unrolled: 1-line block ×5, first 2 shown]
	v_mov_b32_e32 v180, v108
	v_mov_b32_e32 v181, v109
	;; [unrolled: 1-line block ×18, first 2 shown]
	ds_write2_b64 v252, v[180:181], v[182:183] offset0:34 offset1:35
	ds_write2_b64 v252, v[184:185], v[186:187] offset0:36 offset1:37
	;; [unrolled: 1-line block ×5, first 2 shown]
	ds_read_b64 v[180:181], v1
	s_waitcnt lgkmcnt(0)
	v_cmp_neq_f64_e32 vcc_lo, 0, v[180:181]
	s_and_b32 exec_lo, exec_lo, vcc_lo
	s_cbranch_execz .LBB87_19
; %bb.18:
	v_div_scale_f64 v[182:183], null, v[180:181], v[180:181], 1.0
	v_rcp_f64_e32 v[184:185], v[182:183]
	v_fma_f64 v[186:187], -v[182:183], v[184:185], 1.0
	v_fma_f64 v[184:185], v[184:185], v[186:187], v[184:185]
	v_fma_f64 v[186:187], -v[182:183], v[184:185], 1.0
	v_fma_f64 v[184:185], v[184:185], v[186:187], v[184:185]
	v_div_scale_f64 v[186:187], vcc_lo, 1.0, v[180:181], 1.0
	v_mul_f64 v[188:189], v[186:187], v[184:185]
	v_fma_f64 v[182:183], -v[182:183], v[188:189], v[186:187]
	v_div_fmas_f64 v[182:183], v[182:183], v[184:185], v[188:189]
	v_div_fixup_f64 v[180:181], v[182:183], v[180:181], 1.0
	ds_write_b64 v1, v[180:181]
.LBB87_19:
	s_or_b32 exec_lo, exec_lo, s1
	s_waitcnt lgkmcnt(0)
	s_barrier
	buffer_gl0_inv
	ds_read_b64 v[180:181], v1
	s_mov_b32 s1, exec_lo
	s_waitcnt lgkmcnt(0)
	buffer_store_dword v180, off, s[12:15], 0 offset:24 ; 4-byte Folded Spill
	buffer_store_dword v181, off, s[12:15], 0 offset:28 ; 4-byte Folded Spill
	v_cmpx_lt_u32_e32 3, v0
	s_cbranch_execz .LBB87_21
; %bb.20:
	s_clause 0x1
	buffer_load_dword v180, off, s[12:15], 0 offset:24
	buffer_load_dword v181, off, s[12:15], 0 offset:28
	s_waitcnt vmcnt(0)
	v_mul_f64 v[174:175], v[180:181], v[174:175]
	ds_read2_b64 v[180:183], v252 offset0:4 offset1:5
	ds_read2_b64 v[184:187], v252 offset0:6 offset1:7
	;; [unrolled: 1-line block ×11, first 2 shown]
	s_waitcnt lgkmcnt(10)
	v_fma_f64 v[152:153], -v[174:175], v[180:181], v[152:153]
	v_fma_f64 v[136:137], -v[174:175], v[182:183], v[136:137]
	s_waitcnt lgkmcnt(9)
	v_fma_f64 v[150:151], -v[174:175], v[184:185], v[150:151]
	v_fma_f64 v[134:135], -v[174:175], v[186:187], v[134:135]
	;; [unrolled: 3-line block ×5, first 2 shown]
	s_waitcnt lgkmcnt(5)
	v_fma_f64 v[142:143], -v[174:175], v[200:201], v[142:143]
	ds_read2_b64 v[180:183], v252 offset0:26 offset1:27
	ds_read2_b64 v[184:187], v252 offset0:28 offset1:29
	v_fma_f64 v[126:127], -v[174:175], v[202:203], v[126:127]
	s_waitcnt lgkmcnt(6)
	v_fma_f64 v[140:141], -v[174:175], v[204:205], v[140:141]
	ds_read2_b64 v[188:191], v252 offset0:30 offset1:31
	ds_read2_b64 v[192:195], v252 offset0:32 offset1:33
	v_fma_f64 v[124:125], -v[174:175], v[206:207], v[124:125]
	;; [unrolled: 5-line block ×4, first 2 shown]
	ds_read2_b64 v[212:215], v252 offset0:42 offset1:43
	s_waitcnt lgkmcnt(10)
	v_fma_f64 v[120:121], -v[174:175], v[216:217], v[120:121]
	v_fma_f64 v[102:103], -v[174:175], v[218:219], v[102:103]
	s_waitcnt lgkmcnt(9)
	v_fma_f64 v[118:119], -v[174:175], v[220:221], v[118:119]
	v_fma_f64 v[100:101], -v[174:175], v[222:223], v[100:101]
	;; [unrolled: 3-line block ×11, first 2 shown]
.LBB87_21:
	s_or_b32 exec_lo, exec_lo, s1
	s_mov_b32 s1, exec_lo
	s_waitcnt_vscnt null, 0x0
	s_barrier
	buffer_gl0_inv
	v_cmpx_eq_u32_e32 4, v0
	s_cbranch_execz .LBB87_24
; %bb.22:
	ds_write_b64 v1, v[152:153]
	ds_write2_b64 v252, v[136:137], v[150:151] offset0:5 offset1:6
	ds_write2_b64 v252, v[134:135], v[148:149] offset0:7 offset1:8
	;; [unrolled: 1-line block ×19, first 2 shown]
	ds_write_b64 v252, v[170:171] offset:344
	ds_read_b64 v[180:181], v1
	s_waitcnt lgkmcnt(0)
	v_cmp_neq_f64_e32 vcc_lo, 0, v[180:181]
	s_and_b32 exec_lo, exec_lo, vcc_lo
	s_cbranch_execz .LBB87_24
; %bb.23:
	v_div_scale_f64 v[182:183], null, v[180:181], v[180:181], 1.0
	v_rcp_f64_e32 v[184:185], v[182:183]
	v_fma_f64 v[186:187], -v[182:183], v[184:185], 1.0
	v_fma_f64 v[184:185], v[184:185], v[186:187], v[184:185]
	v_fma_f64 v[186:187], -v[182:183], v[184:185], 1.0
	v_fma_f64 v[184:185], v[184:185], v[186:187], v[184:185]
	v_div_scale_f64 v[186:187], vcc_lo, 1.0, v[180:181], 1.0
	v_mul_f64 v[188:189], v[186:187], v[184:185]
	v_fma_f64 v[182:183], -v[182:183], v[188:189], v[186:187]
	v_div_fmas_f64 v[182:183], v[182:183], v[184:185], v[188:189]
	v_div_fixup_f64 v[180:181], v[182:183], v[180:181], 1.0
	ds_write_b64 v1, v[180:181]
.LBB87_24:
	s_or_b32 exec_lo, exec_lo, s1
	s_waitcnt lgkmcnt(0)
	s_barrier
	buffer_gl0_inv
	ds_read_b64 v[180:181], v1
	s_mov_b32 s1, exec_lo
	s_waitcnt lgkmcnt(0)
	buffer_store_dword v180, off, s[12:15], 0 offset:32 ; 4-byte Folded Spill
	buffer_store_dword v181, off, s[12:15], 0 offset:36 ; 4-byte Folded Spill
	v_cmpx_lt_u32_e32 4, v0
	s_cbranch_execz .LBB87_26
; %bb.25:
	s_clause 0x1
	buffer_load_dword v180, off, s[12:15], 0 offset:32
	buffer_load_dword v181, off, s[12:15], 0 offset:36
	s_waitcnt vmcnt(0)
	v_mul_f64 v[152:153], v[180:181], v[152:153]
	ds_read2_b64 v[180:183], v252 offset0:5 offset1:6
	ds_read2_b64 v[184:187], v252 offset0:7 offset1:8
	;; [unrolled: 1-line block ×11, first 2 shown]
	s_waitcnt lgkmcnt(10)
	v_fma_f64 v[136:137], -v[152:153], v[180:181], v[136:137]
	v_fma_f64 v[150:151], -v[152:153], v[182:183], v[150:151]
	s_waitcnt lgkmcnt(9)
	v_fma_f64 v[134:135], -v[152:153], v[184:185], v[134:135]
	v_fma_f64 v[148:149], -v[152:153], v[186:187], v[148:149]
	;; [unrolled: 3-line block ×5, first 2 shown]
	s_waitcnt lgkmcnt(5)
	v_fma_f64 v[126:127], -v[152:153], v[200:201], v[126:127]
	ds_read2_b64 v[180:183], v252 offset0:27 offset1:28
	ds_read2_b64 v[184:187], v252 offset0:29 offset1:30
	v_fma_f64 v[140:141], -v[152:153], v[202:203], v[140:141]
	s_waitcnt lgkmcnt(6)
	v_fma_f64 v[124:125], -v[152:153], v[204:205], v[124:125]
	ds_read2_b64 v[188:191], v252 offset0:31 offset1:32
	ds_read2_b64 v[192:195], v252 offset0:33 offset1:34
	v_fma_f64 v[138:139], -v[152:153], v[206:207], v[138:139]
	;; [unrolled: 5-line block ×3, first 2 shown]
	s_waitcnt lgkmcnt(8)
	v_fma_f64 v[104:105], -v[152:153], v[212:213], v[104:105]
	ds_read2_b64 v[204:207], v252 offset0:39 offset1:40
	ds_read2_b64 v[208:211], v252 offset0:41 offset1:42
	ds_read_b64 v[212:213], v252 offset:344
	v_fma_f64 v[120:121], -v[152:153], v[214:215], v[120:121]
	s_waitcnt lgkmcnt(10)
	v_fma_f64 v[102:103], -v[152:153], v[216:217], v[102:103]
	v_fma_f64 v[118:119], -v[152:153], v[218:219], v[118:119]
	s_waitcnt lgkmcnt(9)
	v_fma_f64 v[100:101], -v[152:153], v[220:221], v[100:101]
	;; [unrolled: 3-line block ×11, first 2 shown]
.LBB87_26:
	s_or_b32 exec_lo, exec_lo, s1
	s_mov_b32 s1, exec_lo
	s_waitcnt_vscnt null, 0x0
	s_barrier
	buffer_gl0_inv
	v_cmpx_eq_u32_e32 5, v0
	s_cbranch_execz .LBB87_29
; %bb.27:
	v_mov_b32_e32 v180, v150
	v_mov_b32_e32 v181, v151
	;; [unrolled: 1-line block ×16, first 2 shown]
	ds_write_b64 v1, v[136:137]
	ds_write2_b64 v252, v[180:181], v[182:183] offset0:6 offset1:7
	ds_write2_b64 v252, v[184:185], v[186:187] offset0:8 offset1:9
	;; [unrolled: 1-line block ×4, first 2 shown]
	v_mov_b32_e32 v180, v142
	v_mov_b32_e32 v181, v143
	;; [unrolled: 1-line block ×20, first 2 shown]
	ds_write2_b64 v252, v[180:181], v[182:183] offset0:14 offset1:15
	ds_write2_b64 v252, v[184:185], v[186:187] offset0:16 offset1:17
	;; [unrolled: 1-line block ×5, first 2 shown]
	v_mov_b32_e32 v180, v118
	v_mov_b32_e32 v181, v119
	v_mov_b32_e32 v182, v100
	v_mov_b32_e32 v183, v101
	v_mov_b32_e32 v184, v116
	v_mov_b32_e32 v185, v117
	v_mov_b32_e32 v186, v98
	v_mov_b32_e32 v187, v99
	v_mov_b32_e32 v188, v114
	v_mov_b32_e32 v189, v115
	v_mov_b32_e32 v190, v96
	v_mov_b32_e32 v191, v97
	v_mov_b32_e32 v192, v112
	v_mov_b32_e32 v193, v113
	v_mov_b32_e32 v194, v94
	v_mov_b32_e32 v195, v95
	v_mov_b32_e32 v196, v110
	v_mov_b32_e32 v197, v111
	v_mov_b32_e32 v198, v92
	v_mov_b32_e32 v199, v93
	ds_write2_b64 v252, v[180:181], v[182:183] offset0:24 offset1:25
	ds_write2_b64 v252, v[184:185], v[186:187] offset0:26 offset1:27
	;; [unrolled: 1-line block ×5, first 2 shown]
	v_mov_b32_e32 v180, v108
	v_mov_b32_e32 v181, v109
	;; [unrolled: 1-line block ×18, first 2 shown]
	ds_write2_b64 v252, v[180:181], v[182:183] offset0:34 offset1:35
	ds_write2_b64 v252, v[184:185], v[186:187] offset0:36 offset1:37
	;; [unrolled: 1-line block ×5, first 2 shown]
	ds_read_b64 v[180:181], v1
	s_waitcnt lgkmcnt(0)
	v_cmp_neq_f64_e32 vcc_lo, 0, v[180:181]
	s_and_b32 exec_lo, exec_lo, vcc_lo
	s_cbranch_execz .LBB87_29
; %bb.28:
	v_div_scale_f64 v[182:183], null, v[180:181], v[180:181], 1.0
	v_rcp_f64_e32 v[184:185], v[182:183]
	v_fma_f64 v[186:187], -v[182:183], v[184:185], 1.0
	v_fma_f64 v[184:185], v[184:185], v[186:187], v[184:185]
	v_fma_f64 v[186:187], -v[182:183], v[184:185], 1.0
	v_fma_f64 v[184:185], v[184:185], v[186:187], v[184:185]
	v_div_scale_f64 v[186:187], vcc_lo, 1.0, v[180:181], 1.0
	v_mul_f64 v[188:189], v[186:187], v[184:185]
	v_fma_f64 v[182:183], -v[182:183], v[188:189], v[186:187]
	v_div_fmas_f64 v[182:183], v[182:183], v[184:185], v[188:189]
	v_div_fixup_f64 v[180:181], v[182:183], v[180:181], 1.0
	ds_write_b64 v1, v[180:181]
.LBB87_29:
	s_or_b32 exec_lo, exec_lo, s1
	s_waitcnt lgkmcnt(0)
	s_barrier
	buffer_gl0_inv
	ds_read_b64 v[180:181], v1
	s_mov_b32 s1, exec_lo
	s_waitcnt lgkmcnt(0)
	buffer_store_dword v180, off, s[12:15], 0 offset:40 ; 4-byte Folded Spill
	buffer_store_dword v181, off, s[12:15], 0 offset:44 ; 4-byte Folded Spill
	v_cmpx_lt_u32_e32 5, v0
	s_cbranch_execz .LBB87_31
; %bb.30:
	s_clause 0x1
	buffer_load_dword v180, off, s[12:15], 0 offset:40
	buffer_load_dword v181, off, s[12:15], 0 offset:44
	s_waitcnt vmcnt(0)
	v_mul_f64 v[136:137], v[180:181], v[136:137]
	ds_read2_b64 v[180:183], v252 offset0:6 offset1:7
	ds_read2_b64 v[184:187], v252 offset0:8 offset1:9
	;; [unrolled: 1-line block ×12, first 2 shown]
	s_waitcnt lgkmcnt(11)
	v_fma_f64 v[150:151], -v[136:137], v[180:181], v[150:151]
	v_fma_f64 v[134:135], -v[136:137], v[182:183], v[134:135]
	s_waitcnt lgkmcnt(10)
	v_fma_f64 v[148:149], -v[136:137], v[184:185], v[148:149]
	v_fma_f64 v[132:133], -v[136:137], v[186:187], v[132:133]
	;; [unrolled: 3-line block ×5, first 2 shown]
	s_waitcnt lgkmcnt(6)
	v_fma_f64 v[140:141], -v[136:137], v[200:201], v[140:141]
	ds_read2_b64 v[180:183], v252 offset0:30 offset1:31
	ds_read2_b64 v[184:187], v252 offset0:32 offset1:33
	v_fma_f64 v[124:125], -v[136:137], v[202:203], v[124:125]
	s_waitcnt lgkmcnt(7)
	v_fma_f64 v[138:139], -v[136:137], v[204:205], v[138:139]
	ds_read2_b64 v[188:191], v252 offset0:34 offset1:35
	ds_read2_b64 v[192:195], v252 offset0:36 offset1:37
	v_fma_f64 v[106:107], -v[136:137], v[206:207], v[106:107]
	ds_read2_b64 v[196:199], v252 offset0:38 offset1:39
	ds_read2_b64 v[200:203], v252 offset0:40 offset1:41
	;; [unrolled: 1-line block ×3, first 2 shown]
	s_waitcnt lgkmcnt(11)
	v_fma_f64 v[122:123], -v[136:137], v[208:209], v[122:123]
	v_fma_f64 v[104:105], -v[136:137], v[210:211], v[104:105]
	s_waitcnt lgkmcnt(10)
	v_fma_f64 v[120:121], -v[136:137], v[212:213], v[120:121]
	v_fma_f64 v[102:103], -v[136:137], v[214:215], v[102:103]
	;; [unrolled: 3-line block ×12, first 2 shown]
.LBB87_31:
	s_or_b32 exec_lo, exec_lo, s1
	s_mov_b32 s1, exec_lo
	s_waitcnt_vscnt null, 0x0
	s_barrier
	buffer_gl0_inv
	v_cmpx_eq_u32_e32 6, v0
	s_cbranch_execz .LBB87_34
; %bb.32:
	ds_write_b64 v1, v[150:151]
	ds_write2_b64 v252, v[134:135], v[148:149] offset0:7 offset1:8
	ds_write2_b64 v252, v[132:133], v[146:147] offset0:9 offset1:10
	;; [unrolled: 1-line block ×18, first 2 shown]
	ds_write_b64 v252, v[170:171] offset:344
	ds_read_b64 v[180:181], v1
	s_waitcnt lgkmcnt(0)
	v_cmp_neq_f64_e32 vcc_lo, 0, v[180:181]
	s_and_b32 exec_lo, exec_lo, vcc_lo
	s_cbranch_execz .LBB87_34
; %bb.33:
	v_div_scale_f64 v[182:183], null, v[180:181], v[180:181], 1.0
	v_rcp_f64_e32 v[184:185], v[182:183]
	v_fma_f64 v[186:187], -v[182:183], v[184:185], 1.0
	v_fma_f64 v[184:185], v[184:185], v[186:187], v[184:185]
	v_fma_f64 v[186:187], -v[182:183], v[184:185], 1.0
	v_fma_f64 v[184:185], v[184:185], v[186:187], v[184:185]
	v_div_scale_f64 v[186:187], vcc_lo, 1.0, v[180:181], 1.0
	v_mul_f64 v[188:189], v[186:187], v[184:185]
	v_fma_f64 v[182:183], -v[182:183], v[188:189], v[186:187]
	v_div_fmas_f64 v[182:183], v[182:183], v[184:185], v[188:189]
	v_div_fixup_f64 v[180:181], v[182:183], v[180:181], 1.0
	ds_write_b64 v1, v[180:181]
.LBB87_34:
	s_or_b32 exec_lo, exec_lo, s1
	s_waitcnt lgkmcnt(0)
	s_barrier
	buffer_gl0_inv
	ds_read_b64 v[180:181], v1
	s_mov_b32 s1, exec_lo
	s_waitcnt lgkmcnt(0)
	buffer_store_dword v180, off, s[12:15], 0 offset:48 ; 4-byte Folded Spill
	buffer_store_dword v181, off, s[12:15], 0 offset:52 ; 4-byte Folded Spill
	v_cmpx_lt_u32_e32 6, v0
	s_cbranch_execz .LBB87_36
; %bb.35:
	s_clause 0x1
	buffer_load_dword v180, off, s[12:15], 0 offset:48
	buffer_load_dword v181, off, s[12:15], 0 offset:52
	s_waitcnt vmcnt(0)
	v_mul_f64 v[150:151], v[180:181], v[150:151]
	ds_read2_b64 v[180:183], v252 offset0:7 offset1:8
	ds_read2_b64 v[184:187], v252 offset0:9 offset1:10
	;; [unrolled: 1-line block ×12, first 2 shown]
	ds_read_b64 v[192:193], v252 offset:344
	s_waitcnt lgkmcnt(12)
	v_fma_f64 v[134:135], -v[150:151], v[180:181], v[134:135]
	v_fma_f64 v[148:149], -v[150:151], v[182:183], v[148:149]
	s_waitcnt lgkmcnt(11)
	v_fma_f64 v[132:133], -v[150:151], v[184:185], v[132:133]
	v_fma_f64 v[146:147], -v[150:151], v[186:187], v[146:147]
	;; [unrolled: 3-line block ×5, first 2 shown]
	s_waitcnt lgkmcnt(7)
	v_fma_f64 v[124:125], -v[150:151], v[202:203], v[124:125]
	ds_read2_b64 v[180:183], v252 offset0:31 offset1:32
	ds_read2_b64 v[184:187], v252 offset0:33 offset1:34
	v_fma_f64 v[138:139], -v[150:151], v[204:205], v[138:139]
	ds_read2_b64 v[188:191], v252 offset0:35 offset1:36
	ds_read2_b64 v[194:197], v252 offset0:37 offset1:38
	;; [unrolled: 1-line block ×4, first 2 shown]
	s_waitcnt lgkmcnt(12)
	v_fma_f64 v[106:107], -v[150:151], v[206:207], v[106:107]
	v_fma_f64 v[122:123], -v[150:151], v[208:209], v[122:123]
	s_waitcnt lgkmcnt(11)
	v_fma_f64 v[104:105], -v[150:151], v[210:211], v[104:105]
	v_fma_f64 v[120:121], -v[150:151], v[212:213], v[120:121]
	s_waitcnt lgkmcnt(10)
	v_fma_f64 v[102:103], -v[150:151], v[214:215], v[102:103]
	v_fma_f64 v[118:119], -v[150:151], v[216:217], v[118:119]
	s_waitcnt lgkmcnt(9)
	v_fma_f64 v[100:101], -v[150:151], v[218:219], v[100:101]
	v_fma_f64 v[116:117], -v[150:151], v[220:221], v[116:117]
	s_waitcnt lgkmcnt(8)
	v_fma_f64 v[98:99], -v[150:151], v[222:223], v[98:99]
	v_fma_f64 v[114:115], -v[150:151], v[224:225], v[114:115]
	s_waitcnt lgkmcnt(7)
	v_fma_f64 v[96:97], -v[150:151], v[226:227], v[96:97]
	v_fma_f64 v[112:113], -v[150:151], v[228:229], v[112:113]
	s_waitcnt lgkmcnt(6)
	v_fma_f64 v[170:171], -v[150:151], v[192:193], v[170:171]
	s_waitcnt lgkmcnt(5)
	v_fma_f64 v[94:95], -v[150:151], v[180:181], v[94:95]
	v_fma_f64 v[110:111], -v[150:151], v[182:183], v[110:111]
	s_waitcnt lgkmcnt(4)
	v_fma_f64 v[92:93], -v[150:151], v[184:185], v[92:93]
	;; [unrolled: 3-line block ×6, first 2 shown]
	v_fma_f64 v[166:167], -v[150:151], v[204:205], v[166:167]
.LBB87_36:
	s_or_b32 exec_lo, exec_lo, s1
	s_mov_b32 s1, exec_lo
	s_waitcnt_vscnt null, 0x0
	s_barrier
	buffer_gl0_inv
	v_cmpx_eq_u32_e32 7, v0
	s_cbranch_execz .LBB87_39
; %bb.37:
	v_mov_b32_e32 v180, v148
	v_mov_b32_e32 v181, v149
	;; [unrolled: 1-line block ×12, first 2 shown]
	ds_write_b64 v1, v[134:135]
	ds_write2_b64 v252, v[180:181], v[182:183] offset0:8 offset1:9
	ds_write2_b64 v252, v[184:185], v[186:187] offset0:10 offset1:11
	;; [unrolled: 1-line block ×3, first 2 shown]
	v_mov_b32_e32 v180, v142
	v_mov_b32_e32 v181, v143
	;; [unrolled: 1-line block ×20, first 2 shown]
	ds_write2_b64 v252, v[180:181], v[182:183] offset0:14 offset1:15
	ds_write2_b64 v252, v[184:185], v[186:187] offset0:16 offset1:17
	;; [unrolled: 1-line block ×5, first 2 shown]
	v_mov_b32_e32 v180, v118
	v_mov_b32_e32 v181, v119
	;; [unrolled: 1-line block ×20, first 2 shown]
	ds_write2_b64 v252, v[180:181], v[182:183] offset0:24 offset1:25
	ds_write2_b64 v252, v[184:185], v[186:187] offset0:26 offset1:27
	;; [unrolled: 1-line block ×5, first 2 shown]
	v_mov_b32_e32 v180, v108
	v_mov_b32_e32 v181, v109
	;; [unrolled: 1-line block ×18, first 2 shown]
	ds_write2_b64 v252, v[180:181], v[182:183] offset0:34 offset1:35
	ds_write2_b64 v252, v[184:185], v[186:187] offset0:36 offset1:37
	;; [unrolled: 1-line block ×5, first 2 shown]
	ds_read_b64 v[180:181], v1
	s_waitcnt lgkmcnt(0)
	v_cmp_neq_f64_e32 vcc_lo, 0, v[180:181]
	s_and_b32 exec_lo, exec_lo, vcc_lo
	s_cbranch_execz .LBB87_39
; %bb.38:
	v_div_scale_f64 v[182:183], null, v[180:181], v[180:181], 1.0
	v_rcp_f64_e32 v[184:185], v[182:183]
	v_fma_f64 v[186:187], -v[182:183], v[184:185], 1.0
	v_fma_f64 v[184:185], v[184:185], v[186:187], v[184:185]
	v_fma_f64 v[186:187], -v[182:183], v[184:185], 1.0
	v_fma_f64 v[184:185], v[184:185], v[186:187], v[184:185]
	v_div_scale_f64 v[186:187], vcc_lo, 1.0, v[180:181], 1.0
	v_mul_f64 v[188:189], v[186:187], v[184:185]
	v_fma_f64 v[182:183], -v[182:183], v[188:189], v[186:187]
	v_div_fmas_f64 v[182:183], v[182:183], v[184:185], v[188:189]
	v_div_fixup_f64 v[180:181], v[182:183], v[180:181], 1.0
	ds_write_b64 v1, v[180:181]
.LBB87_39:
	s_or_b32 exec_lo, exec_lo, s1
	s_waitcnt lgkmcnt(0)
	s_barrier
	buffer_gl0_inv
	ds_read_b64 v[180:181], v1
	s_mov_b32 s1, exec_lo
	s_waitcnt lgkmcnt(0)
	buffer_store_dword v180, off, s[12:15], 0 offset:56 ; 4-byte Folded Spill
	buffer_store_dword v181, off, s[12:15], 0 offset:60 ; 4-byte Folded Spill
	v_cmpx_lt_u32_e32 7, v0
	s_cbranch_execz .LBB87_41
; %bb.40:
	s_clause 0x1
	buffer_load_dword v180, off, s[12:15], 0 offset:56
	buffer_load_dword v181, off, s[12:15], 0 offset:60
	s_waitcnt vmcnt(0)
	v_mul_f64 v[134:135], v[180:181], v[134:135]
	ds_read2_b64 v[180:183], v252 offset0:8 offset1:9
	ds_read2_b64 v[184:187], v252 offset0:10 offset1:11
	;; [unrolled: 1-line block ×12, first 2 shown]
	s_waitcnt lgkmcnt(11)
	v_fma_f64 v[148:149], -v[134:135], v[180:181], v[148:149]
	v_fma_f64 v[132:133], -v[134:135], v[182:183], v[132:133]
	s_waitcnt lgkmcnt(10)
	v_fma_f64 v[146:147], -v[134:135], v[184:185], v[146:147]
	v_fma_f64 v[130:131], -v[134:135], v[186:187], v[130:131]
	;; [unrolled: 3-line block ×5, first 2 shown]
	ds_read2_b64 v[180:183], v252 offset0:32 offset1:33
	ds_read2_b64 v[184:187], v252 offset0:34 offset1:35
	s_waitcnt lgkmcnt(8)
	v_fma_f64 v[138:139], -v[134:135], v[204:205], v[138:139]
	v_fma_f64 v[106:107], -v[134:135], v[206:207], v[106:107]
	ds_read2_b64 v[188:191], v252 offset0:36 offset1:37
	ds_read2_b64 v[196:199], v252 offset0:38 offset1:39
	;; [unrolled: 1-line block ×4, first 2 shown]
	s_waitcnt lgkmcnt(11)
	v_fma_f64 v[122:123], -v[134:135], v[208:209], v[122:123]
	v_fma_f64 v[104:105], -v[134:135], v[210:211], v[104:105]
	s_waitcnt lgkmcnt(10)
	v_fma_f64 v[120:121], -v[134:135], v[212:213], v[120:121]
	v_fma_f64 v[102:103], -v[134:135], v[214:215], v[102:103]
	;; [unrolled: 3-line block ×12, first 2 shown]
.LBB87_41:
	s_or_b32 exec_lo, exec_lo, s1
	s_mov_b32 s1, exec_lo
	s_waitcnt_vscnt null, 0x0
	s_barrier
	buffer_gl0_inv
	v_cmpx_eq_u32_e32 8, v0
	s_cbranch_execz .LBB87_44
; %bb.42:
	ds_write_b64 v1, v[148:149]
	ds_write2_b64 v252, v[132:133], v[146:147] offset0:9 offset1:10
	ds_write2_b64 v252, v[130:131], v[144:145] offset0:11 offset1:12
	;; [unrolled: 1-line block ×17, first 2 shown]
	ds_write_b64 v252, v[170:171] offset:344
	ds_read_b64 v[180:181], v1
	s_waitcnt lgkmcnt(0)
	v_cmp_neq_f64_e32 vcc_lo, 0, v[180:181]
	s_and_b32 exec_lo, exec_lo, vcc_lo
	s_cbranch_execz .LBB87_44
; %bb.43:
	v_div_scale_f64 v[182:183], null, v[180:181], v[180:181], 1.0
	v_rcp_f64_e32 v[184:185], v[182:183]
	v_fma_f64 v[186:187], -v[182:183], v[184:185], 1.0
	v_fma_f64 v[184:185], v[184:185], v[186:187], v[184:185]
	v_fma_f64 v[186:187], -v[182:183], v[184:185], 1.0
	v_fma_f64 v[184:185], v[184:185], v[186:187], v[184:185]
	v_div_scale_f64 v[186:187], vcc_lo, 1.0, v[180:181], 1.0
	v_mul_f64 v[188:189], v[186:187], v[184:185]
	v_fma_f64 v[182:183], -v[182:183], v[188:189], v[186:187]
	v_div_fmas_f64 v[182:183], v[182:183], v[184:185], v[188:189]
	v_div_fixup_f64 v[180:181], v[182:183], v[180:181], 1.0
	ds_write_b64 v1, v[180:181]
.LBB87_44:
	s_or_b32 exec_lo, exec_lo, s1
	s_waitcnt lgkmcnt(0)
	s_barrier
	buffer_gl0_inv
	ds_read_b64 v[196:197], v1
	s_mov_b32 s1, exec_lo
	v_cmpx_lt_u32_e32 8, v0
	s_cbranch_execz .LBB87_46
; %bb.45:
	s_waitcnt lgkmcnt(0)
	v_mul_f64 v[148:149], v[196:197], v[148:149]
	ds_read2_b64 v[180:183], v252 offset0:9 offset1:10
	ds_read2_b64 v[184:187], v252 offset0:11 offset1:12
	;; [unrolled: 1-line block ×12, first 2 shown]
	ds_read_b64 v[192:193], v252 offset:344
	s_waitcnt lgkmcnt(12)
	v_fma_f64 v[132:133], -v[148:149], v[180:181], v[132:133]
	v_fma_f64 v[146:147], -v[148:149], v[182:183], v[146:147]
	s_waitcnt lgkmcnt(11)
	v_fma_f64 v[130:131], -v[148:149], v[184:185], v[130:131]
	v_fma_f64 v[144:145], -v[148:149], v[186:187], v[144:145]
	;; [unrolled: 3-line block ×5, first 2 shown]
	ds_read2_b64 v[180:183], v252 offset0:33 offset1:34
	ds_read2_b64 v[184:187], v252 offset0:35 offset1:36
	ds_read2_b64 v[188:191], v252 offset0:37 offset1:38
	ds_read2_b64 v[198:201], v252 offset0:39 offset1:40
	ds_read2_b64 v[202:205], v252 offset0:41 offset1:42
	s_waitcnt lgkmcnt(12)
	v_fma_f64 v[106:107], -v[148:149], v[206:207], v[106:107]
	v_fma_f64 v[122:123], -v[148:149], v[208:209], v[122:123]
	s_waitcnt lgkmcnt(11)
	v_fma_f64 v[104:105], -v[148:149], v[210:211], v[104:105]
	v_fma_f64 v[120:121], -v[148:149], v[212:213], v[120:121]
	;; [unrolled: 3-line block ×7, first 2 shown]
	s_waitcnt lgkmcnt(5)
	v_fma_f64 v[170:171], -v[148:149], v[192:193], v[170:171]
	s_waitcnt lgkmcnt(4)
	v_fma_f64 v[92:93], -v[148:149], v[180:181], v[92:93]
	v_fma_f64 v[108:109], -v[148:149], v[182:183], v[108:109]
	s_waitcnt lgkmcnt(3)
	v_fma_f64 v[90:91], -v[148:149], v[184:185], v[90:91]
	;; [unrolled: 3-line block ×5, first 2 shown]
	v_fma_f64 v[166:167], -v[148:149], v[204:205], v[166:167]
.LBB87_46:
	s_or_b32 exec_lo, exec_lo, s1
	s_mov_b32 s1, exec_lo
	s_waitcnt lgkmcnt(0)
	s_barrier
	buffer_gl0_inv
	v_cmpx_eq_u32_e32 9, v0
	s_cbranch_execz .LBB87_49
; %bb.47:
	v_mov_b32_e32 v180, v146
	v_mov_b32_e32 v181, v147
	v_mov_b32_e32 v182, v130
	v_mov_b32_e32 v183, v131
	v_mov_b32_e32 v184, v144
	v_mov_b32_e32 v185, v145
	v_mov_b32_e32 v186, v128
	v_mov_b32_e32 v187, v129
	ds_write_b64 v1, v[132:133]
	ds_write2_b64 v252, v[180:181], v[182:183] offset0:10 offset1:11
	ds_write2_b64 v252, v[184:185], v[186:187] offset0:12 offset1:13
	v_mov_b32_e32 v180, v142
	v_mov_b32_e32 v181, v143
	;; [unrolled: 1-line block ×20, first 2 shown]
	ds_write2_b64 v252, v[180:181], v[182:183] offset0:14 offset1:15
	ds_write2_b64 v252, v[184:185], v[186:187] offset0:16 offset1:17
	;; [unrolled: 1-line block ×5, first 2 shown]
	v_mov_b32_e32 v180, v118
	v_mov_b32_e32 v181, v119
	;; [unrolled: 1-line block ×20, first 2 shown]
	ds_write2_b64 v252, v[180:181], v[182:183] offset0:24 offset1:25
	ds_write2_b64 v252, v[184:185], v[186:187] offset0:26 offset1:27
	;; [unrolled: 1-line block ×5, first 2 shown]
	v_mov_b32_e32 v180, v108
	v_mov_b32_e32 v181, v109
	v_mov_b32_e32 v182, v90
	v_mov_b32_e32 v183, v91
	v_mov_b32_e32 v184, v162
	v_mov_b32_e32 v185, v163
	v_mov_b32_e32 v186, v158
	v_mov_b32_e32 v187, v159
	v_mov_b32_e32 v188, v160
	v_mov_b32_e32 v189, v161
	v_mov_b32_e32 v190, v156
	v_mov_b32_e32 v191, v157
	v_mov_b32_e32 v192, v168
	v_mov_b32_e32 v193, v169
	v_mov_b32_e32 v198, v164
	v_mov_b32_e32 v199, v165
	v_mov_b32_e32 v200, v166
	v_mov_b32_e32 v201, v167
	ds_write2_b64 v252, v[180:181], v[182:183] offset0:34 offset1:35
	ds_write2_b64 v252, v[184:185], v[186:187] offset0:36 offset1:37
	;; [unrolled: 1-line block ×5, first 2 shown]
	ds_read_b64 v[180:181], v1
	s_waitcnt lgkmcnt(0)
	v_cmp_neq_f64_e32 vcc_lo, 0, v[180:181]
	s_and_b32 exec_lo, exec_lo, vcc_lo
	s_cbranch_execz .LBB87_49
; %bb.48:
	v_div_scale_f64 v[182:183], null, v[180:181], v[180:181], 1.0
	v_rcp_f64_e32 v[184:185], v[182:183]
	v_fma_f64 v[186:187], -v[182:183], v[184:185], 1.0
	v_fma_f64 v[184:185], v[184:185], v[186:187], v[184:185]
	v_fma_f64 v[186:187], -v[182:183], v[184:185], 1.0
	v_fma_f64 v[184:185], v[184:185], v[186:187], v[184:185]
	v_div_scale_f64 v[186:187], vcc_lo, 1.0, v[180:181], 1.0
	v_mul_f64 v[188:189], v[186:187], v[184:185]
	v_fma_f64 v[182:183], -v[182:183], v[188:189], v[186:187]
	v_div_fmas_f64 v[182:183], v[182:183], v[184:185], v[188:189]
	v_div_fixup_f64 v[180:181], v[182:183], v[180:181], 1.0
	ds_write_b64 v1, v[180:181]
.LBB87_49:
	s_or_b32 exec_lo, exec_lo, s1
	s_waitcnt lgkmcnt(0)
	s_barrier
	buffer_gl0_inv
	ds_read_b64 v[198:199], v1
	s_mov_b32 s1, exec_lo
	v_cmpx_lt_u32_e32 9, v0
	s_cbranch_execz .LBB87_51
; %bb.50:
	s_waitcnt lgkmcnt(0)
	v_mul_f64 v[132:133], v[198:199], v[132:133]
	ds_read2_b64 v[180:183], v252 offset0:10 offset1:11
	ds_read2_b64 v[184:187], v252 offset0:12 offset1:13
	;; [unrolled: 1-line block ×13, first 2 shown]
	s_waitcnt lgkmcnt(12)
	v_fma_f64 v[146:147], -v[132:133], v[180:181], v[146:147]
	v_fma_f64 v[130:131], -v[132:133], v[182:183], v[130:131]
	s_waitcnt lgkmcnt(11)
	v_fma_f64 v[144:145], -v[132:133], v[184:185], v[144:145]
	v_fma_f64 v[128:129], -v[132:133], v[186:187], v[128:129]
	;; [unrolled: 3-line block ×4, first 2 shown]
	ds_read2_b64 v[180:183], v252 offset0:36 offset1:37
	ds_read2_b64 v[184:187], v252 offset0:38 offset1:39
	ds_read2_b64 v[188:191], v252 offset0:40 offset1:41
	ds_read2_b64 v[200:203], v252 offset0:42 offset1:43
	s_waitcnt lgkmcnt(12)
	v_fma_f64 v[138:139], -v[132:133], v[204:205], v[138:139]
	v_fma_f64 v[106:107], -v[132:133], v[206:207], v[106:107]
	s_waitcnt lgkmcnt(11)
	v_fma_f64 v[122:123], -v[132:133], v[208:209], v[122:123]
	v_fma_f64 v[104:105], -v[132:133], v[210:211], v[104:105]
	;; [unrolled: 3-line block ×13, first 2 shown]
.LBB87_51:
	s_or_b32 exec_lo, exec_lo, s1
	s_mov_b32 s1, exec_lo
	s_waitcnt lgkmcnt(0)
	s_barrier
	buffer_gl0_inv
	v_cmpx_eq_u32_e32 10, v0
	s_cbranch_execz .LBB87_54
; %bb.52:
	ds_write_b64 v1, v[146:147]
	ds_write2_b64 v252, v[130:131], v[144:145] offset0:11 offset1:12
	ds_write2_b64 v252, v[128:129], v[142:143] offset0:13 offset1:14
	;; [unrolled: 1-line block ×16, first 2 shown]
	ds_write_b64 v252, v[170:171] offset:344
	ds_read_b64 v[180:181], v1
	s_waitcnt lgkmcnt(0)
	v_cmp_neq_f64_e32 vcc_lo, 0, v[180:181]
	s_and_b32 exec_lo, exec_lo, vcc_lo
	s_cbranch_execz .LBB87_54
; %bb.53:
	v_div_scale_f64 v[182:183], null, v[180:181], v[180:181], 1.0
	v_rcp_f64_e32 v[184:185], v[182:183]
	v_fma_f64 v[186:187], -v[182:183], v[184:185], 1.0
	v_fma_f64 v[184:185], v[184:185], v[186:187], v[184:185]
	v_fma_f64 v[186:187], -v[182:183], v[184:185], 1.0
	v_fma_f64 v[184:185], v[184:185], v[186:187], v[184:185]
	v_div_scale_f64 v[186:187], vcc_lo, 1.0, v[180:181], 1.0
	v_mul_f64 v[188:189], v[186:187], v[184:185]
	v_fma_f64 v[182:183], -v[182:183], v[188:189], v[186:187]
	v_div_fmas_f64 v[182:183], v[182:183], v[184:185], v[188:189]
	v_div_fixup_f64 v[180:181], v[182:183], v[180:181], 1.0
	ds_write_b64 v1, v[180:181]
.LBB87_54:
	s_or_b32 exec_lo, exec_lo, s1
	s_waitcnt lgkmcnt(0)
	s_barrier
	buffer_gl0_inv
	ds_read_b64 v[200:201], v1
	s_mov_b32 s1, exec_lo
	v_cmpx_lt_u32_e32 10, v0
	s_cbranch_execz .LBB87_56
; %bb.55:
	s_waitcnt lgkmcnt(0)
	v_mul_f64 v[146:147], v[200:201], v[146:147]
	ds_read2_b64 v[180:183], v252 offset0:11 offset1:12
	ds_read2_b64 v[184:187], v252 offset0:13 offset1:14
	;; [unrolled: 1-line block ×13, first 2 shown]
	ds_read_b64 v[192:193], v252 offset:344
	s_waitcnt lgkmcnt(13)
	v_fma_f64 v[130:131], -v[146:147], v[180:181], v[130:131]
	v_fma_f64 v[144:145], -v[146:147], v[182:183], v[144:145]
	s_waitcnt lgkmcnt(12)
	v_fma_f64 v[128:129], -v[146:147], v[184:185], v[128:129]
	v_fma_f64 v[142:143], -v[146:147], v[186:187], v[142:143]
	;; [unrolled: 3-line block ×3, first 2 shown]
	ds_read2_b64 v[180:183], v252 offset0:37 offset1:38
	ds_read2_b64 v[184:187], v252 offset0:39 offset1:40
	ds_read2_b64 v[188:191], v252 offset0:41 offset1:42
	s_waitcnt lgkmcnt(13)
	v_fma_f64 v[124:125], -v[146:147], v[202:203], v[124:125]
	v_fma_f64 v[138:139], -v[146:147], v[204:205], v[138:139]
	s_waitcnt lgkmcnt(12)
	v_fma_f64 v[106:107], -v[146:147], v[206:207], v[106:107]
	v_fma_f64 v[122:123], -v[146:147], v[208:209], v[122:123]
	;; [unrolled: 3-line block ×13, first 2 shown]
	v_fma_f64 v[170:171], -v[146:147], v[192:193], v[170:171]
.LBB87_56:
	s_or_b32 exec_lo, exec_lo, s1
	s_mov_b32 s1, exec_lo
	s_waitcnt lgkmcnt(0)
	s_barrier
	buffer_gl0_inv
	v_cmpx_eq_u32_e32 11, v0
	s_cbranch_execz .LBB87_59
; %bb.57:
	v_mov_b32_e32 v180, v144
	v_mov_b32_e32 v181, v145
	;; [unrolled: 1-line block ×4, first 2 shown]
	ds_write_b64 v1, v[130:131]
	ds_write2_b64 v252, v[180:181], v[182:183] offset0:12 offset1:13
	v_mov_b32_e32 v180, v142
	v_mov_b32_e32 v181, v143
	;; [unrolled: 1-line block ×20, first 2 shown]
	ds_write2_b64 v252, v[180:181], v[182:183] offset0:14 offset1:15
	ds_write2_b64 v252, v[184:185], v[186:187] offset0:16 offset1:17
	ds_write2_b64 v252, v[188:189], v[190:191] offset0:18 offset1:19
	ds_write2_b64 v252, v[192:193], v[202:203] offset0:20 offset1:21
	ds_write2_b64 v252, v[204:205], v[206:207] offset0:22 offset1:23
	v_mov_b32_e32 v180, v118
	v_mov_b32_e32 v181, v119
	;; [unrolled: 1-line block ×20, first 2 shown]
	ds_write2_b64 v252, v[180:181], v[182:183] offset0:24 offset1:25
	ds_write2_b64 v252, v[184:185], v[186:187] offset0:26 offset1:27
	;; [unrolled: 1-line block ×5, first 2 shown]
	v_mov_b32_e32 v180, v108
	v_mov_b32_e32 v181, v109
	;; [unrolled: 1-line block ×18, first 2 shown]
	ds_write2_b64 v252, v[180:181], v[182:183] offset0:34 offset1:35
	ds_write2_b64 v252, v[184:185], v[186:187] offset0:36 offset1:37
	;; [unrolled: 1-line block ×5, first 2 shown]
	ds_read_b64 v[180:181], v1
	s_waitcnt lgkmcnt(0)
	v_cmp_neq_f64_e32 vcc_lo, 0, v[180:181]
	s_and_b32 exec_lo, exec_lo, vcc_lo
	s_cbranch_execz .LBB87_59
; %bb.58:
	v_div_scale_f64 v[182:183], null, v[180:181], v[180:181], 1.0
	v_rcp_f64_e32 v[184:185], v[182:183]
	v_fma_f64 v[186:187], -v[182:183], v[184:185], 1.0
	v_fma_f64 v[184:185], v[184:185], v[186:187], v[184:185]
	v_fma_f64 v[186:187], -v[182:183], v[184:185], 1.0
	v_fma_f64 v[184:185], v[184:185], v[186:187], v[184:185]
	v_div_scale_f64 v[186:187], vcc_lo, 1.0, v[180:181], 1.0
	v_mul_f64 v[188:189], v[186:187], v[184:185]
	v_fma_f64 v[182:183], -v[182:183], v[188:189], v[186:187]
	v_div_fmas_f64 v[182:183], v[182:183], v[184:185], v[188:189]
	v_div_fixup_f64 v[180:181], v[182:183], v[180:181], 1.0
	ds_write_b64 v1, v[180:181]
.LBB87_59:
	s_or_b32 exec_lo, exec_lo, s1
	s_waitcnt lgkmcnt(0)
	s_barrier
	buffer_gl0_inv
	ds_read_b64 v[204:205], v1
	s_mov_b32 s1, exec_lo
	v_cmpx_lt_u32_e32 11, v0
	s_cbranch_execz .LBB87_61
; %bb.60:
	s_waitcnt lgkmcnt(0)
	v_mul_f64 v[130:131], v[204:205], v[130:131]
	ds_read2_b64 v[180:183], v252 offset0:12 offset1:13
	s_waitcnt lgkmcnt(0)
	v_fma_f64 v[144:145], -v[130:131], v[180:181], v[144:145]
	v_fma_f64 v[128:129], -v[130:131], v[182:183], v[128:129]
	ds_read2_b64 v[180:183], v252 offset0:14 offset1:15
	s_waitcnt lgkmcnt(0)
	v_fma_f64 v[142:143], -v[130:131], v[180:181], v[142:143]
	v_fma_f64 v[126:127], -v[130:131], v[182:183], v[126:127]
	;; [unrolled: 4-line block ×16, first 2 shown]
.LBB87_61:
	s_or_b32 exec_lo, exec_lo, s1
	s_mov_b32 s1, exec_lo
	s_waitcnt lgkmcnt(0)
	s_barrier
	buffer_gl0_inv
	v_cmpx_eq_u32_e32 12, v0
	s_cbranch_execz .LBB87_64
; %bb.62:
	ds_write_b64 v1, v[144:145]
	ds_write2_b64 v252, v[128:129], v[142:143] offset0:13 offset1:14
	ds_write2_b64 v252, v[126:127], v[140:141] offset0:15 offset1:16
	;; [unrolled: 1-line block ×15, first 2 shown]
	ds_write_b64 v252, v[170:171] offset:344
	ds_read_b64 v[180:181], v1
	s_waitcnt lgkmcnt(0)
	v_cmp_neq_f64_e32 vcc_lo, 0, v[180:181]
	s_and_b32 exec_lo, exec_lo, vcc_lo
	s_cbranch_execz .LBB87_64
; %bb.63:
	v_div_scale_f64 v[182:183], null, v[180:181], v[180:181], 1.0
	v_rcp_f64_e32 v[184:185], v[182:183]
	v_fma_f64 v[186:187], -v[182:183], v[184:185], 1.0
	v_fma_f64 v[184:185], v[184:185], v[186:187], v[184:185]
	v_fma_f64 v[186:187], -v[182:183], v[184:185], 1.0
	v_fma_f64 v[184:185], v[184:185], v[186:187], v[184:185]
	v_div_scale_f64 v[186:187], vcc_lo, 1.0, v[180:181], 1.0
	v_mul_f64 v[188:189], v[186:187], v[184:185]
	v_fma_f64 v[182:183], -v[182:183], v[188:189], v[186:187]
	v_div_fmas_f64 v[182:183], v[182:183], v[184:185], v[188:189]
	v_div_fixup_f64 v[180:181], v[182:183], v[180:181], 1.0
	ds_write_b64 v1, v[180:181]
.LBB87_64:
	s_or_b32 exec_lo, exec_lo, s1
	s_waitcnt lgkmcnt(0)
	s_barrier
	buffer_gl0_inv
	ds_read_b64 v[202:203], v1
	s_mov_b32 s1, exec_lo
	v_cmpx_lt_u32_e32 12, v0
	s_cbranch_execz .LBB87_66
; %bb.65:
	s_waitcnt lgkmcnt(0)
	v_mul_f64 v[144:145], v[202:203], v[144:145]
	ds_read2_b64 v[180:183], v252 offset0:13 offset1:14
	s_waitcnt lgkmcnt(0)
	v_fma_f64 v[128:129], -v[144:145], v[180:181], v[128:129]
	v_fma_f64 v[142:143], -v[144:145], v[182:183], v[142:143]
	ds_read2_b64 v[180:183], v252 offset0:15 offset1:16
	s_waitcnt lgkmcnt(0)
	v_fma_f64 v[126:127], -v[144:145], v[180:181], v[126:127]
	v_fma_f64 v[140:141], -v[144:145], v[182:183], v[140:141]
	;; [unrolled: 4-line block ×14, first 2 shown]
	ds_read2_b64 v[180:183], v252 offset0:41 offset1:42
	s_waitcnt lgkmcnt(0)
	v_fma_f64 v[164:165], -v[144:145], v[180:181], v[164:165]
	ds_read_b64 v[180:181], v252 offset:344
	v_fma_f64 v[166:167], -v[144:145], v[182:183], v[166:167]
	s_waitcnt lgkmcnt(0)
	v_fma_f64 v[170:171], -v[144:145], v[180:181], v[170:171]
.LBB87_66:
	s_or_b32 exec_lo, exec_lo, s1
	s_mov_b32 s1, exec_lo
	s_waitcnt lgkmcnt(0)
	s_barrier
	buffer_gl0_inv
	v_cmpx_eq_u32_e32 13, v0
	s_cbranch_execz .LBB87_69
; %bb.67:
	v_mov_b32_e32 v180, v142
	v_mov_b32_e32 v181, v143
	;; [unrolled: 1-line block ×20, first 2 shown]
	ds_write_b64 v1, v[128:129]
	ds_write2_b64 v252, v[180:181], v[182:183] offset0:14 offset1:15
	ds_write2_b64 v252, v[184:185], v[186:187] offset0:16 offset1:17
	ds_write2_b64 v252, v[188:189], v[190:191] offset0:18 offset1:19
	ds_write2_b64 v252, v[192:193], v[206:207] offset0:20 offset1:21
	ds_write2_b64 v252, v[208:209], v[210:211] offset0:22 offset1:23
	v_mov_b32_e32 v180, v118
	v_mov_b32_e32 v181, v119
	;; [unrolled: 1-line block ×20, first 2 shown]
	ds_write2_b64 v252, v[180:181], v[182:183] offset0:24 offset1:25
	ds_write2_b64 v252, v[184:185], v[186:187] offset0:26 offset1:27
	;; [unrolled: 1-line block ×5, first 2 shown]
	v_mov_b32_e32 v180, v108
	v_mov_b32_e32 v181, v109
	;; [unrolled: 1-line block ×18, first 2 shown]
	ds_write2_b64 v252, v[180:181], v[182:183] offset0:34 offset1:35
	ds_write2_b64 v252, v[184:185], v[186:187] offset0:36 offset1:37
	;; [unrolled: 1-line block ×5, first 2 shown]
	ds_read_b64 v[180:181], v1
	s_waitcnt lgkmcnt(0)
	v_cmp_neq_f64_e32 vcc_lo, 0, v[180:181]
	s_and_b32 exec_lo, exec_lo, vcc_lo
	s_cbranch_execz .LBB87_69
; %bb.68:
	v_div_scale_f64 v[182:183], null, v[180:181], v[180:181], 1.0
	v_rcp_f64_e32 v[184:185], v[182:183]
	v_fma_f64 v[186:187], -v[182:183], v[184:185], 1.0
	v_fma_f64 v[184:185], v[184:185], v[186:187], v[184:185]
	v_fma_f64 v[186:187], -v[182:183], v[184:185], 1.0
	v_fma_f64 v[184:185], v[184:185], v[186:187], v[184:185]
	v_div_scale_f64 v[186:187], vcc_lo, 1.0, v[180:181], 1.0
	v_mul_f64 v[188:189], v[186:187], v[184:185]
	v_fma_f64 v[182:183], -v[182:183], v[188:189], v[186:187]
	v_div_fmas_f64 v[182:183], v[182:183], v[184:185], v[188:189]
	v_div_fixup_f64 v[180:181], v[182:183], v[180:181], 1.0
	ds_write_b64 v1, v[180:181]
.LBB87_69:
	s_or_b32 exec_lo, exec_lo, s1
	s_waitcnt lgkmcnt(0)
	s_barrier
	buffer_gl0_inv
	ds_read_b64 v[208:209], v1
	s_mov_b32 s1, exec_lo
	v_cmpx_lt_u32_e32 13, v0
	s_cbranch_execz .LBB87_71
; %bb.70:
	s_waitcnt lgkmcnt(0)
	v_mul_f64 v[128:129], v[208:209], v[128:129]
	ds_read2_b64 v[180:183], v252 offset0:14 offset1:15
	s_waitcnt lgkmcnt(0)
	v_fma_f64 v[142:143], -v[128:129], v[180:181], v[142:143]
	v_fma_f64 v[126:127], -v[128:129], v[182:183], v[126:127]
	ds_read2_b64 v[180:183], v252 offset0:16 offset1:17
	s_waitcnt lgkmcnt(0)
	v_fma_f64 v[140:141], -v[128:129], v[180:181], v[140:141]
	v_fma_f64 v[124:125], -v[128:129], v[182:183], v[124:125]
	;; [unrolled: 4-line block ×15, first 2 shown]
.LBB87_71:
	s_or_b32 exec_lo, exec_lo, s1
	s_mov_b32 s1, exec_lo
	s_waitcnt lgkmcnt(0)
	s_barrier
	buffer_gl0_inv
	v_cmpx_eq_u32_e32 14, v0
	s_cbranch_execz .LBB87_74
; %bb.72:
	ds_write_b64 v1, v[142:143]
	ds_write2_b64 v252, v[126:127], v[140:141] offset0:15 offset1:16
	ds_write2_b64 v252, v[124:125], v[138:139] offset0:17 offset1:18
	ds_write2_b64 v252, v[106:107], v[122:123] offset0:19 offset1:20
	ds_write2_b64 v252, v[104:105], v[120:121] offset0:21 offset1:22
	ds_write2_b64 v252, v[102:103], v[118:119] offset0:23 offset1:24
	ds_write2_b64 v252, v[100:101], v[116:117] offset0:25 offset1:26
	ds_write2_b64 v252, v[98:99], v[114:115] offset0:27 offset1:28
	ds_write2_b64 v252, v[96:97], v[112:113] offset0:29 offset1:30
	ds_write2_b64 v252, v[94:95], v[110:111] offset0:31 offset1:32
	ds_write2_b64 v252, v[92:93], v[108:109] offset0:33 offset1:34
	ds_write2_b64 v252, v[90:91], v[162:163] offset0:35 offset1:36
	ds_write2_b64 v252, v[158:159], v[160:161] offset0:37 offset1:38
	ds_write2_b64 v252, v[156:157], v[168:169] offset0:39 offset1:40
	ds_write2_b64 v252, v[164:165], v[166:167] offset0:41 offset1:42
	ds_write_b64 v252, v[170:171] offset:344
	ds_read_b64 v[180:181], v1
	s_waitcnt lgkmcnt(0)
	v_cmp_neq_f64_e32 vcc_lo, 0, v[180:181]
	s_and_b32 exec_lo, exec_lo, vcc_lo
	s_cbranch_execz .LBB87_74
; %bb.73:
	v_div_scale_f64 v[182:183], null, v[180:181], v[180:181], 1.0
	v_rcp_f64_e32 v[184:185], v[182:183]
	v_fma_f64 v[186:187], -v[182:183], v[184:185], 1.0
	v_fma_f64 v[184:185], v[184:185], v[186:187], v[184:185]
	v_fma_f64 v[186:187], -v[182:183], v[184:185], 1.0
	v_fma_f64 v[184:185], v[184:185], v[186:187], v[184:185]
	v_div_scale_f64 v[186:187], vcc_lo, 1.0, v[180:181], 1.0
	v_mul_f64 v[188:189], v[186:187], v[184:185]
	v_fma_f64 v[182:183], -v[182:183], v[188:189], v[186:187]
	v_div_fmas_f64 v[182:183], v[182:183], v[184:185], v[188:189]
	v_div_fixup_f64 v[180:181], v[182:183], v[180:181], 1.0
	ds_write_b64 v1, v[180:181]
.LBB87_74:
	s_or_b32 exec_lo, exec_lo, s1
	s_waitcnt lgkmcnt(0)
	s_barrier
	buffer_gl0_inv
	ds_read_b64 v[206:207], v1
	s_mov_b32 s1, exec_lo
	v_cmpx_lt_u32_e32 14, v0
	s_cbranch_execz .LBB87_76
; %bb.75:
	s_waitcnt lgkmcnt(0)
	v_mul_f64 v[142:143], v[206:207], v[142:143]
	ds_read2_b64 v[180:183], v252 offset0:15 offset1:16
	s_waitcnt lgkmcnt(0)
	v_fma_f64 v[126:127], -v[142:143], v[180:181], v[126:127]
	v_fma_f64 v[140:141], -v[142:143], v[182:183], v[140:141]
	ds_read2_b64 v[180:183], v252 offset0:17 offset1:18
	s_waitcnt lgkmcnt(0)
	v_fma_f64 v[124:125], -v[142:143], v[180:181], v[124:125]
	v_fma_f64 v[138:139], -v[142:143], v[182:183], v[138:139]
	;; [unrolled: 4-line block ×13, first 2 shown]
	ds_read2_b64 v[180:183], v252 offset0:41 offset1:42
	s_waitcnt lgkmcnt(0)
	v_fma_f64 v[164:165], -v[142:143], v[180:181], v[164:165]
	ds_read_b64 v[180:181], v252 offset:344
	v_fma_f64 v[166:167], -v[142:143], v[182:183], v[166:167]
	s_waitcnt lgkmcnt(0)
	v_fma_f64 v[170:171], -v[142:143], v[180:181], v[170:171]
.LBB87_76:
	s_or_b32 exec_lo, exec_lo, s1
	s_mov_b32 s1, exec_lo
	s_waitcnt lgkmcnt(0)
	s_barrier
	buffer_gl0_inv
	v_cmpx_eq_u32_e32 15, v0
	s_cbranch_execz .LBB87_79
; %bb.77:
	v_mov_b32_e32 v180, v140
	v_mov_b32_e32 v181, v141
	;; [unrolled: 1-line block ×16, first 2 shown]
	ds_write_b64 v1, v[126:127]
	ds_write2_b64 v252, v[180:181], v[182:183] offset0:16 offset1:17
	ds_write2_b64 v252, v[184:185], v[186:187] offset0:18 offset1:19
	;; [unrolled: 1-line block ×4, first 2 shown]
	v_mov_b32_e32 v180, v118
	v_mov_b32_e32 v181, v119
	;; [unrolled: 1-line block ×20, first 2 shown]
	ds_write2_b64 v252, v[180:181], v[182:183] offset0:24 offset1:25
	ds_write2_b64 v252, v[184:185], v[186:187] offset0:26 offset1:27
	;; [unrolled: 1-line block ×5, first 2 shown]
	v_mov_b32_e32 v180, v108
	v_mov_b32_e32 v181, v109
	;; [unrolled: 1-line block ×18, first 2 shown]
	ds_write2_b64 v252, v[180:181], v[182:183] offset0:34 offset1:35
	ds_write2_b64 v252, v[184:185], v[186:187] offset0:36 offset1:37
	;; [unrolled: 1-line block ×5, first 2 shown]
	ds_read_b64 v[180:181], v1
	s_waitcnt lgkmcnt(0)
	v_cmp_neq_f64_e32 vcc_lo, 0, v[180:181]
	s_and_b32 exec_lo, exec_lo, vcc_lo
	s_cbranch_execz .LBB87_79
; %bb.78:
	v_div_scale_f64 v[182:183], null, v[180:181], v[180:181], 1.0
	v_rcp_f64_e32 v[184:185], v[182:183]
	v_fma_f64 v[186:187], -v[182:183], v[184:185], 1.0
	v_fma_f64 v[184:185], v[184:185], v[186:187], v[184:185]
	v_fma_f64 v[186:187], -v[182:183], v[184:185], 1.0
	v_fma_f64 v[184:185], v[184:185], v[186:187], v[184:185]
	v_div_scale_f64 v[186:187], vcc_lo, 1.0, v[180:181], 1.0
	v_mul_f64 v[188:189], v[186:187], v[184:185]
	v_fma_f64 v[182:183], -v[182:183], v[188:189], v[186:187]
	v_div_fmas_f64 v[182:183], v[182:183], v[184:185], v[188:189]
	v_div_fixup_f64 v[180:181], v[182:183], v[180:181], 1.0
	ds_write_b64 v1, v[180:181]
.LBB87_79:
	s_or_b32 exec_lo, exec_lo, s1
	s_waitcnt lgkmcnt(0)
	s_barrier
	buffer_gl0_inv
	ds_read_b64 v[212:213], v1
	s_mov_b32 s1, exec_lo
	v_cmpx_lt_u32_e32 15, v0
	s_cbranch_execz .LBB87_81
; %bb.80:
	s_waitcnt lgkmcnt(0)
	v_mul_f64 v[126:127], v[212:213], v[126:127]
	ds_read2_b64 v[180:183], v252 offset0:16 offset1:17
	s_waitcnt lgkmcnt(0)
	v_fma_f64 v[140:141], -v[126:127], v[180:181], v[140:141]
	v_fma_f64 v[124:125], -v[126:127], v[182:183], v[124:125]
	ds_read2_b64 v[180:183], v252 offset0:18 offset1:19
	s_waitcnt lgkmcnt(0)
	v_fma_f64 v[138:139], -v[126:127], v[180:181], v[138:139]
	v_fma_f64 v[106:107], -v[126:127], v[182:183], v[106:107]
	;; [unrolled: 4-line block ×14, first 2 shown]
.LBB87_81:
	s_or_b32 exec_lo, exec_lo, s1
	s_mov_b32 s1, exec_lo
	s_waitcnt lgkmcnt(0)
	s_barrier
	buffer_gl0_inv
	v_cmpx_eq_u32_e32 16, v0
	s_cbranch_execz .LBB87_84
; %bb.82:
	ds_write_b64 v1, v[140:141]
	ds_write2_b64 v252, v[124:125], v[138:139] offset0:17 offset1:18
	ds_write2_b64 v252, v[106:107], v[122:123] offset0:19 offset1:20
	;; [unrolled: 1-line block ×13, first 2 shown]
	ds_write_b64 v252, v[170:171] offset:344
	ds_read_b64 v[180:181], v1
	s_waitcnt lgkmcnt(0)
	v_cmp_neq_f64_e32 vcc_lo, 0, v[180:181]
	s_and_b32 exec_lo, exec_lo, vcc_lo
	s_cbranch_execz .LBB87_84
; %bb.83:
	v_div_scale_f64 v[182:183], null, v[180:181], v[180:181], 1.0
	v_rcp_f64_e32 v[184:185], v[182:183]
	v_fma_f64 v[186:187], -v[182:183], v[184:185], 1.0
	v_fma_f64 v[184:185], v[184:185], v[186:187], v[184:185]
	v_fma_f64 v[186:187], -v[182:183], v[184:185], 1.0
	v_fma_f64 v[184:185], v[184:185], v[186:187], v[184:185]
	v_div_scale_f64 v[186:187], vcc_lo, 1.0, v[180:181], 1.0
	v_mul_f64 v[188:189], v[186:187], v[184:185]
	v_fma_f64 v[182:183], -v[182:183], v[188:189], v[186:187]
	v_div_fmas_f64 v[182:183], v[182:183], v[184:185], v[188:189]
	v_div_fixup_f64 v[180:181], v[182:183], v[180:181], 1.0
	ds_write_b64 v1, v[180:181]
.LBB87_84:
	s_or_b32 exec_lo, exec_lo, s1
	s_waitcnt lgkmcnt(0)
	s_barrier
	buffer_gl0_inv
	ds_read_b64 v[210:211], v1
	s_mov_b32 s1, exec_lo
	v_cmpx_lt_u32_e32 16, v0
	s_cbranch_execz .LBB87_86
; %bb.85:
	s_waitcnt lgkmcnt(0)
	v_mul_f64 v[140:141], v[210:211], v[140:141]
	ds_read2_b64 v[180:183], v252 offset0:17 offset1:18
	s_waitcnt lgkmcnt(0)
	v_fma_f64 v[124:125], -v[140:141], v[180:181], v[124:125]
	v_fma_f64 v[138:139], -v[140:141], v[182:183], v[138:139]
	ds_read2_b64 v[180:183], v252 offset0:19 offset1:20
	s_waitcnt lgkmcnt(0)
	v_fma_f64 v[106:107], -v[140:141], v[180:181], v[106:107]
	v_fma_f64 v[122:123], -v[140:141], v[182:183], v[122:123]
	;; [unrolled: 4-line block ×12, first 2 shown]
	ds_read2_b64 v[180:183], v252 offset0:41 offset1:42
	s_waitcnt lgkmcnt(0)
	v_fma_f64 v[164:165], -v[140:141], v[180:181], v[164:165]
	ds_read_b64 v[180:181], v252 offset:344
	v_fma_f64 v[166:167], -v[140:141], v[182:183], v[166:167]
	s_waitcnt lgkmcnt(0)
	v_fma_f64 v[170:171], -v[140:141], v[180:181], v[170:171]
.LBB87_86:
	s_or_b32 exec_lo, exec_lo, s1
	s_mov_b32 s1, exec_lo
	s_waitcnt lgkmcnt(0)
	s_barrier
	buffer_gl0_inv
	v_cmpx_eq_u32_e32 17, v0
	s_cbranch_execz .LBB87_89
; %bb.87:
	v_mov_b32_e32 v180, v138
	v_mov_b32_e32 v181, v139
	v_mov_b32_e32 v182, v106
	v_mov_b32_e32 v183, v107
	v_mov_b32_e32 v184, v122
	v_mov_b32_e32 v185, v123
	v_mov_b32_e32 v186, v104
	v_mov_b32_e32 v187, v105
	v_mov_b32_e32 v188, v120
	v_mov_b32_e32 v189, v121
	v_mov_b32_e32 v190, v102
	v_mov_b32_e32 v191, v103
	ds_write_b64 v1, v[124:125]
	ds_write2_b64 v252, v[180:181], v[182:183] offset0:18 offset1:19
	ds_write2_b64 v252, v[184:185], v[186:187] offset0:20 offset1:21
	;; [unrolled: 1-line block ×3, first 2 shown]
	v_mov_b32_e32 v180, v118
	v_mov_b32_e32 v181, v119
	v_mov_b32_e32 v182, v100
	v_mov_b32_e32 v183, v101
	v_mov_b32_e32 v184, v116
	v_mov_b32_e32 v185, v117
	v_mov_b32_e32 v186, v98
	v_mov_b32_e32 v187, v99
	v_mov_b32_e32 v188, v114
	v_mov_b32_e32 v189, v115
	v_mov_b32_e32 v190, v96
	v_mov_b32_e32 v191, v97
	v_mov_b32_e32 v192, v112
	v_mov_b32_e32 v193, v113
	v_mov_b32_e32 v214, v94
	v_mov_b32_e32 v215, v95
	v_mov_b32_e32 v216, v110
	v_mov_b32_e32 v217, v111
	v_mov_b32_e32 v218, v92
	v_mov_b32_e32 v219, v93
	ds_write2_b64 v252, v[180:181], v[182:183] offset0:24 offset1:25
	ds_write2_b64 v252, v[184:185], v[186:187] offset0:26 offset1:27
	;; [unrolled: 1-line block ×5, first 2 shown]
	v_mov_b32_e32 v180, v108
	v_mov_b32_e32 v181, v109
	;; [unrolled: 1-line block ×18, first 2 shown]
	ds_write2_b64 v252, v[180:181], v[182:183] offset0:34 offset1:35
	ds_write2_b64 v252, v[184:185], v[186:187] offset0:36 offset1:37
	;; [unrolled: 1-line block ×5, first 2 shown]
	ds_read_b64 v[180:181], v1
	s_waitcnt lgkmcnt(0)
	v_cmp_neq_f64_e32 vcc_lo, 0, v[180:181]
	s_and_b32 exec_lo, exec_lo, vcc_lo
	s_cbranch_execz .LBB87_89
; %bb.88:
	v_div_scale_f64 v[182:183], null, v[180:181], v[180:181], 1.0
	v_rcp_f64_e32 v[184:185], v[182:183]
	v_fma_f64 v[186:187], -v[182:183], v[184:185], 1.0
	v_fma_f64 v[184:185], v[184:185], v[186:187], v[184:185]
	v_fma_f64 v[186:187], -v[182:183], v[184:185], 1.0
	v_fma_f64 v[184:185], v[184:185], v[186:187], v[184:185]
	v_div_scale_f64 v[186:187], vcc_lo, 1.0, v[180:181], 1.0
	v_mul_f64 v[188:189], v[186:187], v[184:185]
	v_fma_f64 v[182:183], -v[182:183], v[188:189], v[186:187]
	v_div_fmas_f64 v[182:183], v[182:183], v[184:185], v[188:189]
	v_div_fixup_f64 v[180:181], v[182:183], v[180:181], 1.0
	ds_write_b64 v1, v[180:181]
.LBB87_89:
	s_or_b32 exec_lo, exec_lo, s1
	s_waitcnt lgkmcnt(0)
	s_barrier
	buffer_gl0_inv
	ds_read_b64 v[216:217], v1
	s_mov_b32 s1, exec_lo
	v_cmpx_lt_u32_e32 17, v0
	s_cbranch_execz .LBB87_91
; %bb.90:
	s_waitcnt lgkmcnt(0)
	v_mul_f64 v[124:125], v[216:217], v[124:125]
	ds_read2_b64 v[180:183], v252 offset0:18 offset1:19
	s_waitcnt lgkmcnt(0)
	v_fma_f64 v[138:139], -v[124:125], v[180:181], v[138:139]
	v_fma_f64 v[106:107], -v[124:125], v[182:183], v[106:107]
	ds_read2_b64 v[180:183], v252 offset0:20 offset1:21
	s_waitcnt lgkmcnt(0)
	v_fma_f64 v[122:123], -v[124:125], v[180:181], v[122:123]
	v_fma_f64 v[104:105], -v[124:125], v[182:183], v[104:105]
	;; [unrolled: 4-line block ×13, first 2 shown]
.LBB87_91:
	s_or_b32 exec_lo, exec_lo, s1
	s_mov_b32 s1, exec_lo
	s_waitcnt lgkmcnt(0)
	s_barrier
	buffer_gl0_inv
	v_cmpx_eq_u32_e32 18, v0
	s_cbranch_execz .LBB87_94
; %bb.92:
	ds_write_b64 v1, v[138:139]
	ds_write2_b64 v252, v[106:107], v[122:123] offset0:19 offset1:20
	ds_write2_b64 v252, v[104:105], v[120:121] offset0:21 offset1:22
	;; [unrolled: 1-line block ×12, first 2 shown]
	ds_write_b64 v252, v[170:171] offset:344
	ds_read_b64 v[180:181], v1
	s_waitcnt lgkmcnt(0)
	v_cmp_neq_f64_e32 vcc_lo, 0, v[180:181]
	s_and_b32 exec_lo, exec_lo, vcc_lo
	s_cbranch_execz .LBB87_94
; %bb.93:
	v_div_scale_f64 v[182:183], null, v[180:181], v[180:181], 1.0
	v_rcp_f64_e32 v[184:185], v[182:183]
	v_fma_f64 v[186:187], -v[182:183], v[184:185], 1.0
	v_fma_f64 v[184:185], v[184:185], v[186:187], v[184:185]
	v_fma_f64 v[186:187], -v[182:183], v[184:185], 1.0
	v_fma_f64 v[184:185], v[184:185], v[186:187], v[184:185]
	v_div_scale_f64 v[186:187], vcc_lo, 1.0, v[180:181], 1.0
	v_mul_f64 v[188:189], v[186:187], v[184:185]
	v_fma_f64 v[182:183], -v[182:183], v[188:189], v[186:187]
	v_div_fmas_f64 v[182:183], v[182:183], v[184:185], v[188:189]
	v_div_fixup_f64 v[180:181], v[182:183], v[180:181], 1.0
	ds_write_b64 v1, v[180:181]
.LBB87_94:
	s_or_b32 exec_lo, exec_lo, s1
	s_waitcnt lgkmcnt(0)
	s_barrier
	buffer_gl0_inv
	ds_read_b64 v[38:39], v1
	s_mov_b32 s1, exec_lo
	v_cmpx_lt_u32_e32 18, v0
	s_cbranch_execz .LBB87_96
; %bb.95:
	s_waitcnt lgkmcnt(0)
	v_mul_f64 v[138:139], v[38:39], v[138:139]
	ds_read2_b64 v[180:183], v252 offset0:19 offset1:20
	s_waitcnt lgkmcnt(0)
	v_fma_f64 v[106:107], -v[138:139], v[180:181], v[106:107]
	v_fma_f64 v[122:123], -v[138:139], v[182:183], v[122:123]
	ds_read2_b64 v[180:183], v252 offset0:21 offset1:22
	s_waitcnt lgkmcnt(0)
	v_fma_f64 v[104:105], -v[138:139], v[180:181], v[104:105]
	v_fma_f64 v[120:121], -v[138:139], v[182:183], v[120:121]
	;; [unrolled: 4-line block ×11, first 2 shown]
	ds_read2_b64 v[180:183], v252 offset0:41 offset1:42
	s_waitcnt lgkmcnt(0)
	v_fma_f64 v[164:165], -v[138:139], v[180:181], v[164:165]
	ds_read_b64 v[180:181], v252 offset:344
	v_fma_f64 v[166:167], -v[138:139], v[182:183], v[166:167]
	s_waitcnt lgkmcnt(0)
	v_fma_f64 v[170:171], -v[138:139], v[180:181], v[170:171]
.LBB87_96:
	s_or_b32 exec_lo, exec_lo, s1
	s_mov_b32 s1, exec_lo
	s_waitcnt lgkmcnt(0)
	s_barrier
	buffer_gl0_inv
	v_cmpx_eq_u32_e32 19, v0
	s_cbranch_execz .LBB87_99
; %bb.97:
	v_mov_b32_e32 v180, v122
	v_mov_b32_e32 v181, v123
	v_mov_b32_e32 v182, v104
	v_mov_b32_e32 v183, v105
	v_mov_b32_e32 v184, v120
	v_mov_b32_e32 v185, v121
	v_mov_b32_e32 v186, v102
	v_mov_b32_e32 v187, v103
	ds_write_b64 v1, v[106:107]
	ds_write2_b64 v252, v[180:181], v[182:183] offset0:20 offset1:21
	ds_write2_b64 v252, v[184:185], v[186:187] offset0:22 offset1:23
	v_mov_b32_e32 v180, v118
	v_mov_b32_e32 v181, v119
	;; [unrolled: 1-line block ×20, first 2 shown]
	ds_write2_b64 v252, v[180:181], v[182:183] offset0:24 offset1:25
	ds_write2_b64 v252, v[184:185], v[186:187] offset0:26 offset1:27
	;; [unrolled: 1-line block ×5, first 2 shown]
	v_mov_b32_e32 v180, v108
	v_mov_b32_e32 v181, v109
	;; [unrolled: 1-line block ×18, first 2 shown]
	ds_write2_b64 v252, v[180:181], v[182:183] offset0:34 offset1:35
	ds_write2_b64 v252, v[184:185], v[186:187] offset0:36 offset1:37
	;; [unrolled: 1-line block ×5, first 2 shown]
	ds_read_b64 v[180:181], v1
	s_waitcnt lgkmcnt(0)
	v_cmp_neq_f64_e32 vcc_lo, 0, v[180:181]
	s_and_b32 exec_lo, exec_lo, vcc_lo
	s_cbranch_execz .LBB87_99
; %bb.98:
	v_div_scale_f64 v[182:183], null, v[180:181], v[180:181], 1.0
	v_rcp_f64_e32 v[184:185], v[182:183]
	v_fma_f64 v[186:187], -v[182:183], v[184:185], 1.0
	v_fma_f64 v[184:185], v[184:185], v[186:187], v[184:185]
	v_fma_f64 v[186:187], -v[182:183], v[184:185], 1.0
	v_fma_f64 v[184:185], v[184:185], v[186:187], v[184:185]
	v_div_scale_f64 v[186:187], vcc_lo, 1.0, v[180:181], 1.0
	v_mul_f64 v[188:189], v[186:187], v[184:185]
	v_fma_f64 v[182:183], -v[182:183], v[188:189], v[186:187]
	v_div_fmas_f64 v[182:183], v[182:183], v[184:185], v[188:189]
	v_div_fixup_f64 v[180:181], v[182:183], v[180:181], 1.0
	ds_write_b64 v1, v[180:181]
.LBB87_99:
	s_or_b32 exec_lo, exec_lo, s1
	s_waitcnt lgkmcnt(0)
	s_barrier
	buffer_gl0_inv
	ds_read_b64 v[218:219], v1
	s_mov_b32 s1, exec_lo
	v_cmpx_lt_u32_e32 19, v0
	s_cbranch_execz .LBB87_101
; %bb.100:
	s_waitcnt lgkmcnt(0)
	v_mul_f64 v[106:107], v[218:219], v[106:107]
	ds_read2_b64 v[180:183], v252 offset0:20 offset1:21
	s_waitcnt lgkmcnt(0)
	v_fma_f64 v[122:123], -v[106:107], v[180:181], v[122:123]
	v_fma_f64 v[104:105], -v[106:107], v[182:183], v[104:105]
	ds_read2_b64 v[180:183], v252 offset0:22 offset1:23
	s_waitcnt lgkmcnt(0)
	v_fma_f64 v[120:121], -v[106:107], v[180:181], v[120:121]
	v_fma_f64 v[102:103], -v[106:107], v[182:183], v[102:103]
	;; [unrolled: 4-line block ×12, first 2 shown]
.LBB87_101:
	s_or_b32 exec_lo, exec_lo, s1
	s_mov_b32 s1, exec_lo
	s_waitcnt lgkmcnt(0)
	s_barrier
	buffer_gl0_inv
	v_cmpx_eq_u32_e32 20, v0
	s_cbranch_execz .LBB87_104
; %bb.102:
	ds_write_b64 v1, v[122:123]
	ds_write2_b64 v252, v[104:105], v[120:121] offset0:21 offset1:22
	ds_write2_b64 v252, v[102:103], v[118:119] offset0:23 offset1:24
	;; [unrolled: 1-line block ×11, first 2 shown]
	ds_write_b64 v252, v[170:171] offset:344
	ds_read_b64 v[180:181], v1
	s_waitcnt lgkmcnt(0)
	v_cmp_neq_f64_e32 vcc_lo, 0, v[180:181]
	s_and_b32 exec_lo, exec_lo, vcc_lo
	s_cbranch_execz .LBB87_104
; %bb.103:
	v_div_scale_f64 v[182:183], null, v[180:181], v[180:181], 1.0
	v_rcp_f64_e32 v[184:185], v[182:183]
	v_fma_f64 v[186:187], -v[182:183], v[184:185], 1.0
	v_fma_f64 v[184:185], v[184:185], v[186:187], v[184:185]
	v_fma_f64 v[186:187], -v[182:183], v[184:185], 1.0
	v_fma_f64 v[184:185], v[184:185], v[186:187], v[184:185]
	v_div_scale_f64 v[186:187], vcc_lo, 1.0, v[180:181], 1.0
	v_mul_f64 v[188:189], v[186:187], v[184:185]
	v_fma_f64 v[182:183], -v[182:183], v[188:189], v[186:187]
	v_div_fmas_f64 v[182:183], v[182:183], v[184:185], v[188:189]
	v_div_fixup_f64 v[180:181], v[182:183], v[180:181], 1.0
	ds_write_b64 v1, v[180:181]
.LBB87_104:
	s_or_b32 exec_lo, exec_lo, s1
	s_waitcnt lgkmcnt(0)
	s_barrier
	buffer_gl0_inv
	ds_read_b64 v[220:221], v1
	s_mov_b32 s1, exec_lo
	v_cmpx_lt_u32_e32 20, v0
	s_cbranch_execz .LBB87_106
; %bb.105:
	s_waitcnt lgkmcnt(0)
	v_mul_f64 v[122:123], v[220:221], v[122:123]
	ds_read2_b64 v[180:183], v252 offset0:21 offset1:22
	s_waitcnt lgkmcnt(0)
	v_fma_f64 v[104:105], -v[122:123], v[180:181], v[104:105]
	v_fma_f64 v[120:121], -v[122:123], v[182:183], v[120:121]
	ds_read2_b64 v[180:183], v252 offset0:23 offset1:24
	s_waitcnt lgkmcnt(0)
	v_fma_f64 v[102:103], -v[122:123], v[180:181], v[102:103]
	v_fma_f64 v[118:119], -v[122:123], v[182:183], v[118:119]
	;; [unrolled: 4-line block ×10, first 2 shown]
	ds_read2_b64 v[180:183], v252 offset0:41 offset1:42
	s_waitcnt lgkmcnt(0)
	v_fma_f64 v[164:165], -v[122:123], v[180:181], v[164:165]
	ds_read_b64 v[180:181], v252 offset:344
	v_fma_f64 v[166:167], -v[122:123], v[182:183], v[166:167]
	s_waitcnt lgkmcnt(0)
	v_fma_f64 v[170:171], -v[122:123], v[180:181], v[170:171]
.LBB87_106:
	s_or_b32 exec_lo, exec_lo, s1
	s_mov_b32 s1, exec_lo
	s_waitcnt lgkmcnt(0)
	s_barrier
	buffer_gl0_inv
	v_cmpx_eq_u32_e32 21, v0
	s_cbranch_execz .LBB87_109
; %bb.107:
	v_mov_b32_e32 v180, v120
	v_mov_b32_e32 v181, v121
	;; [unrolled: 1-line block ×4, first 2 shown]
	ds_write_b64 v1, v[104:105]
	ds_write2_b64 v252, v[180:181], v[182:183] offset0:22 offset1:23
	v_mov_b32_e32 v180, v118
	v_mov_b32_e32 v181, v119
	;; [unrolled: 1-line block ×20, first 2 shown]
	ds_write2_b64 v252, v[180:181], v[182:183] offset0:24 offset1:25
	ds_write2_b64 v252, v[184:185], v[186:187] offset0:26 offset1:27
	;; [unrolled: 1-line block ×5, first 2 shown]
	v_mov_b32_e32 v180, v108
	v_mov_b32_e32 v181, v109
	;; [unrolled: 1-line block ×18, first 2 shown]
	ds_write2_b64 v252, v[180:181], v[182:183] offset0:34 offset1:35
	ds_write2_b64 v252, v[184:185], v[186:187] offset0:36 offset1:37
	;; [unrolled: 1-line block ×5, first 2 shown]
	ds_read_b64 v[180:181], v1
	s_waitcnt lgkmcnt(0)
	v_cmp_neq_f64_e32 vcc_lo, 0, v[180:181]
	s_and_b32 exec_lo, exec_lo, vcc_lo
	s_cbranch_execz .LBB87_109
; %bb.108:
	v_div_scale_f64 v[182:183], null, v[180:181], v[180:181], 1.0
	v_rcp_f64_e32 v[184:185], v[182:183]
	v_fma_f64 v[186:187], -v[182:183], v[184:185], 1.0
	v_fma_f64 v[184:185], v[184:185], v[186:187], v[184:185]
	v_fma_f64 v[186:187], -v[182:183], v[184:185], 1.0
	v_fma_f64 v[184:185], v[184:185], v[186:187], v[184:185]
	v_div_scale_f64 v[186:187], vcc_lo, 1.0, v[180:181], 1.0
	v_mul_f64 v[188:189], v[186:187], v[184:185]
	v_fma_f64 v[182:183], -v[182:183], v[188:189], v[186:187]
	v_div_fmas_f64 v[182:183], v[182:183], v[184:185], v[188:189]
	v_div_fixup_f64 v[180:181], v[182:183], v[180:181], 1.0
	ds_write_b64 v1, v[180:181]
.LBB87_109:
	s_or_b32 exec_lo, exec_lo, s1
	s_waitcnt lgkmcnt(0)
	s_barrier
	buffer_gl0_inv
	ds_read_b64 v[222:223], v1
	s_mov_b32 s1, exec_lo
	v_cmpx_lt_u32_e32 21, v0
	s_cbranch_execz .LBB87_111
; %bb.110:
	s_waitcnt lgkmcnt(0)
	v_mul_f64 v[104:105], v[222:223], v[104:105]
	ds_read2_b64 v[180:183], v252 offset0:22 offset1:23
	s_waitcnt lgkmcnt(0)
	v_fma_f64 v[120:121], -v[104:105], v[180:181], v[120:121]
	v_fma_f64 v[102:103], -v[104:105], v[182:183], v[102:103]
	ds_read2_b64 v[180:183], v252 offset0:24 offset1:25
	s_waitcnt lgkmcnt(0)
	v_fma_f64 v[118:119], -v[104:105], v[180:181], v[118:119]
	v_fma_f64 v[100:101], -v[104:105], v[182:183], v[100:101]
	;; [unrolled: 4-line block ×11, first 2 shown]
.LBB87_111:
	s_or_b32 exec_lo, exec_lo, s1
	s_mov_b32 s1, exec_lo
	s_waitcnt lgkmcnt(0)
	s_barrier
	buffer_gl0_inv
	v_cmpx_eq_u32_e32 22, v0
	s_cbranch_execz .LBB87_114
; %bb.112:
	ds_write_b64 v1, v[120:121]
	ds_write2_b64 v252, v[102:103], v[118:119] offset0:23 offset1:24
	ds_write2_b64 v252, v[100:101], v[116:117] offset0:25 offset1:26
	;; [unrolled: 1-line block ×10, first 2 shown]
	ds_write_b64 v252, v[170:171] offset:344
	ds_read_b64 v[180:181], v1
	s_waitcnt lgkmcnt(0)
	v_cmp_neq_f64_e32 vcc_lo, 0, v[180:181]
	s_and_b32 exec_lo, exec_lo, vcc_lo
	s_cbranch_execz .LBB87_114
; %bb.113:
	v_div_scale_f64 v[182:183], null, v[180:181], v[180:181], 1.0
	v_rcp_f64_e32 v[184:185], v[182:183]
	v_fma_f64 v[186:187], -v[182:183], v[184:185], 1.0
	v_fma_f64 v[184:185], v[184:185], v[186:187], v[184:185]
	v_fma_f64 v[186:187], -v[182:183], v[184:185], 1.0
	v_fma_f64 v[184:185], v[184:185], v[186:187], v[184:185]
	v_div_scale_f64 v[186:187], vcc_lo, 1.0, v[180:181], 1.0
	v_mul_f64 v[188:189], v[186:187], v[184:185]
	v_fma_f64 v[182:183], -v[182:183], v[188:189], v[186:187]
	v_div_fmas_f64 v[182:183], v[182:183], v[184:185], v[188:189]
	v_div_fixup_f64 v[180:181], v[182:183], v[180:181], 1.0
	ds_write_b64 v1, v[180:181]
.LBB87_114:
	s_or_b32 exec_lo, exec_lo, s1
	s_waitcnt lgkmcnt(0)
	s_barrier
	buffer_gl0_inv
	ds_read_b64 v[224:225], v1
	s_mov_b32 s1, exec_lo
	v_cmpx_lt_u32_e32 22, v0
	s_cbranch_execz .LBB87_116
; %bb.115:
	s_waitcnt lgkmcnt(0)
	v_mul_f64 v[120:121], v[224:225], v[120:121]
	ds_read2_b64 v[180:183], v252 offset0:23 offset1:24
	s_waitcnt lgkmcnt(0)
	v_fma_f64 v[102:103], -v[120:121], v[180:181], v[102:103]
	v_fma_f64 v[118:119], -v[120:121], v[182:183], v[118:119]
	ds_read2_b64 v[180:183], v252 offset0:25 offset1:26
	s_waitcnt lgkmcnt(0)
	v_fma_f64 v[100:101], -v[120:121], v[180:181], v[100:101]
	v_fma_f64 v[116:117], -v[120:121], v[182:183], v[116:117]
	;; [unrolled: 4-line block ×9, first 2 shown]
	ds_read2_b64 v[180:183], v252 offset0:41 offset1:42
	s_waitcnt lgkmcnt(0)
	v_fma_f64 v[164:165], -v[120:121], v[180:181], v[164:165]
	ds_read_b64 v[180:181], v252 offset:344
	v_fma_f64 v[166:167], -v[120:121], v[182:183], v[166:167]
	s_waitcnt lgkmcnt(0)
	v_fma_f64 v[170:171], -v[120:121], v[180:181], v[170:171]
.LBB87_116:
	s_or_b32 exec_lo, exec_lo, s1
	s_mov_b32 s1, exec_lo
	s_waitcnt lgkmcnt(0)
	s_barrier
	buffer_gl0_inv
	v_cmpx_eq_u32_e32 23, v0
	s_cbranch_execz .LBB87_119
; %bb.117:
	v_mov_b32_e32 v180, v118
	v_mov_b32_e32 v181, v119
	;; [unrolled: 1-line block ×20, first 2 shown]
	ds_write_b64 v1, v[102:103]
	ds_write2_b64 v252, v[180:181], v[182:183] offset0:24 offset1:25
	ds_write2_b64 v252, v[184:185], v[186:187] offset0:26 offset1:27
	;; [unrolled: 1-line block ×5, first 2 shown]
	v_mov_b32_e32 v180, v108
	v_mov_b32_e32 v181, v109
	v_mov_b32_e32 v182, v90
	v_mov_b32_e32 v183, v91
	v_mov_b32_e32 v184, v162
	v_mov_b32_e32 v185, v163
	v_mov_b32_e32 v186, v158
	v_mov_b32_e32 v187, v159
	v_mov_b32_e32 v188, v160
	v_mov_b32_e32 v189, v161
	v_mov_b32_e32 v190, v156
	v_mov_b32_e32 v191, v157
	v_mov_b32_e32 v192, v168
	v_mov_b32_e32 v193, v169
	v_mov_b32_e32 v226, v164
	v_mov_b32_e32 v227, v165
	v_mov_b32_e32 v228, v166
	v_mov_b32_e32 v229, v167
	ds_write2_b64 v252, v[180:181], v[182:183] offset0:34 offset1:35
	ds_write2_b64 v252, v[184:185], v[186:187] offset0:36 offset1:37
	;; [unrolled: 1-line block ×5, first 2 shown]
	ds_read_b64 v[180:181], v1
	s_waitcnt lgkmcnt(0)
	v_cmp_neq_f64_e32 vcc_lo, 0, v[180:181]
	s_and_b32 exec_lo, exec_lo, vcc_lo
	s_cbranch_execz .LBB87_119
; %bb.118:
	v_div_scale_f64 v[182:183], null, v[180:181], v[180:181], 1.0
	v_rcp_f64_e32 v[184:185], v[182:183]
	v_fma_f64 v[186:187], -v[182:183], v[184:185], 1.0
	v_fma_f64 v[184:185], v[184:185], v[186:187], v[184:185]
	v_fma_f64 v[186:187], -v[182:183], v[184:185], 1.0
	v_fma_f64 v[184:185], v[184:185], v[186:187], v[184:185]
	v_div_scale_f64 v[186:187], vcc_lo, 1.0, v[180:181], 1.0
	v_mul_f64 v[188:189], v[186:187], v[184:185]
	v_fma_f64 v[182:183], -v[182:183], v[188:189], v[186:187]
	v_div_fmas_f64 v[182:183], v[182:183], v[184:185], v[188:189]
	v_div_fixup_f64 v[180:181], v[182:183], v[180:181], 1.0
	ds_write_b64 v1, v[180:181]
.LBB87_119:
	s_or_b32 exec_lo, exec_lo, s1
	s_waitcnt lgkmcnt(0)
	s_barrier
	buffer_gl0_inv
	ds_read_b64 v[226:227], v1
	s_mov_b32 s1, exec_lo
	v_cmpx_lt_u32_e32 23, v0
	s_cbranch_execz .LBB87_121
; %bb.120:
	s_waitcnt lgkmcnt(0)
	v_mul_f64 v[102:103], v[226:227], v[102:103]
	ds_read2_b64 v[180:183], v252 offset0:24 offset1:25
	s_waitcnt lgkmcnt(0)
	v_fma_f64 v[118:119], -v[102:103], v[180:181], v[118:119]
	v_fma_f64 v[100:101], -v[102:103], v[182:183], v[100:101]
	ds_read2_b64 v[180:183], v252 offset0:26 offset1:27
	s_waitcnt lgkmcnt(0)
	v_fma_f64 v[116:117], -v[102:103], v[180:181], v[116:117]
	v_fma_f64 v[98:99], -v[102:103], v[182:183], v[98:99]
	;; [unrolled: 4-line block ×10, first 2 shown]
.LBB87_121:
	s_or_b32 exec_lo, exec_lo, s1
	s_mov_b32 s1, exec_lo
	s_waitcnt lgkmcnt(0)
	s_barrier
	buffer_gl0_inv
	v_cmpx_eq_u32_e32 24, v0
	s_cbranch_execz .LBB87_124
; %bb.122:
	ds_write_b64 v1, v[118:119]
	ds_write2_b64 v252, v[100:101], v[116:117] offset0:25 offset1:26
	ds_write2_b64 v252, v[98:99], v[114:115] offset0:27 offset1:28
	;; [unrolled: 1-line block ×9, first 2 shown]
	ds_write_b64 v252, v[170:171] offset:344
	ds_read_b64 v[180:181], v1
	s_waitcnt lgkmcnt(0)
	v_cmp_neq_f64_e32 vcc_lo, 0, v[180:181]
	s_and_b32 exec_lo, exec_lo, vcc_lo
	s_cbranch_execz .LBB87_124
; %bb.123:
	v_div_scale_f64 v[182:183], null, v[180:181], v[180:181], 1.0
	v_rcp_f64_e32 v[184:185], v[182:183]
	v_fma_f64 v[186:187], -v[182:183], v[184:185], 1.0
	v_fma_f64 v[184:185], v[184:185], v[186:187], v[184:185]
	v_fma_f64 v[186:187], -v[182:183], v[184:185], 1.0
	v_fma_f64 v[184:185], v[184:185], v[186:187], v[184:185]
	v_div_scale_f64 v[186:187], vcc_lo, 1.0, v[180:181], 1.0
	v_mul_f64 v[188:189], v[186:187], v[184:185]
	v_fma_f64 v[182:183], -v[182:183], v[188:189], v[186:187]
	v_div_fmas_f64 v[182:183], v[182:183], v[184:185], v[188:189]
	v_div_fixup_f64 v[180:181], v[182:183], v[180:181], 1.0
	ds_write_b64 v1, v[180:181]
.LBB87_124:
	s_or_b32 exec_lo, exec_lo, s1
	s_waitcnt lgkmcnt(0)
	s_barrier
	buffer_gl0_inv
	ds_read_b64 v[228:229], v1
	s_mov_b32 s1, exec_lo
	v_cmpx_lt_u32_e32 24, v0
	s_cbranch_execz .LBB87_126
; %bb.125:
	s_waitcnt lgkmcnt(0)
	v_mul_f64 v[118:119], v[228:229], v[118:119]
	ds_read2_b64 v[180:183], v252 offset0:25 offset1:26
	s_waitcnt lgkmcnt(0)
	v_fma_f64 v[100:101], -v[118:119], v[180:181], v[100:101]
	v_fma_f64 v[116:117], -v[118:119], v[182:183], v[116:117]
	ds_read2_b64 v[180:183], v252 offset0:27 offset1:28
	s_waitcnt lgkmcnt(0)
	v_fma_f64 v[98:99], -v[118:119], v[180:181], v[98:99]
	v_fma_f64 v[114:115], -v[118:119], v[182:183], v[114:115]
	;; [unrolled: 4-line block ×8, first 2 shown]
	ds_read2_b64 v[180:183], v252 offset0:41 offset1:42
	s_waitcnt lgkmcnt(0)
	v_fma_f64 v[164:165], -v[118:119], v[180:181], v[164:165]
	ds_read_b64 v[180:181], v252 offset:344
	v_fma_f64 v[166:167], -v[118:119], v[182:183], v[166:167]
	s_waitcnt lgkmcnt(0)
	v_fma_f64 v[170:171], -v[118:119], v[180:181], v[170:171]
.LBB87_126:
	s_or_b32 exec_lo, exec_lo, s1
	s_mov_b32 s1, exec_lo
	s_waitcnt lgkmcnt(0)
	s_barrier
	buffer_gl0_inv
	v_cmpx_eq_u32_e32 25, v0
	s_cbranch_execz .LBB87_129
; %bb.127:
	v_mov_b32_e32 v180, v116
	v_mov_b32_e32 v181, v117
	;; [unrolled: 1-line block ×16, first 2 shown]
	ds_write_b64 v1, v[100:101]
	ds_write2_b64 v252, v[180:181], v[182:183] offset0:26 offset1:27
	ds_write2_b64 v252, v[184:185], v[186:187] offset0:28 offset1:29
	;; [unrolled: 1-line block ×4, first 2 shown]
	v_mov_b32_e32 v180, v108
	v_mov_b32_e32 v181, v109
	v_mov_b32_e32 v182, v90
	v_mov_b32_e32 v183, v91
	v_mov_b32_e32 v184, v162
	v_mov_b32_e32 v185, v163
	v_mov_b32_e32 v186, v158
	v_mov_b32_e32 v187, v159
	v_mov_b32_e32 v188, v160
	v_mov_b32_e32 v189, v161
	v_mov_b32_e32 v190, v156
	v_mov_b32_e32 v191, v157
	v_mov_b32_e32 v192, v168
	v_mov_b32_e32 v193, v169
	v_mov_b32_e32 v230, v164
	v_mov_b32_e32 v231, v165
	v_mov_b32_e32 v232, v166
	v_mov_b32_e32 v233, v167
	ds_write2_b64 v252, v[180:181], v[182:183] offset0:34 offset1:35
	ds_write2_b64 v252, v[184:185], v[186:187] offset0:36 offset1:37
	;; [unrolled: 1-line block ×5, first 2 shown]
	ds_read_b64 v[180:181], v1
	s_waitcnt lgkmcnt(0)
	v_cmp_neq_f64_e32 vcc_lo, 0, v[180:181]
	s_and_b32 exec_lo, exec_lo, vcc_lo
	s_cbranch_execz .LBB87_129
; %bb.128:
	v_div_scale_f64 v[182:183], null, v[180:181], v[180:181], 1.0
	v_rcp_f64_e32 v[184:185], v[182:183]
	v_fma_f64 v[186:187], -v[182:183], v[184:185], 1.0
	v_fma_f64 v[184:185], v[184:185], v[186:187], v[184:185]
	v_fma_f64 v[186:187], -v[182:183], v[184:185], 1.0
	v_fma_f64 v[184:185], v[184:185], v[186:187], v[184:185]
	v_div_scale_f64 v[186:187], vcc_lo, 1.0, v[180:181], 1.0
	v_mul_f64 v[188:189], v[186:187], v[184:185]
	v_fma_f64 v[182:183], -v[182:183], v[188:189], v[186:187]
	v_div_fmas_f64 v[182:183], v[182:183], v[184:185], v[188:189]
	v_div_fixup_f64 v[180:181], v[182:183], v[180:181], 1.0
	ds_write_b64 v1, v[180:181]
.LBB87_129:
	s_or_b32 exec_lo, exec_lo, s1
	s_waitcnt lgkmcnt(0)
	s_barrier
	buffer_gl0_inv
	ds_read_b64 v[230:231], v1
	s_mov_b32 s1, exec_lo
	v_cmpx_lt_u32_e32 25, v0
	s_cbranch_execz .LBB87_131
; %bb.130:
	s_waitcnt lgkmcnt(0)
	v_mul_f64 v[100:101], v[230:231], v[100:101]
	ds_read2_b64 v[180:183], v252 offset0:26 offset1:27
	s_waitcnt lgkmcnt(0)
	v_fma_f64 v[116:117], -v[100:101], v[180:181], v[116:117]
	v_fma_f64 v[98:99], -v[100:101], v[182:183], v[98:99]
	ds_read2_b64 v[180:183], v252 offset0:28 offset1:29
	s_waitcnt lgkmcnt(0)
	v_fma_f64 v[114:115], -v[100:101], v[180:181], v[114:115]
	v_fma_f64 v[96:97], -v[100:101], v[182:183], v[96:97]
	ds_read2_b64 v[180:183], v252 offset0:30 offset1:31
	s_waitcnt lgkmcnt(0)
	v_fma_f64 v[112:113], -v[100:101], v[180:181], v[112:113]
	v_fma_f64 v[94:95], -v[100:101], v[182:183], v[94:95]
	ds_read2_b64 v[180:183], v252 offset0:32 offset1:33
	s_waitcnt lgkmcnt(0)
	v_fma_f64 v[110:111], -v[100:101], v[180:181], v[110:111]
	v_fma_f64 v[92:93], -v[100:101], v[182:183], v[92:93]
	ds_read2_b64 v[180:183], v252 offset0:34 offset1:35
	s_waitcnt lgkmcnt(0)
	v_fma_f64 v[108:109], -v[100:101], v[180:181], v[108:109]
	v_fma_f64 v[90:91], -v[100:101], v[182:183], v[90:91]
	ds_read2_b64 v[180:183], v252 offset0:36 offset1:37
	s_waitcnt lgkmcnt(0)
	v_fma_f64 v[162:163], -v[100:101], v[180:181], v[162:163]
	v_fma_f64 v[158:159], -v[100:101], v[182:183], v[158:159]
	ds_read2_b64 v[180:183], v252 offset0:38 offset1:39
	s_waitcnt lgkmcnt(0)
	v_fma_f64 v[160:161], -v[100:101], v[180:181], v[160:161]
	v_fma_f64 v[156:157], -v[100:101], v[182:183], v[156:157]
	ds_read2_b64 v[180:183], v252 offset0:40 offset1:41
	s_waitcnt lgkmcnt(0)
	v_fma_f64 v[168:169], -v[100:101], v[180:181], v[168:169]
	v_fma_f64 v[164:165], -v[100:101], v[182:183], v[164:165]
	ds_read2_b64 v[180:183], v252 offset0:42 offset1:43
	s_waitcnt lgkmcnt(0)
	v_fma_f64 v[166:167], -v[100:101], v[180:181], v[166:167]
	v_fma_f64 v[170:171], -v[100:101], v[182:183], v[170:171]
.LBB87_131:
	s_or_b32 exec_lo, exec_lo, s1
	s_mov_b32 s1, exec_lo
	s_waitcnt lgkmcnt(0)
	s_barrier
	buffer_gl0_inv
	v_cmpx_eq_u32_e32 26, v0
	s_cbranch_execz .LBB87_134
; %bb.132:
	ds_write_b64 v1, v[116:117]
	ds_write2_b64 v252, v[98:99], v[114:115] offset0:27 offset1:28
	ds_write2_b64 v252, v[96:97], v[112:113] offset0:29 offset1:30
	;; [unrolled: 1-line block ×8, first 2 shown]
	ds_write_b64 v252, v[170:171] offset:344
	ds_read_b64 v[180:181], v1
	s_waitcnt lgkmcnt(0)
	v_cmp_neq_f64_e32 vcc_lo, 0, v[180:181]
	s_and_b32 exec_lo, exec_lo, vcc_lo
	s_cbranch_execz .LBB87_134
; %bb.133:
	v_div_scale_f64 v[182:183], null, v[180:181], v[180:181], 1.0
	v_rcp_f64_e32 v[184:185], v[182:183]
	v_fma_f64 v[186:187], -v[182:183], v[184:185], 1.0
	v_fma_f64 v[184:185], v[184:185], v[186:187], v[184:185]
	v_fma_f64 v[186:187], -v[182:183], v[184:185], 1.0
	v_fma_f64 v[184:185], v[184:185], v[186:187], v[184:185]
	v_div_scale_f64 v[186:187], vcc_lo, 1.0, v[180:181], 1.0
	v_mul_f64 v[188:189], v[186:187], v[184:185]
	v_fma_f64 v[182:183], -v[182:183], v[188:189], v[186:187]
	v_div_fmas_f64 v[182:183], v[182:183], v[184:185], v[188:189]
	v_div_fixup_f64 v[180:181], v[182:183], v[180:181], 1.0
	ds_write_b64 v1, v[180:181]
.LBB87_134:
	s_or_b32 exec_lo, exec_lo, s1
	s_waitcnt lgkmcnt(0)
	s_barrier
	buffer_gl0_inv
	ds_read_b64 v[232:233], v1
	s_mov_b32 s1, exec_lo
	v_cmpx_lt_u32_e32 26, v0
	s_cbranch_execz .LBB87_136
; %bb.135:
	s_waitcnt lgkmcnt(0)
	v_mul_f64 v[116:117], v[232:233], v[116:117]
	ds_read2_b64 v[180:183], v252 offset0:27 offset1:28
	s_waitcnt lgkmcnt(0)
	v_fma_f64 v[98:99], -v[116:117], v[180:181], v[98:99]
	v_fma_f64 v[114:115], -v[116:117], v[182:183], v[114:115]
	ds_read2_b64 v[180:183], v252 offset0:29 offset1:30
	s_waitcnt lgkmcnt(0)
	v_fma_f64 v[96:97], -v[116:117], v[180:181], v[96:97]
	v_fma_f64 v[112:113], -v[116:117], v[182:183], v[112:113]
	;; [unrolled: 4-line block ×7, first 2 shown]
	ds_read2_b64 v[180:183], v252 offset0:41 offset1:42
	s_waitcnt lgkmcnt(0)
	v_fma_f64 v[164:165], -v[116:117], v[180:181], v[164:165]
	ds_read_b64 v[180:181], v252 offset:344
	v_fma_f64 v[166:167], -v[116:117], v[182:183], v[166:167]
	s_waitcnt lgkmcnt(0)
	v_fma_f64 v[170:171], -v[116:117], v[180:181], v[170:171]
.LBB87_136:
	s_or_b32 exec_lo, exec_lo, s1
	s_mov_b32 s1, exec_lo
	s_waitcnt lgkmcnt(0)
	s_barrier
	buffer_gl0_inv
	v_cmpx_eq_u32_e32 27, v0
	s_cbranch_execz .LBB87_139
; %bb.137:
	v_mov_b32_e32 v180, v114
	v_mov_b32_e32 v181, v115
	;; [unrolled: 1-line block ×12, first 2 shown]
	ds_write_b64 v1, v[98:99]
	ds_write2_b64 v252, v[180:181], v[182:183] offset0:28 offset1:29
	ds_write2_b64 v252, v[184:185], v[186:187] offset0:30 offset1:31
	;; [unrolled: 1-line block ×3, first 2 shown]
	v_mov_b32_e32 v180, v108
	v_mov_b32_e32 v181, v109
	;; [unrolled: 1-line block ×18, first 2 shown]
	ds_write2_b64 v252, v[180:181], v[182:183] offset0:34 offset1:35
	ds_write2_b64 v252, v[184:185], v[186:187] offset0:36 offset1:37
	ds_write2_b64 v252, v[188:189], v[190:191] offset0:38 offset1:39
	ds_write2_b64 v252, v[192:193], v[234:235] offset0:40 offset1:41
	ds_write2_b64 v252, v[236:237], v[170:171] offset0:42 offset1:43
	ds_read_b64 v[180:181], v1
	s_waitcnt lgkmcnt(0)
	v_cmp_neq_f64_e32 vcc_lo, 0, v[180:181]
	s_and_b32 exec_lo, exec_lo, vcc_lo
	s_cbranch_execz .LBB87_139
; %bb.138:
	v_div_scale_f64 v[182:183], null, v[180:181], v[180:181], 1.0
	v_rcp_f64_e32 v[184:185], v[182:183]
	v_fma_f64 v[186:187], -v[182:183], v[184:185], 1.0
	v_fma_f64 v[184:185], v[184:185], v[186:187], v[184:185]
	v_fma_f64 v[186:187], -v[182:183], v[184:185], 1.0
	v_fma_f64 v[184:185], v[184:185], v[186:187], v[184:185]
	v_div_scale_f64 v[186:187], vcc_lo, 1.0, v[180:181], 1.0
	v_mul_f64 v[188:189], v[186:187], v[184:185]
	v_fma_f64 v[182:183], -v[182:183], v[188:189], v[186:187]
	v_div_fmas_f64 v[182:183], v[182:183], v[184:185], v[188:189]
	v_div_fixup_f64 v[180:181], v[182:183], v[180:181], 1.0
	ds_write_b64 v1, v[180:181]
.LBB87_139:
	s_or_b32 exec_lo, exec_lo, s1
	s_waitcnt lgkmcnt(0)
	s_barrier
	buffer_gl0_inv
	ds_read_b64 v[234:235], v1
	s_mov_b32 s1, exec_lo
	v_cmpx_lt_u32_e32 27, v0
	s_cbranch_execz .LBB87_141
; %bb.140:
	s_waitcnt lgkmcnt(0)
	v_mul_f64 v[98:99], v[234:235], v[98:99]
	ds_read2_b64 v[180:183], v252 offset0:28 offset1:29
	s_waitcnt lgkmcnt(0)
	v_fma_f64 v[114:115], -v[98:99], v[180:181], v[114:115]
	v_fma_f64 v[96:97], -v[98:99], v[182:183], v[96:97]
	ds_read2_b64 v[180:183], v252 offset0:30 offset1:31
	s_waitcnt lgkmcnt(0)
	v_fma_f64 v[112:113], -v[98:99], v[180:181], v[112:113]
	v_fma_f64 v[94:95], -v[98:99], v[182:183], v[94:95]
	;; [unrolled: 4-line block ×8, first 2 shown]
.LBB87_141:
	s_or_b32 exec_lo, exec_lo, s1
	s_mov_b32 s1, exec_lo
	s_waitcnt lgkmcnt(0)
	s_barrier
	buffer_gl0_inv
	v_cmpx_eq_u32_e32 28, v0
	s_cbranch_execz .LBB87_144
; %bb.142:
	ds_write_b64 v1, v[114:115]
	ds_write2_b64 v252, v[96:97], v[112:113] offset0:29 offset1:30
	ds_write2_b64 v252, v[94:95], v[110:111] offset0:31 offset1:32
	;; [unrolled: 1-line block ×7, first 2 shown]
	ds_write_b64 v252, v[170:171] offset:344
	ds_read_b64 v[180:181], v1
	s_waitcnt lgkmcnt(0)
	v_cmp_neq_f64_e32 vcc_lo, 0, v[180:181]
	s_and_b32 exec_lo, exec_lo, vcc_lo
	s_cbranch_execz .LBB87_144
; %bb.143:
	v_div_scale_f64 v[182:183], null, v[180:181], v[180:181], 1.0
	v_rcp_f64_e32 v[184:185], v[182:183]
	v_fma_f64 v[186:187], -v[182:183], v[184:185], 1.0
	v_fma_f64 v[184:185], v[184:185], v[186:187], v[184:185]
	v_fma_f64 v[186:187], -v[182:183], v[184:185], 1.0
	v_fma_f64 v[184:185], v[184:185], v[186:187], v[184:185]
	v_div_scale_f64 v[186:187], vcc_lo, 1.0, v[180:181], 1.0
	v_mul_f64 v[188:189], v[186:187], v[184:185]
	v_fma_f64 v[182:183], -v[182:183], v[188:189], v[186:187]
	v_div_fmas_f64 v[182:183], v[182:183], v[184:185], v[188:189]
	v_div_fixup_f64 v[180:181], v[182:183], v[180:181], 1.0
	ds_write_b64 v1, v[180:181]
.LBB87_144:
	s_or_b32 exec_lo, exec_lo, s1
	s_waitcnt lgkmcnt(0)
	s_barrier
	buffer_gl0_inv
	ds_read_b64 v[236:237], v1
	s_mov_b32 s1, exec_lo
	v_cmpx_lt_u32_e32 28, v0
	s_cbranch_execz .LBB87_146
; %bb.145:
	s_waitcnt lgkmcnt(0)
	v_mul_f64 v[114:115], v[236:237], v[114:115]
	ds_read2_b64 v[180:183], v252 offset0:29 offset1:30
	s_waitcnt lgkmcnt(0)
	v_fma_f64 v[96:97], -v[114:115], v[180:181], v[96:97]
	v_fma_f64 v[112:113], -v[114:115], v[182:183], v[112:113]
	ds_read2_b64 v[180:183], v252 offset0:31 offset1:32
	s_waitcnt lgkmcnt(0)
	v_fma_f64 v[94:95], -v[114:115], v[180:181], v[94:95]
	v_fma_f64 v[110:111], -v[114:115], v[182:183], v[110:111]
	ds_read2_b64 v[180:183], v252 offset0:33 offset1:34
	s_waitcnt lgkmcnt(0)
	v_fma_f64 v[92:93], -v[114:115], v[180:181], v[92:93]
	v_fma_f64 v[108:109], -v[114:115], v[182:183], v[108:109]
	ds_read2_b64 v[180:183], v252 offset0:35 offset1:36
	s_waitcnt lgkmcnt(0)
	v_fma_f64 v[90:91], -v[114:115], v[180:181], v[90:91]
	v_fma_f64 v[162:163], -v[114:115], v[182:183], v[162:163]
	ds_read2_b64 v[180:183], v252 offset0:37 offset1:38
	s_waitcnt lgkmcnt(0)
	v_fma_f64 v[158:159], -v[114:115], v[180:181], v[158:159]
	v_fma_f64 v[160:161], -v[114:115], v[182:183], v[160:161]
	ds_read2_b64 v[180:183], v252 offset0:39 offset1:40
	s_waitcnt lgkmcnt(0)
	v_fma_f64 v[156:157], -v[114:115], v[180:181], v[156:157]
	v_fma_f64 v[168:169], -v[114:115], v[182:183], v[168:169]
	ds_read2_b64 v[180:183], v252 offset0:41 offset1:42
	s_waitcnt lgkmcnt(0)
	v_fma_f64 v[164:165], -v[114:115], v[180:181], v[164:165]
	ds_read_b64 v[180:181], v252 offset:344
	v_fma_f64 v[166:167], -v[114:115], v[182:183], v[166:167]
	s_waitcnt lgkmcnt(0)
	v_fma_f64 v[170:171], -v[114:115], v[180:181], v[170:171]
.LBB87_146:
	s_or_b32 exec_lo, exec_lo, s1
	s_mov_b32 s1, exec_lo
	s_waitcnt lgkmcnt(0)
	s_barrier
	buffer_gl0_inv
	v_cmpx_eq_u32_e32 29, v0
	s_cbranch_execz .LBB87_149
; %bb.147:
	v_mov_b32_e32 v180, v112
	v_mov_b32_e32 v181, v113
	;; [unrolled: 1-line block ×4, first 2 shown]
	ds_write_b64 v1, v[96:97]
	ds_write2_b64 v252, v[180:181], v[182:183] offset0:30 offset1:31
	v_mov_b32_e32 v180, v110
	v_mov_b32_e32 v181, v111
	v_mov_b32_e32 v182, v92
	v_mov_b32_e32 v183, v93
	ds_write2_b64 v252, v[180:181], v[182:183] offset0:32 offset1:33
	v_mov_b32_e32 v180, v108
	v_mov_b32_e32 v181, v109
	v_mov_b32_e32 v182, v90
	v_mov_b32_e32 v183, v91
	;; [unrolled: 5-line block ×5, first 2 shown]
	ds_write2_b64 v252, v[180:181], v[182:183] offset0:40 offset1:41
	v_mov_b32_e32 v180, v166
	v_mov_b32_e32 v181, v167
	ds_write2_b64 v252, v[180:181], v[170:171] offset0:42 offset1:43
	ds_read_b64 v[180:181], v1
	s_waitcnt lgkmcnt(0)
	v_cmp_neq_f64_e32 vcc_lo, 0, v[180:181]
	s_and_b32 exec_lo, exec_lo, vcc_lo
	s_cbranch_execz .LBB87_149
; %bb.148:
	v_div_scale_f64 v[182:183], null, v[180:181], v[180:181], 1.0
	v_rcp_f64_e32 v[184:185], v[182:183]
	v_fma_f64 v[186:187], -v[182:183], v[184:185], 1.0
	v_fma_f64 v[184:185], v[184:185], v[186:187], v[184:185]
	v_fma_f64 v[186:187], -v[182:183], v[184:185], 1.0
	v_fma_f64 v[184:185], v[184:185], v[186:187], v[184:185]
	v_div_scale_f64 v[186:187], vcc_lo, 1.0, v[180:181], 1.0
	v_mul_f64 v[188:189], v[186:187], v[184:185]
	v_fma_f64 v[182:183], -v[182:183], v[188:189], v[186:187]
	v_div_fmas_f64 v[182:183], v[182:183], v[184:185], v[188:189]
	v_div_fixup_f64 v[180:181], v[182:183], v[180:181], 1.0
	ds_write_b64 v1, v[180:181]
.LBB87_149:
	s_or_b32 exec_lo, exec_lo, s1
	s_waitcnt lgkmcnt(0)
	s_barrier
	buffer_gl0_inv
	ds_read_b64 v[238:239], v1
	s_mov_b32 s1, exec_lo
	v_cmpx_lt_u32_e32 29, v0
	s_cbranch_execz .LBB87_151
; %bb.150:
	s_waitcnt lgkmcnt(0)
	v_mul_f64 v[96:97], v[238:239], v[96:97]
	ds_read2_b64 v[180:183], v252 offset0:30 offset1:31
	s_waitcnt lgkmcnt(0)
	v_fma_f64 v[112:113], -v[96:97], v[180:181], v[112:113]
	v_fma_f64 v[94:95], -v[96:97], v[182:183], v[94:95]
	ds_read2_b64 v[180:183], v252 offset0:32 offset1:33
	s_waitcnt lgkmcnt(0)
	v_fma_f64 v[110:111], -v[96:97], v[180:181], v[110:111]
	v_fma_f64 v[92:93], -v[96:97], v[182:183], v[92:93]
	;; [unrolled: 4-line block ×7, first 2 shown]
.LBB87_151:
	s_or_b32 exec_lo, exec_lo, s1
	s_mov_b32 s1, exec_lo
	s_waitcnt lgkmcnt(0)
	s_barrier
	buffer_gl0_inv
	v_cmpx_eq_u32_e32 30, v0
	s_cbranch_execz .LBB87_154
; %bb.152:
	ds_write_b64 v1, v[112:113]
	ds_write2_b64 v252, v[94:95], v[110:111] offset0:31 offset1:32
	ds_write2_b64 v252, v[92:93], v[108:109] offset0:33 offset1:34
	;; [unrolled: 1-line block ×6, first 2 shown]
	ds_write_b64 v252, v[170:171] offset:344
	ds_read_b64 v[180:181], v1
	s_waitcnt lgkmcnt(0)
	v_cmp_neq_f64_e32 vcc_lo, 0, v[180:181]
	s_and_b32 exec_lo, exec_lo, vcc_lo
	s_cbranch_execz .LBB87_154
; %bb.153:
	v_div_scale_f64 v[182:183], null, v[180:181], v[180:181], 1.0
	v_rcp_f64_e32 v[184:185], v[182:183]
	v_fma_f64 v[186:187], -v[182:183], v[184:185], 1.0
	v_fma_f64 v[184:185], v[184:185], v[186:187], v[184:185]
	v_fma_f64 v[186:187], -v[182:183], v[184:185], 1.0
	v_fma_f64 v[184:185], v[184:185], v[186:187], v[184:185]
	v_div_scale_f64 v[186:187], vcc_lo, 1.0, v[180:181], 1.0
	v_mul_f64 v[188:189], v[186:187], v[184:185]
	v_fma_f64 v[182:183], -v[182:183], v[188:189], v[186:187]
	v_div_fmas_f64 v[182:183], v[182:183], v[184:185], v[188:189]
	v_div_fixup_f64 v[180:181], v[182:183], v[180:181], 1.0
	ds_write_b64 v1, v[180:181]
.LBB87_154:
	s_or_b32 exec_lo, exec_lo, s1
	s_waitcnt lgkmcnt(0)
	s_barrier
	buffer_gl0_inv
	ds_read_b64 v[240:241], v1
	s_mov_b32 s1, exec_lo
	v_cmpx_lt_u32_e32 30, v0
	s_cbranch_execz .LBB87_156
; %bb.155:
	s_waitcnt lgkmcnt(0)
	v_mul_f64 v[112:113], v[240:241], v[112:113]
	ds_read2_b64 v[180:183], v252 offset0:31 offset1:32
	s_waitcnt lgkmcnt(0)
	v_fma_f64 v[94:95], -v[112:113], v[180:181], v[94:95]
	v_fma_f64 v[110:111], -v[112:113], v[182:183], v[110:111]
	ds_read2_b64 v[180:183], v252 offset0:33 offset1:34
	s_waitcnt lgkmcnt(0)
	v_fma_f64 v[92:93], -v[112:113], v[180:181], v[92:93]
	v_fma_f64 v[108:109], -v[112:113], v[182:183], v[108:109]
	;; [unrolled: 4-line block ×5, first 2 shown]
	ds_read2_b64 v[180:183], v252 offset0:41 offset1:42
	s_waitcnt lgkmcnt(0)
	v_fma_f64 v[164:165], -v[112:113], v[180:181], v[164:165]
	ds_read_b64 v[180:181], v252 offset:344
	v_fma_f64 v[166:167], -v[112:113], v[182:183], v[166:167]
	s_waitcnt lgkmcnt(0)
	v_fma_f64 v[170:171], -v[112:113], v[180:181], v[170:171]
.LBB87_156:
	s_or_b32 exec_lo, exec_lo, s1
	s_mov_b32 s1, exec_lo
	s_waitcnt lgkmcnt(0)
	s_barrier
	buffer_gl0_inv
	v_cmpx_eq_u32_e32 31, v0
	s_cbranch_execz .LBB87_159
; %bb.157:
	v_mov_b32_e32 v180, v110
	v_mov_b32_e32 v181, v111
	;; [unrolled: 1-line block ×4, first 2 shown]
	ds_write_b64 v1, v[94:95]
	ds_write2_b64 v252, v[180:181], v[182:183] offset0:32 offset1:33
	v_mov_b32_e32 v180, v108
	v_mov_b32_e32 v181, v109
	v_mov_b32_e32 v182, v90
	v_mov_b32_e32 v183, v91
	ds_write2_b64 v252, v[180:181], v[182:183] offset0:34 offset1:35
	v_mov_b32_e32 v180, v162
	v_mov_b32_e32 v181, v163
	v_mov_b32_e32 v182, v158
	v_mov_b32_e32 v183, v159
	;; [unrolled: 5-line block ×4, first 2 shown]
	ds_write2_b64 v252, v[180:181], v[182:183] offset0:40 offset1:41
	v_mov_b32_e32 v180, v166
	v_mov_b32_e32 v181, v167
	ds_write2_b64 v252, v[180:181], v[170:171] offset0:42 offset1:43
	ds_read_b64 v[180:181], v1
	s_waitcnt lgkmcnt(0)
	v_cmp_neq_f64_e32 vcc_lo, 0, v[180:181]
	s_and_b32 exec_lo, exec_lo, vcc_lo
	s_cbranch_execz .LBB87_159
; %bb.158:
	v_div_scale_f64 v[182:183], null, v[180:181], v[180:181], 1.0
	v_rcp_f64_e32 v[184:185], v[182:183]
	v_fma_f64 v[186:187], -v[182:183], v[184:185], 1.0
	v_fma_f64 v[184:185], v[184:185], v[186:187], v[184:185]
	v_fma_f64 v[186:187], -v[182:183], v[184:185], 1.0
	v_fma_f64 v[184:185], v[184:185], v[186:187], v[184:185]
	v_div_scale_f64 v[186:187], vcc_lo, 1.0, v[180:181], 1.0
	v_mul_f64 v[188:189], v[186:187], v[184:185]
	v_fma_f64 v[182:183], -v[182:183], v[188:189], v[186:187]
	v_div_fmas_f64 v[182:183], v[182:183], v[184:185], v[188:189]
	v_div_fixup_f64 v[180:181], v[182:183], v[180:181], 1.0
	ds_write_b64 v1, v[180:181]
.LBB87_159:
	s_or_b32 exec_lo, exec_lo, s1
	s_waitcnt lgkmcnt(0)
	s_barrier
	buffer_gl0_inv
	ds_read_b64 v[242:243], v1
	s_mov_b32 s1, exec_lo
	v_cmpx_lt_u32_e32 31, v0
	s_cbranch_execz .LBB87_161
; %bb.160:
	s_waitcnt lgkmcnt(0)
	v_mul_f64 v[94:95], v[242:243], v[94:95]
	ds_read2_b64 v[180:183], v252 offset0:32 offset1:33
	s_waitcnt lgkmcnt(0)
	v_fma_f64 v[110:111], -v[94:95], v[180:181], v[110:111]
	v_fma_f64 v[92:93], -v[94:95], v[182:183], v[92:93]
	ds_read2_b64 v[180:183], v252 offset0:34 offset1:35
	s_waitcnt lgkmcnt(0)
	v_fma_f64 v[108:109], -v[94:95], v[180:181], v[108:109]
	v_fma_f64 v[90:91], -v[94:95], v[182:183], v[90:91]
	;; [unrolled: 4-line block ×6, first 2 shown]
.LBB87_161:
	s_or_b32 exec_lo, exec_lo, s1
	s_mov_b32 s1, exec_lo
	s_waitcnt lgkmcnt(0)
	s_barrier
	buffer_gl0_inv
	v_cmpx_eq_u32_e32 32, v0
	s_cbranch_execz .LBB87_164
; %bb.162:
	ds_write_b64 v1, v[110:111]
	ds_write2_b64 v252, v[92:93], v[108:109] offset0:33 offset1:34
	ds_write2_b64 v252, v[90:91], v[162:163] offset0:35 offset1:36
	;; [unrolled: 1-line block ×5, first 2 shown]
	ds_write_b64 v252, v[170:171] offset:344
	ds_read_b64 v[180:181], v1
	s_waitcnt lgkmcnt(0)
	v_cmp_neq_f64_e32 vcc_lo, 0, v[180:181]
	s_and_b32 exec_lo, exec_lo, vcc_lo
	s_cbranch_execz .LBB87_164
; %bb.163:
	v_div_scale_f64 v[182:183], null, v[180:181], v[180:181], 1.0
	v_rcp_f64_e32 v[184:185], v[182:183]
	v_fma_f64 v[186:187], -v[182:183], v[184:185], 1.0
	v_fma_f64 v[184:185], v[184:185], v[186:187], v[184:185]
	v_fma_f64 v[186:187], -v[182:183], v[184:185], 1.0
	v_fma_f64 v[184:185], v[184:185], v[186:187], v[184:185]
	v_div_scale_f64 v[186:187], vcc_lo, 1.0, v[180:181], 1.0
	v_mul_f64 v[188:189], v[186:187], v[184:185]
	v_fma_f64 v[182:183], -v[182:183], v[188:189], v[186:187]
	v_div_fmas_f64 v[182:183], v[182:183], v[184:185], v[188:189]
	v_div_fixup_f64 v[180:181], v[182:183], v[180:181], 1.0
	ds_write_b64 v1, v[180:181]
.LBB87_164:
	s_or_b32 exec_lo, exec_lo, s1
	s_waitcnt lgkmcnt(0)
	s_barrier
	buffer_gl0_inv
	ds_read_b64 v[244:245], v1
	s_mov_b32 s1, exec_lo
	v_cmpx_lt_u32_e32 32, v0
	s_cbranch_execz .LBB87_166
; %bb.165:
	s_waitcnt lgkmcnt(0)
	v_mul_f64 v[110:111], v[244:245], v[110:111]
	ds_read2_b64 v[180:183], v252 offset0:33 offset1:34
	s_waitcnt lgkmcnt(0)
	v_fma_f64 v[92:93], -v[110:111], v[180:181], v[92:93]
	v_fma_f64 v[108:109], -v[110:111], v[182:183], v[108:109]
	ds_read2_b64 v[180:183], v252 offset0:35 offset1:36
	s_waitcnt lgkmcnt(0)
	v_fma_f64 v[90:91], -v[110:111], v[180:181], v[90:91]
	v_fma_f64 v[162:163], -v[110:111], v[182:183], v[162:163]
	;; [unrolled: 4-line block ×4, first 2 shown]
	ds_read2_b64 v[180:183], v252 offset0:41 offset1:42
	s_waitcnt lgkmcnt(0)
	v_fma_f64 v[164:165], -v[110:111], v[180:181], v[164:165]
	ds_read_b64 v[180:181], v252 offset:344
	v_fma_f64 v[166:167], -v[110:111], v[182:183], v[166:167]
	s_waitcnt lgkmcnt(0)
	v_fma_f64 v[170:171], -v[110:111], v[180:181], v[170:171]
.LBB87_166:
	s_or_b32 exec_lo, exec_lo, s1
	s_mov_b32 s1, exec_lo
	s_waitcnt lgkmcnt(0)
	s_barrier
	buffer_gl0_inv
	v_cmpx_eq_u32_e32 33, v0
	s_cbranch_execz .LBB87_169
; %bb.167:
	v_mov_b32_e32 v180, v108
	v_mov_b32_e32 v181, v109
	;; [unrolled: 1-line block ×4, first 2 shown]
	ds_write_b64 v1, v[92:93]
	ds_write2_b64 v252, v[180:181], v[182:183] offset0:34 offset1:35
	v_mov_b32_e32 v180, v162
	v_mov_b32_e32 v181, v163
	v_mov_b32_e32 v182, v158
	v_mov_b32_e32 v183, v159
	ds_write2_b64 v252, v[180:181], v[182:183] offset0:36 offset1:37
	v_mov_b32_e32 v180, v160
	v_mov_b32_e32 v181, v161
	v_mov_b32_e32 v182, v156
	v_mov_b32_e32 v183, v157
	;; [unrolled: 5-line block ×3, first 2 shown]
	ds_write2_b64 v252, v[180:181], v[182:183] offset0:40 offset1:41
	v_mov_b32_e32 v180, v166
	v_mov_b32_e32 v181, v167
	ds_write2_b64 v252, v[180:181], v[170:171] offset0:42 offset1:43
	ds_read_b64 v[180:181], v1
	s_waitcnt lgkmcnt(0)
	v_cmp_neq_f64_e32 vcc_lo, 0, v[180:181]
	s_and_b32 exec_lo, exec_lo, vcc_lo
	s_cbranch_execz .LBB87_169
; %bb.168:
	v_div_scale_f64 v[182:183], null, v[180:181], v[180:181], 1.0
	v_rcp_f64_e32 v[184:185], v[182:183]
	v_fma_f64 v[186:187], -v[182:183], v[184:185], 1.0
	v_fma_f64 v[184:185], v[184:185], v[186:187], v[184:185]
	v_fma_f64 v[186:187], -v[182:183], v[184:185], 1.0
	v_fma_f64 v[184:185], v[184:185], v[186:187], v[184:185]
	v_div_scale_f64 v[186:187], vcc_lo, 1.0, v[180:181], 1.0
	v_mul_f64 v[188:189], v[186:187], v[184:185]
	v_fma_f64 v[182:183], -v[182:183], v[188:189], v[186:187]
	v_div_fmas_f64 v[182:183], v[182:183], v[184:185], v[188:189]
	v_div_fixup_f64 v[180:181], v[182:183], v[180:181], 1.0
	ds_write_b64 v1, v[180:181]
.LBB87_169:
	s_or_b32 exec_lo, exec_lo, s1
	s_waitcnt lgkmcnt(0)
	s_barrier
	buffer_gl0_inv
	ds_read_b64 v[246:247], v1
	s_mov_b32 s1, exec_lo
	v_cmpx_lt_u32_e32 33, v0
	s_cbranch_execz .LBB87_171
; %bb.170:
	s_waitcnt lgkmcnt(0)
	v_mul_f64 v[92:93], v[246:247], v[92:93]
	ds_read2_b64 v[180:183], v252 offset0:34 offset1:35
	s_waitcnt lgkmcnt(0)
	v_fma_f64 v[108:109], -v[92:93], v[180:181], v[108:109]
	v_fma_f64 v[90:91], -v[92:93], v[182:183], v[90:91]
	ds_read2_b64 v[180:183], v252 offset0:36 offset1:37
	s_waitcnt lgkmcnt(0)
	v_fma_f64 v[162:163], -v[92:93], v[180:181], v[162:163]
	v_fma_f64 v[158:159], -v[92:93], v[182:183], v[158:159]
	ds_read2_b64 v[180:183], v252 offset0:38 offset1:39
	s_waitcnt lgkmcnt(0)
	v_fma_f64 v[160:161], -v[92:93], v[180:181], v[160:161]
	v_fma_f64 v[156:157], -v[92:93], v[182:183], v[156:157]
	ds_read2_b64 v[180:183], v252 offset0:40 offset1:41
	s_waitcnt lgkmcnt(0)
	v_fma_f64 v[168:169], -v[92:93], v[180:181], v[168:169]
	v_fma_f64 v[164:165], -v[92:93], v[182:183], v[164:165]
	ds_read2_b64 v[180:183], v252 offset0:42 offset1:43
	s_waitcnt lgkmcnt(0)
	v_fma_f64 v[166:167], -v[92:93], v[180:181], v[166:167]
	v_fma_f64 v[170:171], -v[92:93], v[182:183], v[170:171]
.LBB87_171:
	s_or_b32 exec_lo, exec_lo, s1
	s_mov_b32 s1, exec_lo
	s_waitcnt lgkmcnt(0)
	s_barrier
	buffer_gl0_inv
	v_cmpx_eq_u32_e32 34, v0
	s_cbranch_execz .LBB87_174
; %bb.172:
	ds_write_b64 v1, v[108:109]
	ds_write2_b64 v252, v[90:91], v[162:163] offset0:35 offset1:36
	ds_write2_b64 v252, v[158:159], v[160:161] offset0:37 offset1:38
	;; [unrolled: 1-line block ×4, first 2 shown]
	ds_write_b64 v252, v[170:171] offset:344
	ds_read_b64 v[180:181], v1
	s_waitcnt lgkmcnt(0)
	v_cmp_neq_f64_e32 vcc_lo, 0, v[180:181]
	s_and_b32 exec_lo, exec_lo, vcc_lo
	s_cbranch_execz .LBB87_174
; %bb.173:
	v_div_scale_f64 v[182:183], null, v[180:181], v[180:181], 1.0
	v_rcp_f64_e32 v[184:185], v[182:183]
	v_fma_f64 v[186:187], -v[182:183], v[184:185], 1.0
	v_fma_f64 v[184:185], v[184:185], v[186:187], v[184:185]
	v_fma_f64 v[186:187], -v[182:183], v[184:185], 1.0
	v_fma_f64 v[184:185], v[184:185], v[186:187], v[184:185]
	v_div_scale_f64 v[186:187], vcc_lo, 1.0, v[180:181], 1.0
	v_mul_f64 v[188:189], v[186:187], v[184:185]
	v_fma_f64 v[182:183], -v[182:183], v[188:189], v[186:187]
	v_div_fmas_f64 v[182:183], v[182:183], v[184:185], v[188:189]
	v_div_fixup_f64 v[180:181], v[182:183], v[180:181], 1.0
	ds_write_b64 v1, v[180:181]
.LBB87_174:
	s_or_b32 exec_lo, exec_lo, s1
	s_waitcnt lgkmcnt(0)
	s_barrier
	buffer_gl0_inv
	ds_read_b64 v[248:249], v1
	s_mov_b32 s1, exec_lo
	v_cmpx_lt_u32_e32 34, v0
	s_cbranch_execz .LBB87_176
; %bb.175:
	s_waitcnt lgkmcnt(0)
	v_mul_f64 v[108:109], v[248:249], v[108:109]
	ds_read2_b64 v[180:183], v252 offset0:35 offset1:36
	s_waitcnt lgkmcnt(0)
	v_fma_f64 v[90:91], -v[108:109], v[180:181], v[90:91]
	v_fma_f64 v[162:163], -v[108:109], v[182:183], v[162:163]
	ds_read2_b64 v[180:183], v252 offset0:37 offset1:38
	s_waitcnt lgkmcnt(0)
	v_fma_f64 v[158:159], -v[108:109], v[180:181], v[158:159]
	v_fma_f64 v[160:161], -v[108:109], v[182:183], v[160:161]
	;; [unrolled: 4-line block ×3, first 2 shown]
	ds_read2_b64 v[180:183], v252 offset0:41 offset1:42
	s_waitcnt lgkmcnt(0)
	v_fma_f64 v[164:165], -v[108:109], v[180:181], v[164:165]
	ds_read_b64 v[180:181], v252 offset:344
	v_fma_f64 v[166:167], -v[108:109], v[182:183], v[166:167]
	s_waitcnt lgkmcnt(0)
	v_fma_f64 v[170:171], -v[108:109], v[180:181], v[170:171]
.LBB87_176:
	s_or_b32 exec_lo, exec_lo, s1
	s_mov_b32 s1, exec_lo
	s_waitcnt lgkmcnt(0)
	s_barrier
	buffer_gl0_inv
	v_cmpx_eq_u32_e32 35, v0
	s_cbranch_execz .LBB87_179
; %bb.177:
	v_mov_b32_e32 v180, v162
	v_mov_b32_e32 v181, v163
	;; [unrolled: 1-line block ×4, first 2 shown]
	ds_write_b64 v1, v[90:91]
	ds_write2_b64 v252, v[180:181], v[182:183] offset0:36 offset1:37
	v_mov_b32_e32 v180, v160
	v_mov_b32_e32 v181, v161
	;; [unrolled: 1-line block ×4, first 2 shown]
	ds_write2_b64 v252, v[180:181], v[182:183] offset0:38 offset1:39
	v_mov_b32_e32 v180, v168
	v_mov_b32_e32 v181, v169
	;; [unrolled: 1-line block ×4, first 2 shown]
	ds_write2_b64 v252, v[180:181], v[182:183] offset0:40 offset1:41
	v_mov_b32_e32 v180, v166
	v_mov_b32_e32 v181, v167
	ds_write2_b64 v252, v[180:181], v[170:171] offset0:42 offset1:43
	ds_read_b64 v[180:181], v1
	s_waitcnt lgkmcnt(0)
	v_cmp_neq_f64_e32 vcc_lo, 0, v[180:181]
	s_and_b32 exec_lo, exec_lo, vcc_lo
	s_cbranch_execz .LBB87_179
; %bb.178:
	v_div_scale_f64 v[182:183], null, v[180:181], v[180:181], 1.0
	v_rcp_f64_e32 v[184:185], v[182:183]
	v_fma_f64 v[186:187], -v[182:183], v[184:185], 1.0
	v_fma_f64 v[184:185], v[184:185], v[186:187], v[184:185]
	v_fma_f64 v[186:187], -v[182:183], v[184:185], 1.0
	v_fma_f64 v[184:185], v[184:185], v[186:187], v[184:185]
	v_div_scale_f64 v[186:187], vcc_lo, 1.0, v[180:181], 1.0
	v_mul_f64 v[188:189], v[186:187], v[184:185]
	v_fma_f64 v[182:183], -v[182:183], v[188:189], v[186:187]
	v_div_fmas_f64 v[182:183], v[182:183], v[184:185], v[188:189]
	v_div_fixup_f64 v[180:181], v[182:183], v[180:181], 1.0
	ds_write_b64 v1, v[180:181]
.LBB87_179:
	s_or_b32 exec_lo, exec_lo, s1
	s_waitcnt lgkmcnt(0)
	s_barrier
	buffer_gl0_inv
	ds_read_b64 v[250:251], v1
	s_mov_b32 s1, exec_lo
	v_cmpx_lt_u32_e32 35, v0
	s_cbranch_execz .LBB87_181
; %bb.180:
	s_waitcnt lgkmcnt(0)
	v_mul_f64 v[90:91], v[250:251], v[90:91]
	ds_read2_b64 v[180:183], v252 offset0:36 offset1:37
	s_waitcnt lgkmcnt(0)
	v_fma_f64 v[162:163], -v[90:91], v[180:181], v[162:163]
	v_fma_f64 v[158:159], -v[90:91], v[182:183], v[158:159]
	ds_read2_b64 v[180:183], v252 offset0:38 offset1:39
	s_waitcnt lgkmcnt(0)
	v_fma_f64 v[160:161], -v[90:91], v[180:181], v[160:161]
	v_fma_f64 v[156:157], -v[90:91], v[182:183], v[156:157]
	;; [unrolled: 4-line block ×4, first 2 shown]
.LBB87_181:
	s_or_b32 exec_lo, exec_lo, s1
	s_mov_b32 s1, exec_lo
	s_waitcnt lgkmcnt(0)
	s_barrier
	buffer_gl0_inv
	v_cmpx_eq_u32_e32 36, v0
	s_cbranch_execz .LBB87_184
; %bb.182:
	ds_write_b64 v1, v[162:163]
	ds_write2_b64 v252, v[158:159], v[160:161] offset0:37 offset1:38
	ds_write2_b64 v252, v[156:157], v[168:169] offset0:39 offset1:40
	ds_write2_b64 v252, v[164:165], v[166:167] offset0:41 offset1:42
	ds_write_b64 v252, v[170:171] offset:344
	ds_read_b64 v[180:181], v1
	s_waitcnt lgkmcnt(0)
	v_cmp_neq_f64_e32 vcc_lo, 0, v[180:181]
	s_and_b32 exec_lo, exec_lo, vcc_lo
	s_cbranch_execz .LBB87_184
; %bb.183:
	v_div_scale_f64 v[182:183], null, v[180:181], v[180:181], 1.0
	v_rcp_f64_e32 v[184:185], v[182:183]
	v_fma_f64 v[186:187], -v[182:183], v[184:185], 1.0
	v_fma_f64 v[184:185], v[184:185], v[186:187], v[184:185]
	v_fma_f64 v[186:187], -v[182:183], v[184:185], 1.0
	v_fma_f64 v[184:185], v[184:185], v[186:187], v[184:185]
	v_div_scale_f64 v[186:187], vcc_lo, 1.0, v[180:181], 1.0
	v_mul_f64 v[188:189], v[186:187], v[184:185]
	v_fma_f64 v[182:183], -v[182:183], v[188:189], v[186:187]
	v_div_fmas_f64 v[182:183], v[182:183], v[184:185], v[188:189]
	v_div_fixup_f64 v[180:181], v[182:183], v[180:181], 1.0
	ds_write_b64 v1, v[180:181]
.LBB87_184:
	s_or_b32 exec_lo, exec_lo, s1
	s_waitcnt lgkmcnt(0)
	s_barrier
	buffer_gl0_inv
	ds_read_b64 v[254:255], v1
	s_mov_b32 s1, exec_lo
	v_cmpx_lt_u32_e32 36, v0
	s_cbranch_execz .LBB87_186
; %bb.185:
	s_waitcnt lgkmcnt(0)
	v_mul_f64 v[162:163], v[254:255], v[162:163]
	ds_read2_b64 v[180:183], v252 offset0:37 offset1:38
	s_waitcnt lgkmcnt(0)
	v_fma_f64 v[158:159], -v[162:163], v[180:181], v[158:159]
	v_fma_f64 v[160:161], -v[162:163], v[182:183], v[160:161]
	ds_read2_b64 v[180:183], v252 offset0:39 offset1:40
	s_waitcnt lgkmcnt(0)
	v_fma_f64 v[156:157], -v[162:163], v[180:181], v[156:157]
	v_fma_f64 v[168:169], -v[162:163], v[182:183], v[168:169]
	ds_read2_b64 v[180:183], v252 offset0:41 offset1:42
	s_waitcnt lgkmcnt(0)
	v_fma_f64 v[164:165], -v[162:163], v[180:181], v[164:165]
	ds_read_b64 v[180:181], v252 offset:344
	v_fma_f64 v[166:167], -v[162:163], v[182:183], v[166:167]
	s_waitcnt lgkmcnt(0)
	v_fma_f64 v[170:171], -v[162:163], v[180:181], v[170:171]
.LBB87_186:
	s_or_b32 exec_lo, exec_lo, s1
	s_mov_b32 s1, exec_lo
	s_waitcnt lgkmcnt(0)
	s_barrier
	buffer_gl0_inv
	v_cmpx_eq_u32_e32 37, v0
	s_cbranch_execz .LBB87_189
; %bb.187:
	v_mov_b32_e32 v180, v160
	v_mov_b32_e32 v181, v161
	;; [unrolled: 1-line block ×4, first 2 shown]
	ds_write_b64 v1, v[158:159]
	ds_write2_b64 v252, v[180:181], v[182:183] offset0:38 offset1:39
	v_mov_b32_e32 v180, v168
	v_mov_b32_e32 v181, v169
	;; [unrolled: 1-line block ×4, first 2 shown]
	ds_write2_b64 v252, v[180:181], v[182:183] offset0:40 offset1:41
	v_mov_b32_e32 v180, v166
	v_mov_b32_e32 v181, v167
	ds_write2_b64 v252, v[180:181], v[170:171] offset0:42 offset1:43
	ds_read_b64 v[180:181], v1
	s_waitcnt lgkmcnt(0)
	v_cmp_neq_f64_e32 vcc_lo, 0, v[180:181]
	s_and_b32 exec_lo, exec_lo, vcc_lo
	s_cbranch_execz .LBB87_189
; %bb.188:
	v_div_scale_f64 v[182:183], null, v[180:181], v[180:181], 1.0
	v_rcp_f64_e32 v[184:185], v[182:183]
	v_fma_f64 v[186:187], -v[182:183], v[184:185], 1.0
	v_fma_f64 v[184:185], v[184:185], v[186:187], v[184:185]
	v_fma_f64 v[186:187], -v[182:183], v[184:185], 1.0
	v_fma_f64 v[184:185], v[184:185], v[186:187], v[184:185]
	v_div_scale_f64 v[186:187], vcc_lo, 1.0, v[180:181], 1.0
	v_mul_f64 v[188:189], v[186:187], v[184:185]
	v_fma_f64 v[182:183], -v[182:183], v[188:189], v[186:187]
	v_div_fmas_f64 v[182:183], v[182:183], v[184:185], v[188:189]
	v_div_fixup_f64 v[180:181], v[182:183], v[180:181], 1.0
	ds_write_b64 v1, v[180:181]
.LBB87_189:
	s_or_b32 exec_lo, exec_lo, s1
	s_waitcnt lgkmcnt(0)
	s_barrier
	buffer_gl0_inv
	ds_read_b64 v[180:181], v1
	s_mov_b32 s1, exec_lo
	v_cmpx_lt_u32_e32 37, v0
	s_cbranch_execz .LBB87_191
; %bb.190:
	s_waitcnt lgkmcnt(0)
	v_mul_f64 v[158:159], v[180:181], v[158:159]
	ds_read2_b64 v[182:185], v252 offset0:38 offset1:39
	s_waitcnt lgkmcnt(0)
	v_fma_f64 v[160:161], -v[158:159], v[182:183], v[160:161]
	v_fma_f64 v[156:157], -v[158:159], v[184:185], v[156:157]
	ds_read2_b64 v[182:185], v252 offset0:40 offset1:41
	s_waitcnt lgkmcnt(0)
	v_fma_f64 v[168:169], -v[158:159], v[182:183], v[168:169]
	v_fma_f64 v[164:165], -v[158:159], v[184:185], v[164:165]
	;; [unrolled: 4-line block ×3, first 2 shown]
.LBB87_191:
	s_or_b32 exec_lo, exec_lo, s1
	s_mov_b32 s1, exec_lo
	s_waitcnt lgkmcnt(0)
	s_barrier
	buffer_gl0_inv
	v_cmpx_eq_u32_e32 38, v0
	s_cbranch_execz .LBB87_194
; %bb.192:
	ds_write_b64 v1, v[160:161]
	ds_write2_b64 v252, v[156:157], v[168:169] offset0:39 offset1:40
	ds_write2_b64 v252, v[164:165], v[166:167] offset0:41 offset1:42
	ds_write_b64 v252, v[170:171] offset:344
	ds_read_b64 v[182:183], v1
	s_waitcnt lgkmcnt(0)
	v_cmp_neq_f64_e32 vcc_lo, 0, v[182:183]
	s_and_b32 exec_lo, exec_lo, vcc_lo
	s_cbranch_execz .LBB87_194
; %bb.193:
	v_div_scale_f64 v[184:185], null, v[182:183], v[182:183], 1.0
	v_rcp_f64_e32 v[186:187], v[184:185]
	v_fma_f64 v[188:189], -v[184:185], v[186:187], 1.0
	v_fma_f64 v[186:187], v[186:187], v[188:189], v[186:187]
	v_fma_f64 v[188:189], -v[184:185], v[186:187], 1.0
	v_fma_f64 v[186:187], v[186:187], v[188:189], v[186:187]
	v_div_scale_f64 v[188:189], vcc_lo, 1.0, v[182:183], 1.0
	v_mul_f64 v[190:191], v[188:189], v[186:187]
	v_fma_f64 v[184:185], -v[184:185], v[190:191], v[188:189]
	v_div_fmas_f64 v[184:185], v[184:185], v[186:187], v[190:191]
	v_div_fixup_f64 v[182:183], v[184:185], v[182:183], 1.0
	ds_write_b64 v1, v[182:183]
.LBB87_194:
	s_or_b32 exec_lo, exec_lo, s1
	s_waitcnt lgkmcnt(0)
	s_barrier
	buffer_gl0_inv
	ds_read_b64 v[182:183], v1
	s_mov_b32 s1, exec_lo
	v_cmpx_lt_u32_e32 38, v0
	s_cbranch_execz .LBB87_196
; %bb.195:
	s_waitcnt lgkmcnt(0)
	v_mul_f64 v[160:161], v[182:183], v[160:161]
	ds_read2_b64 v[184:187], v252 offset0:39 offset1:40
	s_waitcnt lgkmcnt(0)
	v_fma_f64 v[156:157], -v[160:161], v[184:185], v[156:157]
	v_fma_f64 v[168:169], -v[160:161], v[186:187], v[168:169]
	ds_read2_b64 v[184:187], v252 offset0:41 offset1:42
	s_waitcnt lgkmcnt(0)
	v_fma_f64 v[164:165], -v[160:161], v[184:185], v[164:165]
	ds_read_b64 v[184:185], v252 offset:344
	v_fma_f64 v[166:167], -v[160:161], v[186:187], v[166:167]
	s_waitcnt lgkmcnt(0)
	v_fma_f64 v[170:171], -v[160:161], v[184:185], v[170:171]
.LBB87_196:
	s_or_b32 exec_lo, exec_lo, s1
	s_mov_b32 s1, exec_lo
	s_waitcnt lgkmcnt(0)
	s_barrier
	buffer_gl0_inv
	v_cmpx_eq_u32_e32 39, v0
	s_cbranch_execz .LBB87_199
; %bb.197:
	v_mov_b32_e32 v184, v168
	v_mov_b32_e32 v185, v169
	;; [unrolled: 1-line block ×4, first 2 shown]
	ds_write_b64 v1, v[156:157]
	ds_write2_b64 v252, v[184:185], v[186:187] offset0:40 offset1:41
	v_mov_b32_e32 v184, v166
	v_mov_b32_e32 v185, v167
	ds_write2_b64 v252, v[184:185], v[170:171] offset0:42 offset1:43
	ds_read_b64 v[184:185], v1
	s_waitcnt lgkmcnt(0)
	v_cmp_neq_f64_e32 vcc_lo, 0, v[184:185]
	s_and_b32 exec_lo, exec_lo, vcc_lo
	s_cbranch_execz .LBB87_199
; %bb.198:
	v_div_scale_f64 v[186:187], null, v[184:185], v[184:185], 1.0
	v_rcp_f64_e32 v[188:189], v[186:187]
	v_fma_f64 v[190:191], -v[186:187], v[188:189], 1.0
	v_fma_f64 v[188:189], v[188:189], v[190:191], v[188:189]
	v_fma_f64 v[190:191], -v[186:187], v[188:189], 1.0
	v_fma_f64 v[188:189], v[188:189], v[190:191], v[188:189]
	v_div_scale_f64 v[190:191], vcc_lo, 1.0, v[184:185], 1.0
	v_mul_f64 v[192:193], v[190:191], v[188:189]
	v_fma_f64 v[186:187], -v[186:187], v[192:193], v[190:191]
	v_div_fmas_f64 v[186:187], v[186:187], v[188:189], v[192:193]
	v_div_fixup_f64 v[184:185], v[186:187], v[184:185], 1.0
	ds_write_b64 v1, v[184:185]
.LBB87_199:
	s_or_b32 exec_lo, exec_lo, s1
	s_waitcnt lgkmcnt(0)
	s_barrier
	buffer_gl0_inv
	ds_read_b64 v[184:185], v1
	s_mov_b32 s1, exec_lo
	v_cmpx_lt_u32_e32 39, v0
	s_cbranch_execz .LBB87_201
; %bb.200:
	s_waitcnt lgkmcnt(0)
	v_mul_f64 v[156:157], v[184:185], v[156:157]
	ds_read2_b64 v[186:189], v252 offset0:40 offset1:41
	s_waitcnt lgkmcnt(0)
	v_fma_f64 v[168:169], -v[156:157], v[186:187], v[168:169]
	v_fma_f64 v[164:165], -v[156:157], v[188:189], v[164:165]
	ds_read2_b64 v[186:189], v252 offset0:42 offset1:43
	s_waitcnt lgkmcnt(0)
	v_fma_f64 v[166:167], -v[156:157], v[186:187], v[166:167]
	v_fma_f64 v[170:171], -v[156:157], v[188:189], v[170:171]
.LBB87_201:
	s_or_b32 exec_lo, exec_lo, s1
	s_mov_b32 s1, exec_lo
	s_waitcnt lgkmcnt(0)
	s_barrier
	buffer_gl0_inv
	v_cmpx_eq_u32_e32 40, v0
	s_cbranch_execz .LBB87_204
; %bb.202:
	ds_write_b64 v1, v[168:169]
	ds_write2_b64 v252, v[164:165], v[166:167] offset0:41 offset1:42
	ds_write_b64 v252, v[170:171] offset:344
	ds_read_b64 v[186:187], v1
	s_waitcnt lgkmcnt(0)
	v_cmp_neq_f64_e32 vcc_lo, 0, v[186:187]
	s_and_b32 exec_lo, exec_lo, vcc_lo
	s_cbranch_execz .LBB87_204
; %bb.203:
	v_div_scale_f64 v[188:189], null, v[186:187], v[186:187], 1.0
	v_rcp_f64_e32 v[190:191], v[188:189]
	v_fma_f64 v[192:193], -v[188:189], v[190:191], 1.0
	v_fma_f64 v[190:191], v[190:191], v[192:193], v[190:191]
	v_fma_f64 v[192:193], -v[188:189], v[190:191], 1.0
	v_fma_f64 v[190:191], v[190:191], v[192:193], v[190:191]
	v_div_scale_f64 v[192:193], vcc_lo, 1.0, v[186:187], 1.0
	v_mul_f64 v[194:195], v[192:193], v[190:191]
	v_fma_f64 v[188:189], -v[188:189], v[194:195], v[192:193]
	v_div_fmas_f64 v[188:189], v[188:189], v[190:191], v[194:195]
	v_div_fixup_f64 v[186:187], v[188:189], v[186:187], 1.0
	ds_write_b64 v1, v[186:187]
.LBB87_204:
	s_or_b32 exec_lo, exec_lo, s1
	s_waitcnt lgkmcnt(0)
	s_barrier
	buffer_gl0_inv
	ds_read_b64 v[186:187], v1
	s_mov_b32 s1, exec_lo
	v_cmpx_lt_u32_e32 40, v0
	s_cbranch_execz .LBB87_206
; %bb.205:
	s_waitcnt lgkmcnt(0)
	v_mul_f64 v[168:169], v[186:187], v[168:169]
	ds_read2_b64 v[188:191], v252 offset0:41 offset1:42
	s_waitcnt lgkmcnt(0)
	v_fma_f64 v[164:165], -v[168:169], v[188:189], v[164:165]
	ds_read_b64 v[188:189], v252 offset:344
	v_fma_f64 v[166:167], -v[168:169], v[190:191], v[166:167]
	s_waitcnt lgkmcnt(0)
	v_fma_f64 v[170:171], -v[168:169], v[188:189], v[170:171]
.LBB87_206:
	s_or_b32 exec_lo, exec_lo, s1
	s_mov_b32 s1, exec_lo
	s_waitcnt lgkmcnt(0)
	s_barrier
	buffer_gl0_inv
	v_cmpx_eq_u32_e32 41, v0
	s_cbranch_execz .LBB87_209
; %bb.207:
	v_mov_b32_e32 v188, v166
	v_mov_b32_e32 v189, v167
	ds_write_b64 v1, v[164:165]
	ds_write2_b64 v252, v[188:189], v[170:171] offset0:42 offset1:43
	ds_read_b64 v[188:189], v1
	s_waitcnt lgkmcnt(0)
	v_cmp_neq_f64_e32 vcc_lo, 0, v[188:189]
	s_and_b32 exec_lo, exec_lo, vcc_lo
	s_cbranch_execz .LBB87_209
; %bb.208:
	v_div_scale_f64 v[190:191], null, v[188:189], v[188:189], 1.0
	v_mov_b32_e32 v215, v211
	v_mov_b32_e32 v214, v210
	;; [unrolled: 1-line block ×12, first 2 shown]
	v_rcp_f64_e32 v[192:193], v[190:191]
	v_fma_f64 v[194:195], -v[190:191], v[192:193], 1.0
	v_fma_f64 v[192:193], v[192:193], v[194:195], v[192:193]
	v_fma_f64 v[194:195], -v[190:191], v[192:193], 1.0
	v_fma_f64 v[192:193], v[192:193], v[194:195], v[192:193]
	v_div_scale_f64 v[194:195], vcc_lo, 1.0, v[188:189], 1.0
	v_mul_f64 v[196:197], v[194:195], v[192:193]
	v_fma_f64 v[190:191], -v[190:191], v[196:197], v[194:195]
	v_div_fmas_f64 v[190:191], v[190:191], v[192:193], v[196:197]
	v_mov_b32_e32 v196, v198
	v_mov_b32_e32 v197, v199
	;; [unrolled: 1-line block ×12, first 2 shown]
	v_div_fixup_f64 v[188:189], v[190:191], v[188:189], 1.0
	ds_write_b64 v1, v[188:189]
.LBB87_209:
	s_or_b32 exec_lo, exec_lo, s1
	s_waitcnt lgkmcnt(0)
	s_barrier
	buffer_gl0_inv
	ds_read_b64 v[188:189], v1
	s_mov_b32 s1, exec_lo
	v_cmpx_lt_u32_e32 41, v0
	s_cbranch_execz .LBB87_211
; %bb.210:
	s_waitcnt lgkmcnt(0)
	v_mul_f64 v[164:165], v[188:189], v[164:165]
	ds_read2_b64 v[190:193], v252 offset0:42 offset1:43
	s_waitcnt lgkmcnt(0)
	v_fma_f64 v[166:167], -v[164:165], v[190:191], v[166:167]
	v_fma_f64 v[170:171], -v[164:165], v[192:193], v[170:171]
.LBB87_211:
	s_or_b32 exec_lo, exec_lo, s1
	s_mov_b32 s1, exec_lo
	s_waitcnt lgkmcnt(0)
	s_barrier
	buffer_gl0_inv
	v_cmpx_eq_u32_e32 42, v0
	s_cbranch_execz .LBB87_214
; %bb.212:
	ds_write_b64 v1, v[166:167]
	ds_write_b64 v252, v[170:171] offset:344
	ds_read_b64 v[190:191], v1
	s_waitcnt lgkmcnt(0)
	v_cmp_neq_f64_e32 vcc_lo, 0, v[190:191]
	s_and_b32 exec_lo, exec_lo, vcc_lo
	s_cbranch_execz .LBB87_214
; %bb.213:
	v_div_scale_f64 v[192:193], null, v[190:191], v[190:191], 1.0
	buffer_store_dword v116, off, s[12:15], 0 offset:72 ; 4-byte Folded Spill
	buffer_store_dword v117, off, s[12:15], 0 offset:76 ; 4-byte Folded Spill
	v_mov_b32_e32 v117, v101
	v_mov_b32_e32 v116, v100
	;; [unrolled: 1-line block ×19, first 2 shown]
	v_rcp_f64_e32 v[194:195], v[192:193]
	v_mov_b32_e32 v207, v205
	v_mov_b32_e32 v122, v106
	;; [unrolled: 1-line block ×23, first 2 shown]
	v_fma_f64 v[196:197], -v[192:193], v[194:195], 1.0
	v_mov_b32_e32 v128, v144
	v_mov_b32_e32 v129, v145
	v_mov_b32_e32 v145, v131
	v_mov_b32_e32 v144, v130
	v_mov_b32_e32 v130, v146
	v_mov_b32_e32 v131, v147
	v_mov_b32_e32 v147, v133
	v_mov_b32_e32 v146, v132
	v_mov_b32_e32 v132, v148
	v_mov_b32_e32 v133, v149
	v_mov_b32_e32 v148, v182
	v_mov_b32_e32 v149, v183
	v_mov_b32_e32 v183, v135
	v_mov_b32_e32 v182, v134
	v_mov_b32_e32 v134, v150
	v_mov_b32_e32 v135, v151
	v_mov_b32_e32 v151, v137
	v_mov_b32_e32 v150, v136
	v_mov_b32_e32 v136, v180
	v_mov_b32_e32 v137, v181
	v_mov_b32_e32 v181, v153
	v_mov_b32_e32 v180, v152
	v_mov_b32_e32 v152, v174
	v_mov_b32_e32 v153, v175
	v_mov_b32_e32 v174, v178
	v_mov_b32_e32 v175, v179
	v_mov_b32_e32 v178, v254
	v_mov_b32_e32 v179, v255
	v_mov_b32_e32 v254, v177
	v_mov_b32_e32 v253, v176
	v_mov_b32_e32 v177, v173
	v_mov_b32_e32 v176, v172
	v_mov_b32_e32 v172, v250
	v_fma_f64 v[194:195], v[194:195], v[196:197], v[194:195]
	v_mov_b32_e32 v173, v251
	v_mov_b32_e32 v251, v249
	;; [unrolled: 1-line block ×44, first 2 shown]
	v_fma_f64 v[196:197], -v[192:193], v[194:195], 1.0
	v_mov_b32_e32 v84, v82
	v_mov_b32_e32 v83, v81
	;; [unrolled: 1-line block ×44, first 2 shown]
	v_fma_f64 v[194:195], v[194:195], v[196:197], v[194:195]
	v_div_scale_f64 v[196:197], vcc_lo, 1.0, v[190:191], 1.0
	v_mov_b32_e32 v40, v38
	v_mov_b32_e32 v39, v37
	;; [unrolled: 1-line block ×45, first 2 shown]
	v_mul_f64 v[198:199], v[196:197], v[194:195]
	v_fma_f64 v[192:193], -v[192:193], v[198:199], v[196:197]
	v_mov_b32_e32 v196, v200
	v_mov_b32_e32 v197, v201
	;; [unrolled: 1-line block ×10, first 2 shown]
	v_div_fmas_f64 v[192:193], v[192:193], v[194:195], v[198:199]
	v_mov_b32_e32 v198, v202
	v_mov_b32_e32 v199, v203
	;; [unrolled: 1-line block ×198, first 2 shown]
	s_clause 0x1
	buffer_load_dword v116, off, s[12:15], 0 offset:72
	buffer_load_dword v117, off, s[12:15], 0 offset:76
	v_div_fixup_f64 v[190:191], v[192:193], v[190:191], 1.0
	ds_write_b64 v1, v[190:191]
.LBB87_214:
	s_or_b32 exec_lo, exec_lo, s1
	s_waitcnt vmcnt(0) lgkmcnt(0)
	s_waitcnt_vscnt null, 0x0
	s_barrier
	buffer_gl0_inv
	ds_read_b64 v[190:191], v1
	s_mov_b32 s1, exec_lo
	v_cmpx_lt_u32_e32 42, v0
	s_cbranch_execz .LBB87_216
; %bb.215:
	s_waitcnt lgkmcnt(0)
	v_mul_f64 v[166:167], v[190:191], v[166:167]
	ds_read_b64 v[192:193], v252 offset:344
	s_waitcnt lgkmcnt(0)
	v_fma_f64 v[170:171], -v[166:167], v[192:193], v[170:171]
.LBB87_216:
	s_or_b32 exec_lo, exec_lo, s1
	s_mov_b32 s1, exec_lo
	s_waitcnt lgkmcnt(0)
	s_barrier
	buffer_gl0_inv
	v_cmpx_eq_u32_e32 43, v0
	s_cbranch_execz .LBB87_219
; %bb.217:
	v_cmp_neq_f64_e32 vcc_lo, 0, v[170:171]
	ds_write_b64 v1, v[170:171]
	s_and_b32 exec_lo, exec_lo, vcc_lo
	s_cbranch_execz .LBB87_219
; %bb.218:
	v_div_scale_f64 v[192:193], null, v[170:171], v[170:171], 1.0
	v_mov_b32_e32 v215, v213
	v_mov_b32_e32 v214, v212
	;; [unrolled: 1-line block ×20, first 2 shown]
	v_rcp_f64_e32 v[194:195], v[192:193]
	v_mov_b32_e32 v247, v245
	v_mov_b32_e32 v246, v244
	;; [unrolled: 1-line block ×23, first 2 shown]
	v_fma_f64 v[196:197], -v[192:193], v[194:195], 1.0
	v_mov_b32_e32 v89, v227
	v_mov_b32_e32 v227, v225
	;; [unrolled: 1-line block ×21, first 2 shown]
	v_fma_f64 v[194:195], v[194:195], v[196:197], v[194:195]
	v_mov_b32_e32 v79, v77
	v_mov_b32_e32 v78, v76
	;; [unrolled: 1-line block ×21, first 2 shown]
	v_fma_f64 v[196:197], -v[192:193], v[194:195], 1.0
	v_mov_b32_e32 v58, v56
	v_mov_b32_e32 v57, v55
	;; [unrolled: 1-line block ×21, first 2 shown]
	v_fma_f64 v[194:195], v[194:195], v[196:197], v[194:195]
	v_div_scale_f64 v[196:197], vcc_lo, 1.0, v[170:171], 1.0
	v_mov_b32_e32 v37, v35
	v_mov_b32_e32 v36, v34
	;; [unrolled: 1-line block ×42, first 2 shown]
	v_mul_f64 v[198:199], v[196:197], v[194:195]
	v_fma_f64 v[192:193], -v[192:193], v[198:199], v[196:197]
	v_mov_b32_e32 v196, v200
	v_mov_b32_e32 v197, v201
	;; [unrolled: 1-line block ×10, first 2 shown]
	v_div_fmas_f64 v[192:193], v[192:193], v[194:195], v[198:199]
	v_mov_b32_e32 v198, v202
	v_mov_b32_e32 v199, v203
	;; [unrolled: 1-line block ×105, first 2 shown]
	v_div_fixup_f64 v[192:193], v[192:193], v[170:171], 1.0
	v_mov_b32_e32 v226, v88
	v_mov_b32_e32 v88, v228
	;; [unrolled: 1-line block ×33, first 2 shown]
	ds_write_b64 v1, v[192:193]
.LBB87_219:
	s_or_b32 exec_lo, exec_lo, s1
	s_waitcnt lgkmcnt(0)
	s_barrier
	buffer_gl0_inv
	ds_read_b64 v[252:253], v1
	s_waitcnt lgkmcnt(0)
	s_barrier
	buffer_gl0_inv
	s_and_saveexec_b32 s1, s0
	s_cbranch_execz .LBB87_222
; %bb.220:
	s_clause 0x1
	buffer_load_dword v192, off, s[12:15], 0
	buffer_load_dword v193, off, s[12:15], 0 offset:4
	s_load_dwordx2 s[2:3], s[4:5], 0x28
	s_waitcnt vmcnt(0)
	v_cmp_eq_f64_e32 vcc_lo, 0, v[192:193]
	s_clause 0x1
	buffer_load_dword v192, off, s[12:15], 0 offset:8
	buffer_load_dword v193, off, s[12:15], 0 offset:12
	v_cndmask_b32_e64 v1, 0, 1, vcc_lo
	s_waitcnt vmcnt(0)
	v_cmp_neq_f64_e64 s0, 0, v[192:193]
	s_clause 0x1
	buffer_load_dword v192, off, s[12:15], 0 offset:16
	buffer_load_dword v193, off, s[12:15], 0 offset:20
	s_or_b32 vcc_lo, s0, vcc_lo
	v_cndmask_b32_e32 v1, 2, v1, vcc_lo
	v_cmp_eq_u32_e64 s0, 0, v1
	s_waitcnt vmcnt(0)
	v_cmp_eq_f64_e32 vcc_lo, 0, v[192:193]
	s_clause 0x1
	buffer_load_dword v192, off, s[12:15], 0 offset:24
	buffer_load_dword v193, off, s[12:15], 0 offset:28
	s_and_b32 s0, vcc_lo, s0
	v_cndmask_b32_e64 v1, v1, 3, s0
	v_cmp_eq_u32_e64 s0, 0, v1
	s_waitcnt vmcnt(0)
	v_cmp_eq_f64_e32 vcc_lo, 0, v[192:193]
	s_clause 0x1
	buffer_load_dword v192, off, s[12:15], 0 offset:32
	buffer_load_dword v193, off, s[12:15], 0 offset:36
	s_and_b32 s0, vcc_lo, s0
	v_cndmask_b32_e64 v1, v1, 4, s0
	;; [unrolled: 8-line block ×5, first 2 shown]
	v_cmp_eq_u32_e64 s0, 0, v1
	s_waitcnt vmcnt(0)
	v_cmp_eq_f64_e32 vcc_lo, 0, v[192:193]
	s_and_b32 s0, vcc_lo, s0
	v_cmp_eq_f64_e32 vcc_lo, 0, v[196:197]
	v_cndmask_b32_e64 v1, v1, 8, s0
	v_cmp_eq_u32_e64 s0, 0, v1
	s_and_b32 s0, vcc_lo, s0
	v_cmp_eq_f64_e32 vcc_lo, 0, v[198:199]
	v_cndmask_b32_e64 v1, v1, 9, s0
	v_cmp_eq_u32_e64 s0, 0, v1
	;; [unrolled: 4-line block ×36, first 2 shown]
	s_and_b32 s0, vcc_lo, s0
	v_cndmask_b32_e64 v180, v1, 44, s0
	v_lshlrev_b64 v[1:2], 2, v[2:3]
	v_cmp_ne_u32_e64 s0, 0, v180
	s_waitcnt lgkmcnt(0)
	v_add_co_u32 v1, vcc_lo, s2, v1
	v_add_co_ci_u32_e64 v2, null, s3, v2, vcc_lo
	global_load_dword v3, v[1:2], off
	s_waitcnt vmcnt(0)
	v_cmp_eq_u32_e32 vcc_lo, 0, v3
	s_and_b32 s0, vcc_lo, s0
	s_and_b32 exec_lo, exec_lo, s0
	s_cbranch_execz .LBB87_222
; %bb.221:
	v_add_nc_u32_e32 v3, s9, v180
	global_store_dword v[1:2], v3, off
.LBB87_222:
	s_or_b32 exec_lo, exec_lo, s1
	flat_store_dwordx2 v[88:89], v[172:173]
	flat_store_dwordx2 v[154:155], v[176:177]
	;; [unrolled: 1-line block ×18, first 2 shown]
	s_clause 0x1
	buffer_load_dword v3, off, s[12:15], 0 offset:64
	buffer_load_dword v4, off, s[12:15], 0 offset:68
	v_mul_f64 v[1:2], v[252:253], v[170:171]
	v_cmp_lt_u32_e32 vcc_lo, 43, v0
	v_cndmask_b32_e32 v2, v171, v2, vcc_lo
	v_cndmask_b32_e32 v1, v170, v1, vcc_lo
	s_waitcnt vmcnt(0)
	flat_store_dwordx2 v[3:4], v[138:139]
	flat_store_dwordx2 v[36:37], v[106:107]
	;; [unrolled: 1-line block ×26, first 2 shown]
.LBB87_223:
	s_endpgm
	.section	.rodata,"a",@progbits
	.p2align	6, 0x0
	.amdhsa_kernel _ZN9rocsolver6v33100L23getf2_npvt_small_kernelILi44EdiiPKPdEEvT1_T3_lS5_lPT2_S5_S5_
		.amdhsa_group_segment_fixed_size 0
		.amdhsa_private_segment_fixed_size 84
		.amdhsa_kernarg_size 312
		.amdhsa_user_sgpr_count 6
		.amdhsa_user_sgpr_private_segment_buffer 1
		.amdhsa_user_sgpr_dispatch_ptr 0
		.amdhsa_user_sgpr_queue_ptr 0
		.amdhsa_user_sgpr_kernarg_segment_ptr 1
		.amdhsa_user_sgpr_dispatch_id 0
		.amdhsa_user_sgpr_flat_scratch_init 0
		.amdhsa_user_sgpr_private_segment_size 0
		.amdhsa_wavefront_size32 1
		.amdhsa_uses_dynamic_stack 0
		.amdhsa_system_sgpr_private_segment_wavefront_offset 1
		.amdhsa_system_sgpr_workgroup_id_x 1
		.amdhsa_system_sgpr_workgroup_id_y 1
		.amdhsa_system_sgpr_workgroup_id_z 0
		.amdhsa_system_sgpr_workgroup_info 0
		.amdhsa_system_vgpr_workitem_id 1
		.amdhsa_next_free_vgpr 256
		.amdhsa_next_free_sgpr 16
		.amdhsa_reserve_vcc 1
		.amdhsa_reserve_flat_scratch 1
		.amdhsa_float_round_mode_32 0
		.amdhsa_float_round_mode_16_64 0
		.amdhsa_float_denorm_mode_32 3
		.amdhsa_float_denorm_mode_16_64 3
		.amdhsa_dx10_clamp 1
		.amdhsa_ieee_mode 1
		.amdhsa_fp16_overflow 0
		.amdhsa_workgroup_processor_mode 1
		.amdhsa_memory_ordered 1
		.amdhsa_forward_progress 1
		.amdhsa_shared_vgpr_count 0
		.amdhsa_exception_fp_ieee_invalid_op 0
		.amdhsa_exception_fp_denorm_src 0
		.amdhsa_exception_fp_ieee_div_zero 0
		.amdhsa_exception_fp_ieee_overflow 0
		.amdhsa_exception_fp_ieee_underflow 0
		.amdhsa_exception_fp_ieee_inexact 0
		.amdhsa_exception_int_div_zero 0
	.end_amdhsa_kernel
	.section	.text._ZN9rocsolver6v33100L23getf2_npvt_small_kernelILi44EdiiPKPdEEvT1_T3_lS5_lPT2_S5_S5_,"axG",@progbits,_ZN9rocsolver6v33100L23getf2_npvt_small_kernelILi44EdiiPKPdEEvT1_T3_lS5_lPT2_S5_S5_,comdat
.Lfunc_end87:
	.size	_ZN9rocsolver6v33100L23getf2_npvt_small_kernelILi44EdiiPKPdEEvT1_T3_lS5_lPT2_S5_S5_, .Lfunc_end87-_ZN9rocsolver6v33100L23getf2_npvt_small_kernelILi44EdiiPKPdEEvT1_T3_lS5_lPT2_S5_S5_
                                        ; -- End function
	.set _ZN9rocsolver6v33100L23getf2_npvt_small_kernelILi44EdiiPKPdEEvT1_T3_lS5_lPT2_S5_S5_.num_vgpr, 256
	.set _ZN9rocsolver6v33100L23getf2_npvt_small_kernelILi44EdiiPKPdEEvT1_T3_lS5_lPT2_S5_S5_.num_agpr, 0
	.set _ZN9rocsolver6v33100L23getf2_npvt_small_kernelILi44EdiiPKPdEEvT1_T3_lS5_lPT2_S5_S5_.numbered_sgpr, 16
	.set _ZN9rocsolver6v33100L23getf2_npvt_small_kernelILi44EdiiPKPdEEvT1_T3_lS5_lPT2_S5_S5_.num_named_barrier, 0
	.set _ZN9rocsolver6v33100L23getf2_npvt_small_kernelILi44EdiiPKPdEEvT1_T3_lS5_lPT2_S5_S5_.private_seg_size, 84
	.set _ZN9rocsolver6v33100L23getf2_npvt_small_kernelILi44EdiiPKPdEEvT1_T3_lS5_lPT2_S5_S5_.uses_vcc, 1
	.set _ZN9rocsolver6v33100L23getf2_npvt_small_kernelILi44EdiiPKPdEEvT1_T3_lS5_lPT2_S5_S5_.uses_flat_scratch, 1
	.set _ZN9rocsolver6v33100L23getf2_npvt_small_kernelILi44EdiiPKPdEEvT1_T3_lS5_lPT2_S5_S5_.has_dyn_sized_stack, 0
	.set _ZN9rocsolver6v33100L23getf2_npvt_small_kernelILi44EdiiPKPdEEvT1_T3_lS5_lPT2_S5_S5_.has_recursion, 0
	.set _ZN9rocsolver6v33100L23getf2_npvt_small_kernelILi44EdiiPKPdEEvT1_T3_lS5_lPT2_S5_S5_.has_indirect_call, 0
	.section	.AMDGPU.csdata,"",@progbits
; Kernel info:
; codeLenInByte = 36892
; TotalNumSgprs: 18
; NumVgprs: 256
; ScratchSize: 84
; MemoryBound: 0
; FloatMode: 240
; IeeeMode: 1
; LDSByteSize: 0 bytes/workgroup (compile time only)
; SGPRBlocks: 0
; VGPRBlocks: 31
; NumSGPRsForWavesPerEU: 18
; NumVGPRsForWavesPerEU: 256
; Occupancy: 4
; WaveLimiterHint : 1
; COMPUTE_PGM_RSRC2:SCRATCH_EN: 1
; COMPUTE_PGM_RSRC2:USER_SGPR: 6
; COMPUTE_PGM_RSRC2:TRAP_HANDLER: 0
; COMPUTE_PGM_RSRC2:TGID_X_EN: 1
; COMPUTE_PGM_RSRC2:TGID_Y_EN: 1
; COMPUTE_PGM_RSRC2:TGID_Z_EN: 0
; COMPUTE_PGM_RSRC2:TIDIG_COMP_CNT: 1
	.section	.text._ZN9rocsolver6v33100L18getf2_small_kernelILi45EdiiPKPdEEvT1_T3_lS5_lPS5_llPT2_S5_S5_S7_l,"axG",@progbits,_ZN9rocsolver6v33100L18getf2_small_kernelILi45EdiiPKPdEEvT1_T3_lS5_lPS5_llPT2_S5_S5_S7_l,comdat
	.globl	_ZN9rocsolver6v33100L18getf2_small_kernelILi45EdiiPKPdEEvT1_T3_lS5_lPS5_llPT2_S5_S5_S7_l ; -- Begin function _ZN9rocsolver6v33100L18getf2_small_kernelILi45EdiiPKPdEEvT1_T3_lS5_lPS5_llPT2_S5_S5_S7_l
	.p2align	8
	.type	_ZN9rocsolver6v33100L18getf2_small_kernelILi45EdiiPKPdEEvT1_T3_lS5_lPS5_llPT2_S5_S5_S7_l,@function
_ZN9rocsolver6v33100L18getf2_small_kernelILi45EdiiPKPdEEvT1_T3_lS5_lPS5_llPT2_S5_S5_S7_l: ; @_ZN9rocsolver6v33100L18getf2_small_kernelILi45EdiiPKPdEEvT1_T3_lS5_lPS5_llPT2_S5_S5_S7_l
; %bb.0:
	s_clause 0x1
	s_load_dword s0, s[4:5], 0x6c
	s_load_dwordx2 s[12:13], s[4:5], 0x48
	s_waitcnt lgkmcnt(0)
	s_lshr_b32 s0, s0, 16
	v_mad_u64_u32 v[2:3], null, s7, s0, v[1:2]
	s_mov_b32 s0, exec_lo
	v_cmpx_gt_i32_e64 s12, v2
	s_cbranch_execz .LBB88_762
; %bb.1:
	s_clause 0x1
	s_load_dwordx4 s[0:3], s[4:5], 0x8
	s_load_dwordx4 s[8:11], s[4:5], 0x50
	v_ashrrev_i32_e32 v3, 31, v2
	v_lshlrev_b64 v[4:5], 3, v[2:3]
	s_waitcnt lgkmcnt(0)
	v_add_co_u32 v4, vcc_lo, s0, v4
	v_add_co_ci_u32_e64 v5, null, s1, v5, vcc_lo
	s_cmp_eq_u64 s[8:9], 0
	s_cselect_b32 s6, -1, 0
	global_load_dwordx2 v[6:7], v[4:5], off
	v_mov_b32_e32 v4, 0
	v_mov_b32_e32 v5, 0
	s_and_b32 vcc_lo, exec_lo, s6
	s_cbranch_vccnz .LBB88_3
; %bb.2:
	v_mul_lo_u32 v8, s11, v2
	v_mul_lo_u32 v9, s10, v3
	v_mad_u64_u32 v[4:5], null, s10, v2, 0
	v_add3_u32 v5, v5, v9, v8
	v_lshlrev_b64 v[4:5], 2, v[4:5]
	v_add_co_u32 v4, vcc_lo, s8, v4
	v_add_co_ci_u32_e64 v5, null, s9, v5, vcc_lo
.LBB88_3:
	s_clause 0x1
	s_load_dword s8, s[4:5], 0x18
	s_load_dword s7, s[4:5], 0x0
	s_lshl_b64 s[0:1], s[2:3], 3
	v_lshlrev_b32_e32 v140, 3, v0
	s_waitcnt vmcnt(0)
	v_add_co_u32 v100, vcc_lo, v6, s0
	v_add_co_ci_u32_e64 v101, null, s1, v7, vcc_lo
	s_waitcnt lgkmcnt(0)
	v_add3_u32 v8, s8, s8, v0
	s_ashr_i32 s9, s8, 31
	s_max_i32 s0, s7, 45
	s_lshl_b64 s[10:11], s[8:9], 3
	v_mul_lo_u32 v1, s0, v1
	v_add_nc_u32_e32 v10, s8, v8
	v_ashrrev_i32_e32 v9, 31, v8
	s_cmp_lt_i32 s7, 2
	v_ashrrev_i32_e32 v11, 31, v10
	v_add_nc_u32_e32 v12, s8, v10
	v_lshlrev_b64 v[8:9], 3, v[8:9]
	v_lshlrev_b64 v[6:7], 3, v[10:11]
	v_add_nc_u32_e32 v10, s8, v12
	v_ashrrev_i32_e32 v13, 31, v12
	v_add_co_u32 v8, vcc_lo, v100, v8
	v_add_co_ci_u32_e64 v9, null, v101, v9, vcc_lo
	v_add_nc_u32_e32 v14, s8, v10
	v_ashrrev_i32_e32 v11, 31, v10
	v_lshlrev_b64 v[12:13], 3, v[12:13]
	v_add_co_u32 v6, vcc_lo, v100, v6
	v_add_nc_u32_e32 v16, s8, v14
	v_ashrrev_i32_e32 v15, 31, v14
	v_lshlrev_b64 v[10:11], 3, v[10:11]
	v_add_co_ci_u32_e64 v7, null, v101, v7, vcc_lo
	v_add_nc_u32_e32 v18, s8, v16
	v_ashrrev_i32_e32 v17, 31, v16
	v_lshlrev_b64 v[14:15], 3, v[14:15]
	v_add_co_u32 v12, vcc_lo, v100, v12
	v_add_nc_u32_e32 v20, s8, v18
	v_ashrrev_i32_e32 v19, 31, v18
	v_lshlrev_b64 v[16:17], 3, v[16:17]
	v_add_co_ci_u32_e64 v13, null, v101, v13, vcc_lo
	v_add_nc_u32_e32 v22, s8, v20
	v_ashrrev_i32_e32 v21, 31, v20
	v_add_co_u32 v10, vcc_lo, v100, v10
	v_lshlrev_b64 v[18:19], 3, v[18:19]
	v_add_nc_u32_e32 v24, s8, v22
	v_ashrrev_i32_e32 v23, 31, v22
	v_add_co_ci_u32_e64 v11, null, v101, v11, vcc_lo
	v_add_co_u32 v14, vcc_lo, v100, v14
	v_add_nc_u32_e32 v26, s8, v24
	v_ashrrev_i32_e32 v25, 31, v24
	v_lshlrev_b64 v[20:21], 3, v[20:21]
	v_add_co_ci_u32_e64 v15, null, v101, v15, vcc_lo
	v_add_nc_u32_e32 v28, s8, v26
	v_ashrrev_i32_e32 v27, 31, v26
	v_add_co_u32 v16, vcc_lo, v100, v16
	v_lshlrev_b64 v[22:23], 3, v[22:23]
	v_add_nc_u32_e32 v30, s8, v28
	v_ashrrev_i32_e32 v29, 31, v28
	v_add_co_ci_u32_e64 v17, null, v101, v17, vcc_lo
	v_add_co_u32 v18, vcc_lo, v100, v18
	v_add_nc_u32_e32 v32, s8, v30
	v_lshlrev_b64 v[24:25], 3, v[24:25]
	v_ashrrev_i32_e32 v31, 31, v30
	v_add_co_ci_u32_e64 v19, null, v101, v19, vcc_lo
	v_add_nc_u32_e32 v34, s8, v32
	v_add_co_u32 v20, vcc_lo, v100, v20
	v_lshlrev_b64 v[26:27], 3, v[26:27]
	v_ashrrev_i32_e32 v33, 31, v32
	v_add_nc_u32_e32 v36, s8, v34
	v_add_co_ci_u32_e64 v21, null, v101, v21, vcc_lo
	v_add_co_u32 v22, vcc_lo, v100, v22
	v_add_nc_u32_e32 v38, s8, v36
	v_lshlrev_b64 v[28:29], 3, v[28:29]
	v_ashrrev_i32_e32 v35, 31, v34
	v_add_co_ci_u32_e64 v23, null, v101, v23, vcc_lo
	v_add_nc_u32_e32 v40, s8, v38
	v_add_co_u32 v24, vcc_lo, v100, v24
	v_lshlrev_b64 v[30:31], 3, v[30:31]
	v_ashrrev_i32_e32 v37, 31, v36
	v_add_nc_u32_e32 v42, s8, v40
	v_add_co_ci_u32_e64 v25, null, v101, v25, vcc_lo
	v_add_co_u32 v26, vcc_lo, v100, v26
	v_add_nc_u32_e32 v44, s8, v42
	v_lshlrev_b64 v[32:33], 3, v[32:33]
	v_ashrrev_i32_e32 v39, 31, v38
	v_add_co_ci_u32_e64 v27, null, v101, v27, vcc_lo
	v_add_nc_u32_e32 v46, s8, v44
	v_add_co_u32 v28, vcc_lo, v100, v28
	v_lshlrev_b64 v[34:35], 3, v[34:35]
	v_ashrrev_i32_e32 v41, 31, v40
	v_add_co_ci_u32_e64 v29, null, v101, v29, vcc_lo
	v_add_co_u32 v30, vcc_lo, v100, v30
	v_lshlrev_b64 v[36:37], 3, v[36:37]
	v_add_nc_u32_e32 v48, s8, v46
	v_ashrrev_i32_e32 v43, 31, v42
	v_add_co_ci_u32_e64 v31, null, v101, v31, vcc_lo
	v_add_co_u32 v32, vcc_lo, v100, v32
	v_lshlrev_b64 v[38:39], 3, v[38:39]
	v_ashrrev_i32_e32 v45, 31, v44
	v_add_co_ci_u32_e64 v33, null, v101, v33, vcc_lo
	v_add_co_u32 v34, vcc_lo, v100, v34
	v_lshlrev_b64 v[40:41], 3, v[40:41]
	v_ashrrev_i32_e32 v47, 31, v46
	v_add_nc_u32_e32 v50, s8, v48
	v_add_co_ci_u32_e64 v35, null, v101, v35, vcc_lo
	v_add_co_u32 v36, vcc_lo, v100, v36
	v_lshlrev_b64 v[42:43], 3, v[42:43]
	v_ashrrev_i32_e32 v49, 31, v48
	v_add_co_ci_u32_e64 v37, null, v101, v37, vcc_lo
	v_add_co_u32 v38, vcc_lo, v100, v38
	v_lshlrev_b64 v[44:45], 3, v[44:45]
	v_add_co_ci_u32_e64 v39, null, v101, v39, vcc_lo
	v_add_co_u32 v40, vcc_lo, v100, v40
	v_lshlrev_b64 v[46:47], 3, v[46:47]
	v_add_nc_u32_e32 v52, s8, v50
	v_add_co_ci_u32_e64 v41, null, v101, v41, vcc_lo
	v_add_co_u32 v42, vcc_lo, v100, v42
	v_lshlrev_b64 v[48:49], 3, v[48:49]
	v_ashrrev_i32_e32 v51, 31, v50
	v_add_co_ci_u32_e64 v43, null, v101, v43, vcc_lo
	v_add_co_u32 v44, vcc_lo, v100, v44
	v_ashrrev_i32_e32 v53, 31, v52
	v_add_nc_u32_e32 v54, s8, v52
	v_add_co_ci_u32_e64 v45, null, v101, v45, vcc_lo
	v_add_co_u32 v46, vcc_lo, v100, v46
	v_lshlrev_b64 v[50:51], 3, v[50:51]
	v_add_co_ci_u32_e64 v47, null, v101, v47, vcc_lo
	v_add_co_u32 v94, vcc_lo, v100, v48
	v_add_co_ci_u32_e64 v95, null, v101, v49, vcc_lo
	v_lshlrev_b64 v[48:49], 3, v[52:53]
	v_ashrrev_i32_e32 v55, 31, v54
	v_add_nc_u32_e32 v52, s8, v54
	v_add_co_u32 v96, vcc_lo, v100, v50
	v_add_co_ci_u32_e64 v97, null, v101, v51, vcc_lo
	v_lshlrev_b64 v[50:51], 3, v[54:55]
	v_ashrrev_i32_e32 v53, 31, v52
	v_add_nc_u32_e32 v54, s8, v52
	;; [unrolled: 5-line block ×16, first 2 shown]
	v_add_co_u32 v128, vcc_lo, v100, v48
	v_add_co_ci_u32_e64 v129, null, v101, v49, vcc_lo
	v_lshlrev_b64 v[48:49], 3, v[52:53]
	v_add_nc_u32_e32 v52, s8, v54
	v_ashrrev_i32_e32 v55, 31, v54
	v_add_co_u32 v130, vcc_lo, v100, v50
	v_add_co_ci_u32_e64 v131, null, v101, v51, vcc_lo
	v_ashrrev_i32_e32 v53, 31, v52
	v_lshlrev_b64 v[50:51], 3, v[54:55]
	v_add_co_u32 v132, vcc_lo, v100, v48
	v_add_co_ci_u32_e64 v133, null, v101, v49, vcc_lo
	v_lshlrev_b64 v[48:49], 3, v[52:53]
	v_add_nc_u32_e32 v52, s8, v52
	v_add_co_u32 v134, vcc_lo, v100, v50
	v_add_co_ci_u32_e64 v135, null, v101, v51, vcc_lo
	v_ashrrev_i32_e32 v53, 31, v52
	v_add_co_u32 v136, vcc_lo, v100, v48
	v_add_co_ci_u32_e64 v137, null, v101, v49, vcc_lo
	v_add_co_u32 v50, vcc_lo, v100, v140
	v_add_co_ci_u32_e64 v51, null, 0, v101, vcc_lo
	v_lshlrev_b64 v[48:49], 3, v[52:53]
	v_add_co_u32 v52, vcc_lo, v50, s10
	v_add_co_ci_u32_e64 v53, null, s11, v51, vcc_lo
	v_add_co_u32 v138, vcc_lo, v100, v48
	v_add_co_ci_u32_e64 v139, null, v101, v49, vcc_lo
	s_clause 0x2c
	flat_load_dwordx2 v[92:93], v[50:51]
	flat_load_dwordx2 v[88:89], v[52:53]
	;; [unrolled: 1-line block ×45, first 2 shown]
	v_lshl_add_u32 v102, v1, 3, 0
	v_lshlrev_b32_e32 v103, 3, v1
	v_mov_b32_e32 v98, 0
	v_add_nc_u32_e32 v96, v102, v140
	s_waitcnt vmcnt(44) lgkmcnt(44)
	ds_write_b64 v96, v[92:93]
	s_waitcnt vmcnt(0) lgkmcnt(0)
	s_barrier
	buffer_gl0_inv
	ds_read_b64 v[96:97], v102
	s_cbranch_scc1 .LBB88_6
; %bb.4:
	v_add3_u32 v1, v103, 0, 8
	v_mov_b32_e32 v98, 0
	s_mov_b32 s0, 1
.LBB88_5:                               ; =>This Inner Loop Header: Depth=1
	ds_read_b64 v[104:105], v1
	v_add_nc_u32_e32 v1, 8, v1
	s_waitcnt lgkmcnt(0)
	v_cmp_lt_f64_e64 vcc_lo, |v[96:97]|, |v[104:105]|
	v_cndmask_b32_e32 v97, v97, v105, vcc_lo
	v_cndmask_b32_e32 v96, v96, v104, vcc_lo
	v_cndmask_b32_e64 v98, v98, s0, vcc_lo
	s_add_i32 s0, s0, 1
	s_cmp_eq_u32 s7, s0
	s_cbranch_scc0 .LBB88_5
.LBB88_6:
	s_mov_b32 s0, exec_lo
                                        ; implicit-def: $vgpr105
	v_cmpx_ne_u32_e64 v0, v98
	s_xor_b32 s0, exec_lo, s0
	s_cbranch_execz .LBB88_12
; %bb.7:
	s_mov_b32 s1, exec_lo
	v_cmpx_eq_u32_e32 0, v0
	s_cbranch_execz .LBB88_11
; %bb.8:
	v_cmp_ne_u32_e32 vcc_lo, 0, v98
	s_xor_b32 s2, s6, -1
	s_and_b32 s3, s2, vcc_lo
	s_and_saveexec_b32 s2, s3
	s_cbranch_execz .LBB88_10
; %bb.9:
	v_ashrrev_i32_e32 v99, 31, v98
	v_lshlrev_b64 v[0:1], 2, v[98:99]
	v_add_co_u32 v0, vcc_lo, v4, v0
	v_add_co_ci_u32_e64 v1, null, v5, v1, vcc_lo
	s_clause 0x1
	global_load_dword v99, v[0:1], off
	global_load_dword v104, v[4:5], off
	s_waitcnt vmcnt(1)
	global_store_dword v[4:5], v99, off
	s_waitcnt vmcnt(0)
	global_store_dword v[0:1], v104, off
.LBB88_10:
	s_or_b32 exec_lo, exec_lo, s2
	v_mov_b32_e32 v0, v98
.LBB88_11:
	s_or_b32 exec_lo, exec_lo, s1
	v_mov_b32_e32 v105, v0
                                        ; implicit-def: $vgpr0
.LBB88_12:
	s_or_saveexec_b32 s0, s0
	v_mov_b32_e32 v104, v105
	s_xor_b32 exec_lo, exec_lo, s0
	s_cbranch_execz .LBB88_14
; %bb.13:
	v_mov_b32_e32 v105, 0
	v_mov_b32_e32 v104, v0
	ds_write2_b64 v102, v[88:89], v[90:91] offset0:1 offset1:2
	ds_write2_b64 v102, v[84:85], v[86:87] offset0:3 offset1:4
	;; [unrolled: 1-line block ×22, first 2 shown]
.LBB88_14:
	s_or_b32 exec_lo, exec_lo, s0
	s_waitcnt lgkmcnt(0)
	v_cmp_eq_f64_e64 s0, 0, v[96:97]
	s_mov_b32 s1, exec_lo
	s_waitcnt_vscnt null, 0x0
	s_barrier
	buffer_gl0_inv
	v_cmpx_lt_i32_e32 0, v105
	s_cbranch_execz .LBB88_16
; %bb.15:
	v_div_scale_f64 v[0:1], null, v[96:97], v[96:97], 1.0
	v_div_scale_f64 v[108:109], vcc_lo, 1.0, v[96:97], 1.0
	v_rcp_f64_e32 v[98:99], v[0:1]
	v_fma_f64 v[106:107], -v[0:1], v[98:99], 1.0
	v_fma_f64 v[98:99], v[98:99], v[106:107], v[98:99]
	v_fma_f64 v[106:107], -v[0:1], v[98:99], 1.0
	v_fma_f64 v[98:99], v[98:99], v[106:107], v[98:99]
	v_mul_f64 v[106:107], v[108:109], v[98:99]
	v_fma_f64 v[0:1], -v[0:1], v[106:107], v[108:109]
	v_div_fmas_f64 v[0:1], v[0:1], v[98:99], v[106:107]
	v_div_fixup_f64 v[0:1], v[0:1], v[96:97], 1.0
	v_cndmask_b32_e64 v1, v1, v97, s0
	v_cndmask_b32_e64 v0, v0, v96, s0
	ds_read2_b64 v[96:99], v102 offset0:1 offset1:2
	ds_read2_b64 v[106:109], v102 offset0:3 offset1:4
	;; [unrolled: 1-line block ×16, first 2 shown]
	v_mul_f64 v[92:93], v[0:1], v[92:93]
	s_waitcnt lgkmcnt(15)
	v_fma_f64 v[88:89], -v[92:93], v[96:97], v[88:89]
	v_fma_f64 v[90:91], -v[92:93], v[98:99], v[90:91]
	s_waitcnt lgkmcnt(14)
	v_fma_f64 v[84:85], -v[92:93], v[106:107], v[84:85]
	v_fma_f64 v[86:87], -v[92:93], v[108:109], v[86:87]
	ds_read2_b64 v[96:99], v102 offset0:33 offset1:34
	ds_read2_b64 v[106:109], v102 offset0:35 offset1:36
	s_waitcnt lgkmcnt(15)
	v_fma_f64 v[82:83], -v[92:93], v[110:111], v[82:83]
	v_fma_f64 v[80:81], -v[92:93], v[112:113], v[80:81]
	s_waitcnt lgkmcnt(14)
	v_fma_f64 v[78:79], -v[92:93], v[114:115], v[78:79]
	v_fma_f64 v[76:77], -v[92:93], v[116:117], v[76:77]
	ds_read2_b64 v[110:113], v102 offset0:37 offset1:38
	ds_read2_b64 v[114:117], v102 offset0:39 offset1:40
	;; [unrolled: 8-line block ×3, first 2 shown]
	s_waitcnt lgkmcnt(15)
	v_fma_f64 v[64:65], -v[92:93], v[126:127], v[64:65]
	v_fma_f64 v[66:67], -v[92:93], v[128:129], v[66:67]
	s_waitcnt lgkmcnt(14)
	v_fma_f64 v[62:63], -v[92:93], v[130:131], v[62:63]
	v_fma_f64 v[60:61], -v[92:93], v[132:133], v[60:61]
	;; [unrolled: 3-line block ×16, first 2 shown]
.LBB88_16:
	s_or_b32 exec_lo, exec_lo, s1
	v_lshl_add_u32 v0, v105, 3, v102
	s_barrier
	buffer_gl0_inv
	v_mov_b32_e32 v96, 1
	ds_write_b64 v0, v[88:89]
	s_waitcnt lgkmcnt(0)
	s_barrier
	buffer_gl0_inv
	ds_read_b64 v[0:1], v102 offset:8
	s_cmp_lt_i32 s7, 3
	s_cbranch_scc1 .LBB88_19
; %bb.17:
	v_add3_u32 v97, v103, 0, 16
	v_mov_b32_e32 v96, 1
	s_mov_b32 s1, 2
.LBB88_18:                              ; =>This Inner Loop Header: Depth=1
	ds_read_b64 v[98:99], v97
	v_add_nc_u32_e32 v97, 8, v97
	s_waitcnt lgkmcnt(0)
	v_cmp_lt_f64_e64 vcc_lo, |v[0:1]|, |v[98:99]|
	v_cndmask_b32_e32 v1, v1, v99, vcc_lo
	v_cndmask_b32_e32 v0, v0, v98, vcc_lo
	v_cndmask_b32_e64 v96, v96, s1, vcc_lo
	s_add_i32 s1, s1, 1
	s_cmp_lg_u32 s7, s1
	s_cbranch_scc1 .LBB88_18
.LBB88_19:
	s_mov_b32 s1, exec_lo
	v_cmpx_ne_u32_e64 v105, v96
	s_xor_b32 s1, exec_lo, s1
	s_cbranch_execz .LBB88_25
; %bb.20:
	s_mov_b32 s2, exec_lo
	v_cmpx_eq_u32_e32 1, v105
	s_cbranch_execz .LBB88_24
; %bb.21:
	v_cmp_ne_u32_e32 vcc_lo, 1, v96
	s_xor_b32 s3, s6, -1
	s_and_b32 s9, s3, vcc_lo
	s_and_saveexec_b32 s3, s9
	s_cbranch_execz .LBB88_23
; %bb.22:
	v_ashrrev_i32_e32 v97, 31, v96
	v_lshlrev_b64 v[97:98], 2, v[96:97]
	v_add_co_u32 v97, vcc_lo, v4, v97
	v_add_co_ci_u32_e64 v98, null, v5, v98, vcc_lo
	s_clause 0x1
	global_load_dword v99, v[97:98], off
	global_load_dword v104, v[4:5], off offset:4
	s_waitcnt vmcnt(1)
	global_store_dword v[4:5], v99, off offset:4
	s_waitcnt vmcnt(0)
	global_store_dword v[97:98], v104, off
.LBB88_23:
	s_or_b32 exec_lo, exec_lo, s3
	v_mov_b32_e32 v104, v96
	v_mov_b32_e32 v105, v96
.LBB88_24:
	s_or_b32 exec_lo, exec_lo, s2
.LBB88_25:
	s_andn2_saveexec_b32 s1, s1
	s_cbranch_execz .LBB88_27
; %bb.26:
	v_mov_b32_e32 v96, v90
	v_mov_b32_e32 v97, v91
	;; [unrolled: 1-line block ×8, first 2 shown]
	ds_write2_b64 v102, v[96:97], v[98:99] offset0:2 offset1:3
	ds_write2_b64 v102, v[105:106], v[107:108] offset0:4 offset1:5
	v_mov_b32_e32 v96, v80
	v_mov_b32_e32 v97, v81
	v_mov_b32_e32 v98, v78
	v_mov_b32_e32 v99, v79
	v_mov_b32_e32 v105, v76
	v_mov_b32_e32 v106, v77
	v_mov_b32_e32 v107, v74
	v_mov_b32_e32 v108, v75
	v_mov_b32_e32 v109, v72
	v_mov_b32_e32 v110, v73
	v_mov_b32_e32 v111, v68
	v_mov_b32_e32 v112, v69
	v_mov_b32_e32 v113, v70
	v_mov_b32_e32 v114, v71
	v_mov_b32_e32 v115, v64
	v_mov_b32_e32 v116, v65
	v_mov_b32_e32 v117, v66
	v_mov_b32_e32 v118, v67
	v_mov_b32_e32 v119, v62
	v_mov_b32_e32 v120, v63
	ds_write2_b64 v102, v[96:97], v[98:99] offset0:6 offset1:7
	ds_write2_b64 v102, v[105:106], v[107:108] offset0:8 offset1:9
	ds_write2_b64 v102, v[109:110], v[111:112] offset0:10 offset1:11
	ds_write2_b64 v102, v[113:114], v[115:116] offset0:12 offset1:13
	ds_write2_b64 v102, v[117:118], v[119:120] offset0:14 offset1:15
	v_mov_b32_e32 v96, v60
	v_mov_b32_e32 v97, v61
	v_mov_b32_e32 v98, v58
	v_mov_b32_e32 v99, v59
	v_mov_b32_e32 v105, v56
	v_mov_b32_e32 v106, v57
	v_mov_b32_e32 v107, v54
	v_mov_b32_e32 v108, v55
	v_mov_b32_e32 v109, v52
	v_mov_b32_e32 v110, v53
	v_mov_b32_e32 v111, v48
	v_mov_b32_e32 v112, v49
	v_mov_b32_e32 v113, v50
	v_mov_b32_e32 v114, v51
	v_mov_b32_e32 v115, v44
	v_mov_b32_e32 v116, v45
	v_mov_b32_e32 v117, v46
	v_mov_b32_e32 v118, v47
	v_mov_b32_e32 v119, v42
	v_mov_b32_e32 v120, v43
	ds_write2_b64 v102, v[96:97], v[98:99] offset0:16 offset1:17
	ds_write2_b64 v102, v[105:106], v[107:108] offset0:18 offset1:19
	ds_write2_b64 v102, v[109:110], v[111:112] offset0:20 offset1:21
	;; [unrolled: 25-line block ×3, first 2 shown]
	ds_write2_b64 v102, v[113:114], v[115:116] offset0:32 offset1:33
	ds_write2_b64 v102, v[117:118], v[119:120] offset0:34 offset1:35
	v_mov_b32_e32 v96, v20
	v_mov_b32_e32 v97, v21
	;; [unrolled: 1-line block ×17, first 2 shown]
	ds_write2_b64 v102, v[96:97], v[98:99] offset0:36 offset1:37
	ds_write2_b64 v102, v[106:107], v[108:109] offset0:38 offset1:39
	;; [unrolled: 1-line block ×4, first 2 shown]
	ds_write_b64 v102, v[94:95] offset:352
.LBB88_27:
	s_or_b32 exec_lo, exec_lo, s1
	s_waitcnt lgkmcnt(0)
	v_cmp_neq_f64_e64 s1, 0, v[0:1]
	s_mov_b32 s2, exec_lo
	s_waitcnt_vscnt null, 0x0
	s_barrier
	buffer_gl0_inv
	v_cmpx_lt_i32_e32 1, v105
	s_cbranch_execz .LBB88_29
; %bb.28:
	v_div_scale_f64 v[96:97], null, v[0:1], v[0:1], 1.0
	v_div_scale_f64 v[108:109], vcc_lo, 1.0, v[0:1], 1.0
	v_rcp_f64_e32 v[98:99], v[96:97]
	v_fma_f64 v[106:107], -v[96:97], v[98:99], 1.0
	v_fma_f64 v[98:99], v[98:99], v[106:107], v[98:99]
	v_fma_f64 v[106:107], -v[96:97], v[98:99], 1.0
	v_fma_f64 v[98:99], v[98:99], v[106:107], v[98:99]
	v_mul_f64 v[106:107], v[108:109], v[98:99]
	v_fma_f64 v[96:97], -v[96:97], v[106:107], v[108:109]
	v_div_fmas_f64 v[96:97], v[96:97], v[98:99], v[106:107]
	v_div_fixup_f64 v[96:97], v[96:97], v[0:1], 1.0
	v_cndmask_b32_e64 v1, v1, v97, s1
	v_cndmask_b32_e64 v0, v0, v96, s1
	v_mul_f64 v[88:89], v[0:1], v[88:89]
	ds_read2_b64 v[96:99], v102 offset0:2 offset1:3
	ds_read2_b64 v[106:109], v102 offset0:4 offset1:5
	ds_read2_b64 v[110:113], v102 offset0:6 offset1:7
	ds_read2_b64 v[114:117], v102 offset0:8 offset1:9
	ds_read2_b64 v[118:121], v102 offset0:10 offset1:11
	ds_read2_b64 v[122:125], v102 offset0:12 offset1:13
	ds_read2_b64 v[126:129], v102 offset0:14 offset1:15
	ds_read2_b64 v[130:133], v102 offset0:16 offset1:17
	ds_read2_b64 v[134:137], v102 offset0:18 offset1:19
	ds_read2_b64 v[138:141], v102 offset0:20 offset1:21
	ds_read2_b64 v[142:145], v102 offset0:22 offset1:23
	ds_read2_b64 v[146:149], v102 offset0:24 offset1:25
	ds_read2_b64 v[150:153], v102 offset0:26 offset1:27
	ds_read2_b64 v[154:157], v102 offset0:28 offset1:29
	ds_read2_b64 v[158:161], v102 offset0:30 offset1:31
	ds_read2_b64 v[162:165], v102 offset0:32 offset1:33
	ds_read2_b64 v[166:169], v102 offset0:34 offset1:35
	ds_read2_b64 v[170:173], v102 offset0:36 offset1:37
	ds_read2_b64 v[174:177], v102 offset0:38 offset1:39
	ds_read2_b64 v[178:181], v102 offset0:40 offset1:41
	ds_read2_b64 v[182:185], v102 offset0:42 offset1:43
	ds_read_b64 v[0:1], v102 offset:352
	s_waitcnt lgkmcnt(21)
	v_fma_f64 v[90:91], -v[88:89], v[96:97], v[90:91]
	v_fma_f64 v[84:85], -v[88:89], v[98:99], v[84:85]
	s_waitcnt lgkmcnt(20)
	v_fma_f64 v[86:87], -v[88:89], v[106:107], v[86:87]
	v_fma_f64 v[82:83], -v[88:89], v[108:109], v[82:83]
	;; [unrolled: 3-line block ×21, first 2 shown]
	s_waitcnt lgkmcnt(0)
	v_fma_f64 v[94:95], -v[88:89], v[0:1], v[94:95]
.LBB88_29:
	s_or_b32 exec_lo, exec_lo, s2
	v_lshl_add_u32 v0, v105, 3, v102
	s_barrier
	buffer_gl0_inv
	v_mov_b32_e32 v96, 2
	ds_write_b64 v0, v[90:91]
	s_waitcnt lgkmcnt(0)
	s_barrier
	buffer_gl0_inv
	ds_read_b64 v[0:1], v102 offset:16
	s_cmp_lt_i32 s7, 4
	s_mov_b32 s2, 3
	s_cbranch_scc1 .LBB88_32
; %bb.30:
	v_add3_u32 v97, v103, 0, 24
	v_mov_b32_e32 v96, 2
.LBB88_31:                              ; =>This Inner Loop Header: Depth=1
	ds_read_b64 v[98:99], v97
	v_add_nc_u32_e32 v97, 8, v97
	s_waitcnt lgkmcnt(0)
	v_cmp_lt_f64_e64 vcc_lo, |v[0:1]|, |v[98:99]|
	v_cndmask_b32_e32 v1, v1, v99, vcc_lo
	v_cndmask_b32_e32 v0, v0, v98, vcc_lo
	v_cndmask_b32_e64 v96, v96, s2, vcc_lo
	s_add_i32 s2, s2, 1
	s_cmp_lg_u32 s7, s2
	s_cbranch_scc1 .LBB88_31
.LBB88_32:
	v_cndmask_b32_e64 v97, 2, 1, s0
	v_cndmask_b32_e64 v98, 0, 1, s0
	s_mov_b32 s0, exec_lo
	v_cndmask_b32_e64 v99, v97, v98, s1
	s_waitcnt lgkmcnt(0)
	v_cmpx_eq_f64_e32 0, v[0:1]
	s_xor_b32 s0, exec_lo, s0
; %bb.33:
	v_cmp_ne_u32_e32 vcc_lo, 0, v99
	v_cndmask_b32_e32 v99, 3, v99, vcc_lo
; %bb.34:
	s_andn2_saveexec_b32 s0, s0
	s_cbranch_execz .LBB88_36
; %bb.35:
	v_div_scale_f64 v[97:98], null, v[0:1], v[0:1], 1.0
	v_rcp_f64_e32 v[106:107], v[97:98]
	v_fma_f64 v[108:109], -v[97:98], v[106:107], 1.0
	v_fma_f64 v[106:107], v[106:107], v[108:109], v[106:107]
	v_fma_f64 v[108:109], -v[97:98], v[106:107], 1.0
	v_fma_f64 v[106:107], v[106:107], v[108:109], v[106:107]
	v_div_scale_f64 v[108:109], vcc_lo, 1.0, v[0:1], 1.0
	v_mul_f64 v[110:111], v[108:109], v[106:107]
	v_fma_f64 v[97:98], -v[97:98], v[110:111], v[108:109]
	v_div_fmas_f64 v[97:98], v[97:98], v[106:107], v[110:111]
	v_div_fixup_f64 v[0:1], v[97:98], v[0:1], 1.0
.LBB88_36:
	s_or_b32 exec_lo, exec_lo, s0
	s_mov_b32 s0, exec_lo
	v_cmpx_ne_u32_e64 v105, v96
	s_xor_b32 s0, exec_lo, s0
	s_cbranch_execz .LBB88_42
; %bb.37:
	s_mov_b32 s1, exec_lo
	v_cmpx_eq_u32_e32 2, v105
	s_cbranch_execz .LBB88_41
; %bb.38:
	v_cmp_ne_u32_e32 vcc_lo, 2, v96
	s_xor_b32 s2, s6, -1
	s_and_b32 s3, s2, vcc_lo
	s_and_saveexec_b32 s2, s3
	s_cbranch_execz .LBB88_40
; %bb.39:
	v_ashrrev_i32_e32 v97, 31, v96
	v_lshlrev_b64 v[97:98], 2, v[96:97]
	v_add_co_u32 v97, vcc_lo, v4, v97
	v_add_co_ci_u32_e64 v98, null, v5, v98, vcc_lo
	s_clause 0x1
	global_load_dword v104, v[97:98], off
	global_load_dword v105, v[4:5], off offset:8
	s_waitcnt vmcnt(1)
	global_store_dword v[4:5], v104, off offset:8
	s_waitcnt vmcnt(0)
	global_store_dword v[97:98], v105, off
.LBB88_40:
	s_or_b32 exec_lo, exec_lo, s2
	v_mov_b32_e32 v104, v96
	v_mov_b32_e32 v105, v96
.LBB88_41:
	s_or_b32 exec_lo, exec_lo, s1
.LBB88_42:
	s_andn2_saveexec_b32 s0, s0
	s_cbranch_execz .LBB88_44
; %bb.43:
	v_mov_b32_e32 v105, 2
	ds_write2_b64 v102, v[84:85], v[86:87] offset0:3 offset1:4
	ds_write2_b64 v102, v[82:83], v[80:81] offset0:5 offset1:6
	;; [unrolled: 1-line block ×21, first 2 shown]
.LBB88_44:
	s_or_b32 exec_lo, exec_lo, s0
	s_mov_b32 s0, exec_lo
	s_waitcnt lgkmcnt(0)
	s_waitcnt_vscnt null, 0x0
	s_barrier
	buffer_gl0_inv
	v_cmpx_lt_i32_e32 2, v105
	s_cbranch_execz .LBB88_46
; %bb.45:
	v_mul_f64 v[90:91], v[0:1], v[90:91]
	ds_read2_b64 v[106:109], v102 offset0:3 offset1:4
	ds_read2_b64 v[110:113], v102 offset0:5 offset1:6
	;; [unrolled: 1-line block ×11, first 2 shown]
	s_waitcnt lgkmcnt(10)
	v_fma_f64 v[84:85], -v[90:91], v[106:107], v[84:85]
	v_fma_f64 v[86:87], -v[90:91], v[108:109], v[86:87]
	s_waitcnt lgkmcnt(9)
	v_fma_f64 v[82:83], -v[90:91], v[110:111], v[82:83]
	v_fma_f64 v[80:81], -v[90:91], v[112:113], v[80:81]
	;; [unrolled: 3-line block ×6, first 2 shown]
	ds_read2_b64 v[106:109], v102 offset0:25 offset1:26
	ds_read2_b64 v[110:113], v102 offset0:27 offset1:28
	s_waitcnt lgkmcnt(6)
	v_fma_f64 v[62:63], -v[90:91], v[130:131], v[62:63]
	v_fma_f64 v[60:61], -v[90:91], v[132:133], v[60:61]
	ds_read2_b64 v[114:117], v102 offset0:29 offset1:30
	ds_read2_b64 v[118:121], v102 offset0:31 offset1:32
	s_waitcnt lgkmcnt(7)
	v_fma_f64 v[58:59], -v[90:91], v[134:135], v[58:59]
	v_fma_f64 v[56:57], -v[90:91], v[136:137], v[56:57]
	;; [unrolled: 5-line block ×5, first 2 shown]
	s_waitcnt lgkmcnt(9)
	v_fma_f64 v[42:43], -v[90:91], v[106:107], v[42:43]
	v_fma_f64 v[40:41], -v[90:91], v[108:109], v[40:41]
	s_waitcnt lgkmcnt(8)
	v_fma_f64 v[38:39], -v[90:91], v[110:111], v[38:39]
	v_fma_f64 v[36:37], -v[90:91], v[112:113], v[36:37]
	;; [unrolled: 3-line block ×10, first 2 shown]
.LBB88_46:
	s_or_b32 exec_lo, exec_lo, s0
	v_lshl_add_u32 v0, v105, 3, v102
	s_barrier
	buffer_gl0_inv
	v_mov_b32_e32 v96, 3
	ds_write_b64 v0, v[84:85]
	s_waitcnt lgkmcnt(0)
	s_barrier
	buffer_gl0_inv
	ds_read_b64 v[0:1], v102 offset:24
	s_cmp_lt_i32 s7, 5
	s_cbranch_scc1 .LBB88_49
; %bb.47:
	v_mov_b32_e32 v96, 3
	v_add3_u32 v97, v103, 0, 32
	s_mov_b32 s0, 4
.LBB88_48:                              ; =>This Inner Loop Header: Depth=1
	ds_read_b64 v[106:107], v97
	v_add_nc_u32_e32 v97, 8, v97
	s_waitcnt lgkmcnt(0)
	v_cmp_lt_f64_e64 vcc_lo, |v[0:1]|, |v[106:107]|
	v_cndmask_b32_e32 v1, v1, v107, vcc_lo
	v_cndmask_b32_e32 v0, v0, v106, vcc_lo
	v_cndmask_b32_e64 v96, v96, s0, vcc_lo
	s_add_i32 s0, s0, 1
	s_cmp_lg_u32 s7, s0
	s_cbranch_scc1 .LBB88_48
.LBB88_49:
	s_mov_b32 s0, exec_lo
	s_waitcnt lgkmcnt(0)
	v_cmpx_eq_f64_e32 0, v[0:1]
	s_xor_b32 s0, exec_lo, s0
; %bb.50:
	v_cmp_ne_u32_e32 vcc_lo, 0, v99
	v_cndmask_b32_e32 v99, 4, v99, vcc_lo
; %bb.51:
	s_andn2_saveexec_b32 s0, s0
	s_cbranch_execz .LBB88_53
; %bb.52:
	v_div_scale_f64 v[97:98], null, v[0:1], v[0:1], 1.0
	v_rcp_f64_e32 v[106:107], v[97:98]
	v_fma_f64 v[108:109], -v[97:98], v[106:107], 1.0
	v_fma_f64 v[106:107], v[106:107], v[108:109], v[106:107]
	v_fma_f64 v[108:109], -v[97:98], v[106:107], 1.0
	v_fma_f64 v[106:107], v[106:107], v[108:109], v[106:107]
	v_div_scale_f64 v[108:109], vcc_lo, 1.0, v[0:1], 1.0
	v_mul_f64 v[110:111], v[108:109], v[106:107]
	v_fma_f64 v[97:98], -v[97:98], v[110:111], v[108:109]
	v_div_fmas_f64 v[97:98], v[97:98], v[106:107], v[110:111]
	v_div_fixup_f64 v[0:1], v[97:98], v[0:1], 1.0
.LBB88_53:
	s_or_b32 exec_lo, exec_lo, s0
	s_mov_b32 s0, exec_lo
	v_cmpx_ne_u32_e64 v105, v96
	s_xor_b32 s0, exec_lo, s0
	s_cbranch_execz .LBB88_59
; %bb.54:
	s_mov_b32 s1, exec_lo
	v_cmpx_eq_u32_e32 3, v105
	s_cbranch_execz .LBB88_58
; %bb.55:
	v_cmp_ne_u32_e32 vcc_lo, 3, v96
	s_xor_b32 s2, s6, -1
	s_and_b32 s3, s2, vcc_lo
	s_and_saveexec_b32 s2, s3
	s_cbranch_execz .LBB88_57
; %bb.56:
	v_ashrrev_i32_e32 v97, 31, v96
	v_lshlrev_b64 v[97:98], 2, v[96:97]
	v_add_co_u32 v97, vcc_lo, v4, v97
	v_add_co_ci_u32_e64 v98, null, v5, v98, vcc_lo
	s_clause 0x1
	global_load_dword v104, v[97:98], off
	global_load_dword v105, v[4:5], off offset:12
	s_waitcnt vmcnt(1)
	global_store_dword v[4:5], v104, off offset:12
	s_waitcnt vmcnt(0)
	global_store_dword v[97:98], v105, off
.LBB88_57:
	s_or_b32 exec_lo, exec_lo, s2
	v_mov_b32_e32 v104, v96
	v_mov_b32_e32 v105, v96
.LBB88_58:
	s_or_b32 exec_lo, exec_lo, s1
.LBB88_59:
	s_andn2_saveexec_b32 s0, s0
	s_cbranch_execz .LBB88_61
; %bb.60:
	v_mov_b32_e32 v96, v86
	v_mov_b32_e32 v97, v87
	;; [unrolled: 1-line block ×8, first 2 shown]
	ds_write2_b64 v102, v[96:97], v[105:106] offset0:4 offset1:5
	v_mov_b32_e32 v96, v78
	v_mov_b32_e32 v97, v79
	v_mov_b32_e32 v105, v76
	v_mov_b32_e32 v106, v77
	v_mov_b32_e32 v111, v72
	v_mov_b32_e32 v112, v73
	v_mov_b32_e32 v113, v68
	v_mov_b32_e32 v114, v69
	v_mov_b32_e32 v115, v70
	v_mov_b32_e32 v116, v71
	v_mov_b32_e32 v117, v64
	v_mov_b32_e32 v118, v65
	v_mov_b32_e32 v119, v66
	v_mov_b32_e32 v120, v67
	v_mov_b32_e32 v121, v62
	v_mov_b32_e32 v122, v63
	ds_write2_b64 v102, v[107:108], v[96:97] offset0:6 offset1:7
	ds_write2_b64 v102, v[105:106], v[109:110] offset0:8 offset1:9
	ds_write2_b64 v102, v[111:112], v[113:114] offset0:10 offset1:11
	ds_write2_b64 v102, v[115:116], v[117:118] offset0:12 offset1:13
	ds_write2_b64 v102, v[119:120], v[121:122] offset0:14 offset1:15
	v_mov_b32_e32 v96, v60
	v_mov_b32_e32 v97, v61
	v_mov_b32_e32 v105, v58
	v_mov_b32_e32 v106, v59
	v_mov_b32_e32 v107, v56
	v_mov_b32_e32 v108, v57
	v_mov_b32_e32 v109, v54
	v_mov_b32_e32 v110, v55
	v_mov_b32_e32 v111, v52
	v_mov_b32_e32 v112, v53
	v_mov_b32_e32 v113, v48
	v_mov_b32_e32 v114, v49
	v_mov_b32_e32 v115, v50
	v_mov_b32_e32 v116, v51
	v_mov_b32_e32 v117, v44
	v_mov_b32_e32 v118, v45
	v_mov_b32_e32 v119, v46
	v_mov_b32_e32 v120, v47
	v_mov_b32_e32 v121, v42
	v_mov_b32_e32 v122, v43
	ds_write2_b64 v102, v[96:97], v[105:106] offset0:16 offset1:17
	ds_write2_b64 v102, v[107:108], v[109:110] offset0:18 offset1:19
	ds_write2_b64 v102, v[111:112], v[113:114] offset0:20 offset1:21
	ds_write2_b64 v102, v[115:116], v[117:118] offset0:22 offset1:23
	ds_write2_b64 v102, v[119:120], v[121:122] offset0:24 offset1:25
	v_mov_b32_e32 v96, v40
	v_mov_b32_e32 v97, v41
	v_mov_b32_e32 v105, v38
	v_mov_b32_e32 v106, v39
	;; [unrolled: 25-line block ×3, first 2 shown]
	v_mov_b32_e32 v107, v16
	v_mov_b32_e32 v108, v17
	;; [unrolled: 1-line block ×4, first 2 shown]
	ds_write2_b64 v102, v[96:97], v[105:106] offset0:36 offset1:37
	v_mov_b32_e32 v105, 3
	v_mov_b32_e32 v111, v12
	;; [unrolled: 1-line block ×9, first 2 shown]
	ds_write2_b64 v102, v[107:108], v[109:110] offset0:38 offset1:39
	ds_write2_b64 v102, v[111:112], v[113:114] offset0:40 offset1:41
	;; [unrolled: 1-line block ×3, first 2 shown]
	ds_write_b64 v102, v[94:95] offset:352
.LBB88_61:
	s_or_b32 exec_lo, exec_lo, s0
	s_mov_b32 s0, exec_lo
	s_waitcnt lgkmcnt(0)
	s_waitcnt_vscnt null, 0x0
	s_barrier
	buffer_gl0_inv
	v_cmpx_lt_i32_e32 3, v105
	s_cbranch_execz .LBB88_63
; %bb.62:
	v_mul_f64 v[84:85], v[0:1], v[84:85]
	ds_read2_b64 v[106:109], v102 offset0:4 offset1:5
	ds_read2_b64 v[110:113], v102 offset0:6 offset1:7
	;; [unrolled: 1-line block ×11, first 2 shown]
	ds_read_b64 v[0:1], v102 offset:352
	s_waitcnt lgkmcnt(11)
	v_fma_f64 v[86:87], -v[84:85], v[106:107], v[86:87]
	v_fma_f64 v[82:83], -v[84:85], v[108:109], v[82:83]
	s_waitcnt lgkmcnt(10)
	v_fma_f64 v[80:81], -v[84:85], v[110:111], v[80:81]
	v_fma_f64 v[78:79], -v[84:85], v[112:113], v[78:79]
	;; [unrolled: 3-line block ×6, first 2 shown]
	ds_read2_b64 v[106:109], v102 offset0:26 offset1:27
	ds_read2_b64 v[110:113], v102 offset0:28 offset1:29
	s_waitcnt lgkmcnt(7)
	v_fma_f64 v[60:61], -v[84:85], v[130:131], v[60:61]
	v_fma_f64 v[58:59], -v[84:85], v[132:133], v[58:59]
	ds_read2_b64 v[114:117], v102 offset0:30 offset1:31
	ds_read2_b64 v[118:121], v102 offset0:32 offset1:33
	s_waitcnt lgkmcnt(8)
	v_fma_f64 v[56:57], -v[84:85], v[134:135], v[56:57]
	v_fma_f64 v[54:55], -v[84:85], v[136:137], v[54:55]
	;; [unrolled: 5-line block ×3, first 2 shown]
	ds_read2_b64 v[130:133], v102 offset0:38 offset1:39
	ds_read2_b64 v[134:137], v102 offset0:40 offset1:41
	;; [unrolled: 1-line block ×3, first 2 shown]
	s_waitcnt lgkmcnt(11)
	v_fma_f64 v[50:51], -v[84:85], v[142:143], v[50:51]
	v_fma_f64 v[44:45], -v[84:85], v[144:145], v[44:45]
	s_waitcnt lgkmcnt(10)
	v_fma_f64 v[46:47], -v[84:85], v[146:147], v[46:47]
	v_fma_f64 v[42:43], -v[84:85], v[148:149], v[42:43]
	s_waitcnt lgkmcnt(9)
	v_fma_f64 v[94:95], -v[84:85], v[0:1], v[94:95]
	s_waitcnt lgkmcnt(8)
	v_fma_f64 v[40:41], -v[84:85], v[106:107], v[40:41]
	v_fma_f64 v[38:39], -v[84:85], v[108:109], v[38:39]
	s_waitcnt lgkmcnt(7)
	v_fma_f64 v[36:37], -v[84:85], v[110:111], v[36:37]
	;; [unrolled: 3-line block ×9, first 2 shown]
	v_fma_f64 v[6:7], -v[84:85], v[140:141], v[6:7]
.LBB88_63:
	s_or_b32 exec_lo, exec_lo, s0
	v_lshl_add_u32 v0, v105, 3, v102
	s_barrier
	buffer_gl0_inv
	v_mov_b32_e32 v96, 4
	ds_write_b64 v0, v[86:87]
	s_waitcnt lgkmcnt(0)
	s_barrier
	buffer_gl0_inv
	ds_read_b64 v[0:1], v102 offset:32
	s_cmp_lt_i32 s7, 6
	s_cbranch_scc1 .LBB88_66
; %bb.64:
	v_add3_u32 v97, v103, 0, 40
	v_mov_b32_e32 v96, 4
	s_mov_b32 s0, 5
.LBB88_65:                              ; =>This Inner Loop Header: Depth=1
	ds_read_b64 v[106:107], v97
	v_add_nc_u32_e32 v97, 8, v97
	s_waitcnt lgkmcnt(0)
	v_cmp_lt_f64_e64 vcc_lo, |v[0:1]|, |v[106:107]|
	v_cndmask_b32_e32 v1, v1, v107, vcc_lo
	v_cndmask_b32_e32 v0, v0, v106, vcc_lo
	v_cndmask_b32_e64 v96, v96, s0, vcc_lo
	s_add_i32 s0, s0, 1
	s_cmp_lg_u32 s7, s0
	s_cbranch_scc1 .LBB88_65
.LBB88_66:
	s_mov_b32 s0, exec_lo
	s_waitcnt lgkmcnt(0)
	v_cmpx_eq_f64_e32 0, v[0:1]
	s_xor_b32 s0, exec_lo, s0
; %bb.67:
	v_cmp_ne_u32_e32 vcc_lo, 0, v99
	v_cndmask_b32_e32 v99, 5, v99, vcc_lo
; %bb.68:
	s_andn2_saveexec_b32 s0, s0
	s_cbranch_execz .LBB88_70
; %bb.69:
	v_div_scale_f64 v[97:98], null, v[0:1], v[0:1], 1.0
	v_rcp_f64_e32 v[106:107], v[97:98]
	v_fma_f64 v[108:109], -v[97:98], v[106:107], 1.0
	v_fma_f64 v[106:107], v[106:107], v[108:109], v[106:107]
	v_fma_f64 v[108:109], -v[97:98], v[106:107], 1.0
	v_fma_f64 v[106:107], v[106:107], v[108:109], v[106:107]
	v_div_scale_f64 v[108:109], vcc_lo, 1.0, v[0:1], 1.0
	v_mul_f64 v[110:111], v[108:109], v[106:107]
	v_fma_f64 v[97:98], -v[97:98], v[110:111], v[108:109]
	v_div_fmas_f64 v[97:98], v[97:98], v[106:107], v[110:111]
	v_div_fixup_f64 v[0:1], v[97:98], v[0:1], 1.0
.LBB88_70:
	s_or_b32 exec_lo, exec_lo, s0
	s_mov_b32 s0, exec_lo
	v_cmpx_ne_u32_e64 v105, v96
	s_xor_b32 s0, exec_lo, s0
	s_cbranch_execz .LBB88_76
; %bb.71:
	s_mov_b32 s1, exec_lo
	v_cmpx_eq_u32_e32 4, v105
	s_cbranch_execz .LBB88_75
; %bb.72:
	v_cmp_ne_u32_e32 vcc_lo, 4, v96
	s_xor_b32 s2, s6, -1
	s_and_b32 s3, s2, vcc_lo
	s_and_saveexec_b32 s2, s3
	s_cbranch_execz .LBB88_74
; %bb.73:
	v_ashrrev_i32_e32 v97, 31, v96
	v_lshlrev_b64 v[97:98], 2, v[96:97]
	v_add_co_u32 v97, vcc_lo, v4, v97
	v_add_co_ci_u32_e64 v98, null, v5, v98, vcc_lo
	s_clause 0x1
	global_load_dword v104, v[97:98], off
	global_load_dword v105, v[4:5], off offset:16
	s_waitcnt vmcnt(1)
	global_store_dword v[4:5], v104, off offset:16
	s_waitcnt vmcnt(0)
	global_store_dword v[97:98], v105, off
.LBB88_74:
	s_or_b32 exec_lo, exec_lo, s2
	v_mov_b32_e32 v104, v96
	v_mov_b32_e32 v105, v96
.LBB88_75:
	s_or_b32 exec_lo, exec_lo, s1
.LBB88_76:
	s_andn2_saveexec_b32 s0, s0
	s_cbranch_execz .LBB88_78
; %bb.77:
	v_mov_b32_e32 v105, 4
	ds_write2_b64 v102, v[82:83], v[80:81] offset0:5 offset1:6
	ds_write2_b64 v102, v[78:79], v[76:77] offset0:7 offset1:8
	;; [unrolled: 1-line block ×20, first 2 shown]
.LBB88_78:
	s_or_b32 exec_lo, exec_lo, s0
	s_mov_b32 s0, exec_lo
	s_waitcnt lgkmcnt(0)
	s_waitcnt_vscnt null, 0x0
	s_barrier
	buffer_gl0_inv
	v_cmpx_lt_i32_e32 4, v105
	s_cbranch_execz .LBB88_80
; %bb.79:
	v_mul_f64 v[86:87], v[0:1], v[86:87]
	ds_read2_b64 v[106:109], v102 offset0:5 offset1:6
	ds_read2_b64 v[110:113], v102 offset0:7 offset1:8
	;; [unrolled: 1-line block ×11, first 2 shown]
	s_waitcnt lgkmcnt(10)
	v_fma_f64 v[82:83], -v[86:87], v[106:107], v[82:83]
	v_fma_f64 v[80:81], -v[86:87], v[108:109], v[80:81]
	s_waitcnt lgkmcnt(9)
	v_fma_f64 v[78:79], -v[86:87], v[110:111], v[78:79]
	v_fma_f64 v[76:77], -v[86:87], v[112:113], v[76:77]
	;; [unrolled: 3-line block ×5, first 2 shown]
	s_waitcnt lgkmcnt(5)
	v_fma_f64 v[62:63], -v[86:87], v[126:127], v[62:63]
	ds_read2_b64 v[106:109], v102 offset0:27 offset1:28
	ds_read2_b64 v[110:113], v102 offset0:29 offset1:30
	v_fma_f64 v[60:61], -v[86:87], v[128:129], v[60:61]
	s_waitcnt lgkmcnt(6)
	v_fma_f64 v[58:59], -v[86:87], v[130:131], v[58:59]
	ds_read2_b64 v[114:117], v102 offset0:31 offset1:32
	ds_read2_b64 v[118:121], v102 offset0:33 offset1:34
	v_fma_f64 v[56:57], -v[86:87], v[132:133], v[56:57]
	;; [unrolled: 5-line block ×4, first 2 shown]
	ds_read2_b64 v[138:141], v102 offset0:43 offset1:44
	s_waitcnt lgkmcnt(10)
	v_fma_f64 v[44:45], -v[86:87], v[142:143], v[44:45]
	v_fma_f64 v[46:47], -v[86:87], v[144:145], v[46:47]
	s_waitcnt lgkmcnt(9)
	v_fma_f64 v[42:43], -v[86:87], v[146:147], v[42:43]
	v_fma_f64 v[40:41], -v[86:87], v[148:149], v[40:41]
	;; [unrolled: 3-line block ×11, first 2 shown]
.LBB88_80:
	s_or_b32 exec_lo, exec_lo, s0
	v_lshl_add_u32 v0, v105, 3, v102
	s_barrier
	buffer_gl0_inv
	v_mov_b32_e32 v96, 5
	ds_write_b64 v0, v[82:83]
	s_waitcnt lgkmcnt(0)
	s_barrier
	buffer_gl0_inv
	ds_read_b64 v[0:1], v102 offset:40
	s_cmp_lt_i32 s7, 7
	s_cbranch_scc1 .LBB88_83
; %bb.81:
	v_add3_u32 v97, v103, 0, 48
	v_mov_b32_e32 v96, 5
	s_mov_b32 s0, 6
.LBB88_82:                              ; =>This Inner Loop Header: Depth=1
	ds_read_b64 v[106:107], v97
	v_add_nc_u32_e32 v97, 8, v97
	s_waitcnt lgkmcnt(0)
	v_cmp_lt_f64_e64 vcc_lo, |v[0:1]|, |v[106:107]|
	v_cndmask_b32_e32 v1, v1, v107, vcc_lo
	v_cndmask_b32_e32 v0, v0, v106, vcc_lo
	v_cndmask_b32_e64 v96, v96, s0, vcc_lo
	s_add_i32 s0, s0, 1
	s_cmp_lg_u32 s7, s0
	s_cbranch_scc1 .LBB88_82
.LBB88_83:
	s_mov_b32 s0, exec_lo
	s_waitcnt lgkmcnt(0)
	v_cmpx_eq_f64_e32 0, v[0:1]
	s_xor_b32 s0, exec_lo, s0
; %bb.84:
	v_cmp_ne_u32_e32 vcc_lo, 0, v99
	v_cndmask_b32_e32 v99, 6, v99, vcc_lo
; %bb.85:
	s_andn2_saveexec_b32 s0, s0
	s_cbranch_execz .LBB88_87
; %bb.86:
	v_div_scale_f64 v[97:98], null, v[0:1], v[0:1], 1.0
	v_rcp_f64_e32 v[106:107], v[97:98]
	v_fma_f64 v[108:109], -v[97:98], v[106:107], 1.0
	v_fma_f64 v[106:107], v[106:107], v[108:109], v[106:107]
	v_fma_f64 v[108:109], -v[97:98], v[106:107], 1.0
	v_fma_f64 v[106:107], v[106:107], v[108:109], v[106:107]
	v_div_scale_f64 v[108:109], vcc_lo, 1.0, v[0:1], 1.0
	v_mul_f64 v[110:111], v[108:109], v[106:107]
	v_fma_f64 v[97:98], -v[97:98], v[110:111], v[108:109]
	v_div_fmas_f64 v[97:98], v[97:98], v[106:107], v[110:111]
	v_div_fixup_f64 v[0:1], v[97:98], v[0:1], 1.0
.LBB88_87:
	s_or_b32 exec_lo, exec_lo, s0
	s_mov_b32 s0, exec_lo
	v_cmpx_ne_u32_e64 v105, v96
	s_xor_b32 s0, exec_lo, s0
	s_cbranch_execz .LBB88_93
; %bb.88:
	s_mov_b32 s1, exec_lo
	v_cmpx_eq_u32_e32 5, v105
	s_cbranch_execz .LBB88_92
; %bb.89:
	v_cmp_ne_u32_e32 vcc_lo, 5, v96
	s_xor_b32 s2, s6, -1
	s_and_b32 s3, s2, vcc_lo
	s_and_saveexec_b32 s2, s3
	s_cbranch_execz .LBB88_91
; %bb.90:
	v_ashrrev_i32_e32 v97, 31, v96
	v_lshlrev_b64 v[97:98], 2, v[96:97]
	v_add_co_u32 v97, vcc_lo, v4, v97
	v_add_co_ci_u32_e64 v98, null, v5, v98, vcc_lo
	s_clause 0x1
	global_load_dword v104, v[97:98], off
	global_load_dword v105, v[4:5], off offset:20
	s_waitcnt vmcnt(1)
	global_store_dword v[4:5], v104, off offset:20
	s_waitcnt vmcnt(0)
	global_store_dword v[97:98], v105, off
.LBB88_91:
	s_or_b32 exec_lo, exec_lo, s2
	v_mov_b32_e32 v104, v96
	v_mov_b32_e32 v105, v96
.LBB88_92:
	s_or_b32 exec_lo, exec_lo, s1
.LBB88_93:
	s_andn2_saveexec_b32 s0, s0
	s_cbranch_execz .LBB88_95
; %bb.94:
	v_mov_b32_e32 v96, v80
	v_mov_b32_e32 v97, v81
	v_mov_b32_e32 v105, v78
	v_mov_b32_e32 v106, v79
	v_mov_b32_e32 v107, v76
	v_mov_b32_e32 v108, v77
	v_mov_b32_e32 v109, v74
	v_mov_b32_e32 v110, v75
	v_mov_b32_e32 v111, v72
	v_mov_b32_e32 v112, v73
	v_mov_b32_e32 v113, v68
	v_mov_b32_e32 v114, v69
	v_mov_b32_e32 v115, v70
	v_mov_b32_e32 v116, v71
	v_mov_b32_e32 v117, v64
	v_mov_b32_e32 v118, v65
	v_mov_b32_e32 v119, v66
	v_mov_b32_e32 v120, v67
	v_mov_b32_e32 v121, v62
	v_mov_b32_e32 v122, v63
	ds_write2_b64 v102, v[96:97], v[105:106] offset0:6 offset1:7
	ds_write2_b64 v102, v[107:108], v[109:110] offset0:8 offset1:9
	ds_write2_b64 v102, v[111:112], v[113:114] offset0:10 offset1:11
	ds_write2_b64 v102, v[115:116], v[117:118] offset0:12 offset1:13
	ds_write2_b64 v102, v[119:120], v[121:122] offset0:14 offset1:15
	v_mov_b32_e32 v96, v60
	v_mov_b32_e32 v97, v61
	v_mov_b32_e32 v105, v58
	v_mov_b32_e32 v106, v59
	v_mov_b32_e32 v107, v56
	v_mov_b32_e32 v108, v57
	v_mov_b32_e32 v109, v54
	v_mov_b32_e32 v110, v55
	v_mov_b32_e32 v111, v52
	v_mov_b32_e32 v112, v53
	v_mov_b32_e32 v113, v48
	v_mov_b32_e32 v114, v49
	v_mov_b32_e32 v115, v50
	v_mov_b32_e32 v116, v51
	v_mov_b32_e32 v117, v44
	v_mov_b32_e32 v118, v45
	v_mov_b32_e32 v119, v46
	v_mov_b32_e32 v120, v47
	v_mov_b32_e32 v121, v42
	v_mov_b32_e32 v122, v43
	ds_write2_b64 v102, v[96:97], v[105:106] offset0:16 offset1:17
	ds_write2_b64 v102, v[107:108], v[109:110] offset0:18 offset1:19
	ds_write2_b64 v102, v[111:112], v[113:114] offset0:20 offset1:21
	ds_write2_b64 v102, v[115:116], v[117:118] offset0:22 offset1:23
	ds_write2_b64 v102, v[119:120], v[121:122] offset0:24 offset1:25
	;; [unrolled: 25-line block ×3, first 2 shown]
	v_mov_b32_e32 v96, v20
	v_mov_b32_e32 v97, v21
	;; [unrolled: 1-line block ×8, first 2 shown]
	ds_write2_b64 v102, v[96:97], v[105:106] offset0:36 offset1:37
	v_mov_b32_e32 v105, 5
	v_mov_b32_e32 v111, v12
	;; [unrolled: 1-line block ×9, first 2 shown]
	ds_write2_b64 v102, v[107:108], v[109:110] offset0:38 offset1:39
	ds_write2_b64 v102, v[111:112], v[113:114] offset0:40 offset1:41
	;; [unrolled: 1-line block ×3, first 2 shown]
	ds_write_b64 v102, v[94:95] offset:352
.LBB88_95:
	s_or_b32 exec_lo, exec_lo, s0
	s_mov_b32 s0, exec_lo
	s_waitcnt lgkmcnt(0)
	s_waitcnt_vscnt null, 0x0
	s_barrier
	buffer_gl0_inv
	v_cmpx_lt_i32_e32 5, v105
	s_cbranch_execz .LBB88_97
; %bb.96:
	v_mul_f64 v[82:83], v[0:1], v[82:83]
	ds_read2_b64 v[106:109], v102 offset0:6 offset1:7
	ds_read2_b64 v[110:113], v102 offset0:8 offset1:9
	;; [unrolled: 1-line block ×11, first 2 shown]
	ds_read_b64 v[0:1], v102 offset:352
	s_waitcnt lgkmcnt(11)
	v_fma_f64 v[80:81], -v[82:83], v[106:107], v[80:81]
	v_fma_f64 v[78:79], -v[82:83], v[108:109], v[78:79]
	s_waitcnt lgkmcnt(10)
	v_fma_f64 v[76:77], -v[82:83], v[110:111], v[76:77]
	v_fma_f64 v[74:75], -v[82:83], v[112:113], v[74:75]
	;; [unrolled: 3-line block ×5, first 2 shown]
	s_waitcnt lgkmcnt(6)
	v_fma_f64 v[60:61], -v[82:83], v[126:127], v[60:61]
	ds_read2_b64 v[106:109], v102 offset0:28 offset1:29
	ds_read2_b64 v[110:113], v102 offset0:30 offset1:31
	v_fma_f64 v[58:59], -v[82:83], v[128:129], v[58:59]
	s_waitcnt lgkmcnt(7)
	v_fma_f64 v[56:57], -v[82:83], v[130:131], v[56:57]
	ds_read2_b64 v[114:117], v102 offset0:32 offset1:33
	ds_read2_b64 v[118:121], v102 offset0:34 offset1:35
	v_fma_f64 v[54:55], -v[82:83], v[132:133], v[54:55]
	;; [unrolled: 5-line block ×3, first 2 shown]
	ds_read2_b64 v[130:133], v102 offset0:40 offset1:41
	ds_read2_b64 v[134:137], v102 offset0:42 offset1:43
	s_waitcnt lgkmcnt(11)
	v_fma_f64 v[50:51], -v[82:83], v[138:139], v[50:51]
	v_fma_f64 v[44:45], -v[82:83], v[140:141], v[44:45]
	s_waitcnt lgkmcnt(10)
	v_fma_f64 v[46:47], -v[82:83], v[142:143], v[46:47]
	v_fma_f64 v[42:43], -v[82:83], v[144:145], v[42:43]
	;; [unrolled: 3-line block ×3, first 2 shown]
	s_waitcnt lgkmcnt(8)
	v_fma_f64 v[94:95], -v[82:83], v[0:1], v[94:95]
	s_waitcnt lgkmcnt(7)
	v_fma_f64 v[36:37], -v[82:83], v[106:107], v[36:37]
	v_fma_f64 v[34:35], -v[82:83], v[108:109], v[34:35]
	s_waitcnt lgkmcnt(6)
	v_fma_f64 v[32:33], -v[82:83], v[110:111], v[32:33]
	;; [unrolled: 3-line block ×8, first 2 shown]
	v_fma_f64 v[6:7], -v[82:83], v[136:137], v[6:7]
.LBB88_97:
	s_or_b32 exec_lo, exec_lo, s0
	v_lshl_add_u32 v0, v105, 3, v102
	s_barrier
	buffer_gl0_inv
	v_mov_b32_e32 v96, 6
	ds_write_b64 v0, v[80:81]
	s_waitcnt lgkmcnt(0)
	s_barrier
	buffer_gl0_inv
	ds_read_b64 v[0:1], v102 offset:48
	s_cmp_lt_i32 s7, 8
	s_cbranch_scc1 .LBB88_100
; %bb.98:
	v_add3_u32 v97, v103, 0, 56
	v_mov_b32_e32 v96, 6
	s_mov_b32 s0, 7
.LBB88_99:                              ; =>This Inner Loop Header: Depth=1
	ds_read_b64 v[106:107], v97
	v_add_nc_u32_e32 v97, 8, v97
	s_waitcnt lgkmcnt(0)
	v_cmp_lt_f64_e64 vcc_lo, |v[0:1]|, |v[106:107]|
	v_cndmask_b32_e32 v1, v1, v107, vcc_lo
	v_cndmask_b32_e32 v0, v0, v106, vcc_lo
	v_cndmask_b32_e64 v96, v96, s0, vcc_lo
	s_add_i32 s0, s0, 1
	s_cmp_lg_u32 s7, s0
	s_cbranch_scc1 .LBB88_99
.LBB88_100:
	s_mov_b32 s0, exec_lo
	s_waitcnt lgkmcnt(0)
	v_cmpx_eq_f64_e32 0, v[0:1]
	s_xor_b32 s0, exec_lo, s0
; %bb.101:
	v_cmp_ne_u32_e32 vcc_lo, 0, v99
	v_cndmask_b32_e32 v99, 7, v99, vcc_lo
; %bb.102:
	s_andn2_saveexec_b32 s0, s0
	s_cbranch_execz .LBB88_104
; %bb.103:
	v_div_scale_f64 v[97:98], null, v[0:1], v[0:1], 1.0
	v_rcp_f64_e32 v[106:107], v[97:98]
	v_fma_f64 v[108:109], -v[97:98], v[106:107], 1.0
	v_fma_f64 v[106:107], v[106:107], v[108:109], v[106:107]
	v_fma_f64 v[108:109], -v[97:98], v[106:107], 1.0
	v_fma_f64 v[106:107], v[106:107], v[108:109], v[106:107]
	v_div_scale_f64 v[108:109], vcc_lo, 1.0, v[0:1], 1.0
	v_mul_f64 v[110:111], v[108:109], v[106:107]
	v_fma_f64 v[97:98], -v[97:98], v[110:111], v[108:109]
	v_div_fmas_f64 v[97:98], v[97:98], v[106:107], v[110:111]
	v_div_fixup_f64 v[0:1], v[97:98], v[0:1], 1.0
.LBB88_104:
	s_or_b32 exec_lo, exec_lo, s0
	s_mov_b32 s0, exec_lo
	v_cmpx_ne_u32_e64 v105, v96
	s_xor_b32 s0, exec_lo, s0
	s_cbranch_execz .LBB88_110
; %bb.105:
	s_mov_b32 s1, exec_lo
	v_cmpx_eq_u32_e32 6, v105
	s_cbranch_execz .LBB88_109
; %bb.106:
	v_cmp_ne_u32_e32 vcc_lo, 6, v96
	s_xor_b32 s2, s6, -1
	s_and_b32 s3, s2, vcc_lo
	s_and_saveexec_b32 s2, s3
	s_cbranch_execz .LBB88_108
; %bb.107:
	v_ashrrev_i32_e32 v97, 31, v96
	v_lshlrev_b64 v[97:98], 2, v[96:97]
	v_add_co_u32 v97, vcc_lo, v4, v97
	v_add_co_ci_u32_e64 v98, null, v5, v98, vcc_lo
	s_clause 0x1
	global_load_dword v104, v[97:98], off
	global_load_dword v105, v[4:5], off offset:24
	s_waitcnt vmcnt(1)
	global_store_dword v[4:5], v104, off offset:24
	s_waitcnt vmcnt(0)
	global_store_dword v[97:98], v105, off
.LBB88_108:
	s_or_b32 exec_lo, exec_lo, s2
	v_mov_b32_e32 v104, v96
	v_mov_b32_e32 v105, v96
.LBB88_109:
	s_or_b32 exec_lo, exec_lo, s1
.LBB88_110:
	s_andn2_saveexec_b32 s0, s0
	s_cbranch_execz .LBB88_112
; %bb.111:
	v_mov_b32_e32 v105, 6
	ds_write2_b64 v102, v[78:79], v[76:77] offset0:7 offset1:8
	ds_write2_b64 v102, v[74:75], v[72:73] offset0:9 offset1:10
	;; [unrolled: 1-line block ×19, first 2 shown]
.LBB88_112:
	s_or_b32 exec_lo, exec_lo, s0
	s_mov_b32 s0, exec_lo
	s_waitcnt lgkmcnt(0)
	s_waitcnt_vscnt null, 0x0
	s_barrier
	buffer_gl0_inv
	v_cmpx_lt_i32_e32 6, v105
	s_cbranch_execz .LBB88_114
; %bb.113:
	v_mul_f64 v[80:81], v[0:1], v[80:81]
	ds_read2_b64 v[106:109], v102 offset0:7 offset1:8
	ds_read2_b64 v[110:113], v102 offset0:9 offset1:10
	;; [unrolled: 1-line block ×12, first 2 shown]
	s_waitcnt lgkmcnt(11)
	v_fma_f64 v[78:79], -v[80:81], v[106:107], v[78:79]
	v_fma_f64 v[76:77], -v[80:81], v[108:109], v[76:77]
	s_waitcnt lgkmcnt(10)
	v_fma_f64 v[74:75], -v[80:81], v[110:111], v[74:75]
	v_fma_f64 v[72:73], -v[80:81], v[112:113], v[72:73]
	;; [unrolled: 3-line block ×5, first 2 shown]
	s_waitcnt lgkmcnt(6)
	v_fma_f64 v[58:59], -v[80:81], v[126:127], v[58:59]
	ds_read2_b64 v[106:109], v102 offset0:31 offset1:32
	ds_read2_b64 v[110:113], v102 offset0:33 offset1:34
	v_fma_f64 v[56:57], -v[80:81], v[128:129], v[56:57]
	s_waitcnt lgkmcnt(7)
	v_fma_f64 v[54:55], -v[80:81], v[130:131], v[54:55]
	ds_read2_b64 v[114:117], v102 offset0:35 offset1:36
	ds_read2_b64 v[118:121], v102 offset0:37 offset1:38
	v_fma_f64 v[52:53], -v[80:81], v[132:133], v[52:53]
	ds_read2_b64 v[122:125], v102 offset0:39 offset1:40
	ds_read2_b64 v[126:129], v102 offset0:41 offset1:42
	;; [unrolled: 1-line block ×3, first 2 shown]
	s_waitcnt lgkmcnt(11)
	v_fma_f64 v[48:49], -v[80:81], v[134:135], v[48:49]
	v_fma_f64 v[50:51], -v[80:81], v[136:137], v[50:51]
	s_waitcnt lgkmcnt(10)
	v_fma_f64 v[44:45], -v[80:81], v[138:139], v[44:45]
	v_fma_f64 v[46:47], -v[80:81], v[140:141], v[46:47]
	;; [unrolled: 3-line block ×12, first 2 shown]
.LBB88_114:
	s_or_b32 exec_lo, exec_lo, s0
	v_lshl_add_u32 v0, v105, 3, v102
	s_barrier
	buffer_gl0_inv
	v_mov_b32_e32 v96, 7
	ds_write_b64 v0, v[78:79]
	s_waitcnt lgkmcnt(0)
	s_barrier
	buffer_gl0_inv
	ds_read_b64 v[0:1], v102 offset:56
	s_cmp_lt_i32 s7, 9
	s_cbranch_scc1 .LBB88_117
; %bb.115:
	v_add3_u32 v97, v103, 0, 64
	v_mov_b32_e32 v96, 7
	s_mov_b32 s0, 8
.LBB88_116:                             ; =>This Inner Loop Header: Depth=1
	ds_read_b64 v[106:107], v97
	v_add_nc_u32_e32 v97, 8, v97
	s_waitcnt lgkmcnt(0)
	v_cmp_lt_f64_e64 vcc_lo, |v[0:1]|, |v[106:107]|
	v_cndmask_b32_e32 v1, v1, v107, vcc_lo
	v_cndmask_b32_e32 v0, v0, v106, vcc_lo
	v_cndmask_b32_e64 v96, v96, s0, vcc_lo
	s_add_i32 s0, s0, 1
	s_cmp_lg_u32 s7, s0
	s_cbranch_scc1 .LBB88_116
.LBB88_117:
	s_mov_b32 s0, exec_lo
	s_waitcnt lgkmcnt(0)
	v_cmpx_eq_f64_e32 0, v[0:1]
	s_xor_b32 s0, exec_lo, s0
; %bb.118:
	v_cmp_ne_u32_e32 vcc_lo, 0, v99
	v_cndmask_b32_e32 v99, 8, v99, vcc_lo
; %bb.119:
	s_andn2_saveexec_b32 s0, s0
	s_cbranch_execz .LBB88_121
; %bb.120:
	v_div_scale_f64 v[97:98], null, v[0:1], v[0:1], 1.0
	v_rcp_f64_e32 v[106:107], v[97:98]
	v_fma_f64 v[108:109], -v[97:98], v[106:107], 1.0
	v_fma_f64 v[106:107], v[106:107], v[108:109], v[106:107]
	v_fma_f64 v[108:109], -v[97:98], v[106:107], 1.0
	v_fma_f64 v[106:107], v[106:107], v[108:109], v[106:107]
	v_div_scale_f64 v[108:109], vcc_lo, 1.0, v[0:1], 1.0
	v_mul_f64 v[110:111], v[108:109], v[106:107]
	v_fma_f64 v[97:98], -v[97:98], v[110:111], v[108:109]
	v_div_fmas_f64 v[97:98], v[97:98], v[106:107], v[110:111]
	v_div_fixup_f64 v[0:1], v[97:98], v[0:1], 1.0
.LBB88_121:
	s_or_b32 exec_lo, exec_lo, s0
	s_mov_b32 s0, exec_lo
	v_cmpx_ne_u32_e64 v105, v96
	s_xor_b32 s0, exec_lo, s0
	s_cbranch_execz .LBB88_127
; %bb.122:
	s_mov_b32 s1, exec_lo
	v_cmpx_eq_u32_e32 7, v105
	s_cbranch_execz .LBB88_126
; %bb.123:
	v_cmp_ne_u32_e32 vcc_lo, 7, v96
	s_xor_b32 s2, s6, -1
	s_and_b32 s3, s2, vcc_lo
	s_and_saveexec_b32 s2, s3
	s_cbranch_execz .LBB88_125
; %bb.124:
	v_ashrrev_i32_e32 v97, 31, v96
	v_lshlrev_b64 v[97:98], 2, v[96:97]
	v_add_co_u32 v97, vcc_lo, v4, v97
	v_add_co_ci_u32_e64 v98, null, v5, v98, vcc_lo
	s_clause 0x1
	global_load_dword v104, v[97:98], off
	global_load_dword v105, v[4:5], off offset:28
	s_waitcnt vmcnt(1)
	global_store_dword v[4:5], v104, off offset:28
	s_waitcnt vmcnt(0)
	global_store_dword v[97:98], v105, off
.LBB88_125:
	s_or_b32 exec_lo, exec_lo, s2
	v_mov_b32_e32 v104, v96
	v_mov_b32_e32 v105, v96
.LBB88_126:
	s_or_b32 exec_lo, exec_lo, s1
.LBB88_127:
	s_andn2_saveexec_b32 s0, s0
	s_cbranch_execz .LBB88_129
; %bb.128:
	v_mov_b32_e32 v96, v76
	v_mov_b32_e32 v97, v77
	;; [unrolled: 1-line block ×16, first 2 shown]
	ds_write2_b64 v102, v[96:97], v[105:106] offset0:8 offset1:9
	ds_write2_b64 v102, v[107:108], v[109:110] offset0:10 offset1:11
	;; [unrolled: 1-line block ×4, first 2 shown]
	v_mov_b32_e32 v96, v60
	v_mov_b32_e32 v97, v61
	;; [unrolled: 1-line block ×20, first 2 shown]
	ds_write2_b64 v102, v[96:97], v[105:106] offset0:16 offset1:17
	ds_write2_b64 v102, v[107:108], v[109:110] offset0:18 offset1:19
	;; [unrolled: 1-line block ×5, first 2 shown]
	v_mov_b32_e32 v96, v40
	v_mov_b32_e32 v97, v41
	;; [unrolled: 1-line block ×20, first 2 shown]
	ds_write2_b64 v102, v[96:97], v[105:106] offset0:26 offset1:27
	ds_write2_b64 v102, v[107:108], v[109:110] offset0:28 offset1:29
	;; [unrolled: 1-line block ×5, first 2 shown]
	v_mov_b32_e32 v96, v20
	v_mov_b32_e32 v97, v21
	;; [unrolled: 1-line block ×8, first 2 shown]
	ds_write2_b64 v102, v[96:97], v[105:106] offset0:36 offset1:37
	v_mov_b32_e32 v105, 7
	v_mov_b32_e32 v111, v12
	;; [unrolled: 1-line block ×9, first 2 shown]
	ds_write2_b64 v102, v[107:108], v[109:110] offset0:38 offset1:39
	ds_write2_b64 v102, v[111:112], v[113:114] offset0:40 offset1:41
	;; [unrolled: 1-line block ×3, first 2 shown]
	ds_write_b64 v102, v[94:95] offset:352
.LBB88_129:
	s_or_b32 exec_lo, exec_lo, s0
	s_mov_b32 s0, exec_lo
	s_waitcnt lgkmcnt(0)
	s_waitcnt_vscnt null, 0x0
	s_barrier
	buffer_gl0_inv
	v_cmpx_lt_i32_e32 7, v105
	s_cbranch_execz .LBB88_131
; %bb.130:
	v_mul_f64 v[78:79], v[0:1], v[78:79]
	ds_read2_b64 v[106:109], v102 offset0:8 offset1:9
	ds_read2_b64 v[110:113], v102 offset0:10 offset1:11
	;; [unrolled: 1-line block ×12, first 2 shown]
	ds_read_b64 v[0:1], v102 offset:352
	s_waitcnt lgkmcnt(12)
	v_fma_f64 v[76:77], -v[78:79], v[106:107], v[76:77]
	v_fma_f64 v[74:75], -v[78:79], v[108:109], v[74:75]
	s_waitcnt lgkmcnt(11)
	v_fma_f64 v[72:73], -v[78:79], v[110:111], v[72:73]
	v_fma_f64 v[68:69], -v[78:79], v[112:113], v[68:69]
	;; [unrolled: 3-line block ×5, first 2 shown]
	s_waitcnt lgkmcnt(7)
	v_fma_f64 v[56:57], -v[78:79], v[126:127], v[56:57]
	ds_read2_b64 v[106:109], v102 offset0:32 offset1:33
	ds_read2_b64 v[110:113], v102 offset0:34 offset1:35
	v_fma_f64 v[54:55], -v[78:79], v[128:129], v[54:55]
	ds_read2_b64 v[114:117], v102 offset0:36 offset1:37
	ds_read2_b64 v[118:121], v102 offset0:38 offset1:39
	;; [unrolled: 1-line block ×4, first 2 shown]
	s_waitcnt lgkmcnt(12)
	v_fma_f64 v[52:53], -v[78:79], v[130:131], v[52:53]
	v_fma_f64 v[48:49], -v[78:79], v[132:133], v[48:49]
	s_waitcnt lgkmcnt(11)
	v_fma_f64 v[50:51], -v[78:79], v[134:135], v[50:51]
	v_fma_f64 v[44:45], -v[78:79], v[136:137], v[44:45]
	;; [unrolled: 3-line block ×6, first 2 shown]
	s_waitcnt lgkmcnt(6)
	v_fma_f64 v[94:95], -v[78:79], v[0:1], v[94:95]
	s_waitcnt lgkmcnt(5)
	v_fma_f64 v[30:31], -v[78:79], v[106:107], v[30:31]
	v_fma_f64 v[24:25], -v[78:79], v[108:109], v[24:25]
	s_waitcnt lgkmcnt(4)
	v_fma_f64 v[26:27], -v[78:79], v[110:111], v[26:27]
	v_fma_f64 v[22:23], -v[78:79], v[112:113], v[22:23]
	s_waitcnt lgkmcnt(3)
	v_fma_f64 v[20:21], -v[78:79], v[114:115], v[20:21]
	v_fma_f64 v[18:19], -v[78:79], v[116:117], v[18:19]
	s_waitcnt lgkmcnt(2)
	v_fma_f64 v[16:17], -v[78:79], v[118:119], v[16:17]
	v_fma_f64 v[14:15], -v[78:79], v[120:121], v[14:15]
	s_waitcnt lgkmcnt(1)
	v_fma_f64 v[12:13], -v[78:79], v[122:123], v[12:13]
	v_fma_f64 v[8:9], -v[78:79], v[124:125], v[8:9]
	s_waitcnt lgkmcnt(0)
	v_fma_f64 v[10:11], -v[78:79], v[126:127], v[10:11]
	v_fma_f64 v[6:7], -v[78:79], v[128:129], v[6:7]
.LBB88_131:
	s_or_b32 exec_lo, exec_lo, s0
	v_lshl_add_u32 v0, v105, 3, v102
	s_barrier
	buffer_gl0_inv
	v_mov_b32_e32 v96, 8
	ds_write_b64 v0, v[76:77]
	s_waitcnt lgkmcnt(0)
	s_barrier
	buffer_gl0_inv
	ds_read_b64 v[0:1], v102 offset:64
	s_cmp_lt_i32 s7, 10
	s_cbranch_scc1 .LBB88_134
; %bb.132:
	v_add3_u32 v97, v103, 0, 0x48
	v_mov_b32_e32 v96, 8
	s_mov_b32 s0, 9
.LBB88_133:                             ; =>This Inner Loop Header: Depth=1
	ds_read_b64 v[106:107], v97
	v_add_nc_u32_e32 v97, 8, v97
	s_waitcnt lgkmcnt(0)
	v_cmp_lt_f64_e64 vcc_lo, |v[0:1]|, |v[106:107]|
	v_cndmask_b32_e32 v1, v1, v107, vcc_lo
	v_cndmask_b32_e32 v0, v0, v106, vcc_lo
	v_cndmask_b32_e64 v96, v96, s0, vcc_lo
	s_add_i32 s0, s0, 1
	s_cmp_lg_u32 s7, s0
	s_cbranch_scc1 .LBB88_133
.LBB88_134:
	s_mov_b32 s0, exec_lo
	s_waitcnt lgkmcnt(0)
	v_cmpx_eq_f64_e32 0, v[0:1]
	s_xor_b32 s0, exec_lo, s0
; %bb.135:
	v_cmp_ne_u32_e32 vcc_lo, 0, v99
	v_cndmask_b32_e32 v99, 9, v99, vcc_lo
; %bb.136:
	s_andn2_saveexec_b32 s0, s0
	s_cbranch_execz .LBB88_138
; %bb.137:
	v_div_scale_f64 v[97:98], null, v[0:1], v[0:1], 1.0
	v_rcp_f64_e32 v[106:107], v[97:98]
	v_fma_f64 v[108:109], -v[97:98], v[106:107], 1.0
	v_fma_f64 v[106:107], v[106:107], v[108:109], v[106:107]
	v_fma_f64 v[108:109], -v[97:98], v[106:107], 1.0
	v_fma_f64 v[106:107], v[106:107], v[108:109], v[106:107]
	v_div_scale_f64 v[108:109], vcc_lo, 1.0, v[0:1], 1.0
	v_mul_f64 v[110:111], v[108:109], v[106:107]
	v_fma_f64 v[97:98], -v[97:98], v[110:111], v[108:109]
	v_div_fmas_f64 v[97:98], v[97:98], v[106:107], v[110:111]
	v_div_fixup_f64 v[0:1], v[97:98], v[0:1], 1.0
.LBB88_138:
	s_or_b32 exec_lo, exec_lo, s0
	s_mov_b32 s0, exec_lo
	v_cmpx_ne_u32_e64 v105, v96
	s_xor_b32 s0, exec_lo, s0
	s_cbranch_execz .LBB88_144
; %bb.139:
	s_mov_b32 s1, exec_lo
	v_cmpx_eq_u32_e32 8, v105
	s_cbranch_execz .LBB88_143
; %bb.140:
	v_cmp_ne_u32_e32 vcc_lo, 8, v96
	s_xor_b32 s2, s6, -1
	s_and_b32 s3, s2, vcc_lo
	s_and_saveexec_b32 s2, s3
	s_cbranch_execz .LBB88_142
; %bb.141:
	v_ashrrev_i32_e32 v97, 31, v96
	v_lshlrev_b64 v[97:98], 2, v[96:97]
	v_add_co_u32 v97, vcc_lo, v4, v97
	v_add_co_ci_u32_e64 v98, null, v5, v98, vcc_lo
	s_clause 0x1
	global_load_dword v104, v[97:98], off
	global_load_dword v105, v[4:5], off offset:32
	s_waitcnt vmcnt(1)
	global_store_dword v[4:5], v104, off offset:32
	s_waitcnt vmcnt(0)
	global_store_dword v[97:98], v105, off
.LBB88_142:
	s_or_b32 exec_lo, exec_lo, s2
	v_mov_b32_e32 v104, v96
	v_mov_b32_e32 v105, v96
.LBB88_143:
	s_or_b32 exec_lo, exec_lo, s1
.LBB88_144:
	s_andn2_saveexec_b32 s0, s0
	s_cbranch_execz .LBB88_146
; %bb.145:
	v_mov_b32_e32 v105, 8
	ds_write2_b64 v102, v[74:75], v[72:73] offset0:9 offset1:10
	ds_write2_b64 v102, v[68:69], v[70:71] offset0:11 offset1:12
	;; [unrolled: 1-line block ×18, first 2 shown]
.LBB88_146:
	s_or_b32 exec_lo, exec_lo, s0
	s_mov_b32 s0, exec_lo
	s_waitcnt lgkmcnt(0)
	s_waitcnt_vscnt null, 0x0
	s_barrier
	buffer_gl0_inv
	v_cmpx_lt_i32_e32 8, v105
	s_cbranch_execz .LBB88_148
; %bb.147:
	v_mul_f64 v[76:77], v[0:1], v[76:77]
	ds_read2_b64 v[106:109], v102 offset0:9 offset1:10
	ds_read2_b64 v[110:113], v102 offset0:11 offset1:12
	;; [unrolled: 1-line block ×12, first 2 shown]
	s_waitcnt lgkmcnt(11)
	v_fma_f64 v[74:75], -v[76:77], v[106:107], v[74:75]
	v_fma_f64 v[72:73], -v[76:77], v[108:109], v[72:73]
	s_waitcnt lgkmcnt(10)
	v_fma_f64 v[68:69], -v[76:77], v[110:111], v[68:69]
	v_fma_f64 v[70:71], -v[76:77], v[112:113], v[70:71]
	;; [unrolled: 3-line block ×5, first 2 shown]
	ds_read2_b64 v[106:109], v102 offset0:33 offset1:34
	ds_read2_b64 v[110:113], v102 offset0:35 offset1:36
	s_waitcnt lgkmcnt(8)
	v_fma_f64 v[54:55], -v[76:77], v[126:127], v[54:55]
	v_fma_f64 v[52:53], -v[76:77], v[128:129], v[52:53]
	ds_read2_b64 v[114:117], v102 offset0:37 offset1:38
	ds_read2_b64 v[118:121], v102 offset0:39 offset1:40
	;; [unrolled: 1-line block ×4, first 2 shown]
	s_waitcnt lgkmcnt(11)
	v_fma_f64 v[48:49], -v[76:77], v[130:131], v[48:49]
	v_fma_f64 v[50:51], -v[76:77], v[132:133], v[50:51]
	s_waitcnt lgkmcnt(10)
	v_fma_f64 v[44:45], -v[76:77], v[134:135], v[44:45]
	v_fma_f64 v[46:47], -v[76:77], v[136:137], v[46:47]
	;; [unrolled: 3-line block ×12, first 2 shown]
.LBB88_148:
	s_or_b32 exec_lo, exec_lo, s0
	v_lshl_add_u32 v0, v105, 3, v102
	s_barrier
	buffer_gl0_inv
	v_mov_b32_e32 v96, 9
	ds_write_b64 v0, v[74:75]
	s_waitcnt lgkmcnt(0)
	s_barrier
	buffer_gl0_inv
	ds_read_b64 v[0:1], v102 offset:72
	s_cmp_lt_i32 s7, 11
	s_cbranch_scc1 .LBB88_151
; %bb.149:
	v_add3_u32 v97, v103, 0, 0x50
	v_mov_b32_e32 v96, 9
	s_mov_b32 s0, 10
.LBB88_150:                             ; =>This Inner Loop Header: Depth=1
	ds_read_b64 v[106:107], v97
	v_add_nc_u32_e32 v97, 8, v97
	s_waitcnt lgkmcnt(0)
	v_cmp_lt_f64_e64 vcc_lo, |v[0:1]|, |v[106:107]|
	v_cndmask_b32_e32 v1, v1, v107, vcc_lo
	v_cndmask_b32_e32 v0, v0, v106, vcc_lo
	v_cndmask_b32_e64 v96, v96, s0, vcc_lo
	s_add_i32 s0, s0, 1
	s_cmp_lg_u32 s7, s0
	s_cbranch_scc1 .LBB88_150
.LBB88_151:
	s_mov_b32 s0, exec_lo
	s_waitcnt lgkmcnt(0)
	v_cmpx_eq_f64_e32 0, v[0:1]
	s_xor_b32 s0, exec_lo, s0
; %bb.152:
	v_cmp_ne_u32_e32 vcc_lo, 0, v99
	v_cndmask_b32_e32 v99, 10, v99, vcc_lo
; %bb.153:
	s_andn2_saveexec_b32 s0, s0
	s_cbranch_execz .LBB88_155
; %bb.154:
	v_div_scale_f64 v[97:98], null, v[0:1], v[0:1], 1.0
	v_rcp_f64_e32 v[106:107], v[97:98]
	v_fma_f64 v[108:109], -v[97:98], v[106:107], 1.0
	v_fma_f64 v[106:107], v[106:107], v[108:109], v[106:107]
	v_fma_f64 v[108:109], -v[97:98], v[106:107], 1.0
	v_fma_f64 v[106:107], v[106:107], v[108:109], v[106:107]
	v_div_scale_f64 v[108:109], vcc_lo, 1.0, v[0:1], 1.0
	v_mul_f64 v[110:111], v[108:109], v[106:107]
	v_fma_f64 v[97:98], -v[97:98], v[110:111], v[108:109]
	v_div_fmas_f64 v[97:98], v[97:98], v[106:107], v[110:111]
	v_div_fixup_f64 v[0:1], v[97:98], v[0:1], 1.0
.LBB88_155:
	s_or_b32 exec_lo, exec_lo, s0
	s_mov_b32 s0, exec_lo
	v_cmpx_ne_u32_e64 v105, v96
	s_xor_b32 s0, exec_lo, s0
	s_cbranch_execz .LBB88_161
; %bb.156:
	s_mov_b32 s1, exec_lo
	v_cmpx_eq_u32_e32 9, v105
	s_cbranch_execz .LBB88_160
; %bb.157:
	v_cmp_ne_u32_e32 vcc_lo, 9, v96
	s_xor_b32 s2, s6, -1
	s_and_b32 s3, s2, vcc_lo
	s_and_saveexec_b32 s2, s3
	s_cbranch_execz .LBB88_159
; %bb.158:
	v_ashrrev_i32_e32 v97, 31, v96
	v_lshlrev_b64 v[97:98], 2, v[96:97]
	v_add_co_u32 v97, vcc_lo, v4, v97
	v_add_co_ci_u32_e64 v98, null, v5, v98, vcc_lo
	s_clause 0x1
	global_load_dword v104, v[97:98], off
	global_load_dword v105, v[4:5], off offset:36
	s_waitcnt vmcnt(1)
	global_store_dword v[4:5], v104, off offset:36
	s_waitcnt vmcnt(0)
	global_store_dword v[97:98], v105, off
.LBB88_159:
	s_or_b32 exec_lo, exec_lo, s2
	v_mov_b32_e32 v104, v96
	v_mov_b32_e32 v105, v96
.LBB88_160:
	s_or_b32 exec_lo, exec_lo, s1
.LBB88_161:
	s_andn2_saveexec_b32 s0, s0
	s_cbranch_execz .LBB88_163
; %bb.162:
	v_mov_b32_e32 v96, v72
	v_mov_b32_e32 v97, v73
	;; [unrolled: 1-line block ×12, first 2 shown]
	ds_write2_b64 v102, v[96:97], v[105:106] offset0:10 offset1:11
	ds_write2_b64 v102, v[107:108], v[109:110] offset0:12 offset1:13
	;; [unrolled: 1-line block ×3, first 2 shown]
	v_mov_b32_e32 v96, v60
	v_mov_b32_e32 v97, v61
	;; [unrolled: 1-line block ×20, first 2 shown]
	ds_write2_b64 v102, v[96:97], v[105:106] offset0:16 offset1:17
	ds_write2_b64 v102, v[107:108], v[109:110] offset0:18 offset1:19
	;; [unrolled: 1-line block ×5, first 2 shown]
	v_mov_b32_e32 v96, v40
	v_mov_b32_e32 v97, v41
	;; [unrolled: 1-line block ×20, first 2 shown]
	ds_write2_b64 v102, v[96:97], v[105:106] offset0:26 offset1:27
	ds_write2_b64 v102, v[107:108], v[109:110] offset0:28 offset1:29
	;; [unrolled: 1-line block ×5, first 2 shown]
	v_mov_b32_e32 v96, v20
	v_mov_b32_e32 v97, v21
	;; [unrolled: 1-line block ×8, first 2 shown]
	ds_write2_b64 v102, v[96:97], v[105:106] offset0:36 offset1:37
	v_mov_b32_e32 v105, 9
	v_mov_b32_e32 v111, v12
	;; [unrolled: 1-line block ×9, first 2 shown]
	ds_write2_b64 v102, v[107:108], v[109:110] offset0:38 offset1:39
	ds_write2_b64 v102, v[111:112], v[113:114] offset0:40 offset1:41
	;; [unrolled: 1-line block ×3, first 2 shown]
	ds_write_b64 v102, v[94:95] offset:352
.LBB88_163:
	s_or_b32 exec_lo, exec_lo, s0
	s_mov_b32 s0, exec_lo
	s_waitcnt lgkmcnt(0)
	s_waitcnt_vscnt null, 0x0
	s_barrier
	buffer_gl0_inv
	v_cmpx_lt_i32_e32 9, v105
	s_cbranch_execz .LBB88_165
; %bb.164:
	v_mul_f64 v[74:75], v[0:1], v[74:75]
	ds_read2_b64 v[106:109], v102 offset0:10 offset1:11
	ds_read2_b64 v[110:113], v102 offset0:12 offset1:13
	;; [unrolled: 1-line block ×12, first 2 shown]
	ds_read_b64 v[0:1], v102 offset:352
	s_waitcnt lgkmcnt(12)
	v_fma_f64 v[72:73], -v[74:75], v[106:107], v[72:73]
	v_fma_f64 v[68:69], -v[74:75], v[108:109], v[68:69]
	s_waitcnt lgkmcnt(11)
	v_fma_f64 v[70:71], -v[74:75], v[110:111], v[70:71]
	v_fma_f64 v[64:65], -v[74:75], v[112:113], v[64:65]
	;; [unrolled: 3-line block ×5, first 2 shown]
	ds_read2_b64 v[106:109], v102 offset0:34 offset1:35
	ds_read2_b64 v[110:113], v102 offset0:36 offset1:37
	;; [unrolled: 1-line block ×5, first 2 shown]
	s_waitcnt lgkmcnt(12)
	v_fma_f64 v[52:53], -v[74:75], v[126:127], v[52:53]
	v_fma_f64 v[48:49], -v[74:75], v[128:129], v[48:49]
	s_waitcnt lgkmcnt(11)
	v_fma_f64 v[50:51], -v[74:75], v[130:131], v[50:51]
	v_fma_f64 v[44:45], -v[74:75], v[132:133], v[44:45]
	;; [unrolled: 3-line block ×7, first 2 shown]
	s_waitcnt lgkmcnt(5)
	v_fma_f64 v[94:95], -v[74:75], v[0:1], v[94:95]
	s_waitcnt lgkmcnt(4)
	v_fma_f64 v[26:27], -v[74:75], v[106:107], v[26:27]
	v_fma_f64 v[22:23], -v[74:75], v[108:109], v[22:23]
	s_waitcnt lgkmcnt(3)
	v_fma_f64 v[20:21], -v[74:75], v[110:111], v[20:21]
	;; [unrolled: 3-line block ×5, first 2 shown]
	v_fma_f64 v[6:7], -v[74:75], v[124:125], v[6:7]
.LBB88_165:
	s_or_b32 exec_lo, exec_lo, s0
	v_lshl_add_u32 v0, v105, 3, v102
	s_barrier
	buffer_gl0_inv
	v_mov_b32_e32 v96, 10
	ds_write_b64 v0, v[72:73]
	s_waitcnt lgkmcnt(0)
	s_barrier
	buffer_gl0_inv
	ds_read_b64 v[0:1], v102 offset:80
	s_cmp_lt_i32 s7, 12
	s_cbranch_scc1 .LBB88_168
; %bb.166:
	v_add3_u32 v97, v103, 0, 0x58
	v_mov_b32_e32 v96, 10
	s_mov_b32 s0, 11
.LBB88_167:                             ; =>This Inner Loop Header: Depth=1
	ds_read_b64 v[106:107], v97
	v_add_nc_u32_e32 v97, 8, v97
	s_waitcnt lgkmcnt(0)
	v_cmp_lt_f64_e64 vcc_lo, |v[0:1]|, |v[106:107]|
	v_cndmask_b32_e32 v1, v1, v107, vcc_lo
	v_cndmask_b32_e32 v0, v0, v106, vcc_lo
	v_cndmask_b32_e64 v96, v96, s0, vcc_lo
	s_add_i32 s0, s0, 1
	s_cmp_lg_u32 s7, s0
	s_cbranch_scc1 .LBB88_167
.LBB88_168:
	s_mov_b32 s0, exec_lo
	s_waitcnt lgkmcnt(0)
	v_cmpx_eq_f64_e32 0, v[0:1]
	s_xor_b32 s0, exec_lo, s0
; %bb.169:
	v_cmp_ne_u32_e32 vcc_lo, 0, v99
	v_cndmask_b32_e32 v99, 11, v99, vcc_lo
; %bb.170:
	s_andn2_saveexec_b32 s0, s0
	s_cbranch_execz .LBB88_172
; %bb.171:
	v_div_scale_f64 v[97:98], null, v[0:1], v[0:1], 1.0
	v_rcp_f64_e32 v[106:107], v[97:98]
	v_fma_f64 v[108:109], -v[97:98], v[106:107], 1.0
	v_fma_f64 v[106:107], v[106:107], v[108:109], v[106:107]
	v_fma_f64 v[108:109], -v[97:98], v[106:107], 1.0
	v_fma_f64 v[106:107], v[106:107], v[108:109], v[106:107]
	v_div_scale_f64 v[108:109], vcc_lo, 1.0, v[0:1], 1.0
	v_mul_f64 v[110:111], v[108:109], v[106:107]
	v_fma_f64 v[97:98], -v[97:98], v[110:111], v[108:109]
	v_div_fmas_f64 v[97:98], v[97:98], v[106:107], v[110:111]
	v_div_fixup_f64 v[0:1], v[97:98], v[0:1], 1.0
.LBB88_172:
	s_or_b32 exec_lo, exec_lo, s0
	s_mov_b32 s0, exec_lo
	v_cmpx_ne_u32_e64 v105, v96
	s_xor_b32 s0, exec_lo, s0
	s_cbranch_execz .LBB88_178
; %bb.173:
	s_mov_b32 s1, exec_lo
	v_cmpx_eq_u32_e32 10, v105
	s_cbranch_execz .LBB88_177
; %bb.174:
	v_cmp_ne_u32_e32 vcc_lo, 10, v96
	s_xor_b32 s2, s6, -1
	s_and_b32 s3, s2, vcc_lo
	s_and_saveexec_b32 s2, s3
	s_cbranch_execz .LBB88_176
; %bb.175:
	v_ashrrev_i32_e32 v97, 31, v96
	v_lshlrev_b64 v[97:98], 2, v[96:97]
	v_add_co_u32 v97, vcc_lo, v4, v97
	v_add_co_ci_u32_e64 v98, null, v5, v98, vcc_lo
	s_clause 0x1
	global_load_dword v104, v[97:98], off
	global_load_dword v105, v[4:5], off offset:40
	s_waitcnt vmcnt(1)
	global_store_dword v[4:5], v104, off offset:40
	s_waitcnt vmcnt(0)
	global_store_dword v[97:98], v105, off
.LBB88_176:
	s_or_b32 exec_lo, exec_lo, s2
	v_mov_b32_e32 v104, v96
	v_mov_b32_e32 v105, v96
.LBB88_177:
	s_or_b32 exec_lo, exec_lo, s1
.LBB88_178:
	s_andn2_saveexec_b32 s0, s0
	s_cbranch_execz .LBB88_180
; %bb.179:
	v_mov_b32_e32 v105, 10
	ds_write2_b64 v102, v[68:69], v[70:71] offset0:11 offset1:12
	ds_write2_b64 v102, v[64:65], v[66:67] offset0:13 offset1:14
	ds_write2_b64 v102, v[62:63], v[60:61] offset0:15 offset1:16
	ds_write2_b64 v102, v[58:59], v[56:57] offset0:17 offset1:18
	ds_write2_b64 v102, v[54:55], v[52:53] offset0:19 offset1:20
	ds_write2_b64 v102, v[48:49], v[50:51] offset0:21 offset1:22
	ds_write2_b64 v102, v[44:45], v[46:47] offset0:23 offset1:24
	ds_write2_b64 v102, v[42:43], v[40:41] offset0:25 offset1:26
	ds_write2_b64 v102, v[38:39], v[36:37] offset0:27 offset1:28
	ds_write2_b64 v102, v[34:35], v[32:33] offset0:29 offset1:30
	ds_write2_b64 v102, v[28:29], v[30:31] offset0:31 offset1:32
	ds_write2_b64 v102, v[24:25], v[26:27] offset0:33 offset1:34
	ds_write2_b64 v102, v[22:23], v[20:21] offset0:35 offset1:36
	ds_write2_b64 v102, v[18:19], v[16:17] offset0:37 offset1:38
	ds_write2_b64 v102, v[14:15], v[12:13] offset0:39 offset1:40
	ds_write2_b64 v102, v[8:9], v[10:11] offset0:41 offset1:42
	ds_write2_b64 v102, v[6:7], v[94:95] offset0:43 offset1:44
.LBB88_180:
	s_or_b32 exec_lo, exec_lo, s0
	s_mov_b32 s0, exec_lo
	s_waitcnt lgkmcnt(0)
	s_waitcnt_vscnt null, 0x0
	s_barrier
	buffer_gl0_inv
	v_cmpx_lt_i32_e32 10, v105
	s_cbranch_execz .LBB88_182
; %bb.181:
	v_mul_f64 v[72:73], v[0:1], v[72:73]
	ds_read2_b64 v[106:109], v102 offset0:11 offset1:12
	ds_read2_b64 v[110:113], v102 offset0:13 offset1:14
	;; [unrolled: 1-line block ×13, first 2 shown]
	s_waitcnt lgkmcnt(12)
	v_fma_f64 v[68:69], -v[72:73], v[106:107], v[68:69]
	v_fma_f64 v[70:71], -v[72:73], v[108:109], v[70:71]
	s_waitcnt lgkmcnt(11)
	v_fma_f64 v[64:65], -v[72:73], v[110:111], v[64:65]
	v_fma_f64 v[66:67], -v[72:73], v[112:113], v[66:67]
	;; [unrolled: 3-line block ×4, first 2 shown]
	ds_read2_b64 v[106:109], v102 offset0:37 offset1:38
	ds_read2_b64 v[110:113], v102 offset0:39 offset1:40
	;; [unrolled: 1-line block ×4, first 2 shown]
	s_waitcnt lgkmcnt(12)
	v_fma_f64 v[54:55], -v[72:73], v[122:123], v[54:55]
	v_fma_f64 v[52:53], -v[72:73], v[124:125], v[52:53]
	s_waitcnt lgkmcnt(11)
	v_fma_f64 v[48:49], -v[72:73], v[126:127], v[48:49]
	v_fma_f64 v[50:51], -v[72:73], v[128:129], v[50:51]
	;; [unrolled: 3-line block ×13, first 2 shown]
.LBB88_182:
	s_or_b32 exec_lo, exec_lo, s0
	v_lshl_add_u32 v0, v105, 3, v102
	s_barrier
	buffer_gl0_inv
	v_mov_b32_e32 v96, 11
	ds_write_b64 v0, v[68:69]
	s_waitcnt lgkmcnt(0)
	s_barrier
	buffer_gl0_inv
	ds_read_b64 v[0:1], v102 offset:88
	s_cmp_lt_i32 s7, 13
	s_cbranch_scc1 .LBB88_185
; %bb.183:
	v_add3_u32 v97, v103, 0, 0x60
	v_mov_b32_e32 v96, 11
	s_mov_b32 s0, 12
.LBB88_184:                             ; =>This Inner Loop Header: Depth=1
	ds_read_b64 v[106:107], v97
	v_add_nc_u32_e32 v97, 8, v97
	s_waitcnt lgkmcnt(0)
	v_cmp_lt_f64_e64 vcc_lo, |v[0:1]|, |v[106:107]|
	v_cndmask_b32_e32 v1, v1, v107, vcc_lo
	v_cndmask_b32_e32 v0, v0, v106, vcc_lo
	v_cndmask_b32_e64 v96, v96, s0, vcc_lo
	s_add_i32 s0, s0, 1
	s_cmp_lg_u32 s7, s0
	s_cbranch_scc1 .LBB88_184
.LBB88_185:
	s_mov_b32 s0, exec_lo
	s_waitcnt lgkmcnt(0)
	v_cmpx_eq_f64_e32 0, v[0:1]
	s_xor_b32 s0, exec_lo, s0
; %bb.186:
	v_cmp_ne_u32_e32 vcc_lo, 0, v99
	v_cndmask_b32_e32 v99, 12, v99, vcc_lo
; %bb.187:
	s_andn2_saveexec_b32 s0, s0
	s_cbranch_execz .LBB88_189
; %bb.188:
	v_div_scale_f64 v[97:98], null, v[0:1], v[0:1], 1.0
	v_rcp_f64_e32 v[106:107], v[97:98]
	v_fma_f64 v[108:109], -v[97:98], v[106:107], 1.0
	v_fma_f64 v[106:107], v[106:107], v[108:109], v[106:107]
	v_fma_f64 v[108:109], -v[97:98], v[106:107], 1.0
	v_fma_f64 v[106:107], v[106:107], v[108:109], v[106:107]
	v_div_scale_f64 v[108:109], vcc_lo, 1.0, v[0:1], 1.0
	v_mul_f64 v[110:111], v[108:109], v[106:107]
	v_fma_f64 v[97:98], -v[97:98], v[110:111], v[108:109]
	v_div_fmas_f64 v[97:98], v[97:98], v[106:107], v[110:111]
	v_div_fixup_f64 v[0:1], v[97:98], v[0:1], 1.0
.LBB88_189:
	s_or_b32 exec_lo, exec_lo, s0
	s_mov_b32 s0, exec_lo
	v_cmpx_ne_u32_e64 v105, v96
	s_xor_b32 s0, exec_lo, s0
	s_cbranch_execz .LBB88_195
; %bb.190:
	s_mov_b32 s1, exec_lo
	v_cmpx_eq_u32_e32 11, v105
	s_cbranch_execz .LBB88_194
; %bb.191:
	v_cmp_ne_u32_e32 vcc_lo, 11, v96
	s_xor_b32 s2, s6, -1
	s_and_b32 s3, s2, vcc_lo
	s_and_saveexec_b32 s2, s3
	s_cbranch_execz .LBB88_193
; %bb.192:
	v_ashrrev_i32_e32 v97, 31, v96
	v_lshlrev_b64 v[97:98], 2, v[96:97]
	v_add_co_u32 v97, vcc_lo, v4, v97
	v_add_co_ci_u32_e64 v98, null, v5, v98, vcc_lo
	s_clause 0x1
	global_load_dword v104, v[97:98], off
	global_load_dword v105, v[4:5], off offset:44
	s_waitcnt vmcnt(1)
	global_store_dword v[4:5], v104, off offset:44
	s_waitcnt vmcnt(0)
	global_store_dword v[97:98], v105, off
.LBB88_193:
	s_or_b32 exec_lo, exec_lo, s2
	v_mov_b32_e32 v104, v96
	v_mov_b32_e32 v105, v96
.LBB88_194:
	s_or_b32 exec_lo, exec_lo, s1
.LBB88_195:
	s_andn2_saveexec_b32 s0, s0
	s_cbranch_execz .LBB88_197
; %bb.196:
	v_mov_b32_e32 v96, v70
	v_mov_b32_e32 v97, v71
	;; [unrolled: 1-line block ×8, first 2 shown]
	ds_write2_b64 v102, v[96:97], v[105:106] offset0:12 offset1:13
	ds_write2_b64 v102, v[107:108], v[109:110] offset0:14 offset1:15
	v_mov_b32_e32 v96, v60
	v_mov_b32_e32 v97, v61
	;; [unrolled: 1-line block ×20, first 2 shown]
	ds_write2_b64 v102, v[96:97], v[105:106] offset0:16 offset1:17
	ds_write2_b64 v102, v[107:108], v[109:110] offset0:18 offset1:19
	;; [unrolled: 1-line block ×5, first 2 shown]
	v_mov_b32_e32 v96, v40
	v_mov_b32_e32 v97, v41
	;; [unrolled: 1-line block ×20, first 2 shown]
	ds_write2_b64 v102, v[96:97], v[105:106] offset0:26 offset1:27
	ds_write2_b64 v102, v[107:108], v[109:110] offset0:28 offset1:29
	;; [unrolled: 1-line block ×5, first 2 shown]
	v_mov_b32_e32 v96, v20
	v_mov_b32_e32 v97, v21
	;; [unrolled: 1-line block ×8, first 2 shown]
	ds_write2_b64 v102, v[96:97], v[105:106] offset0:36 offset1:37
	v_mov_b32_e32 v105, 11
	v_mov_b32_e32 v111, v12
	;; [unrolled: 1-line block ×9, first 2 shown]
	ds_write2_b64 v102, v[107:108], v[109:110] offset0:38 offset1:39
	ds_write2_b64 v102, v[111:112], v[113:114] offset0:40 offset1:41
	;; [unrolled: 1-line block ×3, first 2 shown]
	ds_write_b64 v102, v[94:95] offset:352
.LBB88_197:
	s_or_b32 exec_lo, exec_lo, s0
	s_mov_b32 s0, exec_lo
	s_waitcnt lgkmcnt(0)
	s_waitcnt_vscnt null, 0x0
	s_barrier
	buffer_gl0_inv
	v_cmpx_lt_i32_e32 11, v105
	s_cbranch_execz .LBB88_199
; %bb.198:
	v_mul_f64 v[68:69], v[0:1], v[68:69]
	ds_read2_b64 v[106:109], v102 offset0:12 offset1:13
	ds_read2_b64 v[110:113], v102 offset0:14 offset1:15
	;; [unrolled: 1-line block ×13, first 2 shown]
	ds_read_b64 v[0:1], v102 offset:352
	s_waitcnt lgkmcnt(13)
	v_fma_f64 v[70:71], -v[68:69], v[106:107], v[70:71]
	v_fma_f64 v[64:65], -v[68:69], v[108:109], v[64:65]
	s_waitcnt lgkmcnt(12)
	v_fma_f64 v[66:67], -v[68:69], v[110:111], v[66:67]
	v_fma_f64 v[62:63], -v[68:69], v[112:113], v[62:63]
	;; [unrolled: 3-line block ×3, first 2 shown]
	ds_read2_b64 v[106:109], v102 offset0:38 offset1:39
	ds_read2_b64 v[110:113], v102 offset0:40 offset1:41
	;; [unrolled: 1-line block ×3, first 2 shown]
	s_waitcnt lgkmcnt(13)
	v_fma_f64 v[56:57], -v[68:69], v[118:119], v[56:57]
	v_fma_f64 v[54:55], -v[68:69], v[120:121], v[54:55]
	s_waitcnt lgkmcnt(12)
	v_fma_f64 v[52:53], -v[68:69], v[122:123], v[52:53]
	v_fma_f64 v[48:49], -v[68:69], v[124:125], v[48:49]
	;; [unrolled: 3-line block ×13, first 2 shown]
	v_fma_f64 v[94:95], -v[68:69], v[0:1], v[94:95]
.LBB88_199:
	s_or_b32 exec_lo, exec_lo, s0
	v_lshl_add_u32 v0, v105, 3, v102
	s_barrier
	buffer_gl0_inv
	v_mov_b32_e32 v96, 12
	ds_write_b64 v0, v[70:71]
	s_waitcnt lgkmcnt(0)
	s_barrier
	buffer_gl0_inv
	ds_read_b64 v[0:1], v102 offset:96
	s_cmp_lt_i32 s7, 14
	s_cbranch_scc1 .LBB88_202
; %bb.200:
	v_add3_u32 v97, v103, 0, 0x68
	v_mov_b32_e32 v96, 12
	s_mov_b32 s0, 13
.LBB88_201:                             ; =>This Inner Loop Header: Depth=1
	ds_read_b64 v[106:107], v97
	v_add_nc_u32_e32 v97, 8, v97
	s_waitcnt lgkmcnt(0)
	v_cmp_lt_f64_e64 vcc_lo, |v[0:1]|, |v[106:107]|
	v_cndmask_b32_e32 v1, v1, v107, vcc_lo
	v_cndmask_b32_e32 v0, v0, v106, vcc_lo
	v_cndmask_b32_e64 v96, v96, s0, vcc_lo
	s_add_i32 s0, s0, 1
	s_cmp_lg_u32 s7, s0
	s_cbranch_scc1 .LBB88_201
.LBB88_202:
	s_mov_b32 s0, exec_lo
	s_waitcnt lgkmcnt(0)
	v_cmpx_eq_f64_e32 0, v[0:1]
	s_xor_b32 s0, exec_lo, s0
; %bb.203:
	v_cmp_ne_u32_e32 vcc_lo, 0, v99
	v_cndmask_b32_e32 v99, 13, v99, vcc_lo
; %bb.204:
	s_andn2_saveexec_b32 s0, s0
	s_cbranch_execz .LBB88_206
; %bb.205:
	v_div_scale_f64 v[97:98], null, v[0:1], v[0:1], 1.0
	v_rcp_f64_e32 v[106:107], v[97:98]
	v_fma_f64 v[108:109], -v[97:98], v[106:107], 1.0
	v_fma_f64 v[106:107], v[106:107], v[108:109], v[106:107]
	v_fma_f64 v[108:109], -v[97:98], v[106:107], 1.0
	v_fma_f64 v[106:107], v[106:107], v[108:109], v[106:107]
	v_div_scale_f64 v[108:109], vcc_lo, 1.0, v[0:1], 1.0
	v_mul_f64 v[110:111], v[108:109], v[106:107]
	v_fma_f64 v[97:98], -v[97:98], v[110:111], v[108:109]
	v_div_fmas_f64 v[97:98], v[97:98], v[106:107], v[110:111]
	v_div_fixup_f64 v[0:1], v[97:98], v[0:1], 1.0
.LBB88_206:
	s_or_b32 exec_lo, exec_lo, s0
	s_mov_b32 s0, exec_lo
	v_cmpx_ne_u32_e64 v105, v96
	s_xor_b32 s0, exec_lo, s0
	s_cbranch_execz .LBB88_212
; %bb.207:
	s_mov_b32 s1, exec_lo
	v_cmpx_eq_u32_e32 12, v105
	s_cbranch_execz .LBB88_211
; %bb.208:
	v_cmp_ne_u32_e32 vcc_lo, 12, v96
	s_xor_b32 s2, s6, -1
	s_and_b32 s3, s2, vcc_lo
	s_and_saveexec_b32 s2, s3
	s_cbranch_execz .LBB88_210
; %bb.209:
	v_ashrrev_i32_e32 v97, 31, v96
	v_lshlrev_b64 v[97:98], 2, v[96:97]
	v_add_co_u32 v97, vcc_lo, v4, v97
	v_add_co_ci_u32_e64 v98, null, v5, v98, vcc_lo
	s_clause 0x1
	global_load_dword v104, v[97:98], off
	global_load_dword v105, v[4:5], off offset:48
	s_waitcnt vmcnt(1)
	global_store_dword v[4:5], v104, off offset:48
	s_waitcnt vmcnt(0)
	global_store_dword v[97:98], v105, off
.LBB88_210:
	s_or_b32 exec_lo, exec_lo, s2
	v_mov_b32_e32 v104, v96
	v_mov_b32_e32 v105, v96
.LBB88_211:
	s_or_b32 exec_lo, exec_lo, s1
.LBB88_212:
	s_andn2_saveexec_b32 s0, s0
	s_cbranch_execz .LBB88_214
; %bb.213:
	v_mov_b32_e32 v105, 12
	ds_write2_b64 v102, v[64:65], v[66:67] offset0:13 offset1:14
	ds_write2_b64 v102, v[62:63], v[60:61] offset0:15 offset1:16
	;; [unrolled: 1-line block ×16, first 2 shown]
.LBB88_214:
	s_or_b32 exec_lo, exec_lo, s0
	s_mov_b32 s0, exec_lo
	s_waitcnt lgkmcnt(0)
	s_waitcnt_vscnt null, 0x0
	s_barrier
	buffer_gl0_inv
	v_cmpx_lt_i32_e32 12, v105
	s_cbranch_execz .LBB88_216
; %bb.215:
	v_mul_f64 v[70:71], v[0:1], v[70:71]
	ds_read2_b64 v[106:109], v102 offset0:13 offset1:14
	ds_read2_b64 v[110:113], v102 offset0:15 offset1:16
	;; [unrolled: 1-line block ×13, first 2 shown]
	s_waitcnt lgkmcnt(12)
	v_fma_f64 v[64:65], -v[70:71], v[106:107], v[64:65]
	v_fma_f64 v[66:67], -v[70:71], v[108:109], v[66:67]
	s_waitcnt lgkmcnt(11)
	v_fma_f64 v[62:63], -v[70:71], v[110:111], v[62:63]
	v_fma_f64 v[60:61], -v[70:71], v[112:113], v[60:61]
	;; [unrolled: 3-line block ×3, first 2 shown]
	ds_read2_b64 v[106:109], v102 offset0:39 offset1:40
	ds_read2_b64 v[110:113], v102 offset0:41 offset1:42
	ds_read2_b64 v[114:117], v102 offset0:43 offset1:44
	s_waitcnt lgkmcnt(12)
	v_fma_f64 v[54:55], -v[70:71], v[118:119], v[54:55]
	v_fma_f64 v[52:53], -v[70:71], v[120:121], v[52:53]
	s_waitcnt lgkmcnt(11)
	v_fma_f64 v[48:49], -v[70:71], v[122:123], v[48:49]
	v_fma_f64 v[50:51], -v[70:71], v[124:125], v[50:51]
	;; [unrolled: 3-line block ×13, first 2 shown]
.LBB88_216:
	s_or_b32 exec_lo, exec_lo, s0
	v_lshl_add_u32 v0, v105, 3, v102
	s_barrier
	buffer_gl0_inv
	v_mov_b32_e32 v96, 13
	ds_write_b64 v0, v[64:65]
	s_waitcnt lgkmcnt(0)
	s_barrier
	buffer_gl0_inv
	ds_read_b64 v[0:1], v102 offset:104
	s_cmp_lt_i32 s7, 15
	s_cbranch_scc1 .LBB88_219
; %bb.217:
	v_add3_u32 v97, v103, 0, 0x70
	v_mov_b32_e32 v96, 13
	s_mov_b32 s0, 14
.LBB88_218:                             ; =>This Inner Loop Header: Depth=1
	ds_read_b64 v[106:107], v97
	v_add_nc_u32_e32 v97, 8, v97
	s_waitcnt lgkmcnt(0)
	v_cmp_lt_f64_e64 vcc_lo, |v[0:1]|, |v[106:107]|
	v_cndmask_b32_e32 v1, v1, v107, vcc_lo
	v_cndmask_b32_e32 v0, v0, v106, vcc_lo
	v_cndmask_b32_e64 v96, v96, s0, vcc_lo
	s_add_i32 s0, s0, 1
	s_cmp_lg_u32 s7, s0
	s_cbranch_scc1 .LBB88_218
.LBB88_219:
	s_mov_b32 s0, exec_lo
	s_waitcnt lgkmcnt(0)
	v_cmpx_eq_f64_e32 0, v[0:1]
	s_xor_b32 s0, exec_lo, s0
; %bb.220:
	v_cmp_ne_u32_e32 vcc_lo, 0, v99
	v_cndmask_b32_e32 v99, 14, v99, vcc_lo
; %bb.221:
	s_andn2_saveexec_b32 s0, s0
	s_cbranch_execz .LBB88_223
; %bb.222:
	v_div_scale_f64 v[97:98], null, v[0:1], v[0:1], 1.0
	v_rcp_f64_e32 v[106:107], v[97:98]
	v_fma_f64 v[108:109], -v[97:98], v[106:107], 1.0
	v_fma_f64 v[106:107], v[106:107], v[108:109], v[106:107]
	v_fma_f64 v[108:109], -v[97:98], v[106:107], 1.0
	v_fma_f64 v[106:107], v[106:107], v[108:109], v[106:107]
	v_div_scale_f64 v[108:109], vcc_lo, 1.0, v[0:1], 1.0
	v_mul_f64 v[110:111], v[108:109], v[106:107]
	v_fma_f64 v[97:98], -v[97:98], v[110:111], v[108:109]
	v_div_fmas_f64 v[97:98], v[97:98], v[106:107], v[110:111]
	v_div_fixup_f64 v[0:1], v[97:98], v[0:1], 1.0
.LBB88_223:
	s_or_b32 exec_lo, exec_lo, s0
	s_mov_b32 s0, exec_lo
	v_cmpx_ne_u32_e64 v105, v96
	s_xor_b32 s0, exec_lo, s0
	s_cbranch_execz .LBB88_229
; %bb.224:
	s_mov_b32 s1, exec_lo
	v_cmpx_eq_u32_e32 13, v105
	s_cbranch_execz .LBB88_228
; %bb.225:
	v_cmp_ne_u32_e32 vcc_lo, 13, v96
	s_xor_b32 s2, s6, -1
	s_and_b32 s3, s2, vcc_lo
	s_and_saveexec_b32 s2, s3
	s_cbranch_execz .LBB88_227
; %bb.226:
	v_ashrrev_i32_e32 v97, 31, v96
	v_lshlrev_b64 v[97:98], 2, v[96:97]
	v_add_co_u32 v97, vcc_lo, v4, v97
	v_add_co_ci_u32_e64 v98, null, v5, v98, vcc_lo
	s_clause 0x1
	global_load_dword v104, v[97:98], off
	global_load_dword v105, v[4:5], off offset:52
	s_waitcnt vmcnt(1)
	global_store_dword v[4:5], v104, off offset:52
	s_waitcnt vmcnt(0)
	global_store_dword v[97:98], v105, off
.LBB88_227:
	s_or_b32 exec_lo, exec_lo, s2
	v_mov_b32_e32 v104, v96
	v_mov_b32_e32 v105, v96
.LBB88_228:
	s_or_b32 exec_lo, exec_lo, s1
.LBB88_229:
	s_andn2_saveexec_b32 s0, s0
	s_cbranch_execz .LBB88_231
; %bb.230:
	v_mov_b32_e32 v96, v66
	v_mov_b32_e32 v97, v67
	v_mov_b32_e32 v105, v62
	v_mov_b32_e32 v106, v63
	v_mov_b32_e32 v107, v60
	v_mov_b32_e32 v108, v61
	v_mov_b32_e32 v109, v54
	v_mov_b32_e32 v110, v55
	ds_write2_b64 v102, v[96:97], v[105:106] offset0:14 offset1:15
	v_mov_b32_e32 v96, v58
	v_mov_b32_e32 v97, v59
	;; [unrolled: 1-line block ×16, first 2 shown]
	ds_write2_b64 v102, v[107:108], v[96:97] offset0:16 offset1:17
	ds_write2_b64 v102, v[105:106], v[109:110] offset0:18 offset1:19
	;; [unrolled: 1-line block ×5, first 2 shown]
	v_mov_b32_e32 v96, v40
	v_mov_b32_e32 v97, v41
	v_mov_b32_e32 v105, v38
	v_mov_b32_e32 v106, v39
	v_mov_b32_e32 v107, v36
	v_mov_b32_e32 v108, v37
	v_mov_b32_e32 v109, v34
	v_mov_b32_e32 v110, v35
	v_mov_b32_e32 v111, v32
	v_mov_b32_e32 v112, v33
	v_mov_b32_e32 v113, v28
	v_mov_b32_e32 v114, v29
	v_mov_b32_e32 v115, v30
	v_mov_b32_e32 v116, v31
	v_mov_b32_e32 v117, v24
	v_mov_b32_e32 v118, v25
	v_mov_b32_e32 v119, v26
	v_mov_b32_e32 v120, v27
	v_mov_b32_e32 v121, v22
	v_mov_b32_e32 v122, v23
	ds_write2_b64 v102, v[96:97], v[105:106] offset0:26 offset1:27
	ds_write2_b64 v102, v[107:108], v[109:110] offset0:28 offset1:29
	;; [unrolled: 1-line block ×5, first 2 shown]
	v_mov_b32_e32 v96, v20
	v_mov_b32_e32 v97, v21
	;; [unrolled: 1-line block ×8, first 2 shown]
	ds_write2_b64 v102, v[96:97], v[105:106] offset0:36 offset1:37
	v_mov_b32_e32 v105, 13
	v_mov_b32_e32 v111, v12
	;; [unrolled: 1-line block ×9, first 2 shown]
	ds_write2_b64 v102, v[107:108], v[109:110] offset0:38 offset1:39
	ds_write2_b64 v102, v[111:112], v[113:114] offset0:40 offset1:41
	;; [unrolled: 1-line block ×3, first 2 shown]
	ds_write_b64 v102, v[94:95] offset:352
.LBB88_231:
	s_or_b32 exec_lo, exec_lo, s0
	s_mov_b32 s0, exec_lo
	s_waitcnt lgkmcnt(0)
	s_waitcnt_vscnt null, 0x0
	s_barrier
	buffer_gl0_inv
	v_cmpx_lt_i32_e32 13, v105
	s_cbranch_execz .LBB88_233
; %bb.232:
	v_mul_f64 v[64:65], v[0:1], v[64:65]
	ds_read2_b64 v[106:109], v102 offset0:14 offset1:15
	ds_read2_b64 v[110:113], v102 offset0:16 offset1:17
	;; [unrolled: 1-line block ×13, first 2 shown]
	ds_read_b64 v[0:1], v102 offset:352
	s_waitcnt lgkmcnt(13)
	v_fma_f64 v[66:67], -v[64:65], v[106:107], v[66:67]
	v_fma_f64 v[62:63], -v[64:65], v[108:109], v[62:63]
	s_waitcnt lgkmcnt(12)
	v_fma_f64 v[60:61], -v[64:65], v[110:111], v[60:61]
	v_fma_f64 v[58:59], -v[64:65], v[112:113], v[58:59]
	ds_read2_b64 v[106:109], v102 offset0:40 offset1:41
	ds_read2_b64 v[110:113], v102 offset0:42 offset1:43
	s_waitcnt lgkmcnt(13)
	v_fma_f64 v[56:57], -v[64:65], v[114:115], v[56:57]
	v_fma_f64 v[54:55], -v[64:65], v[116:117], v[54:55]
	s_waitcnt lgkmcnt(12)
	v_fma_f64 v[52:53], -v[64:65], v[118:119], v[52:53]
	v_fma_f64 v[48:49], -v[64:65], v[120:121], v[48:49]
	;; [unrolled: 3-line block ×13, first 2 shown]
	v_fma_f64 v[94:95], -v[64:65], v[0:1], v[94:95]
.LBB88_233:
	s_or_b32 exec_lo, exec_lo, s0
	v_lshl_add_u32 v0, v105, 3, v102
	s_barrier
	buffer_gl0_inv
	v_mov_b32_e32 v96, 14
	ds_write_b64 v0, v[66:67]
	s_waitcnt lgkmcnt(0)
	s_barrier
	buffer_gl0_inv
	ds_read_b64 v[0:1], v102 offset:112
	s_cmp_lt_i32 s7, 16
	s_cbranch_scc1 .LBB88_236
; %bb.234:
	v_add3_u32 v97, v103, 0, 0x78
	v_mov_b32_e32 v96, 14
	s_mov_b32 s0, 15
.LBB88_235:                             ; =>This Inner Loop Header: Depth=1
	ds_read_b64 v[106:107], v97
	v_add_nc_u32_e32 v97, 8, v97
	s_waitcnt lgkmcnt(0)
	v_cmp_lt_f64_e64 vcc_lo, |v[0:1]|, |v[106:107]|
	v_cndmask_b32_e32 v1, v1, v107, vcc_lo
	v_cndmask_b32_e32 v0, v0, v106, vcc_lo
	v_cndmask_b32_e64 v96, v96, s0, vcc_lo
	s_add_i32 s0, s0, 1
	s_cmp_lg_u32 s7, s0
	s_cbranch_scc1 .LBB88_235
.LBB88_236:
	s_mov_b32 s0, exec_lo
	s_waitcnt lgkmcnt(0)
	v_cmpx_eq_f64_e32 0, v[0:1]
	s_xor_b32 s0, exec_lo, s0
; %bb.237:
	v_cmp_ne_u32_e32 vcc_lo, 0, v99
	v_cndmask_b32_e32 v99, 15, v99, vcc_lo
; %bb.238:
	s_andn2_saveexec_b32 s0, s0
	s_cbranch_execz .LBB88_240
; %bb.239:
	v_div_scale_f64 v[97:98], null, v[0:1], v[0:1], 1.0
	v_rcp_f64_e32 v[106:107], v[97:98]
	v_fma_f64 v[108:109], -v[97:98], v[106:107], 1.0
	v_fma_f64 v[106:107], v[106:107], v[108:109], v[106:107]
	v_fma_f64 v[108:109], -v[97:98], v[106:107], 1.0
	v_fma_f64 v[106:107], v[106:107], v[108:109], v[106:107]
	v_div_scale_f64 v[108:109], vcc_lo, 1.0, v[0:1], 1.0
	v_mul_f64 v[110:111], v[108:109], v[106:107]
	v_fma_f64 v[97:98], -v[97:98], v[110:111], v[108:109]
	v_div_fmas_f64 v[97:98], v[97:98], v[106:107], v[110:111]
	v_div_fixup_f64 v[0:1], v[97:98], v[0:1], 1.0
.LBB88_240:
	s_or_b32 exec_lo, exec_lo, s0
	s_mov_b32 s0, exec_lo
	v_cmpx_ne_u32_e64 v105, v96
	s_xor_b32 s0, exec_lo, s0
	s_cbranch_execz .LBB88_246
; %bb.241:
	s_mov_b32 s1, exec_lo
	v_cmpx_eq_u32_e32 14, v105
	s_cbranch_execz .LBB88_245
; %bb.242:
	v_cmp_ne_u32_e32 vcc_lo, 14, v96
	s_xor_b32 s2, s6, -1
	s_and_b32 s3, s2, vcc_lo
	s_and_saveexec_b32 s2, s3
	s_cbranch_execz .LBB88_244
; %bb.243:
	v_ashrrev_i32_e32 v97, 31, v96
	v_lshlrev_b64 v[97:98], 2, v[96:97]
	v_add_co_u32 v97, vcc_lo, v4, v97
	v_add_co_ci_u32_e64 v98, null, v5, v98, vcc_lo
	s_clause 0x1
	global_load_dword v104, v[97:98], off
	global_load_dword v105, v[4:5], off offset:56
	s_waitcnt vmcnt(1)
	global_store_dword v[4:5], v104, off offset:56
	s_waitcnt vmcnt(0)
	global_store_dword v[97:98], v105, off
.LBB88_244:
	s_or_b32 exec_lo, exec_lo, s2
	v_mov_b32_e32 v104, v96
	v_mov_b32_e32 v105, v96
.LBB88_245:
	s_or_b32 exec_lo, exec_lo, s1
.LBB88_246:
	s_andn2_saveexec_b32 s0, s0
	s_cbranch_execz .LBB88_248
; %bb.247:
	v_mov_b32_e32 v105, 14
	ds_write2_b64 v102, v[62:63], v[60:61] offset0:15 offset1:16
	ds_write2_b64 v102, v[58:59], v[56:57] offset0:17 offset1:18
	;; [unrolled: 1-line block ×15, first 2 shown]
.LBB88_248:
	s_or_b32 exec_lo, exec_lo, s0
	s_mov_b32 s0, exec_lo
	s_waitcnt lgkmcnt(0)
	s_waitcnt_vscnt null, 0x0
	s_barrier
	buffer_gl0_inv
	v_cmpx_lt_i32_e32 14, v105
	s_cbranch_execz .LBB88_250
; %bb.249:
	v_mul_f64 v[66:67], v[0:1], v[66:67]
	ds_read2_b64 v[106:109], v102 offset0:15 offset1:16
	ds_read2_b64 v[110:113], v102 offset0:17 offset1:18
	;; [unrolled: 1-line block ×14, first 2 shown]
	s_waitcnt lgkmcnt(13)
	v_fma_f64 v[62:63], -v[66:67], v[106:107], v[62:63]
	v_fma_f64 v[60:61], -v[66:67], v[108:109], v[60:61]
	ds_read2_b64 v[106:109], v102 offset0:43 offset1:44
	s_waitcnt lgkmcnt(13)
	v_fma_f64 v[58:59], -v[66:67], v[110:111], v[58:59]
	v_fma_f64 v[56:57], -v[66:67], v[112:113], v[56:57]
	s_waitcnt lgkmcnt(12)
	v_fma_f64 v[54:55], -v[66:67], v[114:115], v[54:55]
	v_fma_f64 v[52:53], -v[66:67], v[116:117], v[52:53]
	;; [unrolled: 3-line block ×14, first 2 shown]
.LBB88_250:
	s_or_b32 exec_lo, exec_lo, s0
	v_lshl_add_u32 v0, v105, 3, v102
	s_barrier
	buffer_gl0_inv
	v_mov_b32_e32 v96, 15
	ds_write_b64 v0, v[62:63]
	s_waitcnt lgkmcnt(0)
	s_barrier
	buffer_gl0_inv
	ds_read_b64 v[0:1], v102 offset:120
	s_cmp_lt_i32 s7, 17
	s_cbranch_scc1 .LBB88_253
; %bb.251:
	v_add3_u32 v97, v103, 0, 0x80
	v_mov_b32_e32 v96, 15
	s_mov_b32 s0, 16
.LBB88_252:                             ; =>This Inner Loop Header: Depth=1
	ds_read_b64 v[106:107], v97
	v_add_nc_u32_e32 v97, 8, v97
	s_waitcnt lgkmcnt(0)
	v_cmp_lt_f64_e64 vcc_lo, |v[0:1]|, |v[106:107]|
	v_cndmask_b32_e32 v1, v1, v107, vcc_lo
	v_cndmask_b32_e32 v0, v0, v106, vcc_lo
	v_cndmask_b32_e64 v96, v96, s0, vcc_lo
	s_add_i32 s0, s0, 1
	s_cmp_lg_u32 s7, s0
	s_cbranch_scc1 .LBB88_252
.LBB88_253:
	s_mov_b32 s0, exec_lo
	s_waitcnt lgkmcnt(0)
	v_cmpx_eq_f64_e32 0, v[0:1]
	s_xor_b32 s0, exec_lo, s0
; %bb.254:
	v_cmp_ne_u32_e32 vcc_lo, 0, v99
	v_cndmask_b32_e32 v99, 16, v99, vcc_lo
; %bb.255:
	s_andn2_saveexec_b32 s0, s0
	s_cbranch_execz .LBB88_257
; %bb.256:
	v_div_scale_f64 v[97:98], null, v[0:1], v[0:1], 1.0
	v_rcp_f64_e32 v[106:107], v[97:98]
	v_fma_f64 v[108:109], -v[97:98], v[106:107], 1.0
	v_fma_f64 v[106:107], v[106:107], v[108:109], v[106:107]
	v_fma_f64 v[108:109], -v[97:98], v[106:107], 1.0
	v_fma_f64 v[106:107], v[106:107], v[108:109], v[106:107]
	v_div_scale_f64 v[108:109], vcc_lo, 1.0, v[0:1], 1.0
	v_mul_f64 v[110:111], v[108:109], v[106:107]
	v_fma_f64 v[97:98], -v[97:98], v[110:111], v[108:109]
	v_div_fmas_f64 v[97:98], v[97:98], v[106:107], v[110:111]
	v_div_fixup_f64 v[0:1], v[97:98], v[0:1], 1.0
.LBB88_257:
	s_or_b32 exec_lo, exec_lo, s0
	s_mov_b32 s0, exec_lo
	v_cmpx_ne_u32_e64 v105, v96
	s_xor_b32 s0, exec_lo, s0
	s_cbranch_execz .LBB88_263
; %bb.258:
	s_mov_b32 s1, exec_lo
	v_cmpx_eq_u32_e32 15, v105
	s_cbranch_execz .LBB88_262
; %bb.259:
	v_cmp_ne_u32_e32 vcc_lo, 15, v96
	s_xor_b32 s2, s6, -1
	s_and_b32 s3, s2, vcc_lo
	s_and_saveexec_b32 s2, s3
	s_cbranch_execz .LBB88_261
; %bb.260:
	v_ashrrev_i32_e32 v97, 31, v96
	v_lshlrev_b64 v[97:98], 2, v[96:97]
	v_add_co_u32 v97, vcc_lo, v4, v97
	v_add_co_ci_u32_e64 v98, null, v5, v98, vcc_lo
	s_clause 0x1
	global_load_dword v104, v[97:98], off
	global_load_dword v105, v[4:5], off offset:60
	s_waitcnt vmcnt(1)
	global_store_dword v[4:5], v104, off offset:60
	s_waitcnt vmcnt(0)
	global_store_dword v[97:98], v105, off
.LBB88_261:
	s_or_b32 exec_lo, exec_lo, s2
	v_mov_b32_e32 v104, v96
	v_mov_b32_e32 v105, v96
.LBB88_262:
	s_or_b32 exec_lo, exec_lo, s1
.LBB88_263:
	s_andn2_saveexec_b32 s0, s0
	s_cbranch_execz .LBB88_265
; %bb.264:
	v_mov_b32_e32 v96, v60
	v_mov_b32_e32 v97, v61
	;; [unrolled: 1-line block ×20, first 2 shown]
	ds_write2_b64 v102, v[96:97], v[105:106] offset0:16 offset1:17
	ds_write2_b64 v102, v[107:108], v[109:110] offset0:18 offset1:19
	ds_write2_b64 v102, v[111:112], v[113:114] offset0:20 offset1:21
	ds_write2_b64 v102, v[115:116], v[117:118] offset0:22 offset1:23
	ds_write2_b64 v102, v[119:120], v[121:122] offset0:24 offset1:25
	v_mov_b32_e32 v96, v40
	v_mov_b32_e32 v97, v41
	;; [unrolled: 1-line block ×20, first 2 shown]
	ds_write2_b64 v102, v[96:97], v[105:106] offset0:26 offset1:27
	ds_write2_b64 v102, v[107:108], v[109:110] offset0:28 offset1:29
	;; [unrolled: 1-line block ×5, first 2 shown]
	v_mov_b32_e32 v96, v20
	v_mov_b32_e32 v97, v21
	;; [unrolled: 1-line block ×8, first 2 shown]
	ds_write2_b64 v102, v[96:97], v[105:106] offset0:36 offset1:37
	v_mov_b32_e32 v105, 15
	v_mov_b32_e32 v111, v12
	;; [unrolled: 1-line block ×9, first 2 shown]
	ds_write2_b64 v102, v[107:108], v[109:110] offset0:38 offset1:39
	ds_write2_b64 v102, v[111:112], v[113:114] offset0:40 offset1:41
	;; [unrolled: 1-line block ×3, first 2 shown]
	ds_write_b64 v102, v[94:95] offset:352
.LBB88_265:
	s_or_b32 exec_lo, exec_lo, s0
	s_mov_b32 s0, exec_lo
	s_waitcnt lgkmcnt(0)
	s_waitcnt_vscnt null, 0x0
	s_barrier
	buffer_gl0_inv
	v_cmpx_lt_i32_e32 15, v105
	s_cbranch_execz .LBB88_267
; %bb.266:
	v_mul_f64 v[62:63], v[0:1], v[62:63]
	ds_read2_b64 v[106:109], v102 offset0:16 offset1:17
	ds_read2_b64 v[110:113], v102 offset0:18 offset1:19
	;; [unrolled: 1-line block ×14, first 2 shown]
	ds_read_b64 v[0:1], v102 offset:352
	s_waitcnt lgkmcnt(14)
	v_fma_f64 v[60:61], -v[62:63], v[106:107], v[60:61]
	v_fma_f64 v[58:59], -v[62:63], v[108:109], v[58:59]
	s_waitcnt lgkmcnt(13)
	v_fma_f64 v[56:57], -v[62:63], v[110:111], v[56:57]
	v_fma_f64 v[54:55], -v[62:63], v[112:113], v[54:55]
	;; [unrolled: 3-line block ×14, first 2 shown]
	s_waitcnt lgkmcnt(0)
	v_fma_f64 v[94:95], -v[62:63], v[0:1], v[94:95]
.LBB88_267:
	s_or_b32 exec_lo, exec_lo, s0
	v_lshl_add_u32 v0, v105, 3, v102
	s_barrier
	buffer_gl0_inv
	v_mov_b32_e32 v96, 16
	ds_write_b64 v0, v[60:61]
	s_waitcnt lgkmcnt(0)
	s_barrier
	buffer_gl0_inv
	ds_read_b64 v[0:1], v102 offset:128
	s_cmp_lt_i32 s7, 18
	s_cbranch_scc1 .LBB88_270
; %bb.268:
	v_add3_u32 v97, v103, 0, 0x88
	v_mov_b32_e32 v96, 16
	s_mov_b32 s0, 17
.LBB88_269:                             ; =>This Inner Loop Header: Depth=1
	ds_read_b64 v[106:107], v97
	v_add_nc_u32_e32 v97, 8, v97
	s_waitcnt lgkmcnt(0)
	v_cmp_lt_f64_e64 vcc_lo, |v[0:1]|, |v[106:107]|
	v_cndmask_b32_e32 v1, v1, v107, vcc_lo
	v_cndmask_b32_e32 v0, v0, v106, vcc_lo
	v_cndmask_b32_e64 v96, v96, s0, vcc_lo
	s_add_i32 s0, s0, 1
	s_cmp_lg_u32 s7, s0
	s_cbranch_scc1 .LBB88_269
.LBB88_270:
	s_mov_b32 s0, exec_lo
	s_waitcnt lgkmcnt(0)
	v_cmpx_eq_f64_e32 0, v[0:1]
	s_xor_b32 s0, exec_lo, s0
; %bb.271:
	v_cmp_ne_u32_e32 vcc_lo, 0, v99
	v_cndmask_b32_e32 v99, 17, v99, vcc_lo
; %bb.272:
	s_andn2_saveexec_b32 s0, s0
	s_cbranch_execz .LBB88_274
; %bb.273:
	v_div_scale_f64 v[97:98], null, v[0:1], v[0:1], 1.0
	v_rcp_f64_e32 v[106:107], v[97:98]
	v_fma_f64 v[108:109], -v[97:98], v[106:107], 1.0
	v_fma_f64 v[106:107], v[106:107], v[108:109], v[106:107]
	v_fma_f64 v[108:109], -v[97:98], v[106:107], 1.0
	v_fma_f64 v[106:107], v[106:107], v[108:109], v[106:107]
	v_div_scale_f64 v[108:109], vcc_lo, 1.0, v[0:1], 1.0
	v_mul_f64 v[110:111], v[108:109], v[106:107]
	v_fma_f64 v[97:98], -v[97:98], v[110:111], v[108:109]
	v_div_fmas_f64 v[97:98], v[97:98], v[106:107], v[110:111]
	v_div_fixup_f64 v[0:1], v[97:98], v[0:1], 1.0
.LBB88_274:
	s_or_b32 exec_lo, exec_lo, s0
	s_mov_b32 s0, exec_lo
	v_cmpx_ne_u32_e64 v105, v96
	s_xor_b32 s0, exec_lo, s0
	s_cbranch_execz .LBB88_280
; %bb.275:
	s_mov_b32 s1, exec_lo
	v_cmpx_eq_u32_e32 16, v105
	s_cbranch_execz .LBB88_279
; %bb.276:
	v_cmp_ne_u32_e32 vcc_lo, 16, v96
	s_xor_b32 s2, s6, -1
	s_and_b32 s3, s2, vcc_lo
	s_and_saveexec_b32 s2, s3
	s_cbranch_execz .LBB88_278
; %bb.277:
	v_ashrrev_i32_e32 v97, 31, v96
	v_lshlrev_b64 v[97:98], 2, v[96:97]
	v_add_co_u32 v97, vcc_lo, v4, v97
	v_add_co_ci_u32_e64 v98, null, v5, v98, vcc_lo
	s_clause 0x1
	global_load_dword v104, v[97:98], off
	global_load_dword v105, v[4:5], off offset:64
	s_waitcnt vmcnt(1)
	global_store_dword v[4:5], v104, off offset:64
	s_waitcnt vmcnt(0)
	global_store_dword v[97:98], v105, off
.LBB88_278:
	s_or_b32 exec_lo, exec_lo, s2
	v_mov_b32_e32 v104, v96
	v_mov_b32_e32 v105, v96
.LBB88_279:
	s_or_b32 exec_lo, exec_lo, s1
.LBB88_280:
	s_andn2_saveexec_b32 s0, s0
	s_cbranch_execz .LBB88_282
; %bb.281:
	v_mov_b32_e32 v105, 16
	ds_write2_b64 v102, v[58:59], v[56:57] offset0:17 offset1:18
	ds_write2_b64 v102, v[54:55], v[52:53] offset0:19 offset1:20
	;; [unrolled: 1-line block ×14, first 2 shown]
.LBB88_282:
	s_or_b32 exec_lo, exec_lo, s0
	s_mov_b32 s0, exec_lo
	s_waitcnt lgkmcnt(0)
	s_waitcnt_vscnt null, 0x0
	s_barrier
	buffer_gl0_inv
	v_cmpx_lt_i32_e32 16, v105
	s_cbranch_execz .LBB88_284
; %bb.283:
	v_mul_f64 v[60:61], v[0:1], v[60:61]
	ds_read2_b64 v[106:109], v102 offset0:17 offset1:18
	ds_read2_b64 v[110:113], v102 offset0:19 offset1:20
	;; [unrolled: 1-line block ×14, first 2 shown]
	s_waitcnt lgkmcnt(13)
	v_fma_f64 v[58:59], -v[60:61], v[106:107], v[58:59]
	v_fma_f64 v[56:57], -v[60:61], v[108:109], v[56:57]
	s_waitcnt lgkmcnt(12)
	v_fma_f64 v[54:55], -v[60:61], v[110:111], v[54:55]
	v_fma_f64 v[52:53], -v[60:61], v[112:113], v[52:53]
	;; [unrolled: 3-line block ×14, first 2 shown]
.LBB88_284:
	s_or_b32 exec_lo, exec_lo, s0
	v_lshl_add_u32 v0, v105, 3, v102
	s_barrier
	buffer_gl0_inv
	v_mov_b32_e32 v96, 17
	ds_write_b64 v0, v[58:59]
	s_waitcnt lgkmcnt(0)
	s_barrier
	buffer_gl0_inv
	ds_read_b64 v[0:1], v102 offset:136
	s_cmp_lt_i32 s7, 19
	s_cbranch_scc1 .LBB88_287
; %bb.285:
	v_add3_u32 v97, v103, 0, 0x90
	v_mov_b32_e32 v96, 17
	s_mov_b32 s0, 18
.LBB88_286:                             ; =>This Inner Loop Header: Depth=1
	ds_read_b64 v[106:107], v97
	v_add_nc_u32_e32 v97, 8, v97
	s_waitcnt lgkmcnt(0)
	v_cmp_lt_f64_e64 vcc_lo, |v[0:1]|, |v[106:107]|
	v_cndmask_b32_e32 v1, v1, v107, vcc_lo
	v_cndmask_b32_e32 v0, v0, v106, vcc_lo
	v_cndmask_b32_e64 v96, v96, s0, vcc_lo
	s_add_i32 s0, s0, 1
	s_cmp_lg_u32 s7, s0
	s_cbranch_scc1 .LBB88_286
.LBB88_287:
	s_mov_b32 s0, exec_lo
	s_waitcnt lgkmcnt(0)
	v_cmpx_eq_f64_e32 0, v[0:1]
	s_xor_b32 s0, exec_lo, s0
; %bb.288:
	v_cmp_ne_u32_e32 vcc_lo, 0, v99
	v_cndmask_b32_e32 v99, 18, v99, vcc_lo
; %bb.289:
	s_andn2_saveexec_b32 s0, s0
	s_cbranch_execz .LBB88_291
; %bb.290:
	v_div_scale_f64 v[97:98], null, v[0:1], v[0:1], 1.0
	v_rcp_f64_e32 v[106:107], v[97:98]
	v_fma_f64 v[108:109], -v[97:98], v[106:107], 1.0
	v_fma_f64 v[106:107], v[106:107], v[108:109], v[106:107]
	v_fma_f64 v[108:109], -v[97:98], v[106:107], 1.0
	v_fma_f64 v[106:107], v[106:107], v[108:109], v[106:107]
	v_div_scale_f64 v[108:109], vcc_lo, 1.0, v[0:1], 1.0
	v_mul_f64 v[110:111], v[108:109], v[106:107]
	v_fma_f64 v[97:98], -v[97:98], v[110:111], v[108:109]
	v_div_fmas_f64 v[97:98], v[97:98], v[106:107], v[110:111]
	v_div_fixup_f64 v[0:1], v[97:98], v[0:1], 1.0
.LBB88_291:
	s_or_b32 exec_lo, exec_lo, s0
	s_mov_b32 s0, exec_lo
	v_cmpx_ne_u32_e64 v105, v96
	s_xor_b32 s0, exec_lo, s0
	s_cbranch_execz .LBB88_297
; %bb.292:
	s_mov_b32 s1, exec_lo
	v_cmpx_eq_u32_e32 17, v105
	s_cbranch_execz .LBB88_296
; %bb.293:
	v_cmp_ne_u32_e32 vcc_lo, 17, v96
	s_xor_b32 s2, s6, -1
	s_and_b32 s3, s2, vcc_lo
	s_and_saveexec_b32 s2, s3
	s_cbranch_execz .LBB88_295
; %bb.294:
	v_ashrrev_i32_e32 v97, 31, v96
	v_lshlrev_b64 v[97:98], 2, v[96:97]
	v_add_co_u32 v97, vcc_lo, v4, v97
	v_add_co_ci_u32_e64 v98, null, v5, v98, vcc_lo
	s_clause 0x1
	global_load_dword v104, v[97:98], off
	global_load_dword v105, v[4:5], off offset:68
	s_waitcnt vmcnt(1)
	global_store_dword v[4:5], v104, off offset:68
	s_waitcnt vmcnt(0)
	global_store_dword v[97:98], v105, off
.LBB88_295:
	s_or_b32 exec_lo, exec_lo, s2
	v_mov_b32_e32 v104, v96
	v_mov_b32_e32 v105, v96
.LBB88_296:
	s_or_b32 exec_lo, exec_lo, s1
.LBB88_297:
	s_andn2_saveexec_b32 s0, s0
	s_cbranch_execz .LBB88_299
; %bb.298:
	v_mov_b32_e32 v96, v56
	v_mov_b32_e32 v97, v57
	;; [unrolled: 1-line block ×16, first 2 shown]
	ds_write2_b64 v102, v[96:97], v[105:106] offset0:18 offset1:19
	ds_write2_b64 v102, v[107:108], v[109:110] offset0:20 offset1:21
	;; [unrolled: 1-line block ×4, first 2 shown]
	v_mov_b32_e32 v96, v40
	v_mov_b32_e32 v97, v41
	;; [unrolled: 1-line block ×20, first 2 shown]
	ds_write2_b64 v102, v[96:97], v[105:106] offset0:26 offset1:27
	ds_write2_b64 v102, v[107:108], v[109:110] offset0:28 offset1:29
	;; [unrolled: 1-line block ×5, first 2 shown]
	v_mov_b32_e32 v96, v20
	v_mov_b32_e32 v97, v21
	;; [unrolled: 1-line block ×8, first 2 shown]
	ds_write2_b64 v102, v[96:97], v[105:106] offset0:36 offset1:37
	v_mov_b32_e32 v105, 17
	v_mov_b32_e32 v111, v12
	;; [unrolled: 1-line block ×9, first 2 shown]
	ds_write2_b64 v102, v[107:108], v[109:110] offset0:38 offset1:39
	ds_write2_b64 v102, v[111:112], v[113:114] offset0:40 offset1:41
	;; [unrolled: 1-line block ×3, first 2 shown]
	ds_write_b64 v102, v[94:95] offset:352
.LBB88_299:
	s_or_b32 exec_lo, exec_lo, s0
	s_mov_b32 s0, exec_lo
	s_waitcnt lgkmcnt(0)
	s_waitcnt_vscnt null, 0x0
	s_barrier
	buffer_gl0_inv
	v_cmpx_lt_i32_e32 17, v105
	s_cbranch_execz .LBB88_301
; %bb.300:
	v_mul_f64 v[58:59], v[0:1], v[58:59]
	ds_read2_b64 v[106:109], v102 offset0:18 offset1:19
	ds_read2_b64 v[110:113], v102 offset0:20 offset1:21
	;; [unrolled: 1-line block ×13, first 2 shown]
	ds_read_b64 v[0:1], v102 offset:352
	s_waitcnt lgkmcnt(13)
	v_fma_f64 v[56:57], -v[58:59], v[106:107], v[56:57]
	v_fma_f64 v[54:55], -v[58:59], v[108:109], v[54:55]
	s_waitcnt lgkmcnt(12)
	v_fma_f64 v[52:53], -v[58:59], v[110:111], v[52:53]
	v_fma_f64 v[48:49], -v[58:59], v[112:113], v[48:49]
	;; [unrolled: 3-line block ×13, first 2 shown]
	s_waitcnt lgkmcnt(0)
	v_fma_f64 v[94:95], -v[58:59], v[0:1], v[94:95]
.LBB88_301:
	s_or_b32 exec_lo, exec_lo, s0
	v_lshl_add_u32 v0, v105, 3, v102
	s_barrier
	buffer_gl0_inv
	v_mov_b32_e32 v96, 18
	ds_write_b64 v0, v[56:57]
	s_waitcnt lgkmcnt(0)
	s_barrier
	buffer_gl0_inv
	ds_read_b64 v[0:1], v102 offset:144
	s_cmp_lt_i32 s7, 20
	s_cbranch_scc1 .LBB88_304
; %bb.302:
	v_add3_u32 v97, v103, 0, 0x98
	v_mov_b32_e32 v96, 18
	s_mov_b32 s0, 19
.LBB88_303:                             ; =>This Inner Loop Header: Depth=1
	ds_read_b64 v[106:107], v97
	v_add_nc_u32_e32 v97, 8, v97
	s_waitcnt lgkmcnt(0)
	v_cmp_lt_f64_e64 vcc_lo, |v[0:1]|, |v[106:107]|
	v_cndmask_b32_e32 v1, v1, v107, vcc_lo
	v_cndmask_b32_e32 v0, v0, v106, vcc_lo
	v_cndmask_b32_e64 v96, v96, s0, vcc_lo
	s_add_i32 s0, s0, 1
	s_cmp_lg_u32 s7, s0
	s_cbranch_scc1 .LBB88_303
.LBB88_304:
	s_mov_b32 s0, exec_lo
	s_waitcnt lgkmcnt(0)
	v_cmpx_eq_f64_e32 0, v[0:1]
	s_xor_b32 s0, exec_lo, s0
; %bb.305:
	v_cmp_ne_u32_e32 vcc_lo, 0, v99
	v_cndmask_b32_e32 v99, 19, v99, vcc_lo
; %bb.306:
	s_andn2_saveexec_b32 s0, s0
	s_cbranch_execz .LBB88_308
; %bb.307:
	v_div_scale_f64 v[97:98], null, v[0:1], v[0:1], 1.0
	v_rcp_f64_e32 v[106:107], v[97:98]
	v_fma_f64 v[108:109], -v[97:98], v[106:107], 1.0
	v_fma_f64 v[106:107], v[106:107], v[108:109], v[106:107]
	v_fma_f64 v[108:109], -v[97:98], v[106:107], 1.0
	v_fma_f64 v[106:107], v[106:107], v[108:109], v[106:107]
	v_div_scale_f64 v[108:109], vcc_lo, 1.0, v[0:1], 1.0
	v_mul_f64 v[110:111], v[108:109], v[106:107]
	v_fma_f64 v[97:98], -v[97:98], v[110:111], v[108:109]
	v_div_fmas_f64 v[97:98], v[97:98], v[106:107], v[110:111]
	v_div_fixup_f64 v[0:1], v[97:98], v[0:1], 1.0
.LBB88_308:
	s_or_b32 exec_lo, exec_lo, s0
	s_mov_b32 s0, exec_lo
	v_cmpx_ne_u32_e64 v105, v96
	s_xor_b32 s0, exec_lo, s0
	s_cbranch_execz .LBB88_314
; %bb.309:
	s_mov_b32 s1, exec_lo
	v_cmpx_eq_u32_e32 18, v105
	s_cbranch_execz .LBB88_313
; %bb.310:
	v_cmp_ne_u32_e32 vcc_lo, 18, v96
	s_xor_b32 s2, s6, -1
	s_and_b32 s3, s2, vcc_lo
	s_and_saveexec_b32 s2, s3
	s_cbranch_execz .LBB88_312
; %bb.311:
	v_ashrrev_i32_e32 v97, 31, v96
	v_lshlrev_b64 v[97:98], 2, v[96:97]
	v_add_co_u32 v97, vcc_lo, v4, v97
	v_add_co_ci_u32_e64 v98, null, v5, v98, vcc_lo
	s_clause 0x1
	global_load_dword v104, v[97:98], off
	global_load_dword v105, v[4:5], off offset:72
	s_waitcnt vmcnt(1)
	global_store_dword v[4:5], v104, off offset:72
	s_waitcnt vmcnt(0)
	global_store_dword v[97:98], v105, off
.LBB88_312:
	s_or_b32 exec_lo, exec_lo, s2
	v_mov_b32_e32 v104, v96
	v_mov_b32_e32 v105, v96
.LBB88_313:
	s_or_b32 exec_lo, exec_lo, s1
.LBB88_314:
	s_andn2_saveexec_b32 s0, s0
	s_cbranch_execz .LBB88_316
; %bb.315:
	v_mov_b32_e32 v105, 18
	ds_write2_b64 v102, v[54:55], v[52:53] offset0:19 offset1:20
	ds_write2_b64 v102, v[48:49], v[50:51] offset0:21 offset1:22
	;; [unrolled: 1-line block ×13, first 2 shown]
.LBB88_316:
	s_or_b32 exec_lo, exec_lo, s0
	s_mov_b32 s0, exec_lo
	s_waitcnt lgkmcnt(0)
	s_waitcnt_vscnt null, 0x0
	s_barrier
	buffer_gl0_inv
	v_cmpx_lt_i32_e32 18, v105
	s_cbranch_execz .LBB88_318
; %bb.317:
	v_mul_f64 v[56:57], v[0:1], v[56:57]
	ds_read2_b64 v[106:109], v102 offset0:19 offset1:20
	ds_read2_b64 v[110:113], v102 offset0:21 offset1:22
	;; [unrolled: 1-line block ×13, first 2 shown]
	s_waitcnt lgkmcnt(12)
	v_fma_f64 v[54:55], -v[56:57], v[106:107], v[54:55]
	v_fma_f64 v[52:53], -v[56:57], v[108:109], v[52:53]
	s_waitcnt lgkmcnt(11)
	v_fma_f64 v[48:49], -v[56:57], v[110:111], v[48:49]
	v_fma_f64 v[50:51], -v[56:57], v[112:113], v[50:51]
	;; [unrolled: 3-line block ×13, first 2 shown]
.LBB88_318:
	s_or_b32 exec_lo, exec_lo, s0
	v_lshl_add_u32 v0, v105, 3, v102
	s_barrier
	buffer_gl0_inv
	v_mov_b32_e32 v96, 19
	ds_write_b64 v0, v[54:55]
	s_waitcnt lgkmcnt(0)
	s_barrier
	buffer_gl0_inv
	ds_read_b64 v[0:1], v102 offset:152
	s_cmp_lt_i32 s7, 21
	s_cbranch_scc1 .LBB88_321
; %bb.319:
	v_add3_u32 v97, v103, 0, 0xa0
	v_mov_b32_e32 v96, 19
	s_mov_b32 s0, 20
.LBB88_320:                             ; =>This Inner Loop Header: Depth=1
	ds_read_b64 v[106:107], v97
	v_add_nc_u32_e32 v97, 8, v97
	s_waitcnt lgkmcnt(0)
	v_cmp_lt_f64_e64 vcc_lo, |v[0:1]|, |v[106:107]|
	v_cndmask_b32_e32 v1, v1, v107, vcc_lo
	v_cndmask_b32_e32 v0, v0, v106, vcc_lo
	v_cndmask_b32_e64 v96, v96, s0, vcc_lo
	s_add_i32 s0, s0, 1
	s_cmp_lg_u32 s7, s0
	s_cbranch_scc1 .LBB88_320
.LBB88_321:
	s_mov_b32 s0, exec_lo
	s_waitcnt lgkmcnt(0)
	v_cmpx_eq_f64_e32 0, v[0:1]
	s_xor_b32 s0, exec_lo, s0
; %bb.322:
	v_cmp_ne_u32_e32 vcc_lo, 0, v99
	v_cndmask_b32_e32 v99, 20, v99, vcc_lo
; %bb.323:
	s_andn2_saveexec_b32 s0, s0
	s_cbranch_execz .LBB88_325
; %bb.324:
	v_div_scale_f64 v[97:98], null, v[0:1], v[0:1], 1.0
	v_rcp_f64_e32 v[106:107], v[97:98]
	v_fma_f64 v[108:109], -v[97:98], v[106:107], 1.0
	v_fma_f64 v[106:107], v[106:107], v[108:109], v[106:107]
	v_fma_f64 v[108:109], -v[97:98], v[106:107], 1.0
	v_fma_f64 v[106:107], v[106:107], v[108:109], v[106:107]
	v_div_scale_f64 v[108:109], vcc_lo, 1.0, v[0:1], 1.0
	v_mul_f64 v[110:111], v[108:109], v[106:107]
	v_fma_f64 v[97:98], -v[97:98], v[110:111], v[108:109]
	v_div_fmas_f64 v[97:98], v[97:98], v[106:107], v[110:111]
	v_div_fixup_f64 v[0:1], v[97:98], v[0:1], 1.0
.LBB88_325:
	s_or_b32 exec_lo, exec_lo, s0
	s_mov_b32 s0, exec_lo
	v_cmpx_ne_u32_e64 v105, v96
	s_xor_b32 s0, exec_lo, s0
	s_cbranch_execz .LBB88_331
; %bb.326:
	s_mov_b32 s1, exec_lo
	v_cmpx_eq_u32_e32 19, v105
	s_cbranch_execz .LBB88_330
; %bb.327:
	v_cmp_ne_u32_e32 vcc_lo, 19, v96
	s_xor_b32 s2, s6, -1
	s_and_b32 s3, s2, vcc_lo
	s_and_saveexec_b32 s2, s3
	s_cbranch_execz .LBB88_329
; %bb.328:
	v_ashrrev_i32_e32 v97, 31, v96
	v_lshlrev_b64 v[97:98], 2, v[96:97]
	v_add_co_u32 v97, vcc_lo, v4, v97
	v_add_co_ci_u32_e64 v98, null, v5, v98, vcc_lo
	s_clause 0x1
	global_load_dword v104, v[97:98], off
	global_load_dword v105, v[4:5], off offset:76
	s_waitcnt vmcnt(1)
	global_store_dword v[4:5], v104, off offset:76
	s_waitcnt vmcnt(0)
	global_store_dword v[97:98], v105, off
.LBB88_329:
	s_or_b32 exec_lo, exec_lo, s2
	v_mov_b32_e32 v104, v96
	v_mov_b32_e32 v105, v96
.LBB88_330:
	s_or_b32 exec_lo, exec_lo, s1
.LBB88_331:
	s_andn2_saveexec_b32 s0, s0
	s_cbranch_execz .LBB88_333
; %bb.332:
	v_mov_b32_e32 v96, v52
	v_mov_b32_e32 v97, v53
	;; [unrolled: 1-line block ×12, first 2 shown]
	ds_write2_b64 v102, v[96:97], v[105:106] offset0:20 offset1:21
	ds_write2_b64 v102, v[107:108], v[109:110] offset0:22 offset1:23
	;; [unrolled: 1-line block ×3, first 2 shown]
	v_mov_b32_e32 v96, v40
	v_mov_b32_e32 v97, v41
	;; [unrolled: 1-line block ×20, first 2 shown]
	ds_write2_b64 v102, v[96:97], v[105:106] offset0:26 offset1:27
	ds_write2_b64 v102, v[107:108], v[109:110] offset0:28 offset1:29
	;; [unrolled: 1-line block ×5, first 2 shown]
	v_mov_b32_e32 v96, v20
	v_mov_b32_e32 v97, v21
	;; [unrolled: 1-line block ×8, first 2 shown]
	ds_write2_b64 v102, v[96:97], v[105:106] offset0:36 offset1:37
	v_mov_b32_e32 v105, 19
	v_mov_b32_e32 v111, v12
	;; [unrolled: 1-line block ×9, first 2 shown]
	ds_write2_b64 v102, v[107:108], v[109:110] offset0:38 offset1:39
	ds_write2_b64 v102, v[111:112], v[113:114] offset0:40 offset1:41
	;; [unrolled: 1-line block ×3, first 2 shown]
	ds_write_b64 v102, v[94:95] offset:352
.LBB88_333:
	s_or_b32 exec_lo, exec_lo, s0
	s_mov_b32 s0, exec_lo
	s_waitcnt lgkmcnt(0)
	s_waitcnt_vscnt null, 0x0
	s_barrier
	buffer_gl0_inv
	v_cmpx_lt_i32_e32 19, v105
	s_cbranch_execz .LBB88_335
; %bb.334:
	v_mul_f64 v[54:55], v[0:1], v[54:55]
	ds_read2_b64 v[106:109], v102 offset0:20 offset1:21
	ds_read2_b64 v[110:113], v102 offset0:22 offset1:23
	;; [unrolled: 1-line block ×12, first 2 shown]
	ds_read_b64 v[0:1], v102 offset:352
	s_waitcnt lgkmcnt(12)
	v_fma_f64 v[52:53], -v[54:55], v[106:107], v[52:53]
	v_fma_f64 v[48:49], -v[54:55], v[108:109], v[48:49]
	s_waitcnt lgkmcnt(11)
	v_fma_f64 v[50:51], -v[54:55], v[110:111], v[50:51]
	v_fma_f64 v[44:45], -v[54:55], v[112:113], v[44:45]
	;; [unrolled: 3-line block ×12, first 2 shown]
	s_waitcnt lgkmcnt(0)
	v_fma_f64 v[94:95], -v[54:55], v[0:1], v[94:95]
.LBB88_335:
	s_or_b32 exec_lo, exec_lo, s0
	v_lshl_add_u32 v0, v105, 3, v102
	s_barrier
	buffer_gl0_inv
	v_mov_b32_e32 v96, 20
	ds_write_b64 v0, v[52:53]
	s_waitcnt lgkmcnt(0)
	s_barrier
	buffer_gl0_inv
	ds_read_b64 v[0:1], v102 offset:160
	s_cmp_lt_i32 s7, 22
	s_cbranch_scc1 .LBB88_338
; %bb.336:
	v_add3_u32 v97, v103, 0, 0xa8
	v_mov_b32_e32 v96, 20
	s_mov_b32 s0, 21
.LBB88_337:                             ; =>This Inner Loop Header: Depth=1
	ds_read_b64 v[106:107], v97
	v_add_nc_u32_e32 v97, 8, v97
	s_waitcnt lgkmcnt(0)
	v_cmp_lt_f64_e64 vcc_lo, |v[0:1]|, |v[106:107]|
	v_cndmask_b32_e32 v1, v1, v107, vcc_lo
	v_cndmask_b32_e32 v0, v0, v106, vcc_lo
	v_cndmask_b32_e64 v96, v96, s0, vcc_lo
	s_add_i32 s0, s0, 1
	s_cmp_lg_u32 s7, s0
	s_cbranch_scc1 .LBB88_337
.LBB88_338:
	s_mov_b32 s0, exec_lo
	s_waitcnt lgkmcnt(0)
	v_cmpx_eq_f64_e32 0, v[0:1]
	s_xor_b32 s0, exec_lo, s0
; %bb.339:
	v_cmp_ne_u32_e32 vcc_lo, 0, v99
	v_cndmask_b32_e32 v99, 21, v99, vcc_lo
; %bb.340:
	s_andn2_saveexec_b32 s0, s0
	s_cbranch_execz .LBB88_342
; %bb.341:
	v_div_scale_f64 v[97:98], null, v[0:1], v[0:1], 1.0
	v_rcp_f64_e32 v[106:107], v[97:98]
	v_fma_f64 v[108:109], -v[97:98], v[106:107], 1.0
	v_fma_f64 v[106:107], v[106:107], v[108:109], v[106:107]
	v_fma_f64 v[108:109], -v[97:98], v[106:107], 1.0
	v_fma_f64 v[106:107], v[106:107], v[108:109], v[106:107]
	v_div_scale_f64 v[108:109], vcc_lo, 1.0, v[0:1], 1.0
	v_mul_f64 v[110:111], v[108:109], v[106:107]
	v_fma_f64 v[97:98], -v[97:98], v[110:111], v[108:109]
	v_div_fmas_f64 v[97:98], v[97:98], v[106:107], v[110:111]
	v_div_fixup_f64 v[0:1], v[97:98], v[0:1], 1.0
.LBB88_342:
	s_or_b32 exec_lo, exec_lo, s0
	s_mov_b32 s0, exec_lo
	v_cmpx_ne_u32_e64 v105, v96
	s_xor_b32 s0, exec_lo, s0
	s_cbranch_execz .LBB88_348
; %bb.343:
	s_mov_b32 s1, exec_lo
	v_cmpx_eq_u32_e32 20, v105
	s_cbranch_execz .LBB88_347
; %bb.344:
	v_cmp_ne_u32_e32 vcc_lo, 20, v96
	s_xor_b32 s2, s6, -1
	s_and_b32 s3, s2, vcc_lo
	s_and_saveexec_b32 s2, s3
	s_cbranch_execz .LBB88_346
; %bb.345:
	v_ashrrev_i32_e32 v97, 31, v96
	v_lshlrev_b64 v[97:98], 2, v[96:97]
	v_add_co_u32 v97, vcc_lo, v4, v97
	v_add_co_ci_u32_e64 v98, null, v5, v98, vcc_lo
	s_clause 0x1
	global_load_dword v104, v[97:98], off
	global_load_dword v105, v[4:5], off offset:80
	s_waitcnt vmcnt(1)
	global_store_dword v[4:5], v104, off offset:80
	s_waitcnt vmcnt(0)
	global_store_dword v[97:98], v105, off
.LBB88_346:
	s_or_b32 exec_lo, exec_lo, s2
	v_mov_b32_e32 v104, v96
	v_mov_b32_e32 v105, v96
.LBB88_347:
	s_or_b32 exec_lo, exec_lo, s1
.LBB88_348:
	s_andn2_saveexec_b32 s0, s0
	s_cbranch_execz .LBB88_350
; %bb.349:
	v_mov_b32_e32 v105, 20
	ds_write2_b64 v102, v[48:49], v[50:51] offset0:21 offset1:22
	ds_write2_b64 v102, v[44:45], v[46:47] offset0:23 offset1:24
	;; [unrolled: 1-line block ×12, first 2 shown]
.LBB88_350:
	s_or_b32 exec_lo, exec_lo, s0
	s_mov_b32 s0, exec_lo
	s_waitcnt lgkmcnt(0)
	s_waitcnt_vscnt null, 0x0
	s_barrier
	buffer_gl0_inv
	v_cmpx_lt_i32_e32 20, v105
	s_cbranch_execz .LBB88_352
; %bb.351:
	v_mul_f64 v[52:53], v[0:1], v[52:53]
	ds_read2_b64 v[106:109], v102 offset0:21 offset1:22
	ds_read2_b64 v[110:113], v102 offset0:23 offset1:24
	;; [unrolled: 1-line block ×12, first 2 shown]
	s_waitcnt lgkmcnt(11)
	v_fma_f64 v[48:49], -v[52:53], v[106:107], v[48:49]
	v_fma_f64 v[50:51], -v[52:53], v[108:109], v[50:51]
	s_waitcnt lgkmcnt(10)
	v_fma_f64 v[44:45], -v[52:53], v[110:111], v[44:45]
	v_fma_f64 v[46:47], -v[52:53], v[112:113], v[46:47]
	s_waitcnt lgkmcnt(9)
	v_fma_f64 v[42:43], -v[52:53], v[114:115], v[42:43]
	v_fma_f64 v[40:41], -v[52:53], v[116:117], v[40:41]
	s_waitcnt lgkmcnt(8)
	v_fma_f64 v[38:39], -v[52:53], v[118:119], v[38:39]
	v_fma_f64 v[36:37], -v[52:53], v[120:121], v[36:37]
	s_waitcnt lgkmcnt(7)
	v_fma_f64 v[34:35], -v[52:53], v[122:123], v[34:35]
	v_fma_f64 v[32:33], -v[52:53], v[124:125], v[32:33]
	s_waitcnt lgkmcnt(6)
	v_fma_f64 v[28:29], -v[52:53], v[126:127], v[28:29]
	v_fma_f64 v[30:31], -v[52:53], v[128:129], v[30:31]
	s_waitcnt lgkmcnt(5)
	v_fma_f64 v[24:25], -v[52:53], v[130:131], v[24:25]
	v_fma_f64 v[26:27], -v[52:53], v[132:133], v[26:27]
	s_waitcnt lgkmcnt(4)
	v_fma_f64 v[22:23], -v[52:53], v[134:135], v[22:23]
	v_fma_f64 v[20:21], -v[52:53], v[136:137], v[20:21]
	s_waitcnt lgkmcnt(3)
	v_fma_f64 v[18:19], -v[52:53], v[138:139], v[18:19]
	v_fma_f64 v[16:17], -v[52:53], v[140:141], v[16:17]
	s_waitcnt lgkmcnt(2)
	v_fma_f64 v[14:15], -v[52:53], v[142:143], v[14:15]
	v_fma_f64 v[12:13], -v[52:53], v[144:145], v[12:13]
	s_waitcnt lgkmcnt(1)
	v_fma_f64 v[8:9], -v[52:53], v[146:147], v[8:9]
	v_fma_f64 v[10:11], -v[52:53], v[148:149], v[10:11]
	s_waitcnt lgkmcnt(0)
	v_fma_f64 v[6:7], -v[52:53], v[150:151], v[6:7]
	v_fma_f64 v[94:95], -v[52:53], v[152:153], v[94:95]
.LBB88_352:
	s_or_b32 exec_lo, exec_lo, s0
	v_lshl_add_u32 v0, v105, 3, v102
	s_barrier
	buffer_gl0_inv
	v_mov_b32_e32 v96, 21
	ds_write_b64 v0, v[48:49]
	s_waitcnt lgkmcnt(0)
	s_barrier
	buffer_gl0_inv
	ds_read_b64 v[0:1], v102 offset:168
	s_cmp_lt_i32 s7, 23
	s_cbranch_scc1 .LBB88_355
; %bb.353:
	v_add3_u32 v97, v103, 0, 0xb0
	v_mov_b32_e32 v96, 21
	s_mov_b32 s0, 22
.LBB88_354:                             ; =>This Inner Loop Header: Depth=1
	ds_read_b64 v[106:107], v97
	v_add_nc_u32_e32 v97, 8, v97
	s_waitcnt lgkmcnt(0)
	v_cmp_lt_f64_e64 vcc_lo, |v[0:1]|, |v[106:107]|
	v_cndmask_b32_e32 v1, v1, v107, vcc_lo
	v_cndmask_b32_e32 v0, v0, v106, vcc_lo
	v_cndmask_b32_e64 v96, v96, s0, vcc_lo
	s_add_i32 s0, s0, 1
	s_cmp_lg_u32 s7, s0
	s_cbranch_scc1 .LBB88_354
.LBB88_355:
	s_mov_b32 s0, exec_lo
	s_waitcnt lgkmcnt(0)
	v_cmpx_eq_f64_e32 0, v[0:1]
	s_xor_b32 s0, exec_lo, s0
; %bb.356:
	v_cmp_ne_u32_e32 vcc_lo, 0, v99
	v_cndmask_b32_e32 v99, 22, v99, vcc_lo
; %bb.357:
	s_andn2_saveexec_b32 s0, s0
	s_cbranch_execz .LBB88_359
; %bb.358:
	v_div_scale_f64 v[97:98], null, v[0:1], v[0:1], 1.0
	v_rcp_f64_e32 v[106:107], v[97:98]
	v_fma_f64 v[108:109], -v[97:98], v[106:107], 1.0
	v_fma_f64 v[106:107], v[106:107], v[108:109], v[106:107]
	v_fma_f64 v[108:109], -v[97:98], v[106:107], 1.0
	v_fma_f64 v[106:107], v[106:107], v[108:109], v[106:107]
	v_div_scale_f64 v[108:109], vcc_lo, 1.0, v[0:1], 1.0
	v_mul_f64 v[110:111], v[108:109], v[106:107]
	v_fma_f64 v[97:98], -v[97:98], v[110:111], v[108:109]
	v_div_fmas_f64 v[97:98], v[97:98], v[106:107], v[110:111]
	v_div_fixup_f64 v[0:1], v[97:98], v[0:1], 1.0
.LBB88_359:
	s_or_b32 exec_lo, exec_lo, s0
	s_mov_b32 s0, exec_lo
	v_cmpx_ne_u32_e64 v105, v96
	s_xor_b32 s0, exec_lo, s0
	s_cbranch_execz .LBB88_365
; %bb.360:
	s_mov_b32 s1, exec_lo
	v_cmpx_eq_u32_e32 21, v105
	s_cbranch_execz .LBB88_364
; %bb.361:
	v_cmp_ne_u32_e32 vcc_lo, 21, v96
	s_xor_b32 s2, s6, -1
	s_and_b32 s3, s2, vcc_lo
	s_and_saveexec_b32 s2, s3
	s_cbranch_execz .LBB88_363
; %bb.362:
	v_ashrrev_i32_e32 v97, 31, v96
	v_lshlrev_b64 v[97:98], 2, v[96:97]
	v_add_co_u32 v97, vcc_lo, v4, v97
	v_add_co_ci_u32_e64 v98, null, v5, v98, vcc_lo
	s_clause 0x1
	global_load_dword v104, v[97:98], off
	global_load_dword v105, v[4:5], off offset:84
	s_waitcnt vmcnt(1)
	global_store_dword v[4:5], v104, off offset:84
	s_waitcnt vmcnt(0)
	global_store_dword v[97:98], v105, off
.LBB88_363:
	s_or_b32 exec_lo, exec_lo, s2
	v_mov_b32_e32 v104, v96
	v_mov_b32_e32 v105, v96
.LBB88_364:
	s_or_b32 exec_lo, exec_lo, s1
.LBB88_365:
	s_andn2_saveexec_b32 s0, s0
	s_cbranch_execz .LBB88_367
; %bb.366:
	v_mov_b32_e32 v96, v50
	v_mov_b32_e32 v97, v51
	;; [unrolled: 1-line block ×8, first 2 shown]
	ds_write2_b64 v102, v[96:97], v[105:106] offset0:22 offset1:23
	ds_write2_b64 v102, v[107:108], v[109:110] offset0:24 offset1:25
	v_mov_b32_e32 v96, v40
	v_mov_b32_e32 v97, v41
	;; [unrolled: 1-line block ×20, first 2 shown]
	ds_write2_b64 v102, v[96:97], v[105:106] offset0:26 offset1:27
	ds_write2_b64 v102, v[107:108], v[109:110] offset0:28 offset1:29
	;; [unrolled: 1-line block ×5, first 2 shown]
	v_mov_b32_e32 v96, v20
	v_mov_b32_e32 v97, v21
	;; [unrolled: 1-line block ×8, first 2 shown]
	ds_write2_b64 v102, v[96:97], v[105:106] offset0:36 offset1:37
	v_mov_b32_e32 v105, 21
	v_mov_b32_e32 v111, v12
	v_mov_b32_e32 v112, v13
	v_mov_b32_e32 v113, v8
	v_mov_b32_e32 v114, v9
	v_mov_b32_e32 v115, v10
	v_mov_b32_e32 v116, v11
	v_mov_b32_e32 v117, v6
	v_mov_b32_e32 v118, v7
	ds_write2_b64 v102, v[107:108], v[109:110] offset0:38 offset1:39
	ds_write2_b64 v102, v[111:112], v[113:114] offset0:40 offset1:41
	;; [unrolled: 1-line block ×3, first 2 shown]
	ds_write_b64 v102, v[94:95] offset:352
.LBB88_367:
	s_or_b32 exec_lo, exec_lo, s0
	s_mov_b32 s0, exec_lo
	s_waitcnt lgkmcnt(0)
	s_waitcnt_vscnt null, 0x0
	s_barrier
	buffer_gl0_inv
	v_cmpx_lt_i32_e32 21, v105
	s_cbranch_execz .LBB88_369
; %bb.368:
	v_mul_f64 v[48:49], v[0:1], v[48:49]
	ds_read2_b64 v[106:109], v102 offset0:22 offset1:23
	ds_read2_b64 v[110:113], v102 offset0:24 offset1:25
	;; [unrolled: 1-line block ×11, first 2 shown]
	ds_read_b64 v[0:1], v102 offset:352
	s_waitcnt lgkmcnt(11)
	v_fma_f64 v[50:51], -v[48:49], v[106:107], v[50:51]
	v_fma_f64 v[44:45], -v[48:49], v[108:109], v[44:45]
	s_waitcnt lgkmcnt(10)
	v_fma_f64 v[46:47], -v[48:49], v[110:111], v[46:47]
	v_fma_f64 v[42:43], -v[48:49], v[112:113], v[42:43]
	s_waitcnt lgkmcnt(9)
	v_fma_f64 v[40:41], -v[48:49], v[114:115], v[40:41]
	v_fma_f64 v[38:39], -v[48:49], v[116:117], v[38:39]
	s_waitcnt lgkmcnt(8)
	v_fma_f64 v[36:37], -v[48:49], v[118:119], v[36:37]
	v_fma_f64 v[34:35], -v[48:49], v[120:121], v[34:35]
	s_waitcnt lgkmcnt(7)
	v_fma_f64 v[32:33], -v[48:49], v[122:123], v[32:33]
	v_fma_f64 v[28:29], -v[48:49], v[124:125], v[28:29]
	s_waitcnt lgkmcnt(6)
	v_fma_f64 v[30:31], -v[48:49], v[126:127], v[30:31]
	v_fma_f64 v[24:25], -v[48:49], v[128:129], v[24:25]
	s_waitcnt lgkmcnt(5)
	v_fma_f64 v[26:27], -v[48:49], v[130:131], v[26:27]
	v_fma_f64 v[22:23], -v[48:49], v[132:133], v[22:23]
	s_waitcnt lgkmcnt(4)
	v_fma_f64 v[20:21], -v[48:49], v[134:135], v[20:21]
	v_fma_f64 v[18:19], -v[48:49], v[136:137], v[18:19]
	s_waitcnt lgkmcnt(3)
	v_fma_f64 v[16:17], -v[48:49], v[138:139], v[16:17]
	v_fma_f64 v[14:15], -v[48:49], v[140:141], v[14:15]
	s_waitcnt lgkmcnt(2)
	v_fma_f64 v[12:13], -v[48:49], v[142:143], v[12:13]
	v_fma_f64 v[8:9], -v[48:49], v[144:145], v[8:9]
	s_waitcnt lgkmcnt(1)
	v_fma_f64 v[10:11], -v[48:49], v[146:147], v[10:11]
	v_fma_f64 v[6:7], -v[48:49], v[148:149], v[6:7]
	s_waitcnt lgkmcnt(0)
	v_fma_f64 v[94:95], -v[48:49], v[0:1], v[94:95]
.LBB88_369:
	s_or_b32 exec_lo, exec_lo, s0
	v_lshl_add_u32 v0, v105, 3, v102
	s_barrier
	buffer_gl0_inv
	v_mov_b32_e32 v96, 22
	ds_write_b64 v0, v[50:51]
	s_waitcnt lgkmcnt(0)
	s_barrier
	buffer_gl0_inv
	ds_read_b64 v[0:1], v102 offset:176
	s_cmp_lt_i32 s7, 24
	s_cbranch_scc1 .LBB88_372
; %bb.370:
	v_add3_u32 v97, v103, 0, 0xb8
	v_mov_b32_e32 v96, 22
	s_mov_b32 s0, 23
.LBB88_371:                             ; =>This Inner Loop Header: Depth=1
	ds_read_b64 v[106:107], v97
	v_add_nc_u32_e32 v97, 8, v97
	s_waitcnt lgkmcnt(0)
	v_cmp_lt_f64_e64 vcc_lo, |v[0:1]|, |v[106:107]|
	v_cndmask_b32_e32 v1, v1, v107, vcc_lo
	v_cndmask_b32_e32 v0, v0, v106, vcc_lo
	v_cndmask_b32_e64 v96, v96, s0, vcc_lo
	s_add_i32 s0, s0, 1
	s_cmp_lg_u32 s7, s0
	s_cbranch_scc1 .LBB88_371
.LBB88_372:
	s_mov_b32 s0, exec_lo
	s_waitcnt lgkmcnt(0)
	v_cmpx_eq_f64_e32 0, v[0:1]
	s_xor_b32 s0, exec_lo, s0
; %bb.373:
	v_cmp_ne_u32_e32 vcc_lo, 0, v99
	v_cndmask_b32_e32 v99, 23, v99, vcc_lo
; %bb.374:
	s_andn2_saveexec_b32 s0, s0
	s_cbranch_execz .LBB88_376
; %bb.375:
	v_div_scale_f64 v[97:98], null, v[0:1], v[0:1], 1.0
	v_rcp_f64_e32 v[106:107], v[97:98]
	v_fma_f64 v[108:109], -v[97:98], v[106:107], 1.0
	v_fma_f64 v[106:107], v[106:107], v[108:109], v[106:107]
	v_fma_f64 v[108:109], -v[97:98], v[106:107], 1.0
	v_fma_f64 v[106:107], v[106:107], v[108:109], v[106:107]
	v_div_scale_f64 v[108:109], vcc_lo, 1.0, v[0:1], 1.0
	v_mul_f64 v[110:111], v[108:109], v[106:107]
	v_fma_f64 v[97:98], -v[97:98], v[110:111], v[108:109]
	v_div_fmas_f64 v[97:98], v[97:98], v[106:107], v[110:111]
	v_div_fixup_f64 v[0:1], v[97:98], v[0:1], 1.0
.LBB88_376:
	s_or_b32 exec_lo, exec_lo, s0
	s_mov_b32 s0, exec_lo
	v_cmpx_ne_u32_e64 v105, v96
	s_xor_b32 s0, exec_lo, s0
	s_cbranch_execz .LBB88_382
; %bb.377:
	s_mov_b32 s1, exec_lo
	v_cmpx_eq_u32_e32 22, v105
	s_cbranch_execz .LBB88_381
; %bb.378:
	v_cmp_ne_u32_e32 vcc_lo, 22, v96
	s_xor_b32 s2, s6, -1
	s_and_b32 s3, s2, vcc_lo
	s_and_saveexec_b32 s2, s3
	s_cbranch_execz .LBB88_380
; %bb.379:
	v_ashrrev_i32_e32 v97, 31, v96
	v_lshlrev_b64 v[97:98], 2, v[96:97]
	v_add_co_u32 v97, vcc_lo, v4, v97
	v_add_co_ci_u32_e64 v98, null, v5, v98, vcc_lo
	s_clause 0x1
	global_load_dword v104, v[97:98], off
	global_load_dword v105, v[4:5], off offset:88
	s_waitcnt vmcnt(1)
	global_store_dword v[4:5], v104, off offset:88
	s_waitcnt vmcnt(0)
	global_store_dword v[97:98], v105, off
.LBB88_380:
	s_or_b32 exec_lo, exec_lo, s2
	v_mov_b32_e32 v104, v96
	v_mov_b32_e32 v105, v96
.LBB88_381:
	s_or_b32 exec_lo, exec_lo, s1
.LBB88_382:
	s_andn2_saveexec_b32 s0, s0
	s_cbranch_execz .LBB88_384
; %bb.383:
	v_mov_b32_e32 v105, 22
	ds_write2_b64 v102, v[44:45], v[46:47] offset0:23 offset1:24
	ds_write2_b64 v102, v[42:43], v[40:41] offset0:25 offset1:26
	ds_write2_b64 v102, v[38:39], v[36:37] offset0:27 offset1:28
	ds_write2_b64 v102, v[34:35], v[32:33] offset0:29 offset1:30
	ds_write2_b64 v102, v[28:29], v[30:31] offset0:31 offset1:32
	ds_write2_b64 v102, v[24:25], v[26:27] offset0:33 offset1:34
	ds_write2_b64 v102, v[22:23], v[20:21] offset0:35 offset1:36
	ds_write2_b64 v102, v[18:19], v[16:17] offset0:37 offset1:38
	ds_write2_b64 v102, v[14:15], v[12:13] offset0:39 offset1:40
	ds_write2_b64 v102, v[8:9], v[10:11] offset0:41 offset1:42
	ds_write2_b64 v102, v[6:7], v[94:95] offset0:43 offset1:44
.LBB88_384:
	s_or_b32 exec_lo, exec_lo, s0
	s_mov_b32 s0, exec_lo
	s_waitcnt lgkmcnt(0)
	s_waitcnt_vscnt null, 0x0
	s_barrier
	buffer_gl0_inv
	v_cmpx_lt_i32_e32 22, v105
	s_cbranch_execz .LBB88_386
; %bb.385:
	v_mul_f64 v[50:51], v[0:1], v[50:51]
	ds_read2_b64 v[106:109], v102 offset0:23 offset1:24
	ds_read2_b64 v[110:113], v102 offset0:25 offset1:26
	;; [unrolled: 1-line block ×11, first 2 shown]
	s_waitcnt lgkmcnt(10)
	v_fma_f64 v[44:45], -v[50:51], v[106:107], v[44:45]
	v_fma_f64 v[46:47], -v[50:51], v[108:109], v[46:47]
	s_waitcnt lgkmcnt(9)
	v_fma_f64 v[42:43], -v[50:51], v[110:111], v[42:43]
	v_fma_f64 v[40:41], -v[50:51], v[112:113], v[40:41]
	;; [unrolled: 3-line block ×11, first 2 shown]
.LBB88_386:
	s_or_b32 exec_lo, exec_lo, s0
	v_lshl_add_u32 v0, v105, 3, v102
	s_barrier
	buffer_gl0_inv
	v_mov_b32_e32 v96, 23
	ds_write_b64 v0, v[44:45]
	s_waitcnt lgkmcnt(0)
	s_barrier
	buffer_gl0_inv
	ds_read_b64 v[0:1], v102 offset:184
	s_cmp_lt_i32 s7, 25
	s_cbranch_scc1 .LBB88_389
; %bb.387:
	v_add3_u32 v97, v103, 0, 0xc0
	v_mov_b32_e32 v96, 23
	s_mov_b32 s0, 24
.LBB88_388:                             ; =>This Inner Loop Header: Depth=1
	ds_read_b64 v[106:107], v97
	v_add_nc_u32_e32 v97, 8, v97
	s_waitcnt lgkmcnt(0)
	v_cmp_lt_f64_e64 vcc_lo, |v[0:1]|, |v[106:107]|
	v_cndmask_b32_e32 v1, v1, v107, vcc_lo
	v_cndmask_b32_e32 v0, v0, v106, vcc_lo
	v_cndmask_b32_e64 v96, v96, s0, vcc_lo
	s_add_i32 s0, s0, 1
	s_cmp_lg_u32 s7, s0
	s_cbranch_scc1 .LBB88_388
.LBB88_389:
	s_mov_b32 s0, exec_lo
	s_waitcnt lgkmcnt(0)
	v_cmpx_eq_f64_e32 0, v[0:1]
	s_xor_b32 s0, exec_lo, s0
; %bb.390:
	v_cmp_ne_u32_e32 vcc_lo, 0, v99
	v_cndmask_b32_e32 v99, 24, v99, vcc_lo
; %bb.391:
	s_andn2_saveexec_b32 s0, s0
	s_cbranch_execz .LBB88_393
; %bb.392:
	v_div_scale_f64 v[97:98], null, v[0:1], v[0:1], 1.0
	v_rcp_f64_e32 v[106:107], v[97:98]
	v_fma_f64 v[108:109], -v[97:98], v[106:107], 1.0
	v_fma_f64 v[106:107], v[106:107], v[108:109], v[106:107]
	v_fma_f64 v[108:109], -v[97:98], v[106:107], 1.0
	v_fma_f64 v[106:107], v[106:107], v[108:109], v[106:107]
	v_div_scale_f64 v[108:109], vcc_lo, 1.0, v[0:1], 1.0
	v_mul_f64 v[110:111], v[108:109], v[106:107]
	v_fma_f64 v[97:98], -v[97:98], v[110:111], v[108:109]
	v_div_fmas_f64 v[97:98], v[97:98], v[106:107], v[110:111]
	v_div_fixup_f64 v[0:1], v[97:98], v[0:1], 1.0
.LBB88_393:
	s_or_b32 exec_lo, exec_lo, s0
	s_mov_b32 s0, exec_lo
	v_cmpx_ne_u32_e64 v105, v96
	s_xor_b32 s0, exec_lo, s0
	s_cbranch_execz .LBB88_399
; %bb.394:
	s_mov_b32 s1, exec_lo
	v_cmpx_eq_u32_e32 23, v105
	s_cbranch_execz .LBB88_398
; %bb.395:
	v_cmp_ne_u32_e32 vcc_lo, 23, v96
	s_xor_b32 s2, s6, -1
	s_and_b32 s3, s2, vcc_lo
	s_and_saveexec_b32 s2, s3
	s_cbranch_execz .LBB88_397
; %bb.396:
	v_ashrrev_i32_e32 v97, 31, v96
	v_lshlrev_b64 v[97:98], 2, v[96:97]
	v_add_co_u32 v97, vcc_lo, v4, v97
	v_add_co_ci_u32_e64 v98, null, v5, v98, vcc_lo
	s_clause 0x1
	global_load_dword v104, v[97:98], off
	global_load_dword v105, v[4:5], off offset:92
	s_waitcnt vmcnt(1)
	global_store_dword v[4:5], v104, off offset:92
	s_waitcnt vmcnt(0)
	global_store_dword v[97:98], v105, off
.LBB88_397:
	s_or_b32 exec_lo, exec_lo, s2
	v_mov_b32_e32 v104, v96
	v_mov_b32_e32 v105, v96
.LBB88_398:
	s_or_b32 exec_lo, exec_lo, s1
.LBB88_399:
	s_andn2_saveexec_b32 s0, s0
	s_cbranch_execz .LBB88_401
; %bb.400:
	v_mov_b32_e32 v96, v46
	v_mov_b32_e32 v97, v47
	;; [unrolled: 1-line block ×8, first 2 shown]
	ds_write2_b64 v102, v[96:97], v[105:106] offset0:24 offset1:25
	v_mov_b32_e32 v96, v38
	v_mov_b32_e32 v97, v39
	;; [unrolled: 1-line block ×16, first 2 shown]
	ds_write2_b64 v102, v[107:108], v[96:97] offset0:26 offset1:27
	ds_write2_b64 v102, v[105:106], v[109:110] offset0:28 offset1:29
	;; [unrolled: 1-line block ×5, first 2 shown]
	v_mov_b32_e32 v96, v20
	v_mov_b32_e32 v97, v21
	;; [unrolled: 1-line block ×8, first 2 shown]
	ds_write2_b64 v102, v[96:97], v[105:106] offset0:36 offset1:37
	v_mov_b32_e32 v105, 23
	v_mov_b32_e32 v111, v12
	;; [unrolled: 1-line block ×9, first 2 shown]
	ds_write2_b64 v102, v[107:108], v[109:110] offset0:38 offset1:39
	ds_write2_b64 v102, v[111:112], v[113:114] offset0:40 offset1:41
	;; [unrolled: 1-line block ×3, first 2 shown]
	ds_write_b64 v102, v[94:95] offset:352
.LBB88_401:
	s_or_b32 exec_lo, exec_lo, s0
	s_mov_b32 s0, exec_lo
	s_waitcnt lgkmcnt(0)
	s_waitcnt_vscnt null, 0x0
	s_barrier
	buffer_gl0_inv
	v_cmpx_lt_i32_e32 23, v105
	s_cbranch_execz .LBB88_403
; %bb.402:
	v_mul_f64 v[44:45], v[0:1], v[44:45]
	ds_read2_b64 v[106:109], v102 offset0:24 offset1:25
	ds_read2_b64 v[110:113], v102 offset0:26 offset1:27
	;; [unrolled: 1-line block ×10, first 2 shown]
	ds_read_b64 v[0:1], v102 offset:352
	s_waitcnt lgkmcnt(10)
	v_fma_f64 v[46:47], -v[44:45], v[106:107], v[46:47]
	v_fma_f64 v[42:43], -v[44:45], v[108:109], v[42:43]
	s_waitcnt lgkmcnt(9)
	v_fma_f64 v[40:41], -v[44:45], v[110:111], v[40:41]
	v_fma_f64 v[38:39], -v[44:45], v[112:113], v[38:39]
	;; [unrolled: 3-line block ×10, first 2 shown]
	s_waitcnt lgkmcnt(0)
	v_fma_f64 v[94:95], -v[44:45], v[0:1], v[94:95]
.LBB88_403:
	s_or_b32 exec_lo, exec_lo, s0
	v_lshl_add_u32 v0, v105, 3, v102
	s_barrier
	buffer_gl0_inv
	v_mov_b32_e32 v96, 24
	ds_write_b64 v0, v[46:47]
	s_waitcnt lgkmcnt(0)
	s_barrier
	buffer_gl0_inv
	ds_read_b64 v[0:1], v102 offset:192
	s_cmp_lt_i32 s7, 26
	s_cbranch_scc1 .LBB88_406
; %bb.404:
	v_add3_u32 v97, v103, 0, 0xc8
	v_mov_b32_e32 v96, 24
	s_mov_b32 s0, 25
.LBB88_405:                             ; =>This Inner Loop Header: Depth=1
	ds_read_b64 v[106:107], v97
	v_add_nc_u32_e32 v97, 8, v97
	s_waitcnt lgkmcnt(0)
	v_cmp_lt_f64_e64 vcc_lo, |v[0:1]|, |v[106:107]|
	v_cndmask_b32_e32 v1, v1, v107, vcc_lo
	v_cndmask_b32_e32 v0, v0, v106, vcc_lo
	v_cndmask_b32_e64 v96, v96, s0, vcc_lo
	s_add_i32 s0, s0, 1
	s_cmp_lg_u32 s7, s0
	s_cbranch_scc1 .LBB88_405
.LBB88_406:
	s_mov_b32 s0, exec_lo
	s_waitcnt lgkmcnt(0)
	v_cmpx_eq_f64_e32 0, v[0:1]
	s_xor_b32 s0, exec_lo, s0
; %bb.407:
	v_cmp_ne_u32_e32 vcc_lo, 0, v99
	v_cndmask_b32_e32 v99, 25, v99, vcc_lo
; %bb.408:
	s_andn2_saveexec_b32 s0, s0
	s_cbranch_execz .LBB88_410
; %bb.409:
	v_div_scale_f64 v[97:98], null, v[0:1], v[0:1], 1.0
	v_rcp_f64_e32 v[106:107], v[97:98]
	v_fma_f64 v[108:109], -v[97:98], v[106:107], 1.0
	v_fma_f64 v[106:107], v[106:107], v[108:109], v[106:107]
	v_fma_f64 v[108:109], -v[97:98], v[106:107], 1.0
	v_fma_f64 v[106:107], v[106:107], v[108:109], v[106:107]
	v_div_scale_f64 v[108:109], vcc_lo, 1.0, v[0:1], 1.0
	v_mul_f64 v[110:111], v[108:109], v[106:107]
	v_fma_f64 v[97:98], -v[97:98], v[110:111], v[108:109]
	v_div_fmas_f64 v[97:98], v[97:98], v[106:107], v[110:111]
	v_div_fixup_f64 v[0:1], v[97:98], v[0:1], 1.0
.LBB88_410:
	s_or_b32 exec_lo, exec_lo, s0
	s_mov_b32 s0, exec_lo
	v_cmpx_ne_u32_e64 v105, v96
	s_xor_b32 s0, exec_lo, s0
	s_cbranch_execz .LBB88_416
; %bb.411:
	s_mov_b32 s1, exec_lo
	v_cmpx_eq_u32_e32 24, v105
	s_cbranch_execz .LBB88_415
; %bb.412:
	v_cmp_ne_u32_e32 vcc_lo, 24, v96
	s_xor_b32 s2, s6, -1
	s_and_b32 s3, s2, vcc_lo
	s_and_saveexec_b32 s2, s3
	s_cbranch_execz .LBB88_414
; %bb.413:
	v_ashrrev_i32_e32 v97, 31, v96
	v_lshlrev_b64 v[97:98], 2, v[96:97]
	v_add_co_u32 v97, vcc_lo, v4, v97
	v_add_co_ci_u32_e64 v98, null, v5, v98, vcc_lo
	s_clause 0x1
	global_load_dword v104, v[97:98], off
	global_load_dword v105, v[4:5], off offset:96
	s_waitcnt vmcnt(1)
	global_store_dword v[4:5], v104, off offset:96
	s_waitcnt vmcnt(0)
	global_store_dword v[97:98], v105, off
.LBB88_414:
	s_or_b32 exec_lo, exec_lo, s2
	v_mov_b32_e32 v104, v96
	v_mov_b32_e32 v105, v96
.LBB88_415:
	s_or_b32 exec_lo, exec_lo, s1
.LBB88_416:
	s_andn2_saveexec_b32 s0, s0
	s_cbranch_execz .LBB88_418
; %bb.417:
	v_mov_b32_e32 v105, 24
	ds_write2_b64 v102, v[42:43], v[40:41] offset0:25 offset1:26
	ds_write2_b64 v102, v[38:39], v[36:37] offset0:27 offset1:28
	;; [unrolled: 1-line block ×10, first 2 shown]
.LBB88_418:
	s_or_b32 exec_lo, exec_lo, s0
	s_mov_b32 s0, exec_lo
	s_waitcnt lgkmcnt(0)
	s_waitcnt_vscnt null, 0x0
	s_barrier
	buffer_gl0_inv
	v_cmpx_lt_i32_e32 24, v105
	s_cbranch_execz .LBB88_420
; %bb.419:
	v_mul_f64 v[46:47], v[0:1], v[46:47]
	ds_read2_b64 v[106:109], v102 offset0:25 offset1:26
	ds_read2_b64 v[110:113], v102 offset0:27 offset1:28
	ds_read2_b64 v[114:117], v102 offset0:29 offset1:30
	ds_read2_b64 v[118:121], v102 offset0:31 offset1:32
	ds_read2_b64 v[122:125], v102 offset0:33 offset1:34
	ds_read2_b64 v[126:129], v102 offset0:35 offset1:36
	ds_read2_b64 v[130:133], v102 offset0:37 offset1:38
	ds_read2_b64 v[134:137], v102 offset0:39 offset1:40
	ds_read2_b64 v[138:141], v102 offset0:41 offset1:42
	ds_read2_b64 v[142:145], v102 offset0:43 offset1:44
	s_waitcnt lgkmcnt(9)
	v_fma_f64 v[42:43], -v[46:47], v[106:107], v[42:43]
	v_fma_f64 v[40:41], -v[46:47], v[108:109], v[40:41]
	s_waitcnt lgkmcnt(8)
	v_fma_f64 v[38:39], -v[46:47], v[110:111], v[38:39]
	v_fma_f64 v[36:37], -v[46:47], v[112:113], v[36:37]
	;; [unrolled: 3-line block ×10, first 2 shown]
.LBB88_420:
	s_or_b32 exec_lo, exec_lo, s0
	v_lshl_add_u32 v0, v105, 3, v102
	s_barrier
	buffer_gl0_inv
	v_mov_b32_e32 v96, 25
	ds_write_b64 v0, v[42:43]
	s_waitcnt lgkmcnt(0)
	s_barrier
	buffer_gl0_inv
	ds_read_b64 v[0:1], v102 offset:200
	s_cmp_lt_i32 s7, 27
	s_cbranch_scc1 .LBB88_423
; %bb.421:
	v_add3_u32 v97, v103, 0, 0xd0
	v_mov_b32_e32 v96, 25
	s_mov_b32 s0, 26
.LBB88_422:                             ; =>This Inner Loop Header: Depth=1
	ds_read_b64 v[106:107], v97
	v_add_nc_u32_e32 v97, 8, v97
	s_waitcnt lgkmcnt(0)
	v_cmp_lt_f64_e64 vcc_lo, |v[0:1]|, |v[106:107]|
	v_cndmask_b32_e32 v1, v1, v107, vcc_lo
	v_cndmask_b32_e32 v0, v0, v106, vcc_lo
	v_cndmask_b32_e64 v96, v96, s0, vcc_lo
	s_add_i32 s0, s0, 1
	s_cmp_lg_u32 s7, s0
	s_cbranch_scc1 .LBB88_422
.LBB88_423:
	s_mov_b32 s0, exec_lo
	s_waitcnt lgkmcnt(0)
	v_cmpx_eq_f64_e32 0, v[0:1]
	s_xor_b32 s0, exec_lo, s0
; %bb.424:
	v_cmp_ne_u32_e32 vcc_lo, 0, v99
	v_cndmask_b32_e32 v99, 26, v99, vcc_lo
; %bb.425:
	s_andn2_saveexec_b32 s0, s0
	s_cbranch_execz .LBB88_427
; %bb.426:
	v_div_scale_f64 v[97:98], null, v[0:1], v[0:1], 1.0
	v_rcp_f64_e32 v[106:107], v[97:98]
	v_fma_f64 v[108:109], -v[97:98], v[106:107], 1.0
	v_fma_f64 v[106:107], v[106:107], v[108:109], v[106:107]
	v_fma_f64 v[108:109], -v[97:98], v[106:107], 1.0
	v_fma_f64 v[106:107], v[106:107], v[108:109], v[106:107]
	v_div_scale_f64 v[108:109], vcc_lo, 1.0, v[0:1], 1.0
	v_mul_f64 v[110:111], v[108:109], v[106:107]
	v_fma_f64 v[97:98], -v[97:98], v[110:111], v[108:109]
	v_div_fmas_f64 v[97:98], v[97:98], v[106:107], v[110:111]
	v_div_fixup_f64 v[0:1], v[97:98], v[0:1], 1.0
.LBB88_427:
	s_or_b32 exec_lo, exec_lo, s0
	s_mov_b32 s0, exec_lo
	v_cmpx_ne_u32_e64 v105, v96
	s_xor_b32 s0, exec_lo, s0
	s_cbranch_execz .LBB88_433
; %bb.428:
	s_mov_b32 s1, exec_lo
	v_cmpx_eq_u32_e32 25, v105
	s_cbranch_execz .LBB88_432
; %bb.429:
	v_cmp_ne_u32_e32 vcc_lo, 25, v96
	s_xor_b32 s2, s6, -1
	s_and_b32 s3, s2, vcc_lo
	s_and_saveexec_b32 s2, s3
	s_cbranch_execz .LBB88_431
; %bb.430:
	v_ashrrev_i32_e32 v97, 31, v96
	v_lshlrev_b64 v[97:98], 2, v[96:97]
	v_add_co_u32 v97, vcc_lo, v4, v97
	v_add_co_ci_u32_e64 v98, null, v5, v98, vcc_lo
	s_clause 0x1
	global_load_dword v104, v[97:98], off
	global_load_dword v105, v[4:5], off offset:100
	s_waitcnt vmcnt(1)
	global_store_dword v[4:5], v104, off offset:100
	s_waitcnt vmcnt(0)
	global_store_dword v[97:98], v105, off
.LBB88_431:
	s_or_b32 exec_lo, exec_lo, s2
	v_mov_b32_e32 v104, v96
	v_mov_b32_e32 v105, v96
.LBB88_432:
	s_or_b32 exec_lo, exec_lo, s1
.LBB88_433:
	s_andn2_saveexec_b32 s0, s0
	s_cbranch_execz .LBB88_435
; %bb.434:
	v_mov_b32_e32 v96, v40
	v_mov_b32_e32 v97, v41
	;; [unrolled: 1-line block ×20, first 2 shown]
	ds_write2_b64 v102, v[96:97], v[105:106] offset0:26 offset1:27
	ds_write2_b64 v102, v[107:108], v[109:110] offset0:28 offset1:29
	;; [unrolled: 1-line block ×5, first 2 shown]
	v_mov_b32_e32 v96, v20
	v_mov_b32_e32 v97, v21
	;; [unrolled: 1-line block ×8, first 2 shown]
	ds_write2_b64 v102, v[96:97], v[105:106] offset0:36 offset1:37
	v_mov_b32_e32 v105, 25
	v_mov_b32_e32 v111, v12
	;; [unrolled: 1-line block ×9, first 2 shown]
	ds_write2_b64 v102, v[107:108], v[109:110] offset0:38 offset1:39
	ds_write2_b64 v102, v[111:112], v[113:114] offset0:40 offset1:41
	;; [unrolled: 1-line block ×3, first 2 shown]
	ds_write_b64 v102, v[94:95] offset:352
.LBB88_435:
	s_or_b32 exec_lo, exec_lo, s0
	s_mov_b32 s0, exec_lo
	s_waitcnt lgkmcnt(0)
	s_waitcnt_vscnt null, 0x0
	s_barrier
	buffer_gl0_inv
	v_cmpx_lt_i32_e32 25, v105
	s_cbranch_execz .LBB88_437
; %bb.436:
	v_mul_f64 v[42:43], v[0:1], v[42:43]
	ds_read2_b64 v[106:109], v102 offset0:26 offset1:27
	ds_read2_b64 v[110:113], v102 offset0:28 offset1:29
	;; [unrolled: 1-line block ×9, first 2 shown]
	ds_read_b64 v[0:1], v102 offset:352
	s_waitcnt lgkmcnt(9)
	v_fma_f64 v[40:41], -v[42:43], v[106:107], v[40:41]
	v_fma_f64 v[38:39], -v[42:43], v[108:109], v[38:39]
	s_waitcnt lgkmcnt(8)
	v_fma_f64 v[36:37], -v[42:43], v[110:111], v[36:37]
	v_fma_f64 v[34:35], -v[42:43], v[112:113], v[34:35]
	;; [unrolled: 3-line block ×9, first 2 shown]
	s_waitcnt lgkmcnt(0)
	v_fma_f64 v[94:95], -v[42:43], v[0:1], v[94:95]
.LBB88_437:
	s_or_b32 exec_lo, exec_lo, s0
	v_lshl_add_u32 v0, v105, 3, v102
	s_barrier
	buffer_gl0_inv
	v_mov_b32_e32 v96, 26
	ds_write_b64 v0, v[40:41]
	s_waitcnt lgkmcnt(0)
	s_barrier
	buffer_gl0_inv
	ds_read_b64 v[0:1], v102 offset:208
	s_cmp_lt_i32 s7, 28
	s_cbranch_scc1 .LBB88_440
; %bb.438:
	v_add3_u32 v97, v103, 0, 0xd8
	v_mov_b32_e32 v96, 26
	s_mov_b32 s0, 27
.LBB88_439:                             ; =>This Inner Loop Header: Depth=1
	ds_read_b64 v[106:107], v97
	v_add_nc_u32_e32 v97, 8, v97
	s_waitcnt lgkmcnt(0)
	v_cmp_lt_f64_e64 vcc_lo, |v[0:1]|, |v[106:107]|
	v_cndmask_b32_e32 v1, v1, v107, vcc_lo
	v_cndmask_b32_e32 v0, v0, v106, vcc_lo
	v_cndmask_b32_e64 v96, v96, s0, vcc_lo
	s_add_i32 s0, s0, 1
	s_cmp_lg_u32 s7, s0
	s_cbranch_scc1 .LBB88_439
.LBB88_440:
	s_mov_b32 s0, exec_lo
	s_waitcnt lgkmcnt(0)
	v_cmpx_eq_f64_e32 0, v[0:1]
	s_xor_b32 s0, exec_lo, s0
; %bb.441:
	v_cmp_ne_u32_e32 vcc_lo, 0, v99
	v_cndmask_b32_e32 v99, 27, v99, vcc_lo
; %bb.442:
	s_andn2_saveexec_b32 s0, s0
	s_cbranch_execz .LBB88_444
; %bb.443:
	v_div_scale_f64 v[97:98], null, v[0:1], v[0:1], 1.0
	v_rcp_f64_e32 v[106:107], v[97:98]
	v_fma_f64 v[108:109], -v[97:98], v[106:107], 1.0
	v_fma_f64 v[106:107], v[106:107], v[108:109], v[106:107]
	v_fma_f64 v[108:109], -v[97:98], v[106:107], 1.0
	v_fma_f64 v[106:107], v[106:107], v[108:109], v[106:107]
	v_div_scale_f64 v[108:109], vcc_lo, 1.0, v[0:1], 1.0
	v_mul_f64 v[110:111], v[108:109], v[106:107]
	v_fma_f64 v[97:98], -v[97:98], v[110:111], v[108:109]
	v_div_fmas_f64 v[97:98], v[97:98], v[106:107], v[110:111]
	v_div_fixup_f64 v[0:1], v[97:98], v[0:1], 1.0
.LBB88_444:
	s_or_b32 exec_lo, exec_lo, s0
	s_mov_b32 s0, exec_lo
	v_cmpx_ne_u32_e64 v105, v96
	s_xor_b32 s0, exec_lo, s0
	s_cbranch_execz .LBB88_450
; %bb.445:
	s_mov_b32 s1, exec_lo
	v_cmpx_eq_u32_e32 26, v105
	s_cbranch_execz .LBB88_449
; %bb.446:
	v_cmp_ne_u32_e32 vcc_lo, 26, v96
	s_xor_b32 s2, s6, -1
	s_and_b32 s3, s2, vcc_lo
	s_and_saveexec_b32 s2, s3
	s_cbranch_execz .LBB88_448
; %bb.447:
	v_ashrrev_i32_e32 v97, 31, v96
	v_lshlrev_b64 v[97:98], 2, v[96:97]
	v_add_co_u32 v97, vcc_lo, v4, v97
	v_add_co_ci_u32_e64 v98, null, v5, v98, vcc_lo
	s_clause 0x1
	global_load_dword v104, v[97:98], off
	global_load_dword v105, v[4:5], off offset:104
	s_waitcnt vmcnt(1)
	global_store_dword v[4:5], v104, off offset:104
	s_waitcnt vmcnt(0)
	global_store_dword v[97:98], v105, off
.LBB88_448:
	s_or_b32 exec_lo, exec_lo, s2
	v_mov_b32_e32 v104, v96
	v_mov_b32_e32 v105, v96
.LBB88_449:
	s_or_b32 exec_lo, exec_lo, s1
.LBB88_450:
	s_andn2_saveexec_b32 s0, s0
	s_cbranch_execz .LBB88_452
; %bb.451:
	v_mov_b32_e32 v105, 26
	ds_write2_b64 v102, v[38:39], v[36:37] offset0:27 offset1:28
	ds_write2_b64 v102, v[34:35], v[32:33] offset0:29 offset1:30
	;; [unrolled: 1-line block ×9, first 2 shown]
.LBB88_452:
	s_or_b32 exec_lo, exec_lo, s0
	s_mov_b32 s0, exec_lo
	s_waitcnt lgkmcnt(0)
	s_waitcnt_vscnt null, 0x0
	s_barrier
	buffer_gl0_inv
	v_cmpx_lt_i32_e32 26, v105
	s_cbranch_execz .LBB88_454
; %bb.453:
	v_mul_f64 v[40:41], v[0:1], v[40:41]
	ds_read2_b64 v[106:109], v102 offset0:27 offset1:28
	ds_read2_b64 v[110:113], v102 offset0:29 offset1:30
	;; [unrolled: 1-line block ×9, first 2 shown]
	s_waitcnt lgkmcnt(8)
	v_fma_f64 v[38:39], -v[40:41], v[106:107], v[38:39]
	v_fma_f64 v[36:37], -v[40:41], v[108:109], v[36:37]
	s_waitcnt lgkmcnt(7)
	v_fma_f64 v[34:35], -v[40:41], v[110:111], v[34:35]
	v_fma_f64 v[32:33], -v[40:41], v[112:113], v[32:33]
	;; [unrolled: 3-line block ×9, first 2 shown]
.LBB88_454:
	s_or_b32 exec_lo, exec_lo, s0
	v_lshl_add_u32 v0, v105, 3, v102
	s_barrier
	buffer_gl0_inv
	v_mov_b32_e32 v96, 27
	ds_write_b64 v0, v[38:39]
	s_waitcnt lgkmcnt(0)
	s_barrier
	buffer_gl0_inv
	ds_read_b64 v[0:1], v102 offset:216
	s_cmp_lt_i32 s7, 29
	s_cbranch_scc1 .LBB88_457
; %bb.455:
	v_add3_u32 v97, v103, 0, 0xe0
	v_mov_b32_e32 v96, 27
	s_mov_b32 s0, 28
.LBB88_456:                             ; =>This Inner Loop Header: Depth=1
	ds_read_b64 v[106:107], v97
	v_add_nc_u32_e32 v97, 8, v97
	s_waitcnt lgkmcnt(0)
	v_cmp_lt_f64_e64 vcc_lo, |v[0:1]|, |v[106:107]|
	v_cndmask_b32_e32 v1, v1, v107, vcc_lo
	v_cndmask_b32_e32 v0, v0, v106, vcc_lo
	v_cndmask_b32_e64 v96, v96, s0, vcc_lo
	s_add_i32 s0, s0, 1
	s_cmp_lg_u32 s7, s0
	s_cbranch_scc1 .LBB88_456
.LBB88_457:
	s_mov_b32 s0, exec_lo
	s_waitcnt lgkmcnt(0)
	v_cmpx_eq_f64_e32 0, v[0:1]
	s_xor_b32 s0, exec_lo, s0
; %bb.458:
	v_cmp_ne_u32_e32 vcc_lo, 0, v99
	v_cndmask_b32_e32 v99, 28, v99, vcc_lo
; %bb.459:
	s_andn2_saveexec_b32 s0, s0
	s_cbranch_execz .LBB88_461
; %bb.460:
	v_div_scale_f64 v[97:98], null, v[0:1], v[0:1], 1.0
	v_rcp_f64_e32 v[106:107], v[97:98]
	v_fma_f64 v[108:109], -v[97:98], v[106:107], 1.0
	v_fma_f64 v[106:107], v[106:107], v[108:109], v[106:107]
	v_fma_f64 v[108:109], -v[97:98], v[106:107], 1.0
	v_fma_f64 v[106:107], v[106:107], v[108:109], v[106:107]
	v_div_scale_f64 v[108:109], vcc_lo, 1.0, v[0:1], 1.0
	v_mul_f64 v[110:111], v[108:109], v[106:107]
	v_fma_f64 v[97:98], -v[97:98], v[110:111], v[108:109]
	v_div_fmas_f64 v[97:98], v[97:98], v[106:107], v[110:111]
	v_div_fixup_f64 v[0:1], v[97:98], v[0:1], 1.0
.LBB88_461:
	s_or_b32 exec_lo, exec_lo, s0
	s_mov_b32 s0, exec_lo
	v_cmpx_ne_u32_e64 v105, v96
	s_xor_b32 s0, exec_lo, s0
	s_cbranch_execz .LBB88_467
; %bb.462:
	s_mov_b32 s1, exec_lo
	v_cmpx_eq_u32_e32 27, v105
	s_cbranch_execz .LBB88_466
; %bb.463:
	v_cmp_ne_u32_e32 vcc_lo, 27, v96
	s_xor_b32 s2, s6, -1
	s_and_b32 s3, s2, vcc_lo
	s_and_saveexec_b32 s2, s3
	s_cbranch_execz .LBB88_465
; %bb.464:
	v_ashrrev_i32_e32 v97, 31, v96
	v_lshlrev_b64 v[97:98], 2, v[96:97]
	v_add_co_u32 v97, vcc_lo, v4, v97
	v_add_co_ci_u32_e64 v98, null, v5, v98, vcc_lo
	s_clause 0x1
	global_load_dword v104, v[97:98], off
	global_load_dword v105, v[4:5], off offset:108
	s_waitcnt vmcnt(1)
	global_store_dword v[4:5], v104, off offset:108
	s_waitcnt vmcnt(0)
	global_store_dword v[97:98], v105, off
.LBB88_465:
	s_or_b32 exec_lo, exec_lo, s2
	v_mov_b32_e32 v104, v96
	v_mov_b32_e32 v105, v96
.LBB88_466:
	s_or_b32 exec_lo, exec_lo, s1
.LBB88_467:
	s_andn2_saveexec_b32 s0, s0
	s_cbranch_execz .LBB88_469
; %bb.468:
	v_mov_b32_e32 v96, v36
	v_mov_b32_e32 v97, v37
	;; [unrolled: 1-line block ×16, first 2 shown]
	ds_write2_b64 v102, v[96:97], v[105:106] offset0:28 offset1:29
	ds_write2_b64 v102, v[107:108], v[109:110] offset0:30 offset1:31
	;; [unrolled: 1-line block ×4, first 2 shown]
	v_mov_b32_e32 v96, v20
	v_mov_b32_e32 v97, v21
	;; [unrolled: 1-line block ×8, first 2 shown]
	ds_write2_b64 v102, v[96:97], v[105:106] offset0:36 offset1:37
	v_mov_b32_e32 v105, 27
	v_mov_b32_e32 v111, v12
	;; [unrolled: 1-line block ×9, first 2 shown]
	ds_write2_b64 v102, v[107:108], v[109:110] offset0:38 offset1:39
	ds_write2_b64 v102, v[111:112], v[113:114] offset0:40 offset1:41
	ds_write2_b64 v102, v[115:116], v[117:118] offset0:42 offset1:43
	ds_write_b64 v102, v[94:95] offset:352
.LBB88_469:
	s_or_b32 exec_lo, exec_lo, s0
	s_mov_b32 s0, exec_lo
	s_waitcnt lgkmcnt(0)
	s_waitcnt_vscnt null, 0x0
	s_barrier
	buffer_gl0_inv
	v_cmpx_lt_i32_e32 27, v105
	s_cbranch_execz .LBB88_471
; %bb.470:
	v_mul_f64 v[38:39], v[0:1], v[38:39]
	ds_read2_b64 v[106:109], v102 offset0:28 offset1:29
	ds_read2_b64 v[110:113], v102 offset0:30 offset1:31
	;; [unrolled: 1-line block ×8, first 2 shown]
	ds_read_b64 v[0:1], v102 offset:352
	s_waitcnt lgkmcnt(8)
	v_fma_f64 v[36:37], -v[38:39], v[106:107], v[36:37]
	v_fma_f64 v[34:35], -v[38:39], v[108:109], v[34:35]
	s_waitcnt lgkmcnt(7)
	v_fma_f64 v[32:33], -v[38:39], v[110:111], v[32:33]
	v_fma_f64 v[28:29], -v[38:39], v[112:113], v[28:29]
	;; [unrolled: 3-line block ×8, first 2 shown]
	s_waitcnt lgkmcnt(0)
	v_fma_f64 v[94:95], -v[38:39], v[0:1], v[94:95]
.LBB88_471:
	s_or_b32 exec_lo, exec_lo, s0
	v_lshl_add_u32 v0, v105, 3, v102
	s_barrier
	buffer_gl0_inv
	v_mov_b32_e32 v96, 28
	ds_write_b64 v0, v[36:37]
	s_waitcnt lgkmcnt(0)
	s_barrier
	buffer_gl0_inv
	ds_read_b64 v[0:1], v102 offset:224
	s_cmp_lt_i32 s7, 30
	s_cbranch_scc1 .LBB88_474
; %bb.472:
	v_add3_u32 v97, v103, 0, 0xe8
	v_mov_b32_e32 v96, 28
	s_mov_b32 s0, 29
.LBB88_473:                             ; =>This Inner Loop Header: Depth=1
	ds_read_b64 v[106:107], v97
	v_add_nc_u32_e32 v97, 8, v97
	s_waitcnt lgkmcnt(0)
	v_cmp_lt_f64_e64 vcc_lo, |v[0:1]|, |v[106:107]|
	v_cndmask_b32_e32 v1, v1, v107, vcc_lo
	v_cndmask_b32_e32 v0, v0, v106, vcc_lo
	v_cndmask_b32_e64 v96, v96, s0, vcc_lo
	s_add_i32 s0, s0, 1
	s_cmp_lg_u32 s7, s0
	s_cbranch_scc1 .LBB88_473
.LBB88_474:
	s_mov_b32 s0, exec_lo
	s_waitcnt lgkmcnt(0)
	v_cmpx_eq_f64_e32 0, v[0:1]
	s_xor_b32 s0, exec_lo, s0
; %bb.475:
	v_cmp_ne_u32_e32 vcc_lo, 0, v99
	v_cndmask_b32_e32 v99, 29, v99, vcc_lo
; %bb.476:
	s_andn2_saveexec_b32 s0, s0
	s_cbranch_execz .LBB88_478
; %bb.477:
	v_div_scale_f64 v[97:98], null, v[0:1], v[0:1], 1.0
	v_rcp_f64_e32 v[106:107], v[97:98]
	v_fma_f64 v[108:109], -v[97:98], v[106:107], 1.0
	v_fma_f64 v[106:107], v[106:107], v[108:109], v[106:107]
	v_fma_f64 v[108:109], -v[97:98], v[106:107], 1.0
	v_fma_f64 v[106:107], v[106:107], v[108:109], v[106:107]
	v_div_scale_f64 v[108:109], vcc_lo, 1.0, v[0:1], 1.0
	v_mul_f64 v[110:111], v[108:109], v[106:107]
	v_fma_f64 v[97:98], -v[97:98], v[110:111], v[108:109]
	v_div_fmas_f64 v[97:98], v[97:98], v[106:107], v[110:111]
	v_div_fixup_f64 v[0:1], v[97:98], v[0:1], 1.0
.LBB88_478:
	s_or_b32 exec_lo, exec_lo, s0
	s_mov_b32 s0, exec_lo
	v_cmpx_ne_u32_e64 v105, v96
	s_xor_b32 s0, exec_lo, s0
	s_cbranch_execz .LBB88_484
; %bb.479:
	s_mov_b32 s1, exec_lo
	v_cmpx_eq_u32_e32 28, v105
	s_cbranch_execz .LBB88_483
; %bb.480:
	v_cmp_ne_u32_e32 vcc_lo, 28, v96
	s_xor_b32 s2, s6, -1
	s_and_b32 s3, s2, vcc_lo
	s_and_saveexec_b32 s2, s3
	s_cbranch_execz .LBB88_482
; %bb.481:
	v_ashrrev_i32_e32 v97, 31, v96
	v_lshlrev_b64 v[97:98], 2, v[96:97]
	v_add_co_u32 v97, vcc_lo, v4, v97
	v_add_co_ci_u32_e64 v98, null, v5, v98, vcc_lo
	s_clause 0x1
	global_load_dword v104, v[97:98], off
	global_load_dword v105, v[4:5], off offset:112
	s_waitcnt vmcnt(1)
	global_store_dword v[4:5], v104, off offset:112
	s_waitcnt vmcnt(0)
	global_store_dword v[97:98], v105, off
.LBB88_482:
	s_or_b32 exec_lo, exec_lo, s2
	v_mov_b32_e32 v104, v96
	v_mov_b32_e32 v105, v96
.LBB88_483:
	s_or_b32 exec_lo, exec_lo, s1
.LBB88_484:
	s_andn2_saveexec_b32 s0, s0
	s_cbranch_execz .LBB88_486
; %bb.485:
	v_mov_b32_e32 v105, 28
	ds_write2_b64 v102, v[34:35], v[32:33] offset0:29 offset1:30
	ds_write2_b64 v102, v[28:29], v[30:31] offset0:31 offset1:32
	;; [unrolled: 1-line block ×8, first 2 shown]
.LBB88_486:
	s_or_b32 exec_lo, exec_lo, s0
	s_mov_b32 s0, exec_lo
	s_waitcnt lgkmcnt(0)
	s_waitcnt_vscnt null, 0x0
	s_barrier
	buffer_gl0_inv
	v_cmpx_lt_i32_e32 28, v105
	s_cbranch_execz .LBB88_488
; %bb.487:
	v_mul_f64 v[36:37], v[0:1], v[36:37]
	ds_read2_b64 v[106:109], v102 offset0:29 offset1:30
	ds_read2_b64 v[110:113], v102 offset0:31 offset1:32
	;; [unrolled: 1-line block ×8, first 2 shown]
	s_waitcnt lgkmcnt(7)
	v_fma_f64 v[34:35], -v[36:37], v[106:107], v[34:35]
	v_fma_f64 v[32:33], -v[36:37], v[108:109], v[32:33]
	s_waitcnt lgkmcnt(6)
	v_fma_f64 v[28:29], -v[36:37], v[110:111], v[28:29]
	v_fma_f64 v[30:31], -v[36:37], v[112:113], v[30:31]
	;; [unrolled: 3-line block ×8, first 2 shown]
.LBB88_488:
	s_or_b32 exec_lo, exec_lo, s0
	v_lshl_add_u32 v0, v105, 3, v102
	s_barrier
	buffer_gl0_inv
	v_mov_b32_e32 v96, 29
	ds_write_b64 v0, v[34:35]
	s_waitcnt lgkmcnt(0)
	s_barrier
	buffer_gl0_inv
	ds_read_b64 v[0:1], v102 offset:232
	s_cmp_lt_i32 s7, 31
	s_cbranch_scc1 .LBB88_491
; %bb.489:
	v_add3_u32 v97, v103, 0, 0xf0
	v_mov_b32_e32 v96, 29
	s_mov_b32 s0, 30
.LBB88_490:                             ; =>This Inner Loop Header: Depth=1
	ds_read_b64 v[106:107], v97
	v_add_nc_u32_e32 v97, 8, v97
	s_waitcnt lgkmcnt(0)
	v_cmp_lt_f64_e64 vcc_lo, |v[0:1]|, |v[106:107]|
	v_cndmask_b32_e32 v1, v1, v107, vcc_lo
	v_cndmask_b32_e32 v0, v0, v106, vcc_lo
	v_cndmask_b32_e64 v96, v96, s0, vcc_lo
	s_add_i32 s0, s0, 1
	s_cmp_lg_u32 s7, s0
	s_cbranch_scc1 .LBB88_490
.LBB88_491:
	s_mov_b32 s0, exec_lo
	s_waitcnt lgkmcnt(0)
	v_cmpx_eq_f64_e32 0, v[0:1]
	s_xor_b32 s0, exec_lo, s0
; %bb.492:
	v_cmp_ne_u32_e32 vcc_lo, 0, v99
	v_cndmask_b32_e32 v99, 30, v99, vcc_lo
; %bb.493:
	s_andn2_saveexec_b32 s0, s0
	s_cbranch_execz .LBB88_495
; %bb.494:
	v_div_scale_f64 v[97:98], null, v[0:1], v[0:1], 1.0
	v_rcp_f64_e32 v[106:107], v[97:98]
	v_fma_f64 v[108:109], -v[97:98], v[106:107], 1.0
	v_fma_f64 v[106:107], v[106:107], v[108:109], v[106:107]
	v_fma_f64 v[108:109], -v[97:98], v[106:107], 1.0
	v_fma_f64 v[106:107], v[106:107], v[108:109], v[106:107]
	v_div_scale_f64 v[108:109], vcc_lo, 1.0, v[0:1], 1.0
	v_mul_f64 v[110:111], v[108:109], v[106:107]
	v_fma_f64 v[97:98], -v[97:98], v[110:111], v[108:109]
	v_div_fmas_f64 v[97:98], v[97:98], v[106:107], v[110:111]
	v_div_fixup_f64 v[0:1], v[97:98], v[0:1], 1.0
.LBB88_495:
	s_or_b32 exec_lo, exec_lo, s0
	s_mov_b32 s0, exec_lo
	v_cmpx_ne_u32_e64 v105, v96
	s_xor_b32 s0, exec_lo, s0
	s_cbranch_execz .LBB88_501
; %bb.496:
	s_mov_b32 s1, exec_lo
	v_cmpx_eq_u32_e32 29, v105
	s_cbranch_execz .LBB88_500
; %bb.497:
	v_cmp_ne_u32_e32 vcc_lo, 29, v96
	s_xor_b32 s2, s6, -1
	s_and_b32 s3, s2, vcc_lo
	s_and_saveexec_b32 s2, s3
	s_cbranch_execz .LBB88_499
; %bb.498:
	v_ashrrev_i32_e32 v97, 31, v96
	v_lshlrev_b64 v[97:98], 2, v[96:97]
	v_add_co_u32 v97, vcc_lo, v4, v97
	v_add_co_ci_u32_e64 v98, null, v5, v98, vcc_lo
	s_clause 0x1
	global_load_dword v104, v[97:98], off
	global_load_dword v105, v[4:5], off offset:116
	s_waitcnt vmcnt(1)
	global_store_dword v[4:5], v104, off offset:116
	s_waitcnt vmcnt(0)
	global_store_dword v[97:98], v105, off
.LBB88_499:
	s_or_b32 exec_lo, exec_lo, s2
	v_mov_b32_e32 v104, v96
	v_mov_b32_e32 v105, v96
.LBB88_500:
	s_or_b32 exec_lo, exec_lo, s1
.LBB88_501:
	s_andn2_saveexec_b32 s0, s0
	s_cbranch_execz .LBB88_503
; %bb.502:
	v_mov_b32_e32 v96, v32
	v_mov_b32_e32 v97, v33
	;; [unrolled: 1-line block ×12, first 2 shown]
	ds_write2_b64 v102, v[96:97], v[105:106] offset0:30 offset1:31
	ds_write2_b64 v102, v[107:108], v[109:110] offset0:32 offset1:33
	;; [unrolled: 1-line block ×3, first 2 shown]
	v_mov_b32_e32 v96, v20
	v_mov_b32_e32 v97, v21
	;; [unrolled: 1-line block ×8, first 2 shown]
	ds_write2_b64 v102, v[96:97], v[105:106] offset0:36 offset1:37
	v_mov_b32_e32 v105, 29
	v_mov_b32_e32 v111, v12
	;; [unrolled: 1-line block ×9, first 2 shown]
	ds_write2_b64 v102, v[107:108], v[109:110] offset0:38 offset1:39
	ds_write2_b64 v102, v[111:112], v[113:114] offset0:40 offset1:41
	;; [unrolled: 1-line block ×3, first 2 shown]
	ds_write_b64 v102, v[94:95] offset:352
.LBB88_503:
	s_or_b32 exec_lo, exec_lo, s0
	s_mov_b32 s0, exec_lo
	s_waitcnt lgkmcnt(0)
	s_waitcnt_vscnt null, 0x0
	s_barrier
	buffer_gl0_inv
	v_cmpx_lt_i32_e32 29, v105
	s_cbranch_execz .LBB88_505
; %bb.504:
	v_mul_f64 v[34:35], v[0:1], v[34:35]
	ds_read2_b64 v[106:109], v102 offset0:30 offset1:31
	ds_read2_b64 v[110:113], v102 offset0:32 offset1:33
	ds_read2_b64 v[114:117], v102 offset0:34 offset1:35
	ds_read2_b64 v[118:121], v102 offset0:36 offset1:37
	ds_read2_b64 v[122:125], v102 offset0:38 offset1:39
	ds_read2_b64 v[126:129], v102 offset0:40 offset1:41
	ds_read2_b64 v[130:133], v102 offset0:42 offset1:43
	ds_read_b64 v[0:1], v102 offset:352
	s_waitcnt lgkmcnt(7)
	v_fma_f64 v[32:33], -v[34:35], v[106:107], v[32:33]
	v_fma_f64 v[28:29], -v[34:35], v[108:109], v[28:29]
	s_waitcnt lgkmcnt(6)
	v_fma_f64 v[30:31], -v[34:35], v[110:111], v[30:31]
	v_fma_f64 v[24:25], -v[34:35], v[112:113], v[24:25]
	;; [unrolled: 3-line block ×7, first 2 shown]
	s_waitcnt lgkmcnt(0)
	v_fma_f64 v[94:95], -v[34:35], v[0:1], v[94:95]
.LBB88_505:
	s_or_b32 exec_lo, exec_lo, s0
	v_lshl_add_u32 v0, v105, 3, v102
	s_barrier
	buffer_gl0_inv
	v_mov_b32_e32 v96, 30
	ds_write_b64 v0, v[32:33]
	s_waitcnt lgkmcnt(0)
	s_barrier
	buffer_gl0_inv
	ds_read_b64 v[0:1], v102 offset:240
	s_cmp_lt_i32 s7, 32
	s_cbranch_scc1 .LBB88_508
; %bb.506:
	v_add3_u32 v97, v103, 0, 0xf8
	v_mov_b32_e32 v96, 30
	s_mov_b32 s0, 31
.LBB88_507:                             ; =>This Inner Loop Header: Depth=1
	ds_read_b64 v[106:107], v97
	v_add_nc_u32_e32 v97, 8, v97
	s_waitcnt lgkmcnt(0)
	v_cmp_lt_f64_e64 vcc_lo, |v[0:1]|, |v[106:107]|
	v_cndmask_b32_e32 v1, v1, v107, vcc_lo
	v_cndmask_b32_e32 v0, v0, v106, vcc_lo
	v_cndmask_b32_e64 v96, v96, s0, vcc_lo
	s_add_i32 s0, s0, 1
	s_cmp_lg_u32 s7, s0
	s_cbranch_scc1 .LBB88_507
.LBB88_508:
	s_mov_b32 s0, exec_lo
	s_waitcnt lgkmcnt(0)
	v_cmpx_eq_f64_e32 0, v[0:1]
	s_xor_b32 s0, exec_lo, s0
; %bb.509:
	v_cmp_ne_u32_e32 vcc_lo, 0, v99
	v_cndmask_b32_e32 v99, 31, v99, vcc_lo
; %bb.510:
	s_andn2_saveexec_b32 s0, s0
	s_cbranch_execz .LBB88_512
; %bb.511:
	v_div_scale_f64 v[97:98], null, v[0:1], v[0:1], 1.0
	v_rcp_f64_e32 v[106:107], v[97:98]
	v_fma_f64 v[108:109], -v[97:98], v[106:107], 1.0
	v_fma_f64 v[106:107], v[106:107], v[108:109], v[106:107]
	v_fma_f64 v[108:109], -v[97:98], v[106:107], 1.0
	v_fma_f64 v[106:107], v[106:107], v[108:109], v[106:107]
	v_div_scale_f64 v[108:109], vcc_lo, 1.0, v[0:1], 1.0
	v_mul_f64 v[110:111], v[108:109], v[106:107]
	v_fma_f64 v[97:98], -v[97:98], v[110:111], v[108:109]
	v_div_fmas_f64 v[97:98], v[97:98], v[106:107], v[110:111]
	v_div_fixup_f64 v[0:1], v[97:98], v[0:1], 1.0
.LBB88_512:
	s_or_b32 exec_lo, exec_lo, s0
	s_mov_b32 s0, exec_lo
	v_cmpx_ne_u32_e64 v105, v96
	s_xor_b32 s0, exec_lo, s0
	s_cbranch_execz .LBB88_518
; %bb.513:
	s_mov_b32 s1, exec_lo
	v_cmpx_eq_u32_e32 30, v105
	s_cbranch_execz .LBB88_517
; %bb.514:
	v_cmp_ne_u32_e32 vcc_lo, 30, v96
	s_xor_b32 s2, s6, -1
	s_and_b32 s3, s2, vcc_lo
	s_and_saveexec_b32 s2, s3
	s_cbranch_execz .LBB88_516
; %bb.515:
	v_ashrrev_i32_e32 v97, 31, v96
	v_lshlrev_b64 v[97:98], 2, v[96:97]
	v_add_co_u32 v97, vcc_lo, v4, v97
	v_add_co_ci_u32_e64 v98, null, v5, v98, vcc_lo
	s_clause 0x1
	global_load_dword v104, v[97:98], off
	global_load_dword v105, v[4:5], off offset:120
	s_waitcnt vmcnt(1)
	global_store_dword v[4:5], v104, off offset:120
	s_waitcnt vmcnt(0)
	global_store_dword v[97:98], v105, off
.LBB88_516:
	s_or_b32 exec_lo, exec_lo, s2
	v_mov_b32_e32 v104, v96
	v_mov_b32_e32 v105, v96
.LBB88_517:
	s_or_b32 exec_lo, exec_lo, s1
.LBB88_518:
	s_andn2_saveexec_b32 s0, s0
	s_cbranch_execz .LBB88_520
; %bb.519:
	v_mov_b32_e32 v105, 30
	ds_write2_b64 v102, v[28:29], v[30:31] offset0:31 offset1:32
	ds_write2_b64 v102, v[24:25], v[26:27] offset0:33 offset1:34
	;; [unrolled: 1-line block ×7, first 2 shown]
.LBB88_520:
	s_or_b32 exec_lo, exec_lo, s0
	s_mov_b32 s0, exec_lo
	s_waitcnt lgkmcnt(0)
	s_waitcnt_vscnt null, 0x0
	s_barrier
	buffer_gl0_inv
	v_cmpx_lt_i32_e32 30, v105
	s_cbranch_execz .LBB88_522
; %bb.521:
	v_mul_f64 v[32:33], v[0:1], v[32:33]
	ds_read2_b64 v[106:109], v102 offset0:31 offset1:32
	ds_read2_b64 v[110:113], v102 offset0:33 offset1:34
	;; [unrolled: 1-line block ×7, first 2 shown]
	s_waitcnt lgkmcnt(6)
	v_fma_f64 v[28:29], -v[32:33], v[106:107], v[28:29]
	v_fma_f64 v[30:31], -v[32:33], v[108:109], v[30:31]
	s_waitcnt lgkmcnt(5)
	v_fma_f64 v[24:25], -v[32:33], v[110:111], v[24:25]
	v_fma_f64 v[26:27], -v[32:33], v[112:113], v[26:27]
	;; [unrolled: 3-line block ×7, first 2 shown]
.LBB88_522:
	s_or_b32 exec_lo, exec_lo, s0
	v_lshl_add_u32 v0, v105, 3, v102
	s_barrier
	buffer_gl0_inv
	v_mov_b32_e32 v96, 31
	ds_write_b64 v0, v[28:29]
	s_waitcnt lgkmcnt(0)
	s_barrier
	buffer_gl0_inv
	ds_read_b64 v[0:1], v102 offset:248
	s_cmp_lt_i32 s7, 33
	s_cbranch_scc1 .LBB88_525
; %bb.523:
	v_add3_u32 v97, v103, 0, 0x100
	v_mov_b32_e32 v96, 31
	s_mov_b32 s0, 32
.LBB88_524:                             ; =>This Inner Loop Header: Depth=1
	ds_read_b64 v[106:107], v97
	v_add_nc_u32_e32 v97, 8, v97
	s_waitcnt lgkmcnt(0)
	v_cmp_lt_f64_e64 vcc_lo, |v[0:1]|, |v[106:107]|
	v_cndmask_b32_e32 v1, v1, v107, vcc_lo
	v_cndmask_b32_e32 v0, v0, v106, vcc_lo
	v_cndmask_b32_e64 v96, v96, s0, vcc_lo
	s_add_i32 s0, s0, 1
	s_cmp_lg_u32 s7, s0
	s_cbranch_scc1 .LBB88_524
.LBB88_525:
	s_mov_b32 s0, exec_lo
	s_waitcnt lgkmcnt(0)
	v_cmpx_eq_f64_e32 0, v[0:1]
	s_xor_b32 s0, exec_lo, s0
; %bb.526:
	v_cmp_ne_u32_e32 vcc_lo, 0, v99
	v_cndmask_b32_e32 v99, 32, v99, vcc_lo
; %bb.527:
	s_andn2_saveexec_b32 s0, s0
	s_cbranch_execz .LBB88_529
; %bb.528:
	v_div_scale_f64 v[97:98], null, v[0:1], v[0:1], 1.0
	v_rcp_f64_e32 v[106:107], v[97:98]
	v_fma_f64 v[108:109], -v[97:98], v[106:107], 1.0
	v_fma_f64 v[106:107], v[106:107], v[108:109], v[106:107]
	v_fma_f64 v[108:109], -v[97:98], v[106:107], 1.0
	v_fma_f64 v[106:107], v[106:107], v[108:109], v[106:107]
	v_div_scale_f64 v[108:109], vcc_lo, 1.0, v[0:1], 1.0
	v_mul_f64 v[110:111], v[108:109], v[106:107]
	v_fma_f64 v[97:98], -v[97:98], v[110:111], v[108:109]
	v_div_fmas_f64 v[97:98], v[97:98], v[106:107], v[110:111]
	v_div_fixup_f64 v[0:1], v[97:98], v[0:1], 1.0
.LBB88_529:
	s_or_b32 exec_lo, exec_lo, s0
	s_mov_b32 s0, exec_lo
	v_cmpx_ne_u32_e64 v105, v96
	s_xor_b32 s0, exec_lo, s0
	s_cbranch_execz .LBB88_535
; %bb.530:
	s_mov_b32 s1, exec_lo
	v_cmpx_eq_u32_e32 31, v105
	s_cbranch_execz .LBB88_534
; %bb.531:
	v_cmp_ne_u32_e32 vcc_lo, 31, v96
	s_xor_b32 s2, s6, -1
	s_and_b32 s3, s2, vcc_lo
	s_and_saveexec_b32 s2, s3
	s_cbranch_execz .LBB88_533
; %bb.532:
	v_ashrrev_i32_e32 v97, 31, v96
	v_lshlrev_b64 v[97:98], 2, v[96:97]
	v_add_co_u32 v97, vcc_lo, v4, v97
	v_add_co_ci_u32_e64 v98, null, v5, v98, vcc_lo
	s_clause 0x1
	global_load_dword v104, v[97:98], off
	global_load_dword v105, v[4:5], off offset:124
	s_waitcnt vmcnt(1)
	global_store_dword v[4:5], v104, off offset:124
	s_waitcnt vmcnt(0)
	global_store_dword v[97:98], v105, off
.LBB88_533:
	s_or_b32 exec_lo, exec_lo, s2
	v_mov_b32_e32 v104, v96
	v_mov_b32_e32 v105, v96
.LBB88_534:
	s_or_b32 exec_lo, exec_lo, s1
.LBB88_535:
	s_andn2_saveexec_b32 s0, s0
	s_cbranch_execz .LBB88_537
; %bb.536:
	v_mov_b32_e32 v96, v30
	v_mov_b32_e32 v97, v31
	;; [unrolled: 1-line block ×8, first 2 shown]
	ds_write2_b64 v102, v[96:97], v[105:106] offset0:32 offset1:33
	ds_write2_b64 v102, v[107:108], v[109:110] offset0:34 offset1:35
	v_mov_b32_e32 v96, v20
	v_mov_b32_e32 v97, v21
	;; [unrolled: 1-line block ×8, first 2 shown]
	ds_write2_b64 v102, v[96:97], v[105:106] offset0:36 offset1:37
	v_mov_b32_e32 v105, 31
	v_mov_b32_e32 v111, v12
	;; [unrolled: 1-line block ×9, first 2 shown]
	ds_write2_b64 v102, v[107:108], v[109:110] offset0:38 offset1:39
	ds_write2_b64 v102, v[111:112], v[113:114] offset0:40 offset1:41
	;; [unrolled: 1-line block ×3, first 2 shown]
	ds_write_b64 v102, v[94:95] offset:352
.LBB88_537:
	s_or_b32 exec_lo, exec_lo, s0
	s_mov_b32 s0, exec_lo
	s_waitcnt lgkmcnt(0)
	s_waitcnt_vscnt null, 0x0
	s_barrier
	buffer_gl0_inv
	v_cmpx_lt_i32_e32 31, v105
	s_cbranch_execz .LBB88_539
; %bb.538:
	v_mul_f64 v[28:29], v[0:1], v[28:29]
	ds_read2_b64 v[106:109], v102 offset0:32 offset1:33
	ds_read2_b64 v[110:113], v102 offset0:34 offset1:35
	;; [unrolled: 1-line block ×6, first 2 shown]
	ds_read_b64 v[0:1], v102 offset:352
	s_waitcnt lgkmcnt(6)
	v_fma_f64 v[30:31], -v[28:29], v[106:107], v[30:31]
	v_fma_f64 v[24:25], -v[28:29], v[108:109], v[24:25]
	s_waitcnt lgkmcnt(5)
	v_fma_f64 v[26:27], -v[28:29], v[110:111], v[26:27]
	v_fma_f64 v[22:23], -v[28:29], v[112:113], v[22:23]
	;; [unrolled: 3-line block ×6, first 2 shown]
	s_waitcnt lgkmcnt(0)
	v_fma_f64 v[94:95], -v[28:29], v[0:1], v[94:95]
.LBB88_539:
	s_or_b32 exec_lo, exec_lo, s0
	v_lshl_add_u32 v0, v105, 3, v102
	s_barrier
	buffer_gl0_inv
	v_mov_b32_e32 v96, 32
	ds_write_b64 v0, v[30:31]
	s_waitcnt lgkmcnt(0)
	s_barrier
	buffer_gl0_inv
	ds_read_b64 v[0:1], v102 offset:256
	s_cmp_lt_i32 s7, 34
	s_cbranch_scc1 .LBB88_542
; %bb.540:
	v_add3_u32 v97, v103, 0, 0x108
	v_mov_b32_e32 v96, 32
	s_mov_b32 s0, 33
.LBB88_541:                             ; =>This Inner Loop Header: Depth=1
	ds_read_b64 v[106:107], v97
	v_add_nc_u32_e32 v97, 8, v97
	s_waitcnt lgkmcnt(0)
	v_cmp_lt_f64_e64 vcc_lo, |v[0:1]|, |v[106:107]|
	v_cndmask_b32_e32 v1, v1, v107, vcc_lo
	v_cndmask_b32_e32 v0, v0, v106, vcc_lo
	v_cndmask_b32_e64 v96, v96, s0, vcc_lo
	s_add_i32 s0, s0, 1
	s_cmp_lg_u32 s7, s0
	s_cbranch_scc1 .LBB88_541
.LBB88_542:
	s_mov_b32 s0, exec_lo
	s_waitcnt lgkmcnt(0)
	v_cmpx_eq_f64_e32 0, v[0:1]
	s_xor_b32 s0, exec_lo, s0
; %bb.543:
	v_cmp_ne_u32_e32 vcc_lo, 0, v99
	v_cndmask_b32_e32 v99, 33, v99, vcc_lo
; %bb.544:
	s_andn2_saveexec_b32 s0, s0
	s_cbranch_execz .LBB88_546
; %bb.545:
	v_div_scale_f64 v[97:98], null, v[0:1], v[0:1], 1.0
	v_rcp_f64_e32 v[106:107], v[97:98]
	v_fma_f64 v[108:109], -v[97:98], v[106:107], 1.0
	v_fma_f64 v[106:107], v[106:107], v[108:109], v[106:107]
	v_fma_f64 v[108:109], -v[97:98], v[106:107], 1.0
	v_fma_f64 v[106:107], v[106:107], v[108:109], v[106:107]
	v_div_scale_f64 v[108:109], vcc_lo, 1.0, v[0:1], 1.0
	v_mul_f64 v[110:111], v[108:109], v[106:107]
	v_fma_f64 v[97:98], -v[97:98], v[110:111], v[108:109]
	v_div_fmas_f64 v[97:98], v[97:98], v[106:107], v[110:111]
	v_div_fixup_f64 v[0:1], v[97:98], v[0:1], 1.0
.LBB88_546:
	s_or_b32 exec_lo, exec_lo, s0
	s_mov_b32 s0, exec_lo
	v_cmpx_ne_u32_e64 v105, v96
	s_xor_b32 s0, exec_lo, s0
	s_cbranch_execz .LBB88_552
; %bb.547:
	s_mov_b32 s1, exec_lo
	v_cmpx_eq_u32_e32 32, v105
	s_cbranch_execz .LBB88_551
; %bb.548:
	v_cmp_ne_u32_e32 vcc_lo, 32, v96
	s_xor_b32 s2, s6, -1
	s_and_b32 s3, s2, vcc_lo
	s_and_saveexec_b32 s2, s3
	s_cbranch_execz .LBB88_550
; %bb.549:
	v_ashrrev_i32_e32 v97, 31, v96
	v_lshlrev_b64 v[97:98], 2, v[96:97]
	v_add_co_u32 v97, vcc_lo, v4, v97
	v_add_co_ci_u32_e64 v98, null, v5, v98, vcc_lo
	s_clause 0x1
	global_load_dword v104, v[97:98], off
	global_load_dword v105, v[4:5], off offset:128
	s_waitcnt vmcnt(1)
	global_store_dword v[4:5], v104, off offset:128
	s_waitcnt vmcnt(0)
	global_store_dword v[97:98], v105, off
.LBB88_550:
	s_or_b32 exec_lo, exec_lo, s2
	v_mov_b32_e32 v104, v96
	v_mov_b32_e32 v105, v96
.LBB88_551:
	s_or_b32 exec_lo, exec_lo, s1
.LBB88_552:
	s_andn2_saveexec_b32 s0, s0
	s_cbranch_execz .LBB88_554
; %bb.553:
	v_mov_b32_e32 v105, 32
	ds_write2_b64 v102, v[24:25], v[26:27] offset0:33 offset1:34
	ds_write2_b64 v102, v[22:23], v[20:21] offset0:35 offset1:36
	;; [unrolled: 1-line block ×6, first 2 shown]
.LBB88_554:
	s_or_b32 exec_lo, exec_lo, s0
	s_mov_b32 s0, exec_lo
	s_waitcnt lgkmcnt(0)
	s_waitcnt_vscnt null, 0x0
	s_barrier
	buffer_gl0_inv
	v_cmpx_lt_i32_e32 32, v105
	s_cbranch_execz .LBB88_556
; %bb.555:
	v_mul_f64 v[30:31], v[0:1], v[30:31]
	ds_read2_b64 v[106:109], v102 offset0:33 offset1:34
	ds_read2_b64 v[110:113], v102 offset0:35 offset1:36
	;; [unrolled: 1-line block ×6, first 2 shown]
	s_waitcnt lgkmcnt(5)
	v_fma_f64 v[24:25], -v[30:31], v[106:107], v[24:25]
	v_fma_f64 v[26:27], -v[30:31], v[108:109], v[26:27]
	s_waitcnt lgkmcnt(4)
	v_fma_f64 v[22:23], -v[30:31], v[110:111], v[22:23]
	v_fma_f64 v[20:21], -v[30:31], v[112:113], v[20:21]
	;; [unrolled: 3-line block ×6, first 2 shown]
.LBB88_556:
	s_or_b32 exec_lo, exec_lo, s0
	v_lshl_add_u32 v0, v105, 3, v102
	s_barrier
	buffer_gl0_inv
	v_mov_b32_e32 v96, 33
	ds_write_b64 v0, v[24:25]
	s_waitcnt lgkmcnt(0)
	s_barrier
	buffer_gl0_inv
	ds_read_b64 v[0:1], v102 offset:264
	s_cmp_lt_i32 s7, 35
	s_cbranch_scc1 .LBB88_559
; %bb.557:
	v_add3_u32 v97, v103, 0, 0x110
	v_mov_b32_e32 v96, 33
	s_mov_b32 s0, 34
.LBB88_558:                             ; =>This Inner Loop Header: Depth=1
	ds_read_b64 v[106:107], v97
	v_add_nc_u32_e32 v97, 8, v97
	s_waitcnt lgkmcnt(0)
	v_cmp_lt_f64_e64 vcc_lo, |v[0:1]|, |v[106:107]|
	v_cndmask_b32_e32 v1, v1, v107, vcc_lo
	v_cndmask_b32_e32 v0, v0, v106, vcc_lo
	v_cndmask_b32_e64 v96, v96, s0, vcc_lo
	s_add_i32 s0, s0, 1
	s_cmp_lg_u32 s7, s0
	s_cbranch_scc1 .LBB88_558
.LBB88_559:
	s_mov_b32 s0, exec_lo
	s_waitcnt lgkmcnt(0)
	v_cmpx_eq_f64_e32 0, v[0:1]
	s_xor_b32 s0, exec_lo, s0
; %bb.560:
	v_cmp_ne_u32_e32 vcc_lo, 0, v99
	v_cndmask_b32_e32 v99, 34, v99, vcc_lo
; %bb.561:
	s_andn2_saveexec_b32 s0, s0
	s_cbranch_execz .LBB88_563
; %bb.562:
	v_div_scale_f64 v[97:98], null, v[0:1], v[0:1], 1.0
	v_rcp_f64_e32 v[106:107], v[97:98]
	v_fma_f64 v[108:109], -v[97:98], v[106:107], 1.0
	v_fma_f64 v[106:107], v[106:107], v[108:109], v[106:107]
	v_fma_f64 v[108:109], -v[97:98], v[106:107], 1.0
	v_fma_f64 v[106:107], v[106:107], v[108:109], v[106:107]
	v_div_scale_f64 v[108:109], vcc_lo, 1.0, v[0:1], 1.0
	v_mul_f64 v[110:111], v[108:109], v[106:107]
	v_fma_f64 v[97:98], -v[97:98], v[110:111], v[108:109]
	v_div_fmas_f64 v[97:98], v[97:98], v[106:107], v[110:111]
	v_div_fixup_f64 v[0:1], v[97:98], v[0:1], 1.0
.LBB88_563:
	s_or_b32 exec_lo, exec_lo, s0
	s_mov_b32 s0, exec_lo
	v_cmpx_ne_u32_e64 v105, v96
	s_xor_b32 s0, exec_lo, s0
	s_cbranch_execz .LBB88_569
; %bb.564:
	s_mov_b32 s1, exec_lo
	v_cmpx_eq_u32_e32 33, v105
	s_cbranch_execz .LBB88_568
; %bb.565:
	v_cmp_ne_u32_e32 vcc_lo, 33, v96
	s_xor_b32 s2, s6, -1
	s_and_b32 s3, s2, vcc_lo
	s_and_saveexec_b32 s2, s3
	s_cbranch_execz .LBB88_567
; %bb.566:
	v_ashrrev_i32_e32 v97, 31, v96
	v_lshlrev_b64 v[97:98], 2, v[96:97]
	v_add_co_u32 v97, vcc_lo, v4, v97
	v_add_co_ci_u32_e64 v98, null, v5, v98, vcc_lo
	s_clause 0x1
	global_load_dword v104, v[97:98], off
	global_load_dword v105, v[4:5], off offset:132
	s_waitcnt vmcnt(1)
	global_store_dword v[4:5], v104, off offset:132
	s_waitcnt vmcnt(0)
	global_store_dword v[97:98], v105, off
.LBB88_567:
	s_or_b32 exec_lo, exec_lo, s2
	v_mov_b32_e32 v104, v96
	v_mov_b32_e32 v105, v96
.LBB88_568:
	s_or_b32 exec_lo, exec_lo, s1
.LBB88_569:
	s_andn2_saveexec_b32 s0, s0
	s_cbranch_execz .LBB88_571
; %bb.570:
	v_mov_b32_e32 v96, v26
	v_mov_b32_e32 v97, v27
	;; [unrolled: 1-line block ×8, first 2 shown]
	ds_write2_b64 v102, v[96:97], v[105:106] offset0:34 offset1:35
	v_mov_b32_e32 v96, v18
	v_mov_b32_e32 v97, v19
	;; [unrolled: 1-line block ×13, first 2 shown]
	ds_write2_b64 v102, v[107:108], v[96:97] offset0:36 offset1:37
	ds_write2_b64 v102, v[109:110], v[111:112] offset0:38 offset1:39
	;; [unrolled: 1-line block ×4, first 2 shown]
	ds_write_b64 v102, v[94:95] offset:352
.LBB88_571:
	s_or_b32 exec_lo, exec_lo, s0
	s_mov_b32 s0, exec_lo
	s_waitcnt lgkmcnt(0)
	s_waitcnt_vscnt null, 0x0
	s_barrier
	buffer_gl0_inv
	v_cmpx_lt_i32_e32 33, v105
	s_cbranch_execz .LBB88_573
; %bb.572:
	v_mul_f64 v[24:25], v[0:1], v[24:25]
	ds_read2_b64 v[106:109], v102 offset0:34 offset1:35
	ds_read2_b64 v[110:113], v102 offset0:36 offset1:37
	;; [unrolled: 1-line block ×5, first 2 shown]
	ds_read_b64 v[0:1], v102 offset:352
	s_waitcnt lgkmcnt(5)
	v_fma_f64 v[26:27], -v[24:25], v[106:107], v[26:27]
	v_fma_f64 v[22:23], -v[24:25], v[108:109], v[22:23]
	s_waitcnt lgkmcnt(4)
	v_fma_f64 v[20:21], -v[24:25], v[110:111], v[20:21]
	v_fma_f64 v[18:19], -v[24:25], v[112:113], v[18:19]
	;; [unrolled: 3-line block ×5, first 2 shown]
	s_waitcnt lgkmcnt(0)
	v_fma_f64 v[94:95], -v[24:25], v[0:1], v[94:95]
.LBB88_573:
	s_or_b32 exec_lo, exec_lo, s0
	v_lshl_add_u32 v0, v105, 3, v102
	s_barrier
	buffer_gl0_inv
	v_mov_b32_e32 v96, 34
	ds_write_b64 v0, v[26:27]
	s_waitcnt lgkmcnt(0)
	s_barrier
	buffer_gl0_inv
	ds_read_b64 v[0:1], v102 offset:272
	s_cmp_lt_i32 s7, 36
	s_cbranch_scc1 .LBB88_576
; %bb.574:
	v_add3_u32 v97, v103, 0, 0x118
	v_mov_b32_e32 v96, 34
	s_mov_b32 s0, 35
.LBB88_575:                             ; =>This Inner Loop Header: Depth=1
	ds_read_b64 v[106:107], v97
	v_add_nc_u32_e32 v97, 8, v97
	s_waitcnt lgkmcnt(0)
	v_cmp_lt_f64_e64 vcc_lo, |v[0:1]|, |v[106:107]|
	v_cndmask_b32_e32 v1, v1, v107, vcc_lo
	v_cndmask_b32_e32 v0, v0, v106, vcc_lo
	v_cndmask_b32_e64 v96, v96, s0, vcc_lo
	s_add_i32 s0, s0, 1
	s_cmp_lg_u32 s7, s0
	s_cbranch_scc1 .LBB88_575
.LBB88_576:
	s_mov_b32 s0, exec_lo
	s_waitcnt lgkmcnt(0)
	v_cmpx_eq_f64_e32 0, v[0:1]
	s_xor_b32 s0, exec_lo, s0
; %bb.577:
	v_cmp_ne_u32_e32 vcc_lo, 0, v99
	v_cndmask_b32_e32 v99, 35, v99, vcc_lo
; %bb.578:
	s_andn2_saveexec_b32 s0, s0
	s_cbranch_execz .LBB88_580
; %bb.579:
	v_div_scale_f64 v[97:98], null, v[0:1], v[0:1], 1.0
	v_rcp_f64_e32 v[106:107], v[97:98]
	v_fma_f64 v[108:109], -v[97:98], v[106:107], 1.0
	v_fma_f64 v[106:107], v[106:107], v[108:109], v[106:107]
	v_fma_f64 v[108:109], -v[97:98], v[106:107], 1.0
	v_fma_f64 v[106:107], v[106:107], v[108:109], v[106:107]
	v_div_scale_f64 v[108:109], vcc_lo, 1.0, v[0:1], 1.0
	v_mul_f64 v[110:111], v[108:109], v[106:107]
	v_fma_f64 v[97:98], -v[97:98], v[110:111], v[108:109]
	v_div_fmas_f64 v[97:98], v[97:98], v[106:107], v[110:111]
	v_div_fixup_f64 v[0:1], v[97:98], v[0:1], 1.0
.LBB88_580:
	s_or_b32 exec_lo, exec_lo, s0
	s_mov_b32 s0, exec_lo
	v_cmpx_ne_u32_e64 v105, v96
	s_xor_b32 s0, exec_lo, s0
	s_cbranch_execz .LBB88_586
; %bb.581:
	s_mov_b32 s1, exec_lo
	v_cmpx_eq_u32_e32 34, v105
	s_cbranch_execz .LBB88_585
; %bb.582:
	v_cmp_ne_u32_e32 vcc_lo, 34, v96
	s_xor_b32 s2, s6, -1
	s_and_b32 s3, s2, vcc_lo
	s_and_saveexec_b32 s2, s3
	s_cbranch_execz .LBB88_584
; %bb.583:
	v_ashrrev_i32_e32 v97, 31, v96
	v_lshlrev_b64 v[97:98], 2, v[96:97]
	v_add_co_u32 v97, vcc_lo, v4, v97
	v_add_co_ci_u32_e64 v98, null, v5, v98, vcc_lo
	s_clause 0x1
	global_load_dword v104, v[97:98], off
	global_load_dword v105, v[4:5], off offset:136
	s_waitcnt vmcnt(1)
	global_store_dword v[4:5], v104, off offset:136
	s_waitcnt vmcnt(0)
	global_store_dword v[97:98], v105, off
.LBB88_584:
	s_or_b32 exec_lo, exec_lo, s2
	v_mov_b32_e32 v104, v96
	v_mov_b32_e32 v105, v96
.LBB88_585:
	s_or_b32 exec_lo, exec_lo, s1
.LBB88_586:
	s_andn2_saveexec_b32 s0, s0
	s_cbranch_execz .LBB88_588
; %bb.587:
	v_mov_b32_e32 v105, 34
	ds_write2_b64 v102, v[22:23], v[20:21] offset0:35 offset1:36
	ds_write2_b64 v102, v[18:19], v[16:17] offset0:37 offset1:38
	;; [unrolled: 1-line block ×5, first 2 shown]
.LBB88_588:
	s_or_b32 exec_lo, exec_lo, s0
	s_mov_b32 s0, exec_lo
	s_waitcnt lgkmcnt(0)
	s_waitcnt_vscnt null, 0x0
	s_barrier
	buffer_gl0_inv
	v_cmpx_lt_i32_e32 34, v105
	s_cbranch_execz .LBB88_590
; %bb.589:
	v_mul_f64 v[26:27], v[0:1], v[26:27]
	ds_read2_b64 v[106:109], v102 offset0:35 offset1:36
	ds_read2_b64 v[110:113], v102 offset0:37 offset1:38
	;; [unrolled: 1-line block ×5, first 2 shown]
	s_waitcnt lgkmcnt(4)
	v_fma_f64 v[22:23], -v[26:27], v[106:107], v[22:23]
	v_fma_f64 v[20:21], -v[26:27], v[108:109], v[20:21]
	s_waitcnt lgkmcnt(3)
	v_fma_f64 v[18:19], -v[26:27], v[110:111], v[18:19]
	v_fma_f64 v[16:17], -v[26:27], v[112:113], v[16:17]
	;; [unrolled: 3-line block ×5, first 2 shown]
.LBB88_590:
	s_or_b32 exec_lo, exec_lo, s0
	v_lshl_add_u32 v0, v105, 3, v102
	s_barrier
	buffer_gl0_inv
	v_mov_b32_e32 v96, 35
	ds_write_b64 v0, v[22:23]
	s_waitcnt lgkmcnt(0)
	s_barrier
	buffer_gl0_inv
	ds_read_b64 v[0:1], v102 offset:280
	s_cmp_lt_i32 s7, 37
	s_cbranch_scc1 .LBB88_593
; %bb.591:
	v_add3_u32 v97, v103, 0, 0x120
	v_mov_b32_e32 v96, 35
	s_mov_b32 s0, 36
.LBB88_592:                             ; =>This Inner Loop Header: Depth=1
	ds_read_b64 v[106:107], v97
	v_add_nc_u32_e32 v97, 8, v97
	s_waitcnt lgkmcnt(0)
	v_cmp_lt_f64_e64 vcc_lo, |v[0:1]|, |v[106:107]|
	v_cndmask_b32_e32 v1, v1, v107, vcc_lo
	v_cndmask_b32_e32 v0, v0, v106, vcc_lo
	v_cndmask_b32_e64 v96, v96, s0, vcc_lo
	s_add_i32 s0, s0, 1
	s_cmp_lg_u32 s7, s0
	s_cbranch_scc1 .LBB88_592
.LBB88_593:
	s_mov_b32 s0, exec_lo
	s_waitcnt lgkmcnt(0)
	v_cmpx_eq_f64_e32 0, v[0:1]
	s_xor_b32 s0, exec_lo, s0
; %bb.594:
	v_cmp_ne_u32_e32 vcc_lo, 0, v99
	v_cndmask_b32_e32 v99, 36, v99, vcc_lo
; %bb.595:
	s_andn2_saveexec_b32 s0, s0
	s_cbranch_execz .LBB88_597
; %bb.596:
	v_div_scale_f64 v[97:98], null, v[0:1], v[0:1], 1.0
	v_rcp_f64_e32 v[106:107], v[97:98]
	v_fma_f64 v[108:109], -v[97:98], v[106:107], 1.0
	v_fma_f64 v[106:107], v[106:107], v[108:109], v[106:107]
	v_fma_f64 v[108:109], -v[97:98], v[106:107], 1.0
	v_fma_f64 v[106:107], v[106:107], v[108:109], v[106:107]
	v_div_scale_f64 v[108:109], vcc_lo, 1.0, v[0:1], 1.0
	v_mul_f64 v[110:111], v[108:109], v[106:107]
	v_fma_f64 v[97:98], -v[97:98], v[110:111], v[108:109]
	v_div_fmas_f64 v[97:98], v[97:98], v[106:107], v[110:111]
	v_div_fixup_f64 v[0:1], v[97:98], v[0:1], 1.0
.LBB88_597:
	s_or_b32 exec_lo, exec_lo, s0
	s_mov_b32 s0, exec_lo
	v_cmpx_ne_u32_e64 v105, v96
	s_xor_b32 s0, exec_lo, s0
	s_cbranch_execz .LBB88_603
; %bb.598:
	s_mov_b32 s1, exec_lo
	v_cmpx_eq_u32_e32 35, v105
	s_cbranch_execz .LBB88_602
; %bb.599:
	v_cmp_ne_u32_e32 vcc_lo, 35, v96
	s_xor_b32 s2, s6, -1
	s_and_b32 s3, s2, vcc_lo
	s_and_saveexec_b32 s2, s3
	s_cbranch_execz .LBB88_601
; %bb.600:
	v_ashrrev_i32_e32 v97, 31, v96
	v_lshlrev_b64 v[97:98], 2, v[96:97]
	v_add_co_u32 v97, vcc_lo, v4, v97
	v_add_co_ci_u32_e64 v98, null, v5, v98, vcc_lo
	s_clause 0x1
	global_load_dword v104, v[97:98], off
	global_load_dword v105, v[4:5], off offset:140
	s_waitcnt vmcnt(1)
	global_store_dword v[4:5], v104, off offset:140
	s_waitcnt vmcnt(0)
	global_store_dword v[97:98], v105, off
.LBB88_601:
	s_or_b32 exec_lo, exec_lo, s2
	v_mov_b32_e32 v104, v96
	v_mov_b32_e32 v105, v96
.LBB88_602:
	s_or_b32 exec_lo, exec_lo, s1
.LBB88_603:
	s_andn2_saveexec_b32 s0, s0
	s_cbranch_execz .LBB88_605
; %bb.604:
	v_mov_b32_e32 v96, v20
	v_mov_b32_e32 v97, v21
	v_mov_b32_e32 v105, v18
	v_mov_b32_e32 v106, v19
	v_mov_b32_e32 v107, v16
	v_mov_b32_e32 v108, v17
	v_mov_b32_e32 v109, v14
	v_mov_b32_e32 v110, v15
	ds_write2_b64 v102, v[96:97], v[105:106] offset0:36 offset1:37
	v_mov_b32_e32 v105, 35
	v_mov_b32_e32 v111, v12
	;; [unrolled: 1-line block ×9, first 2 shown]
	ds_write2_b64 v102, v[107:108], v[109:110] offset0:38 offset1:39
	ds_write2_b64 v102, v[111:112], v[113:114] offset0:40 offset1:41
	;; [unrolled: 1-line block ×3, first 2 shown]
	ds_write_b64 v102, v[94:95] offset:352
.LBB88_605:
	s_or_b32 exec_lo, exec_lo, s0
	s_mov_b32 s0, exec_lo
	s_waitcnt lgkmcnt(0)
	s_waitcnt_vscnt null, 0x0
	s_barrier
	buffer_gl0_inv
	v_cmpx_lt_i32_e32 35, v105
	s_cbranch_execz .LBB88_607
; %bb.606:
	v_mul_f64 v[22:23], v[0:1], v[22:23]
	ds_read2_b64 v[106:109], v102 offset0:36 offset1:37
	ds_read2_b64 v[110:113], v102 offset0:38 offset1:39
	;; [unrolled: 1-line block ×4, first 2 shown]
	ds_read_b64 v[0:1], v102 offset:352
	s_waitcnt lgkmcnt(4)
	v_fma_f64 v[20:21], -v[22:23], v[106:107], v[20:21]
	v_fma_f64 v[18:19], -v[22:23], v[108:109], v[18:19]
	s_waitcnt lgkmcnt(3)
	v_fma_f64 v[16:17], -v[22:23], v[110:111], v[16:17]
	v_fma_f64 v[14:15], -v[22:23], v[112:113], v[14:15]
	;; [unrolled: 3-line block ×4, first 2 shown]
	s_waitcnt lgkmcnt(0)
	v_fma_f64 v[94:95], -v[22:23], v[0:1], v[94:95]
.LBB88_607:
	s_or_b32 exec_lo, exec_lo, s0
	v_lshl_add_u32 v0, v105, 3, v102
	s_barrier
	buffer_gl0_inv
	v_mov_b32_e32 v96, 36
	ds_write_b64 v0, v[20:21]
	s_waitcnt lgkmcnt(0)
	s_barrier
	buffer_gl0_inv
	ds_read_b64 v[0:1], v102 offset:288
	s_cmp_lt_i32 s7, 38
	s_cbranch_scc1 .LBB88_610
; %bb.608:
	v_add3_u32 v97, v103, 0, 0x128
	v_mov_b32_e32 v96, 36
	s_mov_b32 s0, 37
.LBB88_609:                             ; =>This Inner Loop Header: Depth=1
	ds_read_b64 v[106:107], v97
	v_add_nc_u32_e32 v97, 8, v97
	s_waitcnt lgkmcnt(0)
	v_cmp_lt_f64_e64 vcc_lo, |v[0:1]|, |v[106:107]|
	v_cndmask_b32_e32 v1, v1, v107, vcc_lo
	v_cndmask_b32_e32 v0, v0, v106, vcc_lo
	v_cndmask_b32_e64 v96, v96, s0, vcc_lo
	s_add_i32 s0, s0, 1
	s_cmp_lg_u32 s7, s0
	s_cbranch_scc1 .LBB88_609
.LBB88_610:
	s_mov_b32 s0, exec_lo
	s_waitcnt lgkmcnt(0)
	v_cmpx_eq_f64_e32 0, v[0:1]
	s_xor_b32 s0, exec_lo, s0
; %bb.611:
	v_cmp_ne_u32_e32 vcc_lo, 0, v99
	v_cndmask_b32_e32 v99, 37, v99, vcc_lo
; %bb.612:
	s_andn2_saveexec_b32 s0, s0
	s_cbranch_execz .LBB88_614
; %bb.613:
	v_div_scale_f64 v[97:98], null, v[0:1], v[0:1], 1.0
	v_rcp_f64_e32 v[106:107], v[97:98]
	v_fma_f64 v[108:109], -v[97:98], v[106:107], 1.0
	v_fma_f64 v[106:107], v[106:107], v[108:109], v[106:107]
	v_fma_f64 v[108:109], -v[97:98], v[106:107], 1.0
	v_fma_f64 v[106:107], v[106:107], v[108:109], v[106:107]
	v_div_scale_f64 v[108:109], vcc_lo, 1.0, v[0:1], 1.0
	v_mul_f64 v[110:111], v[108:109], v[106:107]
	v_fma_f64 v[97:98], -v[97:98], v[110:111], v[108:109]
	v_div_fmas_f64 v[97:98], v[97:98], v[106:107], v[110:111]
	v_div_fixup_f64 v[0:1], v[97:98], v[0:1], 1.0
.LBB88_614:
	s_or_b32 exec_lo, exec_lo, s0
	s_mov_b32 s0, exec_lo
	v_cmpx_ne_u32_e64 v105, v96
	s_xor_b32 s0, exec_lo, s0
	s_cbranch_execz .LBB88_620
; %bb.615:
	s_mov_b32 s1, exec_lo
	v_cmpx_eq_u32_e32 36, v105
	s_cbranch_execz .LBB88_619
; %bb.616:
	v_cmp_ne_u32_e32 vcc_lo, 36, v96
	s_xor_b32 s2, s6, -1
	s_and_b32 s3, s2, vcc_lo
	s_and_saveexec_b32 s2, s3
	s_cbranch_execz .LBB88_618
; %bb.617:
	v_ashrrev_i32_e32 v97, 31, v96
	v_lshlrev_b64 v[97:98], 2, v[96:97]
	v_add_co_u32 v97, vcc_lo, v4, v97
	v_add_co_ci_u32_e64 v98, null, v5, v98, vcc_lo
	s_clause 0x1
	global_load_dword v104, v[97:98], off
	global_load_dword v105, v[4:5], off offset:144
	s_waitcnt vmcnt(1)
	global_store_dword v[4:5], v104, off offset:144
	s_waitcnt vmcnt(0)
	global_store_dword v[97:98], v105, off
.LBB88_618:
	s_or_b32 exec_lo, exec_lo, s2
	v_mov_b32_e32 v104, v96
	v_mov_b32_e32 v105, v96
.LBB88_619:
	s_or_b32 exec_lo, exec_lo, s1
.LBB88_620:
	s_andn2_saveexec_b32 s0, s0
	s_cbranch_execz .LBB88_622
; %bb.621:
	v_mov_b32_e32 v105, 36
	ds_write2_b64 v102, v[18:19], v[16:17] offset0:37 offset1:38
	ds_write2_b64 v102, v[14:15], v[12:13] offset0:39 offset1:40
	;; [unrolled: 1-line block ×4, first 2 shown]
.LBB88_622:
	s_or_b32 exec_lo, exec_lo, s0
	s_mov_b32 s0, exec_lo
	s_waitcnt lgkmcnt(0)
	s_waitcnt_vscnt null, 0x0
	s_barrier
	buffer_gl0_inv
	v_cmpx_lt_i32_e32 36, v105
	s_cbranch_execz .LBB88_624
; %bb.623:
	v_mul_f64 v[20:21], v[0:1], v[20:21]
	ds_read2_b64 v[106:109], v102 offset0:37 offset1:38
	ds_read2_b64 v[110:113], v102 offset0:39 offset1:40
	;; [unrolled: 1-line block ×4, first 2 shown]
	s_waitcnt lgkmcnt(3)
	v_fma_f64 v[18:19], -v[20:21], v[106:107], v[18:19]
	v_fma_f64 v[16:17], -v[20:21], v[108:109], v[16:17]
	s_waitcnt lgkmcnt(2)
	v_fma_f64 v[14:15], -v[20:21], v[110:111], v[14:15]
	v_fma_f64 v[12:13], -v[20:21], v[112:113], v[12:13]
	;; [unrolled: 3-line block ×4, first 2 shown]
.LBB88_624:
	s_or_b32 exec_lo, exec_lo, s0
	v_lshl_add_u32 v0, v105, 3, v102
	s_barrier
	buffer_gl0_inv
	v_mov_b32_e32 v96, 37
	ds_write_b64 v0, v[18:19]
	s_waitcnt lgkmcnt(0)
	s_barrier
	buffer_gl0_inv
	ds_read_b64 v[0:1], v102 offset:296
	s_cmp_lt_i32 s7, 39
	s_cbranch_scc1 .LBB88_627
; %bb.625:
	v_add3_u32 v97, v103, 0, 0x130
	v_mov_b32_e32 v96, 37
	s_mov_b32 s0, 38
.LBB88_626:                             ; =>This Inner Loop Header: Depth=1
	ds_read_b64 v[106:107], v97
	v_add_nc_u32_e32 v97, 8, v97
	s_waitcnt lgkmcnt(0)
	v_cmp_lt_f64_e64 vcc_lo, |v[0:1]|, |v[106:107]|
	v_cndmask_b32_e32 v1, v1, v107, vcc_lo
	v_cndmask_b32_e32 v0, v0, v106, vcc_lo
	v_cndmask_b32_e64 v96, v96, s0, vcc_lo
	s_add_i32 s0, s0, 1
	s_cmp_lg_u32 s7, s0
	s_cbranch_scc1 .LBB88_626
.LBB88_627:
	s_mov_b32 s0, exec_lo
	s_waitcnt lgkmcnt(0)
	v_cmpx_eq_f64_e32 0, v[0:1]
	s_xor_b32 s0, exec_lo, s0
; %bb.628:
	v_cmp_ne_u32_e32 vcc_lo, 0, v99
	v_cndmask_b32_e32 v99, 38, v99, vcc_lo
; %bb.629:
	s_andn2_saveexec_b32 s0, s0
	s_cbranch_execz .LBB88_631
; %bb.630:
	v_div_scale_f64 v[97:98], null, v[0:1], v[0:1], 1.0
	v_rcp_f64_e32 v[106:107], v[97:98]
	v_fma_f64 v[108:109], -v[97:98], v[106:107], 1.0
	v_fma_f64 v[106:107], v[106:107], v[108:109], v[106:107]
	v_fma_f64 v[108:109], -v[97:98], v[106:107], 1.0
	v_fma_f64 v[106:107], v[106:107], v[108:109], v[106:107]
	v_div_scale_f64 v[108:109], vcc_lo, 1.0, v[0:1], 1.0
	v_mul_f64 v[110:111], v[108:109], v[106:107]
	v_fma_f64 v[97:98], -v[97:98], v[110:111], v[108:109]
	v_div_fmas_f64 v[97:98], v[97:98], v[106:107], v[110:111]
	v_div_fixup_f64 v[0:1], v[97:98], v[0:1], 1.0
.LBB88_631:
	s_or_b32 exec_lo, exec_lo, s0
	s_mov_b32 s0, exec_lo
	v_cmpx_ne_u32_e64 v105, v96
	s_xor_b32 s0, exec_lo, s0
	s_cbranch_execz .LBB88_637
; %bb.632:
	s_mov_b32 s1, exec_lo
	v_cmpx_eq_u32_e32 37, v105
	s_cbranch_execz .LBB88_636
; %bb.633:
	v_cmp_ne_u32_e32 vcc_lo, 37, v96
	s_xor_b32 s2, s6, -1
	s_and_b32 s3, s2, vcc_lo
	s_and_saveexec_b32 s2, s3
	s_cbranch_execz .LBB88_635
; %bb.634:
	v_ashrrev_i32_e32 v97, 31, v96
	v_lshlrev_b64 v[97:98], 2, v[96:97]
	v_add_co_u32 v97, vcc_lo, v4, v97
	v_add_co_ci_u32_e64 v98, null, v5, v98, vcc_lo
	s_clause 0x1
	global_load_dword v104, v[97:98], off
	global_load_dword v105, v[4:5], off offset:148
	s_waitcnt vmcnt(1)
	global_store_dword v[4:5], v104, off offset:148
	s_waitcnt vmcnt(0)
	global_store_dword v[97:98], v105, off
.LBB88_635:
	s_or_b32 exec_lo, exec_lo, s2
	v_mov_b32_e32 v104, v96
	v_mov_b32_e32 v105, v96
.LBB88_636:
	s_or_b32 exec_lo, exec_lo, s1
.LBB88_637:
	s_andn2_saveexec_b32 s0, s0
	s_cbranch_execz .LBB88_639
; %bb.638:
	v_mov_b32_e32 v96, v16
	v_mov_b32_e32 v97, v17
	;; [unrolled: 1-line block ×13, first 2 shown]
	ds_write2_b64 v102, v[96:97], v[106:107] offset0:38 offset1:39
	ds_write2_b64 v102, v[108:109], v[110:111] offset0:40 offset1:41
	;; [unrolled: 1-line block ×3, first 2 shown]
	ds_write_b64 v102, v[94:95] offset:352
.LBB88_639:
	s_or_b32 exec_lo, exec_lo, s0
	s_mov_b32 s0, exec_lo
	s_waitcnt lgkmcnt(0)
	s_waitcnt_vscnt null, 0x0
	s_barrier
	buffer_gl0_inv
	v_cmpx_lt_i32_e32 37, v105
	s_cbranch_execz .LBB88_641
; %bb.640:
	v_mul_f64 v[18:19], v[0:1], v[18:19]
	ds_read2_b64 v[106:109], v102 offset0:38 offset1:39
	ds_read2_b64 v[110:113], v102 offset0:40 offset1:41
	ds_read2_b64 v[114:117], v102 offset0:42 offset1:43
	ds_read_b64 v[0:1], v102 offset:352
	s_waitcnt lgkmcnt(3)
	v_fma_f64 v[16:17], -v[18:19], v[106:107], v[16:17]
	v_fma_f64 v[14:15], -v[18:19], v[108:109], v[14:15]
	s_waitcnt lgkmcnt(2)
	v_fma_f64 v[12:13], -v[18:19], v[110:111], v[12:13]
	v_fma_f64 v[8:9], -v[18:19], v[112:113], v[8:9]
	s_waitcnt lgkmcnt(1)
	v_fma_f64 v[10:11], -v[18:19], v[114:115], v[10:11]
	v_fma_f64 v[6:7], -v[18:19], v[116:117], v[6:7]
	s_waitcnt lgkmcnt(0)
	v_fma_f64 v[94:95], -v[18:19], v[0:1], v[94:95]
.LBB88_641:
	s_or_b32 exec_lo, exec_lo, s0
	v_lshl_add_u32 v0, v105, 3, v102
	s_barrier
	buffer_gl0_inv
	v_mov_b32_e32 v96, 38
	ds_write_b64 v0, v[16:17]
	s_waitcnt lgkmcnt(0)
	s_barrier
	buffer_gl0_inv
	ds_read_b64 v[0:1], v102 offset:304
	s_cmp_lt_i32 s7, 40
	s_cbranch_scc1 .LBB88_644
; %bb.642:
	v_add3_u32 v97, v103, 0, 0x138
	v_mov_b32_e32 v96, 38
	s_mov_b32 s0, 39
.LBB88_643:                             ; =>This Inner Loop Header: Depth=1
	ds_read_b64 v[106:107], v97
	v_add_nc_u32_e32 v97, 8, v97
	s_waitcnt lgkmcnt(0)
	v_cmp_lt_f64_e64 vcc_lo, |v[0:1]|, |v[106:107]|
	v_cndmask_b32_e32 v1, v1, v107, vcc_lo
	v_cndmask_b32_e32 v0, v0, v106, vcc_lo
	v_cndmask_b32_e64 v96, v96, s0, vcc_lo
	s_add_i32 s0, s0, 1
	s_cmp_lg_u32 s7, s0
	s_cbranch_scc1 .LBB88_643
.LBB88_644:
	s_mov_b32 s0, exec_lo
	s_waitcnt lgkmcnt(0)
	v_cmpx_eq_f64_e32 0, v[0:1]
	s_xor_b32 s0, exec_lo, s0
; %bb.645:
	v_cmp_ne_u32_e32 vcc_lo, 0, v99
	v_cndmask_b32_e32 v99, 39, v99, vcc_lo
; %bb.646:
	s_andn2_saveexec_b32 s0, s0
	s_cbranch_execz .LBB88_648
; %bb.647:
	v_div_scale_f64 v[97:98], null, v[0:1], v[0:1], 1.0
	v_rcp_f64_e32 v[106:107], v[97:98]
	v_fma_f64 v[108:109], -v[97:98], v[106:107], 1.0
	v_fma_f64 v[106:107], v[106:107], v[108:109], v[106:107]
	v_fma_f64 v[108:109], -v[97:98], v[106:107], 1.0
	v_fma_f64 v[106:107], v[106:107], v[108:109], v[106:107]
	v_div_scale_f64 v[108:109], vcc_lo, 1.0, v[0:1], 1.0
	v_mul_f64 v[110:111], v[108:109], v[106:107]
	v_fma_f64 v[97:98], -v[97:98], v[110:111], v[108:109]
	v_div_fmas_f64 v[97:98], v[97:98], v[106:107], v[110:111]
	v_div_fixup_f64 v[0:1], v[97:98], v[0:1], 1.0
.LBB88_648:
	s_or_b32 exec_lo, exec_lo, s0
	s_mov_b32 s0, exec_lo
	v_cmpx_ne_u32_e64 v105, v96
	s_xor_b32 s0, exec_lo, s0
	s_cbranch_execz .LBB88_654
; %bb.649:
	s_mov_b32 s1, exec_lo
	v_cmpx_eq_u32_e32 38, v105
	s_cbranch_execz .LBB88_653
; %bb.650:
	v_cmp_ne_u32_e32 vcc_lo, 38, v96
	s_xor_b32 s2, s6, -1
	s_and_b32 s3, s2, vcc_lo
	s_and_saveexec_b32 s2, s3
	s_cbranch_execz .LBB88_652
; %bb.651:
	v_ashrrev_i32_e32 v97, 31, v96
	v_lshlrev_b64 v[97:98], 2, v[96:97]
	v_add_co_u32 v97, vcc_lo, v4, v97
	v_add_co_ci_u32_e64 v98, null, v5, v98, vcc_lo
	s_clause 0x1
	global_load_dword v104, v[97:98], off
	global_load_dword v105, v[4:5], off offset:152
	s_waitcnt vmcnt(1)
	global_store_dword v[4:5], v104, off offset:152
	s_waitcnt vmcnt(0)
	global_store_dword v[97:98], v105, off
.LBB88_652:
	s_or_b32 exec_lo, exec_lo, s2
	v_mov_b32_e32 v104, v96
	v_mov_b32_e32 v105, v96
.LBB88_653:
	s_or_b32 exec_lo, exec_lo, s1
.LBB88_654:
	s_andn2_saveexec_b32 s0, s0
	s_cbranch_execz .LBB88_656
; %bb.655:
	v_mov_b32_e32 v105, 38
	ds_write2_b64 v102, v[14:15], v[12:13] offset0:39 offset1:40
	ds_write2_b64 v102, v[8:9], v[10:11] offset0:41 offset1:42
	;; [unrolled: 1-line block ×3, first 2 shown]
.LBB88_656:
	s_or_b32 exec_lo, exec_lo, s0
	s_mov_b32 s0, exec_lo
	s_waitcnt lgkmcnt(0)
	s_waitcnt_vscnt null, 0x0
	s_barrier
	buffer_gl0_inv
	v_cmpx_lt_i32_e32 38, v105
	s_cbranch_execz .LBB88_658
; %bb.657:
	v_mul_f64 v[16:17], v[0:1], v[16:17]
	ds_read2_b64 v[106:109], v102 offset0:39 offset1:40
	ds_read2_b64 v[110:113], v102 offset0:41 offset1:42
	;; [unrolled: 1-line block ×3, first 2 shown]
	s_waitcnt lgkmcnt(2)
	v_fma_f64 v[14:15], -v[16:17], v[106:107], v[14:15]
	v_fma_f64 v[12:13], -v[16:17], v[108:109], v[12:13]
	s_waitcnt lgkmcnt(1)
	v_fma_f64 v[8:9], -v[16:17], v[110:111], v[8:9]
	v_fma_f64 v[10:11], -v[16:17], v[112:113], v[10:11]
	;; [unrolled: 3-line block ×3, first 2 shown]
.LBB88_658:
	s_or_b32 exec_lo, exec_lo, s0
	v_lshl_add_u32 v0, v105, 3, v102
	s_barrier
	buffer_gl0_inv
	v_mov_b32_e32 v96, 39
	ds_write_b64 v0, v[14:15]
	s_waitcnt lgkmcnt(0)
	s_barrier
	buffer_gl0_inv
	ds_read_b64 v[0:1], v102 offset:312
	s_cmp_lt_i32 s7, 41
	s_cbranch_scc1 .LBB88_661
; %bb.659:
	v_add3_u32 v97, v103, 0, 0x140
	v_mov_b32_e32 v96, 39
	s_mov_b32 s0, 40
.LBB88_660:                             ; =>This Inner Loop Header: Depth=1
	ds_read_b64 v[106:107], v97
	v_add_nc_u32_e32 v97, 8, v97
	s_waitcnt lgkmcnt(0)
	v_cmp_lt_f64_e64 vcc_lo, |v[0:1]|, |v[106:107]|
	v_cndmask_b32_e32 v1, v1, v107, vcc_lo
	v_cndmask_b32_e32 v0, v0, v106, vcc_lo
	v_cndmask_b32_e64 v96, v96, s0, vcc_lo
	s_add_i32 s0, s0, 1
	s_cmp_lg_u32 s7, s0
	s_cbranch_scc1 .LBB88_660
.LBB88_661:
	s_mov_b32 s0, exec_lo
	s_waitcnt lgkmcnt(0)
	v_cmpx_eq_f64_e32 0, v[0:1]
	s_xor_b32 s0, exec_lo, s0
; %bb.662:
	v_cmp_ne_u32_e32 vcc_lo, 0, v99
	v_cndmask_b32_e32 v99, 40, v99, vcc_lo
; %bb.663:
	s_andn2_saveexec_b32 s0, s0
	s_cbranch_execz .LBB88_665
; %bb.664:
	v_div_scale_f64 v[97:98], null, v[0:1], v[0:1], 1.0
	v_rcp_f64_e32 v[106:107], v[97:98]
	v_fma_f64 v[108:109], -v[97:98], v[106:107], 1.0
	v_fma_f64 v[106:107], v[106:107], v[108:109], v[106:107]
	v_fma_f64 v[108:109], -v[97:98], v[106:107], 1.0
	v_fma_f64 v[106:107], v[106:107], v[108:109], v[106:107]
	v_div_scale_f64 v[108:109], vcc_lo, 1.0, v[0:1], 1.0
	v_mul_f64 v[110:111], v[108:109], v[106:107]
	v_fma_f64 v[97:98], -v[97:98], v[110:111], v[108:109]
	v_div_fmas_f64 v[97:98], v[97:98], v[106:107], v[110:111]
	v_div_fixup_f64 v[0:1], v[97:98], v[0:1], 1.0
.LBB88_665:
	s_or_b32 exec_lo, exec_lo, s0
	s_mov_b32 s0, exec_lo
	v_cmpx_ne_u32_e64 v105, v96
	s_xor_b32 s0, exec_lo, s0
	s_cbranch_execz .LBB88_671
; %bb.666:
	s_mov_b32 s1, exec_lo
	v_cmpx_eq_u32_e32 39, v105
	s_cbranch_execz .LBB88_670
; %bb.667:
	v_cmp_ne_u32_e32 vcc_lo, 39, v96
	s_xor_b32 s2, s6, -1
	s_and_b32 s3, s2, vcc_lo
	s_and_saveexec_b32 s2, s3
	s_cbranch_execz .LBB88_669
; %bb.668:
	v_ashrrev_i32_e32 v97, 31, v96
	v_lshlrev_b64 v[97:98], 2, v[96:97]
	v_add_co_u32 v97, vcc_lo, v4, v97
	v_add_co_ci_u32_e64 v98, null, v5, v98, vcc_lo
	s_clause 0x1
	global_load_dword v104, v[97:98], off
	global_load_dword v105, v[4:5], off offset:156
	s_waitcnt vmcnt(1)
	global_store_dword v[4:5], v104, off offset:156
	s_waitcnt vmcnt(0)
	global_store_dword v[97:98], v105, off
.LBB88_669:
	s_or_b32 exec_lo, exec_lo, s2
	v_mov_b32_e32 v104, v96
	v_mov_b32_e32 v105, v96
.LBB88_670:
	s_or_b32 exec_lo, exec_lo, s1
.LBB88_671:
	s_andn2_saveexec_b32 s0, s0
	s_cbranch_execz .LBB88_673
; %bb.672:
	v_mov_b32_e32 v96, v12
	v_mov_b32_e32 v97, v13
	;; [unrolled: 1-line block ×9, first 2 shown]
	ds_write2_b64 v102, v[96:97], v[106:107] offset0:40 offset1:41
	ds_write2_b64 v102, v[108:109], v[110:111] offset0:42 offset1:43
	ds_write_b64 v102, v[94:95] offset:352
.LBB88_673:
	s_or_b32 exec_lo, exec_lo, s0
	s_mov_b32 s0, exec_lo
	s_waitcnt lgkmcnt(0)
	s_waitcnt_vscnt null, 0x0
	s_barrier
	buffer_gl0_inv
	v_cmpx_lt_i32_e32 39, v105
	s_cbranch_execz .LBB88_675
; %bb.674:
	v_mul_f64 v[14:15], v[0:1], v[14:15]
	ds_read2_b64 v[106:109], v102 offset0:40 offset1:41
	ds_read2_b64 v[110:113], v102 offset0:42 offset1:43
	ds_read_b64 v[0:1], v102 offset:352
	s_waitcnt lgkmcnt(2)
	v_fma_f64 v[12:13], -v[14:15], v[106:107], v[12:13]
	v_fma_f64 v[8:9], -v[14:15], v[108:109], v[8:9]
	s_waitcnt lgkmcnt(1)
	v_fma_f64 v[10:11], -v[14:15], v[110:111], v[10:11]
	v_fma_f64 v[6:7], -v[14:15], v[112:113], v[6:7]
	s_waitcnt lgkmcnt(0)
	v_fma_f64 v[94:95], -v[14:15], v[0:1], v[94:95]
.LBB88_675:
	s_or_b32 exec_lo, exec_lo, s0
	v_lshl_add_u32 v0, v105, 3, v102
	s_barrier
	buffer_gl0_inv
	v_mov_b32_e32 v96, 40
	ds_write_b64 v0, v[12:13]
	s_waitcnt lgkmcnt(0)
	s_barrier
	buffer_gl0_inv
	ds_read_b64 v[0:1], v102 offset:320
	s_cmp_lt_i32 s7, 42
	s_cbranch_scc1 .LBB88_678
; %bb.676:
	v_add3_u32 v97, v103, 0, 0x148
	v_mov_b32_e32 v96, 40
	s_mov_b32 s0, 41
.LBB88_677:                             ; =>This Inner Loop Header: Depth=1
	ds_read_b64 v[106:107], v97
	v_add_nc_u32_e32 v97, 8, v97
	s_waitcnt lgkmcnt(0)
	v_cmp_lt_f64_e64 vcc_lo, |v[0:1]|, |v[106:107]|
	v_cndmask_b32_e32 v1, v1, v107, vcc_lo
	v_cndmask_b32_e32 v0, v0, v106, vcc_lo
	v_cndmask_b32_e64 v96, v96, s0, vcc_lo
	s_add_i32 s0, s0, 1
	s_cmp_lg_u32 s7, s0
	s_cbranch_scc1 .LBB88_677
.LBB88_678:
	s_mov_b32 s0, exec_lo
	s_waitcnt lgkmcnt(0)
	v_cmpx_eq_f64_e32 0, v[0:1]
	s_xor_b32 s0, exec_lo, s0
; %bb.679:
	v_cmp_ne_u32_e32 vcc_lo, 0, v99
	v_cndmask_b32_e32 v99, 41, v99, vcc_lo
; %bb.680:
	s_andn2_saveexec_b32 s0, s0
	s_cbranch_execz .LBB88_682
; %bb.681:
	v_div_scale_f64 v[97:98], null, v[0:1], v[0:1], 1.0
	v_rcp_f64_e32 v[106:107], v[97:98]
	v_fma_f64 v[108:109], -v[97:98], v[106:107], 1.0
	v_fma_f64 v[106:107], v[106:107], v[108:109], v[106:107]
	v_fma_f64 v[108:109], -v[97:98], v[106:107], 1.0
	v_fma_f64 v[106:107], v[106:107], v[108:109], v[106:107]
	v_div_scale_f64 v[108:109], vcc_lo, 1.0, v[0:1], 1.0
	v_mul_f64 v[110:111], v[108:109], v[106:107]
	v_fma_f64 v[97:98], -v[97:98], v[110:111], v[108:109]
	v_div_fmas_f64 v[97:98], v[97:98], v[106:107], v[110:111]
	v_div_fixup_f64 v[0:1], v[97:98], v[0:1], 1.0
.LBB88_682:
	s_or_b32 exec_lo, exec_lo, s0
	s_mov_b32 s0, exec_lo
	v_cmpx_ne_u32_e64 v105, v96
	s_xor_b32 s0, exec_lo, s0
	s_cbranch_execz .LBB88_688
; %bb.683:
	s_mov_b32 s1, exec_lo
	v_cmpx_eq_u32_e32 40, v105
	s_cbranch_execz .LBB88_687
; %bb.684:
	v_cmp_ne_u32_e32 vcc_lo, 40, v96
	s_xor_b32 s2, s6, -1
	s_and_b32 s3, s2, vcc_lo
	s_and_saveexec_b32 s2, s3
	s_cbranch_execz .LBB88_686
; %bb.685:
	v_ashrrev_i32_e32 v97, 31, v96
	v_lshlrev_b64 v[97:98], 2, v[96:97]
	v_add_co_u32 v97, vcc_lo, v4, v97
	v_add_co_ci_u32_e64 v98, null, v5, v98, vcc_lo
	s_clause 0x1
	global_load_dword v104, v[97:98], off
	global_load_dword v105, v[4:5], off offset:160
	s_waitcnt vmcnt(1)
	global_store_dword v[4:5], v104, off offset:160
	s_waitcnt vmcnt(0)
	global_store_dword v[97:98], v105, off
.LBB88_686:
	s_or_b32 exec_lo, exec_lo, s2
	v_mov_b32_e32 v104, v96
	v_mov_b32_e32 v105, v96
.LBB88_687:
	s_or_b32 exec_lo, exec_lo, s1
.LBB88_688:
	s_andn2_saveexec_b32 s0, s0
	s_cbranch_execz .LBB88_690
; %bb.689:
	v_mov_b32_e32 v105, 40
	ds_write2_b64 v102, v[8:9], v[10:11] offset0:41 offset1:42
	ds_write2_b64 v102, v[6:7], v[94:95] offset0:43 offset1:44
.LBB88_690:
	s_or_b32 exec_lo, exec_lo, s0
	s_mov_b32 s0, exec_lo
	s_waitcnt lgkmcnt(0)
	s_waitcnt_vscnt null, 0x0
	s_barrier
	buffer_gl0_inv
	v_cmpx_lt_i32_e32 40, v105
	s_cbranch_execz .LBB88_692
; %bb.691:
	v_mul_f64 v[12:13], v[0:1], v[12:13]
	ds_read2_b64 v[106:109], v102 offset0:41 offset1:42
	ds_read2_b64 v[110:113], v102 offset0:43 offset1:44
	s_waitcnt lgkmcnt(1)
	v_fma_f64 v[8:9], -v[12:13], v[106:107], v[8:9]
	v_fma_f64 v[10:11], -v[12:13], v[108:109], v[10:11]
	s_waitcnt lgkmcnt(0)
	v_fma_f64 v[6:7], -v[12:13], v[110:111], v[6:7]
	v_fma_f64 v[94:95], -v[12:13], v[112:113], v[94:95]
.LBB88_692:
	s_or_b32 exec_lo, exec_lo, s0
	v_lshl_add_u32 v0, v105, 3, v102
	s_barrier
	buffer_gl0_inv
	v_mov_b32_e32 v96, 41
	ds_write_b64 v0, v[8:9]
	s_waitcnt lgkmcnt(0)
	s_barrier
	buffer_gl0_inv
	ds_read_b64 v[0:1], v102 offset:328
	s_cmp_lt_i32 s7, 43
	s_cbranch_scc1 .LBB88_695
; %bb.693:
	v_add3_u32 v97, v103, 0, 0x150
	v_mov_b32_e32 v96, 41
	s_mov_b32 s0, 42
.LBB88_694:                             ; =>This Inner Loop Header: Depth=1
	ds_read_b64 v[106:107], v97
	v_add_nc_u32_e32 v97, 8, v97
	s_waitcnt lgkmcnt(0)
	v_cmp_lt_f64_e64 vcc_lo, |v[0:1]|, |v[106:107]|
	v_cndmask_b32_e32 v1, v1, v107, vcc_lo
	v_cndmask_b32_e32 v0, v0, v106, vcc_lo
	v_cndmask_b32_e64 v96, v96, s0, vcc_lo
	s_add_i32 s0, s0, 1
	s_cmp_lg_u32 s7, s0
	s_cbranch_scc1 .LBB88_694
.LBB88_695:
	s_mov_b32 s0, exec_lo
	s_waitcnt lgkmcnt(0)
	v_cmpx_eq_f64_e32 0, v[0:1]
	s_xor_b32 s0, exec_lo, s0
; %bb.696:
	v_cmp_ne_u32_e32 vcc_lo, 0, v99
	v_cndmask_b32_e32 v99, 42, v99, vcc_lo
; %bb.697:
	s_andn2_saveexec_b32 s0, s0
	s_cbranch_execz .LBB88_699
; %bb.698:
	v_div_scale_f64 v[97:98], null, v[0:1], v[0:1], 1.0
	v_rcp_f64_e32 v[106:107], v[97:98]
	v_fma_f64 v[108:109], -v[97:98], v[106:107], 1.0
	v_fma_f64 v[106:107], v[106:107], v[108:109], v[106:107]
	v_fma_f64 v[108:109], -v[97:98], v[106:107], 1.0
	v_fma_f64 v[106:107], v[106:107], v[108:109], v[106:107]
	v_div_scale_f64 v[108:109], vcc_lo, 1.0, v[0:1], 1.0
	v_mul_f64 v[110:111], v[108:109], v[106:107]
	v_fma_f64 v[97:98], -v[97:98], v[110:111], v[108:109]
	v_div_fmas_f64 v[97:98], v[97:98], v[106:107], v[110:111]
	v_div_fixup_f64 v[0:1], v[97:98], v[0:1], 1.0
.LBB88_699:
	s_or_b32 exec_lo, exec_lo, s0
	s_mov_b32 s0, exec_lo
	v_cmpx_ne_u32_e64 v105, v96
	s_xor_b32 s0, exec_lo, s0
	s_cbranch_execz .LBB88_705
; %bb.700:
	s_mov_b32 s1, exec_lo
	v_cmpx_eq_u32_e32 41, v105
	s_cbranch_execz .LBB88_704
; %bb.701:
	v_cmp_ne_u32_e32 vcc_lo, 41, v96
	s_xor_b32 s2, s6, -1
	s_and_b32 s3, s2, vcc_lo
	s_and_saveexec_b32 s2, s3
	s_cbranch_execz .LBB88_703
; %bb.702:
	v_ashrrev_i32_e32 v97, 31, v96
	v_lshlrev_b64 v[97:98], 2, v[96:97]
	v_add_co_u32 v97, vcc_lo, v4, v97
	v_add_co_ci_u32_e64 v98, null, v5, v98, vcc_lo
	s_clause 0x1
	global_load_dword v104, v[97:98], off
	global_load_dword v105, v[4:5], off offset:164
	s_waitcnt vmcnt(1)
	global_store_dword v[4:5], v104, off offset:164
	s_waitcnt vmcnt(0)
	global_store_dword v[97:98], v105, off
.LBB88_703:
	s_or_b32 exec_lo, exec_lo, s2
	v_mov_b32_e32 v104, v96
	v_mov_b32_e32 v105, v96
.LBB88_704:
	s_or_b32 exec_lo, exec_lo, s1
.LBB88_705:
	s_andn2_saveexec_b32 s0, s0
	s_cbranch_execz .LBB88_707
; %bb.706:
	v_mov_b32_e32 v96, v10
	v_mov_b32_e32 v97, v11
	;; [unrolled: 1-line block ×5, first 2 shown]
	ds_write2_b64 v102, v[96:97], v[106:107] offset0:42 offset1:43
	ds_write_b64 v102, v[94:95] offset:352
.LBB88_707:
	s_or_b32 exec_lo, exec_lo, s0
	s_mov_b32 s0, exec_lo
	s_waitcnt lgkmcnt(0)
	s_waitcnt_vscnt null, 0x0
	s_barrier
	buffer_gl0_inv
	v_cmpx_lt_i32_e32 41, v105
	s_cbranch_execz .LBB88_709
; %bb.708:
	v_mul_f64 v[8:9], v[0:1], v[8:9]
	ds_read2_b64 v[106:109], v102 offset0:42 offset1:43
	ds_read_b64 v[0:1], v102 offset:352
	s_waitcnt lgkmcnt(1)
	v_fma_f64 v[10:11], -v[8:9], v[106:107], v[10:11]
	v_fma_f64 v[6:7], -v[8:9], v[108:109], v[6:7]
	s_waitcnt lgkmcnt(0)
	v_fma_f64 v[94:95], -v[8:9], v[0:1], v[94:95]
.LBB88_709:
	s_or_b32 exec_lo, exec_lo, s0
	v_lshl_add_u32 v0, v105, 3, v102
	s_barrier
	buffer_gl0_inv
	v_mov_b32_e32 v96, 42
	ds_write_b64 v0, v[10:11]
	s_waitcnt lgkmcnt(0)
	s_barrier
	buffer_gl0_inv
	ds_read_b64 v[0:1], v102 offset:336
	s_cmp_lt_i32 s7, 44
	s_cbranch_scc1 .LBB88_712
; %bb.710:
	v_add3_u32 v97, v103, 0, 0x158
	v_mov_b32_e32 v96, 42
	s_mov_b32 s0, 43
.LBB88_711:                             ; =>This Inner Loop Header: Depth=1
	ds_read_b64 v[106:107], v97
	v_add_nc_u32_e32 v97, 8, v97
	s_waitcnt lgkmcnt(0)
	v_cmp_lt_f64_e64 vcc_lo, |v[0:1]|, |v[106:107]|
	v_cndmask_b32_e32 v1, v1, v107, vcc_lo
	v_cndmask_b32_e32 v0, v0, v106, vcc_lo
	v_cndmask_b32_e64 v96, v96, s0, vcc_lo
	s_add_i32 s0, s0, 1
	s_cmp_lg_u32 s7, s0
	s_cbranch_scc1 .LBB88_711
.LBB88_712:
	s_mov_b32 s0, exec_lo
	s_waitcnt lgkmcnt(0)
	v_cmpx_eq_f64_e32 0, v[0:1]
	s_xor_b32 s0, exec_lo, s0
; %bb.713:
	v_cmp_ne_u32_e32 vcc_lo, 0, v99
	v_cndmask_b32_e32 v99, 43, v99, vcc_lo
; %bb.714:
	s_andn2_saveexec_b32 s0, s0
	s_cbranch_execz .LBB88_716
; %bb.715:
	v_div_scale_f64 v[97:98], null, v[0:1], v[0:1], 1.0
	v_rcp_f64_e32 v[106:107], v[97:98]
	v_fma_f64 v[108:109], -v[97:98], v[106:107], 1.0
	v_fma_f64 v[106:107], v[106:107], v[108:109], v[106:107]
	v_fma_f64 v[108:109], -v[97:98], v[106:107], 1.0
	v_fma_f64 v[106:107], v[106:107], v[108:109], v[106:107]
	v_div_scale_f64 v[108:109], vcc_lo, 1.0, v[0:1], 1.0
	v_mul_f64 v[110:111], v[108:109], v[106:107]
	v_fma_f64 v[97:98], -v[97:98], v[110:111], v[108:109]
	v_div_fmas_f64 v[97:98], v[97:98], v[106:107], v[110:111]
	v_div_fixup_f64 v[0:1], v[97:98], v[0:1], 1.0
.LBB88_716:
	s_or_b32 exec_lo, exec_lo, s0
	s_mov_b32 s0, exec_lo
	v_cmpx_ne_u32_e64 v105, v96
	s_xor_b32 s0, exec_lo, s0
	s_cbranch_execz .LBB88_722
; %bb.717:
	s_mov_b32 s1, exec_lo
	v_cmpx_eq_u32_e32 42, v105
	s_cbranch_execz .LBB88_721
; %bb.718:
	v_cmp_ne_u32_e32 vcc_lo, 42, v96
	s_xor_b32 s2, s6, -1
	s_and_b32 s3, s2, vcc_lo
	s_and_saveexec_b32 s2, s3
	s_cbranch_execz .LBB88_720
; %bb.719:
	v_ashrrev_i32_e32 v97, 31, v96
	v_lshlrev_b64 v[97:98], 2, v[96:97]
	v_add_co_u32 v97, vcc_lo, v4, v97
	v_add_co_ci_u32_e64 v98, null, v5, v98, vcc_lo
	s_clause 0x1
	global_load_dword v104, v[97:98], off
	global_load_dword v105, v[4:5], off offset:168
	s_waitcnt vmcnt(1)
	global_store_dword v[4:5], v104, off offset:168
	s_waitcnt vmcnt(0)
	global_store_dword v[97:98], v105, off
.LBB88_720:
	s_or_b32 exec_lo, exec_lo, s2
	v_mov_b32_e32 v104, v96
	v_mov_b32_e32 v105, v96
.LBB88_721:
	s_or_b32 exec_lo, exec_lo, s1
.LBB88_722:
	s_andn2_saveexec_b32 s0, s0
; %bb.723:
	v_mov_b32_e32 v105, 42
	ds_write2_b64 v102, v[6:7], v[94:95] offset0:43 offset1:44
; %bb.724:
	s_or_b32 exec_lo, exec_lo, s0
	s_mov_b32 s0, exec_lo
	s_waitcnt lgkmcnt(0)
	s_waitcnt_vscnt null, 0x0
	s_barrier
	buffer_gl0_inv
	v_cmpx_lt_i32_e32 42, v105
	s_cbranch_execz .LBB88_726
; %bb.725:
	v_mul_f64 v[10:11], v[0:1], v[10:11]
	ds_read2_b64 v[106:109], v102 offset0:43 offset1:44
	s_waitcnt lgkmcnt(0)
	v_fma_f64 v[6:7], -v[10:11], v[106:107], v[6:7]
	v_fma_f64 v[94:95], -v[10:11], v[108:109], v[94:95]
.LBB88_726:
	s_or_b32 exec_lo, exec_lo, s0
	v_lshl_add_u32 v0, v105, 3, v102
	s_barrier
	buffer_gl0_inv
	v_mov_b32_e32 v96, 43
	ds_write_b64 v0, v[6:7]
	s_waitcnt lgkmcnt(0)
	s_barrier
	buffer_gl0_inv
	ds_read_b64 v[0:1], v102 offset:344
	s_cmp_lt_i32 s7, 45
	s_cbranch_scc1 .LBB88_729
; %bb.727:
	v_add3_u32 v97, v103, 0, 0x160
	v_mov_b32_e32 v96, 43
	s_mov_b32 s0, 44
.LBB88_728:                             ; =>This Inner Loop Header: Depth=1
	ds_read_b64 v[106:107], v97
	v_add_nc_u32_e32 v97, 8, v97
	s_waitcnt lgkmcnt(0)
	v_cmp_lt_f64_e64 vcc_lo, |v[0:1]|, |v[106:107]|
	v_cndmask_b32_e32 v1, v1, v107, vcc_lo
	v_cndmask_b32_e32 v0, v0, v106, vcc_lo
	v_cndmask_b32_e64 v96, v96, s0, vcc_lo
	s_add_i32 s0, s0, 1
	s_cmp_lg_u32 s7, s0
	s_cbranch_scc1 .LBB88_728
.LBB88_729:
	s_mov_b32 s0, exec_lo
	s_waitcnt lgkmcnt(0)
	v_cmpx_eq_f64_e32 0, v[0:1]
	s_xor_b32 s0, exec_lo, s0
; %bb.730:
	v_cmp_ne_u32_e32 vcc_lo, 0, v99
	v_cndmask_b32_e32 v99, 44, v99, vcc_lo
; %bb.731:
	s_andn2_saveexec_b32 s0, s0
	s_cbranch_execz .LBB88_733
; %bb.732:
	v_div_scale_f64 v[97:98], null, v[0:1], v[0:1], 1.0
	v_rcp_f64_e32 v[106:107], v[97:98]
	v_fma_f64 v[108:109], -v[97:98], v[106:107], 1.0
	v_fma_f64 v[106:107], v[106:107], v[108:109], v[106:107]
	v_fma_f64 v[108:109], -v[97:98], v[106:107], 1.0
	v_fma_f64 v[106:107], v[106:107], v[108:109], v[106:107]
	v_div_scale_f64 v[108:109], vcc_lo, 1.0, v[0:1], 1.0
	v_mul_f64 v[110:111], v[108:109], v[106:107]
	v_fma_f64 v[97:98], -v[97:98], v[110:111], v[108:109]
	v_div_fmas_f64 v[97:98], v[97:98], v[106:107], v[110:111]
	v_div_fixup_f64 v[0:1], v[97:98], v[0:1], 1.0
.LBB88_733:
	s_or_b32 exec_lo, exec_lo, s0
	s_mov_b32 s0, exec_lo
	v_cmpx_ne_u32_e64 v105, v96
	s_xor_b32 s0, exec_lo, s0
	s_cbranch_execz .LBB88_739
; %bb.734:
	s_mov_b32 s1, exec_lo
	v_cmpx_eq_u32_e32 43, v105
	s_cbranch_execz .LBB88_738
; %bb.735:
	v_cmp_ne_u32_e32 vcc_lo, 43, v96
	s_xor_b32 s2, s6, -1
	s_and_b32 s3, s2, vcc_lo
	s_and_saveexec_b32 s2, s3
	s_cbranch_execz .LBB88_737
; %bb.736:
	v_ashrrev_i32_e32 v97, 31, v96
	v_lshlrev_b64 v[97:98], 2, v[96:97]
	v_add_co_u32 v97, vcc_lo, v4, v97
	v_add_co_ci_u32_e64 v98, null, v5, v98, vcc_lo
	s_clause 0x1
	global_load_dword v104, v[97:98], off
	global_load_dword v105, v[4:5], off offset:172
	s_waitcnt vmcnt(1)
	global_store_dword v[4:5], v104, off offset:172
	s_waitcnt vmcnt(0)
	global_store_dword v[97:98], v105, off
.LBB88_737:
	s_or_b32 exec_lo, exec_lo, s2
	v_mov_b32_e32 v104, v96
	v_mov_b32_e32 v105, v96
.LBB88_738:
	s_or_b32 exec_lo, exec_lo, s1
.LBB88_739:
	s_andn2_saveexec_b32 s0, s0
; %bb.740:
	v_mov_b32_e32 v105, 43
	ds_write_b64 v102, v[94:95] offset:352
; %bb.741:
	s_or_b32 exec_lo, exec_lo, s0
	s_mov_b32 s0, exec_lo
	s_waitcnt lgkmcnt(0)
	s_waitcnt_vscnt null, 0x0
	s_barrier
	buffer_gl0_inv
	v_cmpx_lt_i32_e32 43, v105
	s_cbranch_execz .LBB88_743
; %bb.742:
	v_mul_f64 v[6:7], v[0:1], v[6:7]
	ds_read_b64 v[0:1], v102 offset:352
	s_waitcnt lgkmcnt(0)
	v_fma_f64 v[94:95], -v[6:7], v[0:1], v[94:95]
.LBB88_743:
	s_or_b32 exec_lo, exec_lo, s0
	v_lshl_add_u32 v0, v105, 3, v102
	s_barrier
	buffer_gl0_inv
	v_mov_b32_e32 v96, 44
	ds_write_b64 v0, v[94:95]
	s_waitcnt lgkmcnt(0)
	s_barrier
	buffer_gl0_inv
	ds_read_b64 v[0:1], v102 offset:352
	s_cmp_lt_i32 s7, 46
	s_cbranch_scc1 .LBB88_746
; %bb.744:
	v_add3_u32 v97, v103, 0, 0x168
	v_mov_b32_e32 v96, 44
	s_mov_b32 s0, 45
.LBB88_745:                             ; =>This Inner Loop Header: Depth=1
	ds_read_b64 v[102:103], v97
	v_add_nc_u32_e32 v97, 8, v97
	s_waitcnt lgkmcnt(0)
	v_cmp_lt_f64_e64 vcc_lo, |v[0:1]|, |v[102:103]|
	v_cndmask_b32_e32 v1, v1, v103, vcc_lo
	v_cndmask_b32_e32 v0, v0, v102, vcc_lo
	v_cndmask_b32_e64 v96, v96, s0, vcc_lo
	s_add_i32 s0, s0, 1
	s_cmp_lg_u32 s7, s0
	s_cbranch_scc1 .LBB88_745
.LBB88_746:
	s_mov_b32 s0, exec_lo
	s_waitcnt lgkmcnt(0)
	v_cmpx_eq_f64_e32 0, v[0:1]
	s_xor_b32 s0, exec_lo, s0
; %bb.747:
	v_cmp_ne_u32_e32 vcc_lo, 0, v99
	v_cndmask_b32_e32 v99, 45, v99, vcc_lo
; %bb.748:
	s_andn2_saveexec_b32 s0, s0
	s_cbranch_execz .LBB88_750
; %bb.749:
	v_div_scale_f64 v[97:98], null, v[0:1], v[0:1], 1.0
	v_rcp_f64_e32 v[102:103], v[97:98]
	v_fma_f64 v[106:107], -v[97:98], v[102:103], 1.0
	v_fma_f64 v[102:103], v[102:103], v[106:107], v[102:103]
	v_fma_f64 v[106:107], -v[97:98], v[102:103], 1.0
	v_fma_f64 v[102:103], v[102:103], v[106:107], v[102:103]
	v_div_scale_f64 v[106:107], vcc_lo, 1.0, v[0:1], 1.0
	v_mul_f64 v[108:109], v[106:107], v[102:103]
	v_fma_f64 v[97:98], -v[97:98], v[108:109], v[106:107]
	v_div_fmas_f64 v[97:98], v[97:98], v[102:103], v[108:109]
	v_div_fixup_f64 v[0:1], v[97:98], v[0:1], 1.0
.LBB88_750:
	s_or_b32 exec_lo, exec_lo, s0
	v_mov_b32_e32 v97, 44
	s_mov_b32 s0, exec_lo
	v_cmpx_ne_u32_e64 v105, v96
	s_cbranch_execz .LBB88_756
; %bb.751:
	s_mov_b32 s1, exec_lo
	v_cmpx_eq_u32_e32 44, v105
	s_cbranch_execz .LBB88_755
; %bb.752:
	v_cmp_ne_u32_e32 vcc_lo, 44, v96
	s_xor_b32 s2, s6, -1
	s_and_b32 s3, s2, vcc_lo
	s_and_saveexec_b32 s2, s3
	s_cbranch_execz .LBB88_754
; %bb.753:
	v_ashrrev_i32_e32 v97, 31, v96
	v_lshlrev_b64 v[97:98], 2, v[96:97]
	v_add_co_u32 v97, vcc_lo, v4, v97
	v_add_co_ci_u32_e64 v98, null, v5, v98, vcc_lo
	s_clause 0x1
	global_load_dword v102, v[97:98], off
	global_load_dword v103, v[4:5], off offset:176
	s_waitcnt vmcnt(1)
	global_store_dword v[4:5], v102, off offset:176
	s_waitcnt vmcnt(0)
	global_store_dword v[97:98], v103, off
.LBB88_754:
	s_or_b32 exec_lo, exec_lo, s2
	v_mov_b32_e32 v104, v96
	v_mov_b32_e32 v105, v96
.LBB88_755:
	s_or_b32 exec_lo, exec_lo, s1
	v_mov_b32_e32 v97, v105
.LBB88_756:
	s_or_b32 exec_lo, exec_lo, s0
	s_load_dwordx8 s[0:7], s[4:5], 0x28
	v_ashrrev_i32_e32 v98, 31, v97
	s_mov_b32 s9, exec_lo
	s_waitcnt lgkmcnt(0)
	s_waitcnt_vscnt null, 0x0
	s_barrier
	buffer_gl0_inv
	s_barrier
	buffer_gl0_inv
	v_cmpx_gt_i32_e32 45, v97
	s_cbranch_execz .LBB88_758
; %bb.757:
	v_mul_lo_u32 v96, s5, v2
	v_mul_lo_u32 v102, s4, v3
	v_mad_u64_u32 v[4:5], null, s4, v2, 0
	s_lshl_b64 s[2:3], s[2:3], 2
	v_add3_u32 v5, v5, v102, v96
	v_lshlrev_b64 v[4:5], 2, v[4:5]
	v_add_co_u32 v96, vcc_lo, s0, v4
	v_add_co_ci_u32_e64 v102, null, s1, v5, vcc_lo
	v_lshlrev_b64 v[4:5], 2, v[97:98]
	v_add_co_u32 v96, vcc_lo, v96, s2
	v_add_co_ci_u32_e64 v102, null, s3, v102, vcc_lo
	v_add_co_u32 v4, vcc_lo, v96, v4
	v_add_co_ci_u32_e64 v5, null, v102, v5, vcc_lo
	v_add3_u32 v96, v104, s13, 1
	global_store_dword v[4:5], v96, off
.LBB88_758:
	s_or_b32 exec_lo, exec_lo, s9
	s_mov_b32 s1, exec_lo
	v_cmpx_eq_u32_e32 0, v97
	s_cbranch_execz .LBB88_761
; %bb.759:
	v_lshlrev_b64 v[2:3], 2, v[2:3]
	v_cmp_ne_u32_e64 s0, 0, v99
	v_add_co_u32 v2, vcc_lo, s6, v2
	v_add_co_ci_u32_e64 v3, null, s7, v3, vcc_lo
	global_load_dword v4, v[2:3], off
	s_waitcnt vmcnt(0)
	v_cmp_eq_u32_e32 vcc_lo, 0, v4
	s_and_b32 s0, vcc_lo, s0
	s_and_b32 exec_lo, exec_lo, s0
	s_cbranch_execz .LBB88_761
; %bb.760:
	v_add_nc_u32_e32 v4, s13, v99
	global_store_dword v[2:3], v4, off
.LBB88_761:
	s_or_b32 exec_lo, exec_lo, s1
	v_add3_u32 v2, s8, s8, v97
	v_lshlrev_b64 v[4:5], 3, v[97:98]
	v_mul_f64 v[0:1], v[0:1], v[94:95]
	v_cmp_lt_i32_e32 vcc_lo, 44, v97
	v_ashrrev_i32_e32 v3, 31, v2
	v_add_nc_u32_e32 v96, s8, v2
	v_add_co_u32 v4, s0, v100, v4
	v_add_co_ci_u32_e64 v5, null, v101, v5, s0
	v_lshlrev_b64 v[2:3], 3, v[2:3]
	v_add_co_u32 v102, s0, v4, s10
	v_add_co_ci_u32_e64 v103, null, s11, v5, s0
	v_add_nc_u32_e32 v98, s8, v96
	v_add_co_u32 v2, s0, v100, v2
	v_add_co_ci_u32_e64 v3, null, v101, v3, s0
	v_ashrrev_i32_e32 v97, 31, v96
	flat_store_dwordx2 v[4:5], v[92:93]
	flat_store_dwordx2 v[102:103], v[88:89]
	;; [unrolled: 1-line block ×3, first 2 shown]
	v_add_nc_u32_e32 v88, s8, v98
	v_ashrrev_i32_e32 v99, 31, v98
	v_lshlrev_b64 v[4:5], 3, v[96:97]
	v_cndmask_b32_e32 v1, v95, v1, vcc_lo
	v_cndmask_b32_e32 v0, v94, v0, vcc_lo
	v_add_nc_u32_e32 v90, s8, v88
	v_lshlrev_b64 v[2:3], 3, v[98:99]
	v_ashrrev_i32_e32 v89, 31, v88
	v_add_co_u32 v4, vcc_lo, v100, v4
	v_add_nc_u32_e32 v92, s8, v90
	v_add_co_ci_u32_e64 v5, null, v101, v5, vcc_lo
	v_add_co_u32 v2, vcc_lo, v100, v2
	v_ashrrev_i32_e32 v91, 31, v90
	v_add_co_ci_u32_e64 v3, null, v101, v3, vcc_lo
	v_ashrrev_i32_e32 v93, 31, v92
	v_lshlrev_b64 v[88:89], 3, v[88:89]
	flat_store_dwordx2 v[4:5], v[84:85]
	flat_store_dwordx2 v[2:3], v[86:87]
	v_lshlrev_b64 v[2:3], 3, v[90:91]
	v_add_nc_u32_e32 v86, s8, v92
	v_lshlrev_b64 v[84:85], 3, v[92:93]
	v_add_co_u32 v4, vcc_lo, v100, v88
	v_add_co_ci_u32_e64 v5, null, v101, v89, vcc_lo
	v_add_co_u32 v2, vcc_lo, v100, v2
	v_add_co_ci_u32_e64 v3, null, v101, v3, vcc_lo
	v_add_co_u32 v84, vcc_lo, v100, v84
	v_add_nc_u32_e32 v88, s8, v86
	v_add_co_ci_u32_e64 v85, null, v101, v85, vcc_lo
	v_ashrrev_i32_e32 v87, 31, v86
	flat_store_dwordx2 v[4:5], v[82:83]
	flat_store_dwordx2 v[2:3], v[80:81]
	flat_store_dwordx2 v[84:85], v[78:79]
	v_add_nc_u32_e32 v78, s8, v88
	v_ashrrev_i32_e32 v89, 31, v88
	v_lshlrev_b64 v[4:5], 3, v[86:87]
	v_add_nc_u32_e32 v80, s8, v78
	v_lshlrev_b64 v[2:3], 3, v[88:89]
	v_ashrrev_i32_e32 v79, 31, v78
	v_add_co_u32 v4, vcc_lo, v100, v4
	v_add_nc_u32_e32 v82, s8, v80
	v_add_co_ci_u32_e64 v5, null, v101, v5, vcc_lo
	v_add_co_u32 v2, vcc_lo, v100, v2
	v_ashrrev_i32_e32 v81, 31, v80
	v_add_co_ci_u32_e64 v3, null, v101, v3, vcc_lo
	v_ashrrev_i32_e32 v83, 31, v82
	v_lshlrev_b64 v[78:79], 3, v[78:79]
	flat_store_dwordx2 v[4:5], v[76:77]
	flat_store_dwordx2 v[2:3], v[74:75]
	v_lshlrev_b64 v[2:3], 3, v[80:81]
	v_add_nc_u32_e32 v76, s8, v82
	v_lshlrev_b64 v[74:75], 3, v[82:83]
	v_add_co_u32 v4, vcc_lo, v100, v78
	v_add_co_ci_u32_e64 v5, null, v101, v79, vcc_lo
	v_add_co_u32 v2, vcc_lo, v100, v2
	v_add_co_ci_u32_e64 v3, null, v101, v3, vcc_lo
	v_add_co_u32 v74, vcc_lo, v100, v74
	v_add_nc_u32_e32 v78, s8, v76
	v_add_co_ci_u32_e64 v75, null, v101, v75, vcc_lo
	v_ashrrev_i32_e32 v77, 31, v76
	flat_store_dwordx2 v[4:5], v[72:73]
	flat_store_dwordx2 v[2:3], v[68:69]
	flat_store_dwordx2 v[74:75], v[70:71]
	v_add_nc_u32_e32 v68, s8, v78
	v_ashrrev_i32_e32 v79, 31, v78
	v_lshlrev_b64 v[4:5], 3, v[76:77]
	;; [unrolled: 30-line block ×6, first 2 shown]
	v_add_nc_u32_e32 v30, s8, v28
	v_lshlrev_b64 v[2:3], 3, v[38:39]
	v_ashrrev_i32_e32 v29, 31, v28
	v_add_co_u32 v4, vcc_lo, v100, v4
	v_add_nc_u32_e32 v32, s8, v30
	v_add_co_ci_u32_e64 v5, null, v101, v5, vcc_lo
	v_add_co_u32 v2, vcc_lo, v100, v2
	v_ashrrev_i32_e32 v31, 31, v30
	v_add_co_ci_u32_e64 v3, null, v101, v3, vcc_lo
	v_ashrrev_i32_e32 v33, 31, v32
	v_lshlrev_b64 v[28:29], 3, v[28:29]
	flat_store_dwordx2 v[4:5], v[24:25]
	flat_store_dwordx2 v[2:3], v[26:27]
	v_lshlrev_b64 v[2:3], 3, v[30:31]
	v_add_nc_u32_e32 v26, s8, v32
	v_lshlrev_b64 v[24:25], 3, v[32:33]
	v_add_co_u32 v4, vcc_lo, v100, v28
	v_add_co_ci_u32_e64 v5, null, v101, v29, vcc_lo
	v_add_co_u32 v2, vcc_lo, v100, v2
	v_add_nc_u32_e32 v28, s8, v26
	v_add_co_ci_u32_e64 v3, null, v101, v3, vcc_lo
	v_add_co_u32 v24, vcc_lo, v100, v24
	v_ashrrev_i32_e32 v27, 31, v26
	v_add_co_ci_u32_e64 v25, null, v101, v25, vcc_lo
	v_ashrrev_i32_e32 v29, 31, v28
	flat_store_dwordx2 v[4:5], v[22:23]
	v_lshlrev_b64 v[4:5], 3, v[26:27]
	flat_store_dwordx2 v[2:3], v[20:21]
	flat_store_dwordx2 v[24:25], v[18:19]
	v_add_nc_u32_e32 v18, s8, v28
	v_lshlrev_b64 v[2:3], 3, v[28:29]
	v_add_co_u32 v4, vcc_lo, v100, v4
	v_add_nc_u32_e32 v20, s8, v18
	v_add_co_ci_u32_e64 v5, null, v101, v5, vcc_lo
	v_add_co_u32 v2, vcc_lo, v100, v2
	v_add_co_ci_u32_e64 v3, null, v101, v3, vcc_lo
	v_add_nc_u32_e32 v22, s8, v20
	v_ashrrev_i32_e32 v19, 31, v18
	flat_store_dwordx2 v[4:5], v[16:17]
	flat_store_dwordx2 v[2:3], v[14:15]
	v_ashrrev_i32_e32 v21, 31, v20
	v_add_nc_u32_e32 v14, s8, v22
	v_lshlrev_b64 v[4:5], 3, v[18:19]
	v_ashrrev_i32_e32 v23, 31, v22
	v_lshlrev_b64 v[2:3], 3, v[20:21]
	v_add_nc_u32_e32 v18, s8, v14
	v_ashrrev_i32_e32 v15, 31, v14
	v_lshlrev_b64 v[16:17], 3, v[22:23]
	v_add_co_u32 v4, vcc_lo, v100, v4
	v_ashrrev_i32_e32 v19, 31, v18
	v_lshlrev_b64 v[14:15], 3, v[14:15]
	v_add_co_ci_u32_e64 v5, null, v101, v5, vcc_lo
	v_add_co_u32 v2, vcc_lo, v100, v2
	v_lshlrev_b64 v[18:19], 3, v[18:19]
	v_add_co_ci_u32_e64 v3, null, v101, v3, vcc_lo
	v_add_co_u32 v16, vcc_lo, v100, v16
	v_add_co_ci_u32_e64 v17, null, v101, v17, vcc_lo
	v_add_co_u32 v14, vcc_lo, v100, v14
	;; [unrolled: 2-line block ×3, first 2 shown]
	v_add_co_ci_u32_e64 v19, null, v101, v19, vcc_lo
	flat_store_dwordx2 v[4:5], v[12:13]
	flat_store_dwordx2 v[2:3], v[8:9]
	;; [unrolled: 1-line block ×5, first 2 shown]
.LBB88_762:
	s_endpgm
	.section	.rodata,"a",@progbits
	.p2align	6, 0x0
	.amdhsa_kernel _ZN9rocsolver6v33100L18getf2_small_kernelILi45EdiiPKPdEEvT1_T3_lS5_lPS5_llPT2_S5_S5_S7_l
		.amdhsa_group_segment_fixed_size 0
		.amdhsa_private_segment_fixed_size 0
		.amdhsa_kernarg_size 352
		.amdhsa_user_sgpr_count 6
		.amdhsa_user_sgpr_private_segment_buffer 1
		.amdhsa_user_sgpr_dispatch_ptr 0
		.amdhsa_user_sgpr_queue_ptr 0
		.amdhsa_user_sgpr_kernarg_segment_ptr 1
		.amdhsa_user_sgpr_dispatch_id 0
		.amdhsa_user_sgpr_flat_scratch_init 0
		.amdhsa_user_sgpr_private_segment_size 0
		.amdhsa_wavefront_size32 1
		.amdhsa_uses_dynamic_stack 0
		.amdhsa_system_sgpr_private_segment_wavefront_offset 0
		.amdhsa_system_sgpr_workgroup_id_x 1
		.amdhsa_system_sgpr_workgroup_id_y 1
		.amdhsa_system_sgpr_workgroup_id_z 0
		.amdhsa_system_sgpr_workgroup_info 0
		.amdhsa_system_vgpr_workitem_id 1
		.amdhsa_next_free_vgpr 186
		.amdhsa_next_free_sgpr 14
		.amdhsa_reserve_vcc 1
		.amdhsa_reserve_flat_scratch 1
		.amdhsa_float_round_mode_32 0
		.amdhsa_float_round_mode_16_64 0
		.amdhsa_float_denorm_mode_32 3
		.amdhsa_float_denorm_mode_16_64 3
		.amdhsa_dx10_clamp 1
		.amdhsa_ieee_mode 1
		.amdhsa_fp16_overflow 0
		.amdhsa_workgroup_processor_mode 1
		.amdhsa_memory_ordered 1
		.amdhsa_forward_progress 1
		.amdhsa_shared_vgpr_count 0
		.amdhsa_exception_fp_ieee_invalid_op 0
		.amdhsa_exception_fp_denorm_src 0
		.amdhsa_exception_fp_ieee_div_zero 0
		.amdhsa_exception_fp_ieee_overflow 0
		.amdhsa_exception_fp_ieee_underflow 0
		.amdhsa_exception_fp_ieee_inexact 0
		.amdhsa_exception_int_div_zero 0
	.end_amdhsa_kernel
	.section	.text._ZN9rocsolver6v33100L18getf2_small_kernelILi45EdiiPKPdEEvT1_T3_lS5_lPS5_llPT2_S5_S5_S7_l,"axG",@progbits,_ZN9rocsolver6v33100L18getf2_small_kernelILi45EdiiPKPdEEvT1_T3_lS5_lPS5_llPT2_S5_S5_S7_l,comdat
.Lfunc_end88:
	.size	_ZN9rocsolver6v33100L18getf2_small_kernelILi45EdiiPKPdEEvT1_T3_lS5_lPS5_llPT2_S5_S5_S7_l, .Lfunc_end88-_ZN9rocsolver6v33100L18getf2_small_kernelILi45EdiiPKPdEEvT1_T3_lS5_lPS5_llPT2_S5_S5_S7_l
                                        ; -- End function
	.set _ZN9rocsolver6v33100L18getf2_small_kernelILi45EdiiPKPdEEvT1_T3_lS5_lPS5_llPT2_S5_S5_S7_l.num_vgpr, 186
	.set _ZN9rocsolver6v33100L18getf2_small_kernelILi45EdiiPKPdEEvT1_T3_lS5_lPS5_llPT2_S5_S5_S7_l.num_agpr, 0
	.set _ZN9rocsolver6v33100L18getf2_small_kernelILi45EdiiPKPdEEvT1_T3_lS5_lPS5_llPT2_S5_S5_S7_l.numbered_sgpr, 14
	.set _ZN9rocsolver6v33100L18getf2_small_kernelILi45EdiiPKPdEEvT1_T3_lS5_lPS5_llPT2_S5_S5_S7_l.num_named_barrier, 0
	.set _ZN9rocsolver6v33100L18getf2_small_kernelILi45EdiiPKPdEEvT1_T3_lS5_lPS5_llPT2_S5_S5_S7_l.private_seg_size, 0
	.set _ZN9rocsolver6v33100L18getf2_small_kernelILi45EdiiPKPdEEvT1_T3_lS5_lPS5_llPT2_S5_S5_S7_l.uses_vcc, 1
	.set _ZN9rocsolver6v33100L18getf2_small_kernelILi45EdiiPKPdEEvT1_T3_lS5_lPS5_llPT2_S5_S5_S7_l.uses_flat_scratch, 1
	.set _ZN9rocsolver6v33100L18getf2_small_kernelILi45EdiiPKPdEEvT1_T3_lS5_lPS5_llPT2_S5_S5_S7_l.has_dyn_sized_stack, 0
	.set _ZN9rocsolver6v33100L18getf2_small_kernelILi45EdiiPKPdEEvT1_T3_lS5_lPS5_llPT2_S5_S5_S7_l.has_recursion, 0
	.set _ZN9rocsolver6v33100L18getf2_small_kernelILi45EdiiPKPdEEvT1_T3_lS5_lPS5_llPT2_S5_S5_S7_l.has_indirect_call, 0
	.section	.AMDGPU.csdata,"",@progbits
; Kernel info:
; codeLenInByte = 46276
; TotalNumSgprs: 16
; NumVgprs: 186
; ScratchSize: 0
; MemoryBound: 0
; FloatMode: 240
; IeeeMode: 1
; LDSByteSize: 0 bytes/workgroup (compile time only)
; SGPRBlocks: 0
; VGPRBlocks: 23
; NumSGPRsForWavesPerEU: 16
; NumVGPRsForWavesPerEU: 186
; Occupancy: 5
; WaveLimiterHint : 1
; COMPUTE_PGM_RSRC2:SCRATCH_EN: 0
; COMPUTE_PGM_RSRC2:USER_SGPR: 6
; COMPUTE_PGM_RSRC2:TRAP_HANDLER: 0
; COMPUTE_PGM_RSRC2:TGID_X_EN: 1
; COMPUTE_PGM_RSRC2:TGID_Y_EN: 1
; COMPUTE_PGM_RSRC2:TGID_Z_EN: 0
; COMPUTE_PGM_RSRC2:TIDIG_COMP_CNT: 1
	.section	.text._ZN9rocsolver6v33100L23getf2_npvt_small_kernelILi45EdiiPKPdEEvT1_T3_lS5_lPT2_S5_S5_,"axG",@progbits,_ZN9rocsolver6v33100L23getf2_npvt_small_kernelILi45EdiiPKPdEEvT1_T3_lS5_lPT2_S5_S5_,comdat
	.globl	_ZN9rocsolver6v33100L23getf2_npvt_small_kernelILi45EdiiPKPdEEvT1_T3_lS5_lPT2_S5_S5_ ; -- Begin function _ZN9rocsolver6v33100L23getf2_npvt_small_kernelILi45EdiiPKPdEEvT1_T3_lS5_lPT2_S5_S5_
	.p2align	8
	.type	_ZN9rocsolver6v33100L23getf2_npvt_small_kernelILi45EdiiPKPdEEvT1_T3_lS5_lPT2_S5_S5_,@function
_ZN9rocsolver6v33100L23getf2_npvt_small_kernelILi45EdiiPKPdEEvT1_T3_lS5_lPT2_S5_S5_: ; @_ZN9rocsolver6v33100L23getf2_npvt_small_kernelILi45EdiiPKPdEEvT1_T3_lS5_lPT2_S5_S5_
; %bb.0:
	s_mov_b64 s[14:15], s[2:3]
	s_mov_b64 s[12:13], s[0:1]
	s_add_u32 s12, s12, s8
	s_clause 0x1
	s_load_dword s0, s[4:5], 0x44
	s_load_dwordx2 s[8:9], s[4:5], 0x30
	s_addc_u32 s13, s13, 0
	s_waitcnt lgkmcnt(0)
	s_lshr_b32 s10, s0, 16
	s_mov_b32 s0, exec_lo
	v_mad_u64_u32 v[2:3], null, s7, s10, v[1:2]
	v_cmpx_gt_i32_e64 s8, v2
	s_cbranch_execz .LBB89_228
; %bb.1:
	s_clause 0x1
	s_load_dwordx4 s[0:3], s[4:5], 0x8
	s_load_dword s6, s[4:5], 0x18
	v_ashrrev_i32_e32 v3, 31, v2
	v_lshlrev_b32_e32 v94, 3, v0
	v_lshlrev_b32_e32 v184, 3, v1
	s_mulk_i32 s10, 0x168
	v_mad_u32_u24 v202, 0x168, v1, 0
	v_lshlrev_b64 v[4:5], 3, v[2:3]
	v_add3_u32 v1, 0, s10, v184
	s_waitcnt lgkmcnt(0)
	v_add_co_u32 v4, vcc_lo, s0, v4
	v_add_co_ci_u32_e64 v5, null, s1, v5, vcc_lo
	v_add3_u32 v6, s6, s6, v0
	s_lshl_b64 s[2:3], s[2:3], 3
	s_ashr_i32 s7, s6, 31
	global_load_dwordx2 v[4:5], v[4:5], off
	s_lshl_b64 s[0:1], s[6:7], 3
	v_add_nc_u32_e32 v8, s6, v6
	v_ashrrev_i32_e32 v7, 31, v6
	v_add_nc_u32_e32 v10, s6, v8
	v_ashrrev_i32_e32 v9, 31, v8
	v_lshlrev_b64 v[6:7], 3, v[6:7]
	v_add_nc_u32_e32 v12, s6, v10
	v_ashrrev_i32_e32 v11, 31, v10
	v_lshlrev_b64 v[8:9], 3, v[8:9]
	;; [unrolled: 3-line block ×40, first 2 shown]
	v_ashrrev_i32_e32 v89, 31, v88
	v_add_nc_u32_e32 v90, s6, v88
	v_lshlrev_b64 v[86:87], 3, v[86:87]
	v_lshlrev_b64 v[88:89], 3, v[88:89]
	v_ashrrev_i32_e32 v91, 31, v90
	v_lshlrev_b64 v[92:93], 3, v[90:91]
	s_waitcnt vmcnt(0)
	v_add_co_u32 v95, vcc_lo, v4, s2
	v_add_co_ci_u32_e64 v96, null, s3, v5, vcc_lo
	v_add_co_u32 v4, vcc_lo, v95, v6
	v_add_co_ci_u32_e64 v5, null, v96, v7, vcc_lo
	;; [unrolled: 2-line block ×46, first 2 shown]
	s_clause 0x2c
	flat_load_dwordx2 v[138:139], v[8:9]
	flat_load_dwordx2 v[122:123], v[10:11]
	;; [unrolled: 1-line block ×45, first 2 shown]
	v_cmp_ne_u32_e64 s1, 0, v0
	v_cmp_eq_u32_e64 s0, 0, v0
	s_and_saveexec_b32 s2, s0
	s_cbranch_execz .LBB89_4
; %bb.2:
	s_waitcnt vmcnt(16) lgkmcnt(16)
	ds_write_b64 v1, v[176:177]
	s_waitcnt vmcnt(14) lgkmcnt(15)
	ds_write2_b64 v202, v[180:181], v[182:183] offset0:1 offset1:2
	s_waitcnt vmcnt(13) lgkmcnt(15)
	ds_write2_b64 v202, v[178:179], v[138:139] offset0:3 offset1:4
	ds_write2_b64 v202, v[122:123], v[136:137] offset0:5 offset1:6
	ds_write2_b64 v202, v[120:121], v[134:135] offset0:7 offset1:8
	ds_write2_b64 v202, v[118:119], v[132:133] offset0:9 offset1:10
	ds_write2_b64 v202, v[116:117], v[130:131] offset0:11 offset1:12
	ds_write2_b64 v202, v[114:115], v[128:129] offset0:13 offset1:14
	ds_write2_b64 v202, v[112:113], v[126:127] offset0:15 offset1:16
	ds_write2_b64 v202, v[110:111], v[124:125] offset0:17 offset1:18
	ds_write2_b64 v202, v[100:101], v[108:109] offset0:19 offset1:20
	ds_write2_b64 v202, v[98:99], v[106:107] offset0:21 offset1:22
	ds_write2_b64 v202, v[96:97], v[104:105] offset0:23 offset1:24
	ds_write2_b64 v202, v[94:95], v[102:103] offset0:25 offset1:26
	ds_write2_b64 v202, v[92:93], v[148:149] offset0:27 offset1:28
	ds_write2_b64 v202, v[144:145], v[146:147] offset0:29 offset1:30
	s_waitcnt vmcnt(12) lgkmcnt(28)
	ds_write2_b64 v202, v[142:143], v[172:173] offset0:31 offset1:32
	s_waitcnt vmcnt(10) lgkmcnt(27)
	ds_write2_b64 v202, v[160:161], v[170:171] offset0:33 offset1:34
	;; [unrolled: 2-line block ×7, first 2 shown]
	ds_read_b64 v[184:185], v1
	s_waitcnt lgkmcnt(0)
	v_cmp_neq_f64_e32 vcc_lo, 0, v[184:185]
	s_and_b32 exec_lo, exec_lo, vcc_lo
	s_cbranch_execz .LBB89_4
; %bb.3:
	v_div_scale_f64 v[186:187], null, v[184:185], v[184:185], 1.0
	v_rcp_f64_e32 v[188:189], v[186:187]
	v_fma_f64 v[190:191], -v[186:187], v[188:189], 1.0
	v_fma_f64 v[188:189], v[188:189], v[190:191], v[188:189]
	v_fma_f64 v[190:191], -v[186:187], v[188:189], 1.0
	v_fma_f64 v[188:189], v[188:189], v[190:191], v[188:189]
	v_div_scale_f64 v[190:191], vcc_lo, 1.0, v[184:185], 1.0
	v_mul_f64 v[192:193], v[190:191], v[188:189]
	v_fma_f64 v[186:187], -v[186:187], v[192:193], v[190:191]
	v_div_fmas_f64 v[186:187], v[186:187], v[188:189], v[192:193]
	v_div_fixup_f64 v[184:185], v[186:187], v[184:185], 1.0
	ds_write_b64 v1, v[184:185]
.LBB89_4:
	s_or_b32 exec_lo, exec_lo, s2
	s_waitcnt vmcnt(0) lgkmcnt(0)
	s_barrier
	buffer_gl0_inv
	ds_read_b64 v[184:185], v1
	s_waitcnt lgkmcnt(0)
	buffer_store_dword v184, off, s[12:15], 0 ; 4-byte Folded Spill
	buffer_store_dword v185, off, s[12:15], 0 offset:4 ; 4-byte Folded Spill
	s_and_saveexec_b32 s2, s1
	s_cbranch_execz .LBB89_6
; %bb.5:
	s_clause 0x1
	buffer_load_dword v184, off, s[12:15], 0
	buffer_load_dword v185, off, s[12:15], 0 offset:4
	s_waitcnt vmcnt(0)
	v_mul_f64 v[176:177], v[184:185], v[176:177]
	ds_read2_b64 v[184:187], v202 offset0:1 offset1:2
	ds_read2_b64 v[188:191], v202 offset0:3 offset1:4
	ds_read2_b64 v[192:195], v202 offset0:5 offset1:6
	ds_read2_b64 v[196:199], v202 offset0:7 offset1:8
	ds_read2_b64 v[203:206], v202 offset0:9 offset1:10
	ds_read2_b64 v[207:210], v202 offset0:11 offset1:12
	ds_read2_b64 v[211:214], v202 offset0:13 offset1:14
	ds_read2_b64 v[215:218], v202 offset0:15 offset1:16
	ds_read2_b64 v[219:222], v202 offset0:17 offset1:18
	ds_read2_b64 v[223:226], v202 offset0:19 offset1:20
	ds_read2_b64 v[227:230], v202 offset0:21 offset1:22
	s_waitcnt lgkmcnt(10)
	v_fma_f64 v[180:181], -v[176:177], v[184:185], v[180:181]
	v_fma_f64 v[182:183], -v[176:177], v[186:187], v[182:183]
	s_waitcnt lgkmcnt(9)
	v_fma_f64 v[178:179], -v[176:177], v[188:189], v[178:179]
	v_fma_f64 v[138:139], -v[176:177], v[190:191], v[138:139]
	;; [unrolled: 3-line block ×6, first 2 shown]
	ds_read2_b64 v[184:187], v202 offset0:23 offset1:24
	ds_read2_b64 v[188:191], v202 offset0:25 offset1:26
	s_waitcnt lgkmcnt(6)
	v_fma_f64 v[114:115], -v[176:177], v[211:212], v[114:115]
	v_fma_f64 v[128:129], -v[176:177], v[213:214], v[128:129]
	s_waitcnt lgkmcnt(5)
	v_fma_f64 v[112:113], -v[176:177], v[215:216], v[112:113]
	ds_read2_b64 v[192:195], v202 offset0:27 offset1:28
	ds_read2_b64 v[196:199], v202 offset0:29 offset1:30
	v_fma_f64 v[126:127], -v[176:177], v[217:218], v[126:127]
	s_waitcnt lgkmcnt(6)
	v_fma_f64 v[110:111], -v[176:177], v[219:220], v[110:111]
	ds_read2_b64 v[203:206], v202 offset0:31 offset1:32
	ds_read2_b64 v[207:210], v202 offset0:33 offset1:34
	;; [unrolled: 5-line block ×4, first 2 shown]
	v_fma_f64 v[106:107], -v[176:177], v[229:230], v[106:107]
	ds_read2_b64 v[227:230], v202 offset0:43 offset1:44
	s_waitcnt lgkmcnt(10)
	v_fma_f64 v[96:97], -v[176:177], v[184:185], v[96:97]
	v_fma_f64 v[104:105], -v[176:177], v[186:187], v[104:105]
	s_waitcnt lgkmcnt(9)
	v_fma_f64 v[94:95], -v[176:177], v[188:189], v[94:95]
	v_fma_f64 v[102:103], -v[176:177], v[190:191], v[102:103]
	;; [unrolled: 3-line block ×11, first 2 shown]
.LBB89_6:
	s_or_b32 exec_lo, exec_lo, s2
	s_mov_b32 s1, exec_lo
	s_waitcnt_vscnt null, 0x0
	s_barrier
	buffer_gl0_inv
	v_cmpx_eq_u32_e32 1, v0
	s_cbranch_execz .LBB89_9
; %bb.7:
	v_mov_b32_e32 v184, v182
	v_mov_b32_e32 v185, v183
	;; [unrolled: 1-line block ×4, first 2 shown]
	ds_write_b64 v1, v[180:181]
	ds_write2_b64 v202, v[184:185], v[186:187] offset0:2 offset1:3
	v_mov_b32_e32 v184, v138
	v_mov_b32_e32 v185, v139
	v_mov_b32_e32 v186, v122
	v_mov_b32_e32 v187, v123
	v_mov_b32_e32 v188, v136
	v_mov_b32_e32 v189, v137
	v_mov_b32_e32 v190, v120
	v_mov_b32_e32 v191, v121
	v_mov_b32_e32 v192, v134
	v_mov_b32_e32 v193, v135
	v_mov_b32_e32 v194, v118
	v_mov_b32_e32 v195, v119
	v_mov_b32_e32 v196, v132
	v_mov_b32_e32 v197, v133
	v_mov_b32_e32 v198, v116
	v_mov_b32_e32 v199, v117
	v_mov_b32_e32 v200, v130
	v_mov_b32_e32 v201, v131
	v_mov_b32_e32 v203, v114
	v_mov_b32_e32 v204, v115
	ds_write2_b64 v202, v[184:185], v[186:187] offset0:4 offset1:5
	ds_write2_b64 v202, v[188:189], v[190:191] offset0:6 offset1:7
	ds_write2_b64 v202, v[192:193], v[194:195] offset0:8 offset1:9
	ds_write2_b64 v202, v[196:197], v[198:199] offset0:10 offset1:11
	ds_write2_b64 v202, v[200:201], v[203:204] offset0:12 offset1:13
	v_mov_b32_e32 v184, v128
	v_mov_b32_e32 v185, v129
	v_mov_b32_e32 v186, v112
	v_mov_b32_e32 v187, v113
	v_mov_b32_e32 v188, v126
	v_mov_b32_e32 v189, v127
	v_mov_b32_e32 v190, v110
	v_mov_b32_e32 v191, v111
	v_mov_b32_e32 v192, v124
	v_mov_b32_e32 v193, v125
	v_mov_b32_e32 v194, v100
	v_mov_b32_e32 v195, v101
	v_mov_b32_e32 v196, v108
	v_mov_b32_e32 v197, v109
	v_mov_b32_e32 v198, v98
	v_mov_b32_e32 v199, v99
	v_mov_b32_e32 v200, v106
	v_mov_b32_e32 v201, v107
	v_mov_b32_e32 v203, v96
	v_mov_b32_e32 v204, v97
	ds_write2_b64 v202, v[184:185], v[186:187] offset0:14 offset1:15
	ds_write2_b64 v202, v[188:189], v[190:191] offset0:16 offset1:17
	ds_write2_b64 v202, v[192:193], v[194:195] offset0:18 offset1:19
	ds_write2_b64 v202, v[196:197], v[198:199] offset0:20 offset1:21
	ds_write2_b64 v202, v[200:201], v[203:204] offset0:22 offset1:23
	v_mov_b32_e32 v184, v104
	v_mov_b32_e32 v185, v105
	v_mov_b32_e32 v186, v94
	v_mov_b32_e32 v187, v95
	v_mov_b32_e32 v188, v102
	v_mov_b32_e32 v189, v103
	v_mov_b32_e32 v190, v92
	v_mov_b32_e32 v191, v93
	v_mov_b32_e32 v192, v148
	v_mov_b32_e32 v193, v149
	v_mov_b32_e32 v194, v144
	v_mov_b32_e32 v195, v145
	v_mov_b32_e32 v196, v146
	v_mov_b32_e32 v197, v147
	v_mov_b32_e32 v198, v142
	v_mov_b32_e32 v199, v143
	v_mov_b32_e32 v200, v172
	v_mov_b32_e32 v201, v173
	v_mov_b32_e32 v203, v160
	v_mov_b32_e32 v204, v161
	ds_write2_b64 v202, v[184:185], v[186:187] offset0:24 offset1:25
	ds_write2_b64 v202, v[188:189], v[190:191] offset0:26 offset1:27
	ds_write2_b64 v202, v[192:193], v[194:195] offset0:28 offset1:29
	ds_write2_b64 v202, v[196:197], v[198:199] offset0:30 offset1:31
	ds_write2_b64 v202, v[200:201], v[203:204] offset0:32 offset1:33
	v_mov_b32_e32 v184, v170
	v_mov_b32_e32 v185, v171
	v_mov_b32_e32 v186, v158
	v_mov_b32_e32 v187, v159
	v_mov_b32_e32 v188, v168
	v_mov_b32_e32 v189, v169
	v_mov_b32_e32 v190, v156
	v_mov_b32_e32 v191, v157
	v_mov_b32_e32 v192, v166
	v_mov_b32_e32 v193, v167
	v_mov_b32_e32 v194, v154
	v_mov_b32_e32 v195, v155
	v_mov_b32_e32 v196, v164
	v_mov_b32_e32 v197, v165
	v_mov_b32_e32 v198, v152
	v_mov_b32_e32 v199, v153
	v_mov_b32_e32 v200, v162
	v_mov_b32_e32 v201, v163
	v_mov_b32_e32 v203, v150
	v_mov_b32_e32 v204, v151
	ds_write2_b64 v202, v[184:185], v[186:187] offset0:34 offset1:35
	ds_write2_b64 v202, v[188:189], v[190:191] offset0:36 offset1:37
	ds_write2_b64 v202, v[192:193], v[194:195] offset0:38 offset1:39
	ds_write2_b64 v202, v[196:197], v[198:199] offset0:40 offset1:41
	ds_write2_b64 v202, v[200:201], v[203:204] offset0:42 offset1:43
	ds_write_b64 v202, v[174:175] offset:352
	ds_read_b64 v[184:185], v1
	s_waitcnt lgkmcnt(0)
	v_cmp_neq_f64_e32 vcc_lo, 0, v[184:185]
	s_and_b32 exec_lo, exec_lo, vcc_lo
	s_cbranch_execz .LBB89_9
; %bb.8:
	v_div_scale_f64 v[186:187], null, v[184:185], v[184:185], 1.0
	v_rcp_f64_e32 v[188:189], v[186:187]
	v_fma_f64 v[190:191], -v[186:187], v[188:189], 1.0
	v_fma_f64 v[188:189], v[188:189], v[190:191], v[188:189]
	v_fma_f64 v[190:191], -v[186:187], v[188:189], 1.0
	v_fma_f64 v[188:189], v[188:189], v[190:191], v[188:189]
	v_div_scale_f64 v[190:191], vcc_lo, 1.0, v[184:185], 1.0
	v_mul_f64 v[192:193], v[190:191], v[188:189]
	v_fma_f64 v[186:187], -v[186:187], v[192:193], v[190:191]
	v_div_fmas_f64 v[186:187], v[186:187], v[188:189], v[192:193]
	v_div_fixup_f64 v[184:185], v[186:187], v[184:185], 1.0
	ds_write_b64 v1, v[184:185]
.LBB89_9:
	s_or_b32 exec_lo, exec_lo, s1
	s_waitcnt lgkmcnt(0)
	s_barrier
	buffer_gl0_inv
	ds_read_b64 v[184:185], v1
	s_mov_b32 s1, exec_lo
	s_waitcnt lgkmcnt(0)
	buffer_store_dword v184, off, s[12:15], 0 offset:8 ; 4-byte Folded Spill
	buffer_store_dword v185, off, s[12:15], 0 offset:12 ; 4-byte Folded Spill
	v_cmpx_lt_u32_e32 1, v0
	s_cbranch_execz .LBB89_11
; %bb.10:
	s_clause 0x1
	buffer_load_dword v184, off, s[12:15], 0 offset:8
	buffer_load_dword v185, off, s[12:15], 0 offset:12
	s_waitcnt vmcnt(0)
	v_mul_f64 v[180:181], v[184:185], v[180:181]
	ds_read2_b64 v[184:187], v202 offset0:2 offset1:3
	ds_read2_b64 v[188:191], v202 offset0:4 offset1:5
	;; [unrolled: 1-line block ×11, first 2 shown]
	s_waitcnt lgkmcnt(10)
	v_fma_f64 v[182:183], -v[180:181], v[184:185], v[182:183]
	v_fma_f64 v[178:179], -v[180:181], v[186:187], v[178:179]
	ds_read2_b64 v[184:187], v202 offset0:24 offset1:25
	s_waitcnt lgkmcnt(10)
	v_fma_f64 v[138:139], -v[180:181], v[188:189], v[138:139]
	v_fma_f64 v[122:123], -v[180:181], v[190:191], v[122:123]
	s_waitcnt lgkmcnt(9)
	v_fma_f64 v[136:137], -v[180:181], v[192:193], v[136:137]
	v_fma_f64 v[120:121], -v[180:181], v[194:195], v[120:121]
	;; [unrolled: 3-line block ×6, first 2 shown]
	ds_read2_b64 v[188:191], v202 offset0:26 offset1:27
	s_waitcnt lgkmcnt(5)
	v_fma_f64 v[126:127], -v[180:181], v[215:216], v[126:127]
	ds_read2_b64 v[192:195], v202 offset0:28 offset1:29
	ds_read2_b64 v[196:199], v202 offset0:30 offset1:31
	v_fma_f64 v[110:111], -v[180:181], v[217:218], v[110:111]
	s_waitcnt lgkmcnt(6)
	v_fma_f64 v[124:125], -v[180:181], v[219:220], v[124:125]
	ds_read2_b64 v[203:206], v202 offset0:32 offset1:33
	ds_read2_b64 v[207:210], v202 offset0:34 offset1:35
	v_fma_f64 v[100:101], -v[180:181], v[221:222], v[100:101]
	;; [unrolled: 5-line block ×3, first 2 shown]
	ds_read2_b64 v[219:222], v202 offset0:40 offset1:41
	ds_read2_b64 v[223:226], v202 offset0:42 offset1:43
	s_waitcnt lgkmcnt(9)
	v_fma_f64 v[104:105], -v[180:181], v[184:185], v[104:105]
	ds_read_b64 v[184:185], v202 offset:352
	v_fma_f64 v[106:107], -v[180:181], v[227:228], v[106:107]
	v_fma_f64 v[96:97], -v[180:181], v[229:230], v[96:97]
	;; [unrolled: 1-line block ×3, first 2 shown]
	s_waitcnt lgkmcnt(9)
	v_fma_f64 v[102:103], -v[180:181], v[188:189], v[102:103]
	v_fma_f64 v[92:93], -v[180:181], v[190:191], v[92:93]
	s_waitcnt lgkmcnt(8)
	v_fma_f64 v[148:149], -v[180:181], v[192:193], v[148:149]
	v_fma_f64 v[144:145], -v[180:181], v[194:195], v[144:145]
	;; [unrolled: 3-line block ×9, first 2 shown]
	s_waitcnt lgkmcnt(0)
	v_fma_f64 v[174:175], -v[180:181], v[184:185], v[174:175]
.LBB89_11:
	s_or_b32 exec_lo, exec_lo, s1
	s_mov_b32 s1, exec_lo
	s_waitcnt_vscnt null, 0x0
	s_barrier
	buffer_gl0_inv
	v_cmpx_eq_u32_e32 2, v0
	s_cbranch_execz .LBB89_14
; %bb.12:
	ds_write_b64 v1, v[182:183]
	ds_write2_b64 v202, v[178:179], v[138:139] offset0:3 offset1:4
	ds_write2_b64 v202, v[122:123], v[136:137] offset0:5 offset1:6
	;; [unrolled: 1-line block ×21, first 2 shown]
	ds_read_b64 v[184:185], v1
	s_waitcnt lgkmcnt(0)
	v_cmp_neq_f64_e32 vcc_lo, 0, v[184:185]
	s_and_b32 exec_lo, exec_lo, vcc_lo
	s_cbranch_execz .LBB89_14
; %bb.13:
	v_div_scale_f64 v[186:187], null, v[184:185], v[184:185], 1.0
	v_rcp_f64_e32 v[188:189], v[186:187]
	v_fma_f64 v[190:191], -v[186:187], v[188:189], 1.0
	v_fma_f64 v[188:189], v[188:189], v[190:191], v[188:189]
	v_fma_f64 v[190:191], -v[186:187], v[188:189], 1.0
	v_fma_f64 v[188:189], v[188:189], v[190:191], v[188:189]
	v_div_scale_f64 v[190:191], vcc_lo, 1.0, v[184:185], 1.0
	v_mul_f64 v[192:193], v[190:191], v[188:189]
	v_fma_f64 v[186:187], -v[186:187], v[192:193], v[190:191]
	v_div_fmas_f64 v[186:187], v[186:187], v[188:189], v[192:193]
	v_div_fixup_f64 v[184:185], v[186:187], v[184:185], 1.0
	ds_write_b64 v1, v[184:185]
.LBB89_14:
	s_or_b32 exec_lo, exec_lo, s1
	s_waitcnt lgkmcnt(0)
	s_barrier
	buffer_gl0_inv
	ds_read_b64 v[184:185], v1
	s_mov_b32 s1, exec_lo
	s_waitcnt lgkmcnt(0)
	buffer_store_dword v184, off, s[12:15], 0 offset:16 ; 4-byte Folded Spill
	buffer_store_dword v185, off, s[12:15], 0 offset:20 ; 4-byte Folded Spill
	v_cmpx_lt_u32_e32 2, v0
	s_cbranch_execz .LBB89_16
; %bb.15:
	s_clause 0x1
	buffer_load_dword v184, off, s[12:15], 0 offset:16
	buffer_load_dword v185, off, s[12:15], 0 offset:20
	s_waitcnt vmcnt(0)
	v_mul_f64 v[182:183], v[184:185], v[182:183]
	ds_read2_b64 v[184:187], v202 offset0:3 offset1:4
	ds_read2_b64 v[188:191], v202 offset0:5 offset1:6
	;; [unrolled: 1-line block ×11, first 2 shown]
	s_waitcnt lgkmcnt(10)
	v_fma_f64 v[178:179], -v[182:183], v[184:185], v[178:179]
	v_fma_f64 v[138:139], -v[182:183], v[186:187], v[138:139]
	s_waitcnt lgkmcnt(9)
	v_fma_f64 v[122:123], -v[182:183], v[188:189], v[122:123]
	v_fma_f64 v[136:137], -v[182:183], v[190:191], v[136:137]
	;; [unrolled: 3-line block ×6, first 2 shown]
	ds_read2_b64 v[184:187], v202 offset0:25 offset1:26
	ds_read2_b64 v[188:191], v202 offset0:27 offset1:28
	s_waitcnt lgkmcnt(6)
	v_fma_f64 v[112:113], -v[182:183], v[211:212], v[112:113]
	v_fma_f64 v[126:127], -v[182:183], v[213:214], v[126:127]
	ds_read2_b64 v[192:195], v202 offset0:29 offset1:30
	ds_read2_b64 v[196:199], v202 offset0:31 offset1:32
	s_waitcnt lgkmcnt(7)
	v_fma_f64 v[110:111], -v[182:183], v[215:216], v[110:111]
	v_fma_f64 v[124:125], -v[182:183], v[217:218], v[124:125]
	ds_read2_b64 v[203:206], v202 offset0:33 offset1:34
	ds_read2_b64 v[207:210], v202 offset0:35 offset1:36
	s_waitcnt lgkmcnt(8)
	v_fma_f64 v[100:101], -v[182:183], v[219:220], v[100:101]
	v_fma_f64 v[108:109], -v[182:183], v[221:222], v[108:109]
	ds_read2_b64 v[211:214], v202 offset0:37 offset1:38
	ds_read2_b64 v[215:218], v202 offset0:39 offset1:40
	s_waitcnt lgkmcnt(9)
	v_fma_f64 v[98:99], -v[182:183], v[223:224], v[98:99]
	v_fma_f64 v[106:107], -v[182:183], v[225:226], v[106:107]
	ds_read2_b64 v[219:222], v202 offset0:41 offset1:42
	ds_read2_b64 v[223:226], v202 offset0:43 offset1:44
	s_waitcnt lgkmcnt(10)
	v_fma_f64 v[96:97], -v[182:183], v[227:228], v[96:97]
	v_fma_f64 v[104:105], -v[182:183], v[229:230], v[104:105]
	s_waitcnt lgkmcnt(9)
	v_fma_f64 v[94:95], -v[182:183], v[184:185], v[94:95]
	v_fma_f64 v[102:103], -v[182:183], v[186:187], v[102:103]
	s_waitcnt lgkmcnt(8)
	v_fma_f64 v[92:93], -v[182:183], v[188:189], v[92:93]
	v_fma_f64 v[148:149], -v[182:183], v[190:191], v[148:149]
	;; [unrolled: 3-line block ×10, first 2 shown]
.LBB89_16:
	s_or_b32 exec_lo, exec_lo, s1
	s_mov_b32 s1, exec_lo
	s_waitcnt_vscnt null, 0x0
	s_barrier
	buffer_gl0_inv
	v_cmpx_eq_u32_e32 3, v0
	s_cbranch_execz .LBB89_19
; %bb.17:
	v_mov_b32_e32 v184, v138
	v_mov_b32_e32 v185, v139
	;; [unrolled: 1-line block ×20, first 2 shown]
	ds_write_b64 v1, v[178:179]
	ds_write2_b64 v202, v[184:185], v[186:187] offset0:4 offset1:5
	ds_write2_b64 v202, v[188:189], v[190:191] offset0:6 offset1:7
	ds_write2_b64 v202, v[192:193], v[194:195] offset0:8 offset1:9
	ds_write2_b64 v202, v[196:197], v[198:199] offset0:10 offset1:11
	ds_write2_b64 v202, v[200:201], v[203:204] offset0:12 offset1:13
	v_mov_b32_e32 v184, v128
	v_mov_b32_e32 v185, v129
	v_mov_b32_e32 v186, v112
	v_mov_b32_e32 v187, v113
	v_mov_b32_e32 v188, v126
	v_mov_b32_e32 v189, v127
	v_mov_b32_e32 v190, v110
	v_mov_b32_e32 v191, v111
	v_mov_b32_e32 v192, v124
	v_mov_b32_e32 v193, v125
	v_mov_b32_e32 v194, v100
	v_mov_b32_e32 v195, v101
	v_mov_b32_e32 v196, v108
	v_mov_b32_e32 v197, v109
	v_mov_b32_e32 v198, v98
	v_mov_b32_e32 v199, v99
	v_mov_b32_e32 v200, v106
	v_mov_b32_e32 v201, v107
	v_mov_b32_e32 v203, v96
	v_mov_b32_e32 v204, v97
	ds_write2_b64 v202, v[184:185], v[186:187] offset0:14 offset1:15
	ds_write2_b64 v202, v[188:189], v[190:191] offset0:16 offset1:17
	ds_write2_b64 v202, v[192:193], v[194:195] offset0:18 offset1:19
	ds_write2_b64 v202, v[196:197], v[198:199] offset0:20 offset1:21
	ds_write2_b64 v202, v[200:201], v[203:204] offset0:22 offset1:23
	v_mov_b32_e32 v184, v104
	v_mov_b32_e32 v185, v105
	v_mov_b32_e32 v186, v94
	v_mov_b32_e32 v187, v95
	v_mov_b32_e32 v188, v102
	v_mov_b32_e32 v189, v103
	v_mov_b32_e32 v190, v92
	v_mov_b32_e32 v191, v93
	v_mov_b32_e32 v192, v148
	v_mov_b32_e32 v193, v149
	v_mov_b32_e32 v194, v144
	v_mov_b32_e32 v195, v145
	v_mov_b32_e32 v196, v146
	v_mov_b32_e32 v197, v147
	v_mov_b32_e32 v198, v142
	v_mov_b32_e32 v199, v143
	v_mov_b32_e32 v200, v172
	v_mov_b32_e32 v201, v173
	v_mov_b32_e32 v203, v160
	v_mov_b32_e32 v204, v161
	;; [unrolled: 25-line block ×3, first 2 shown]
	ds_write2_b64 v202, v[184:185], v[186:187] offset0:34 offset1:35
	ds_write2_b64 v202, v[188:189], v[190:191] offset0:36 offset1:37
	;; [unrolled: 1-line block ×5, first 2 shown]
	ds_write_b64 v202, v[174:175] offset:352
	ds_read_b64 v[184:185], v1
	s_waitcnt lgkmcnt(0)
	v_cmp_neq_f64_e32 vcc_lo, 0, v[184:185]
	s_and_b32 exec_lo, exec_lo, vcc_lo
	s_cbranch_execz .LBB89_19
; %bb.18:
	v_div_scale_f64 v[186:187], null, v[184:185], v[184:185], 1.0
	v_rcp_f64_e32 v[188:189], v[186:187]
	v_fma_f64 v[190:191], -v[186:187], v[188:189], 1.0
	v_fma_f64 v[188:189], v[188:189], v[190:191], v[188:189]
	v_fma_f64 v[190:191], -v[186:187], v[188:189], 1.0
	v_fma_f64 v[188:189], v[188:189], v[190:191], v[188:189]
	v_div_scale_f64 v[190:191], vcc_lo, 1.0, v[184:185], 1.0
	v_mul_f64 v[192:193], v[190:191], v[188:189]
	v_fma_f64 v[186:187], -v[186:187], v[192:193], v[190:191]
	v_div_fmas_f64 v[186:187], v[186:187], v[188:189], v[192:193]
	v_div_fixup_f64 v[184:185], v[186:187], v[184:185], 1.0
	ds_write_b64 v1, v[184:185]
.LBB89_19:
	s_or_b32 exec_lo, exec_lo, s1
	s_waitcnt lgkmcnt(0)
	s_barrier
	buffer_gl0_inv
	ds_read_b64 v[184:185], v1
	s_mov_b32 s1, exec_lo
	s_waitcnt lgkmcnt(0)
	buffer_store_dword v184, off, s[12:15], 0 offset:24 ; 4-byte Folded Spill
	buffer_store_dword v185, off, s[12:15], 0 offset:28 ; 4-byte Folded Spill
	v_cmpx_lt_u32_e32 3, v0
	s_cbranch_execz .LBB89_21
; %bb.20:
	s_clause 0x1
	buffer_load_dword v184, off, s[12:15], 0 offset:24
	buffer_load_dword v185, off, s[12:15], 0 offset:28
	s_waitcnt vmcnt(0)
	v_mul_f64 v[178:179], v[184:185], v[178:179]
	ds_read2_b64 v[184:187], v202 offset0:4 offset1:5
	ds_read2_b64 v[188:191], v202 offset0:6 offset1:7
	;; [unrolled: 1-line block ×11, first 2 shown]
	ds_read_b64 v[200:201], v202 offset:352
	s_waitcnt lgkmcnt(11)
	v_fma_f64 v[138:139], -v[178:179], v[184:185], v[138:139]
	v_fma_f64 v[122:123], -v[178:179], v[186:187], v[122:123]
	s_waitcnt lgkmcnt(10)
	v_fma_f64 v[136:137], -v[178:179], v[188:189], v[136:137]
	v_fma_f64 v[120:121], -v[178:179], v[190:191], v[120:121]
	;; [unrolled: 3-line block ×6, first 2 shown]
	ds_read2_b64 v[184:187], v202 offset0:26 offset1:27
	ds_read2_b64 v[188:191], v202 offset0:28 offset1:29
	s_waitcnt lgkmcnt(7)
	v_fma_f64 v[126:127], -v[178:179], v[211:212], v[126:127]
	v_fma_f64 v[110:111], -v[178:179], v[213:214], v[110:111]
	ds_read2_b64 v[192:195], v202 offset0:30 offset1:31
	ds_read2_b64 v[196:199], v202 offset0:32 offset1:33
	s_waitcnt lgkmcnt(8)
	v_fma_f64 v[124:125], -v[178:179], v[215:216], v[124:125]
	v_fma_f64 v[100:101], -v[178:179], v[217:218], v[100:101]
	;; [unrolled: 5-line block ×3, first 2 shown]
	ds_read2_b64 v[211:214], v202 offset0:38 offset1:39
	ds_read2_b64 v[215:218], v202 offset0:40 offset1:41
	;; [unrolled: 1-line block ×3, first 2 shown]
	s_waitcnt lgkmcnt(11)
	v_fma_f64 v[106:107], -v[178:179], v[223:224], v[106:107]
	v_fma_f64 v[96:97], -v[178:179], v[225:226], v[96:97]
	s_waitcnt lgkmcnt(10)
	v_fma_f64 v[104:105], -v[178:179], v[227:228], v[104:105]
	v_fma_f64 v[94:95], -v[178:179], v[229:230], v[94:95]
	s_waitcnt lgkmcnt(9)
	v_fma_f64 v[174:175], -v[178:179], v[200:201], v[174:175]
	s_waitcnt lgkmcnt(8)
	v_fma_f64 v[102:103], -v[178:179], v[184:185], v[102:103]
	v_fma_f64 v[92:93], -v[178:179], v[186:187], v[92:93]
	s_waitcnt lgkmcnt(7)
	v_fma_f64 v[148:149], -v[178:179], v[188:189], v[148:149]
	;; [unrolled: 3-line block ×9, first 2 shown]
	v_fma_f64 v[150:151], -v[178:179], v[221:222], v[150:151]
.LBB89_21:
	s_or_b32 exec_lo, exec_lo, s1
	s_mov_b32 s1, exec_lo
	s_waitcnt_vscnt null, 0x0
	s_barrier
	buffer_gl0_inv
	v_cmpx_eq_u32_e32 4, v0
	s_cbranch_execz .LBB89_24
; %bb.22:
	ds_write_b64 v1, v[138:139]
	ds_write2_b64 v202, v[122:123], v[136:137] offset0:5 offset1:6
	ds_write2_b64 v202, v[120:121], v[134:135] offset0:7 offset1:8
	;; [unrolled: 1-line block ×20, first 2 shown]
	ds_read_b64 v[184:185], v1
	s_waitcnt lgkmcnt(0)
	v_cmp_neq_f64_e32 vcc_lo, 0, v[184:185]
	s_and_b32 exec_lo, exec_lo, vcc_lo
	s_cbranch_execz .LBB89_24
; %bb.23:
	v_div_scale_f64 v[186:187], null, v[184:185], v[184:185], 1.0
	v_rcp_f64_e32 v[188:189], v[186:187]
	v_fma_f64 v[190:191], -v[186:187], v[188:189], 1.0
	v_fma_f64 v[188:189], v[188:189], v[190:191], v[188:189]
	v_fma_f64 v[190:191], -v[186:187], v[188:189], 1.0
	v_fma_f64 v[188:189], v[188:189], v[190:191], v[188:189]
	v_div_scale_f64 v[190:191], vcc_lo, 1.0, v[184:185], 1.0
	v_mul_f64 v[192:193], v[190:191], v[188:189]
	v_fma_f64 v[186:187], -v[186:187], v[192:193], v[190:191]
	v_div_fmas_f64 v[186:187], v[186:187], v[188:189], v[192:193]
	v_div_fixup_f64 v[184:185], v[186:187], v[184:185], 1.0
	ds_write_b64 v1, v[184:185]
.LBB89_24:
	s_or_b32 exec_lo, exec_lo, s1
	s_waitcnt lgkmcnt(0)
	s_barrier
	buffer_gl0_inv
	ds_read_b64 v[184:185], v1
	s_mov_b32 s1, exec_lo
	s_waitcnt lgkmcnt(0)
	buffer_store_dword v184, off, s[12:15], 0 offset:32 ; 4-byte Folded Spill
	buffer_store_dword v185, off, s[12:15], 0 offset:36 ; 4-byte Folded Spill
	v_cmpx_lt_u32_e32 4, v0
	s_cbranch_execz .LBB89_26
; %bb.25:
	s_clause 0x1
	buffer_load_dword v184, off, s[12:15], 0 offset:32
	buffer_load_dword v185, off, s[12:15], 0 offset:36
	s_waitcnt vmcnt(0)
	v_mul_f64 v[138:139], v[184:185], v[138:139]
	ds_read2_b64 v[184:187], v202 offset0:5 offset1:6
	ds_read2_b64 v[188:191], v202 offset0:7 offset1:8
	;; [unrolled: 1-line block ×11, first 2 shown]
	s_waitcnt lgkmcnt(10)
	v_fma_f64 v[122:123], -v[138:139], v[184:185], v[122:123]
	v_fma_f64 v[136:137], -v[138:139], v[186:187], v[136:137]
	s_waitcnt lgkmcnt(9)
	v_fma_f64 v[120:121], -v[138:139], v[188:189], v[120:121]
	v_fma_f64 v[134:135], -v[138:139], v[190:191], v[134:135]
	;; [unrolled: 3-line block ×5, first 2 shown]
	s_waitcnt lgkmcnt(5)
	v_fma_f64 v[112:113], -v[138:139], v[207:208], v[112:113]
	ds_read2_b64 v[184:187], v202 offset0:27 offset1:28
	ds_read2_b64 v[188:191], v202 offset0:29 offset1:30
	v_fma_f64 v[126:127], -v[138:139], v[209:210], v[126:127]
	s_waitcnt lgkmcnt(6)
	v_fma_f64 v[110:111], -v[138:139], v[211:212], v[110:111]
	ds_read2_b64 v[192:195], v202 offset0:31 offset1:32
	ds_read2_b64 v[196:199], v202 offset0:33 offset1:34
	v_fma_f64 v[124:125], -v[138:139], v[213:214], v[124:125]
	;; [unrolled: 5-line block ×4, first 2 shown]
	ds_read2_b64 v[219:222], v202 offset0:43 offset1:44
	s_waitcnt lgkmcnt(10)
	v_fma_f64 v[96:97], -v[138:139], v[223:224], v[96:97]
	v_fma_f64 v[104:105], -v[138:139], v[225:226], v[104:105]
	s_waitcnt lgkmcnt(9)
	v_fma_f64 v[94:95], -v[138:139], v[227:228], v[94:95]
	v_fma_f64 v[102:103], -v[138:139], v[229:230], v[102:103]
	;; [unrolled: 3-line block ×11, first 2 shown]
.LBB89_26:
	s_or_b32 exec_lo, exec_lo, s1
	s_mov_b32 s1, exec_lo
	s_waitcnt_vscnt null, 0x0
	s_barrier
	buffer_gl0_inv
	v_cmpx_eq_u32_e32 5, v0
	s_cbranch_execz .LBB89_29
; %bb.27:
	v_mov_b32_e32 v184, v136
	v_mov_b32_e32 v185, v137
	;; [unrolled: 1-line block ×16, first 2 shown]
	ds_write_b64 v1, v[122:123]
	ds_write2_b64 v202, v[184:185], v[186:187] offset0:6 offset1:7
	ds_write2_b64 v202, v[188:189], v[190:191] offset0:8 offset1:9
	ds_write2_b64 v202, v[192:193], v[194:195] offset0:10 offset1:11
	ds_write2_b64 v202, v[196:197], v[198:199] offset0:12 offset1:13
	v_mov_b32_e32 v184, v128
	v_mov_b32_e32 v185, v129
	v_mov_b32_e32 v186, v112
	v_mov_b32_e32 v187, v113
	v_mov_b32_e32 v188, v126
	v_mov_b32_e32 v189, v127
	v_mov_b32_e32 v190, v110
	v_mov_b32_e32 v191, v111
	v_mov_b32_e32 v192, v124
	v_mov_b32_e32 v193, v125
	v_mov_b32_e32 v194, v100
	v_mov_b32_e32 v195, v101
	v_mov_b32_e32 v196, v108
	v_mov_b32_e32 v197, v109
	v_mov_b32_e32 v198, v98
	v_mov_b32_e32 v199, v99
	v_mov_b32_e32 v200, v106
	v_mov_b32_e32 v201, v107
	v_mov_b32_e32 v203, v96
	v_mov_b32_e32 v204, v97
	ds_write2_b64 v202, v[184:185], v[186:187] offset0:14 offset1:15
	ds_write2_b64 v202, v[188:189], v[190:191] offset0:16 offset1:17
	ds_write2_b64 v202, v[192:193], v[194:195] offset0:18 offset1:19
	ds_write2_b64 v202, v[196:197], v[198:199] offset0:20 offset1:21
	ds_write2_b64 v202, v[200:201], v[203:204] offset0:22 offset1:23
	v_mov_b32_e32 v184, v104
	v_mov_b32_e32 v185, v105
	v_mov_b32_e32 v186, v94
	v_mov_b32_e32 v187, v95
	v_mov_b32_e32 v188, v102
	v_mov_b32_e32 v189, v103
	v_mov_b32_e32 v190, v92
	v_mov_b32_e32 v191, v93
	v_mov_b32_e32 v192, v148
	v_mov_b32_e32 v193, v149
	v_mov_b32_e32 v194, v144
	v_mov_b32_e32 v195, v145
	v_mov_b32_e32 v196, v146
	v_mov_b32_e32 v197, v147
	v_mov_b32_e32 v198, v142
	v_mov_b32_e32 v199, v143
	v_mov_b32_e32 v200, v172
	v_mov_b32_e32 v201, v173
	v_mov_b32_e32 v203, v160
	v_mov_b32_e32 v204, v161
	ds_write2_b64 v202, v[184:185], v[186:187] offset0:24 offset1:25
	;; [unrolled: 25-line block ×3, first 2 shown]
	ds_write2_b64 v202, v[188:189], v[190:191] offset0:36 offset1:37
	ds_write2_b64 v202, v[192:193], v[194:195] offset0:38 offset1:39
	;; [unrolled: 1-line block ×4, first 2 shown]
	ds_write_b64 v202, v[174:175] offset:352
	ds_read_b64 v[184:185], v1
	s_waitcnt lgkmcnt(0)
	v_cmp_neq_f64_e32 vcc_lo, 0, v[184:185]
	s_and_b32 exec_lo, exec_lo, vcc_lo
	s_cbranch_execz .LBB89_29
; %bb.28:
	v_div_scale_f64 v[186:187], null, v[184:185], v[184:185], 1.0
	v_rcp_f64_e32 v[188:189], v[186:187]
	v_fma_f64 v[190:191], -v[186:187], v[188:189], 1.0
	v_fma_f64 v[188:189], v[188:189], v[190:191], v[188:189]
	v_fma_f64 v[190:191], -v[186:187], v[188:189], 1.0
	v_fma_f64 v[188:189], v[188:189], v[190:191], v[188:189]
	v_div_scale_f64 v[190:191], vcc_lo, 1.0, v[184:185], 1.0
	v_mul_f64 v[192:193], v[190:191], v[188:189]
	v_fma_f64 v[186:187], -v[186:187], v[192:193], v[190:191]
	v_div_fmas_f64 v[186:187], v[186:187], v[188:189], v[192:193]
	v_div_fixup_f64 v[184:185], v[186:187], v[184:185], 1.0
	ds_write_b64 v1, v[184:185]
.LBB89_29:
	s_or_b32 exec_lo, exec_lo, s1
	s_waitcnt lgkmcnt(0)
	s_barrier
	buffer_gl0_inv
	ds_read_b64 v[184:185], v1
	s_mov_b32 s1, exec_lo
	s_waitcnt lgkmcnt(0)
	buffer_store_dword v184, off, s[12:15], 0 offset:40 ; 4-byte Folded Spill
	buffer_store_dword v185, off, s[12:15], 0 offset:44 ; 4-byte Folded Spill
	v_cmpx_lt_u32_e32 5, v0
	s_cbranch_execz .LBB89_31
; %bb.30:
	s_clause 0x1
	buffer_load_dword v184, off, s[12:15], 0 offset:40
	buffer_load_dword v185, off, s[12:15], 0 offset:44
	s_waitcnt vmcnt(0)
	v_mul_f64 v[122:123], v[184:185], v[122:123]
	ds_read2_b64 v[184:187], v202 offset0:6 offset1:7
	ds_read2_b64 v[188:191], v202 offset0:8 offset1:9
	;; [unrolled: 1-line block ×11, first 2 shown]
	ds_read_b64 v[200:201], v202 offset:352
	s_waitcnt lgkmcnt(11)
	v_fma_f64 v[136:137], -v[122:123], v[184:185], v[136:137]
	v_fma_f64 v[120:121], -v[122:123], v[186:187], v[120:121]
	s_waitcnt lgkmcnt(10)
	v_fma_f64 v[134:135], -v[122:123], v[188:189], v[134:135]
	v_fma_f64 v[118:119], -v[122:123], v[190:191], v[118:119]
	;; [unrolled: 3-line block ×5, first 2 shown]
	s_waitcnt lgkmcnt(6)
	v_fma_f64 v[126:127], -v[122:123], v[207:208], v[126:127]
	ds_read2_b64 v[184:187], v202 offset0:28 offset1:29
	ds_read2_b64 v[188:191], v202 offset0:30 offset1:31
	v_fma_f64 v[110:111], -v[122:123], v[209:210], v[110:111]
	s_waitcnt lgkmcnt(7)
	v_fma_f64 v[124:125], -v[122:123], v[211:212], v[124:125]
	ds_read2_b64 v[192:195], v202 offset0:32 offset1:33
	ds_read2_b64 v[196:199], v202 offset0:34 offset1:35
	v_fma_f64 v[100:101], -v[122:123], v[213:214], v[100:101]
	;; [unrolled: 5-line block ×3, first 2 shown]
	ds_read2_b64 v[211:214], v202 offset0:40 offset1:41
	ds_read2_b64 v[215:218], v202 offset0:42 offset1:43
	s_waitcnt lgkmcnt(11)
	v_fma_f64 v[106:107], -v[122:123], v[219:220], v[106:107]
	v_fma_f64 v[96:97], -v[122:123], v[221:222], v[96:97]
	s_waitcnt lgkmcnt(10)
	v_fma_f64 v[104:105], -v[122:123], v[223:224], v[104:105]
	v_fma_f64 v[94:95], -v[122:123], v[225:226], v[94:95]
	;; [unrolled: 3-line block ×3, first 2 shown]
	s_waitcnt lgkmcnt(8)
	v_fma_f64 v[174:175], -v[122:123], v[200:201], v[174:175]
	s_waitcnt lgkmcnt(7)
	v_fma_f64 v[148:149], -v[122:123], v[184:185], v[148:149]
	v_fma_f64 v[144:145], -v[122:123], v[186:187], v[144:145]
	s_waitcnt lgkmcnt(6)
	v_fma_f64 v[146:147], -v[122:123], v[188:189], v[146:147]
	;; [unrolled: 3-line block ×8, first 2 shown]
	v_fma_f64 v[150:151], -v[122:123], v[217:218], v[150:151]
.LBB89_31:
	s_or_b32 exec_lo, exec_lo, s1
	s_mov_b32 s1, exec_lo
	s_waitcnt_vscnt null, 0x0
	s_barrier
	buffer_gl0_inv
	v_cmpx_eq_u32_e32 6, v0
	s_cbranch_execz .LBB89_34
; %bb.32:
	ds_write_b64 v1, v[136:137]
	ds_write2_b64 v202, v[120:121], v[134:135] offset0:7 offset1:8
	ds_write2_b64 v202, v[118:119], v[132:133] offset0:9 offset1:10
	;; [unrolled: 1-line block ×19, first 2 shown]
	ds_read_b64 v[184:185], v1
	s_waitcnt lgkmcnt(0)
	v_cmp_neq_f64_e32 vcc_lo, 0, v[184:185]
	s_and_b32 exec_lo, exec_lo, vcc_lo
	s_cbranch_execz .LBB89_34
; %bb.33:
	v_div_scale_f64 v[186:187], null, v[184:185], v[184:185], 1.0
	v_rcp_f64_e32 v[188:189], v[186:187]
	v_fma_f64 v[190:191], -v[186:187], v[188:189], 1.0
	v_fma_f64 v[188:189], v[188:189], v[190:191], v[188:189]
	v_fma_f64 v[190:191], -v[186:187], v[188:189], 1.0
	v_fma_f64 v[188:189], v[188:189], v[190:191], v[188:189]
	v_div_scale_f64 v[190:191], vcc_lo, 1.0, v[184:185], 1.0
	v_mul_f64 v[192:193], v[190:191], v[188:189]
	v_fma_f64 v[186:187], -v[186:187], v[192:193], v[190:191]
	v_div_fmas_f64 v[186:187], v[186:187], v[188:189], v[192:193]
	v_div_fixup_f64 v[184:185], v[186:187], v[184:185], 1.0
	ds_write_b64 v1, v[184:185]
.LBB89_34:
	s_or_b32 exec_lo, exec_lo, s1
	s_waitcnt lgkmcnt(0)
	s_barrier
	buffer_gl0_inv
	ds_read_b64 v[184:185], v1
	s_mov_b32 s1, exec_lo
	s_waitcnt lgkmcnt(0)
	buffer_store_dword v184, off, s[12:15], 0 offset:48 ; 4-byte Folded Spill
	buffer_store_dword v185, off, s[12:15], 0 offset:52 ; 4-byte Folded Spill
	v_cmpx_lt_u32_e32 6, v0
	s_cbranch_execz .LBB89_36
; %bb.35:
	s_clause 0x1
	buffer_load_dword v184, off, s[12:15], 0 offset:48
	buffer_load_dword v185, off, s[12:15], 0 offset:52
	s_waitcnt vmcnt(0)
	v_mul_f64 v[136:137], v[184:185], v[136:137]
	ds_read2_b64 v[184:187], v202 offset0:7 offset1:8
	ds_read2_b64 v[188:191], v202 offset0:9 offset1:10
	;; [unrolled: 1-line block ×12, first 2 shown]
	s_waitcnt lgkmcnt(11)
	v_fma_f64 v[120:121], -v[136:137], v[184:185], v[120:121]
	v_fma_f64 v[134:135], -v[136:137], v[186:187], v[134:135]
	s_waitcnt lgkmcnt(10)
	v_fma_f64 v[118:119], -v[136:137], v[188:189], v[118:119]
	v_fma_f64 v[132:133], -v[136:137], v[190:191], v[132:133]
	s_waitcnt lgkmcnt(9)
	v_fma_f64 v[116:117], -v[136:137], v[192:193], v[116:117]
	v_fma_f64 v[130:131], -v[136:137], v[194:195], v[130:131]
	s_waitcnt lgkmcnt(8)
	v_fma_f64 v[114:115], -v[136:137], v[196:197], v[114:115]
	v_fma_f64 v[128:129], -v[136:137], v[198:199], v[128:129]
	s_waitcnt lgkmcnt(7)
	v_fma_f64 v[112:113], -v[136:137], v[203:204], v[112:113]
	v_fma_f64 v[126:127], -v[136:137], v[205:206], v[126:127]
	s_waitcnt lgkmcnt(6)
	v_fma_f64 v[110:111], -v[136:137], v[207:208], v[110:111]
	ds_read2_b64 v[184:187], v202 offset0:31 offset1:32
	ds_read2_b64 v[188:191], v202 offset0:33 offset1:34
	v_fma_f64 v[124:125], -v[136:137], v[209:210], v[124:125]
	s_waitcnt lgkmcnt(7)
	v_fma_f64 v[100:101], -v[136:137], v[211:212], v[100:101]
	ds_read2_b64 v[192:195], v202 offset0:35 offset1:36
	ds_read2_b64 v[196:199], v202 offset0:37 offset1:38
	v_fma_f64 v[108:109], -v[136:137], v[213:214], v[108:109]
	ds_read2_b64 v[203:206], v202 offset0:39 offset1:40
	ds_read2_b64 v[207:210], v202 offset0:41 offset1:42
	;; [unrolled: 1-line block ×3, first 2 shown]
	s_waitcnt lgkmcnt(11)
	v_fma_f64 v[98:99], -v[136:137], v[215:216], v[98:99]
	v_fma_f64 v[106:107], -v[136:137], v[217:218], v[106:107]
	s_waitcnt lgkmcnt(10)
	v_fma_f64 v[96:97], -v[136:137], v[219:220], v[96:97]
	v_fma_f64 v[104:105], -v[136:137], v[221:222], v[104:105]
	;; [unrolled: 3-line block ×12, first 2 shown]
.LBB89_36:
	s_or_b32 exec_lo, exec_lo, s1
	s_mov_b32 s1, exec_lo
	s_waitcnt_vscnt null, 0x0
	s_barrier
	buffer_gl0_inv
	v_cmpx_eq_u32_e32 7, v0
	s_cbranch_execz .LBB89_39
; %bb.37:
	v_mov_b32_e32 v184, v134
	v_mov_b32_e32 v185, v135
	;; [unrolled: 1-line block ×12, first 2 shown]
	ds_write_b64 v1, v[120:121]
	ds_write2_b64 v202, v[184:185], v[186:187] offset0:8 offset1:9
	ds_write2_b64 v202, v[188:189], v[190:191] offset0:10 offset1:11
	ds_write2_b64 v202, v[192:193], v[194:195] offset0:12 offset1:13
	v_mov_b32_e32 v184, v128
	v_mov_b32_e32 v185, v129
	v_mov_b32_e32 v186, v112
	v_mov_b32_e32 v187, v113
	v_mov_b32_e32 v188, v126
	v_mov_b32_e32 v189, v127
	v_mov_b32_e32 v190, v110
	v_mov_b32_e32 v191, v111
	v_mov_b32_e32 v192, v124
	v_mov_b32_e32 v193, v125
	v_mov_b32_e32 v194, v100
	v_mov_b32_e32 v195, v101
	v_mov_b32_e32 v196, v108
	v_mov_b32_e32 v197, v109
	v_mov_b32_e32 v198, v98
	v_mov_b32_e32 v199, v99
	v_mov_b32_e32 v200, v106
	v_mov_b32_e32 v201, v107
	v_mov_b32_e32 v203, v96
	v_mov_b32_e32 v204, v97
	ds_write2_b64 v202, v[184:185], v[186:187] offset0:14 offset1:15
	ds_write2_b64 v202, v[188:189], v[190:191] offset0:16 offset1:17
	ds_write2_b64 v202, v[192:193], v[194:195] offset0:18 offset1:19
	ds_write2_b64 v202, v[196:197], v[198:199] offset0:20 offset1:21
	ds_write2_b64 v202, v[200:201], v[203:204] offset0:22 offset1:23
	v_mov_b32_e32 v184, v104
	v_mov_b32_e32 v185, v105
	v_mov_b32_e32 v186, v94
	v_mov_b32_e32 v187, v95
	v_mov_b32_e32 v188, v102
	v_mov_b32_e32 v189, v103
	v_mov_b32_e32 v190, v92
	v_mov_b32_e32 v191, v93
	v_mov_b32_e32 v192, v148
	v_mov_b32_e32 v193, v149
	v_mov_b32_e32 v194, v144
	v_mov_b32_e32 v195, v145
	v_mov_b32_e32 v196, v146
	v_mov_b32_e32 v197, v147
	v_mov_b32_e32 v198, v142
	v_mov_b32_e32 v199, v143
	v_mov_b32_e32 v200, v172
	v_mov_b32_e32 v201, v173
	v_mov_b32_e32 v203, v160
	v_mov_b32_e32 v204, v161
	ds_write2_b64 v202, v[184:185], v[186:187] offset0:24 offset1:25
	ds_write2_b64 v202, v[188:189], v[190:191] offset0:26 offset1:27
	;; [unrolled: 25-line block ×3, first 2 shown]
	ds_write2_b64 v202, v[192:193], v[194:195] offset0:38 offset1:39
	ds_write2_b64 v202, v[196:197], v[198:199] offset0:40 offset1:41
	;; [unrolled: 1-line block ×3, first 2 shown]
	ds_write_b64 v202, v[174:175] offset:352
	ds_read_b64 v[184:185], v1
	s_waitcnt lgkmcnt(0)
	v_cmp_neq_f64_e32 vcc_lo, 0, v[184:185]
	s_and_b32 exec_lo, exec_lo, vcc_lo
	s_cbranch_execz .LBB89_39
; %bb.38:
	v_div_scale_f64 v[186:187], null, v[184:185], v[184:185], 1.0
	v_rcp_f64_e32 v[188:189], v[186:187]
	v_fma_f64 v[190:191], -v[186:187], v[188:189], 1.0
	v_fma_f64 v[188:189], v[188:189], v[190:191], v[188:189]
	v_fma_f64 v[190:191], -v[186:187], v[188:189], 1.0
	v_fma_f64 v[188:189], v[188:189], v[190:191], v[188:189]
	v_div_scale_f64 v[190:191], vcc_lo, 1.0, v[184:185], 1.0
	v_mul_f64 v[192:193], v[190:191], v[188:189]
	v_fma_f64 v[186:187], -v[186:187], v[192:193], v[190:191]
	v_div_fmas_f64 v[186:187], v[186:187], v[188:189], v[192:193]
	v_div_fixup_f64 v[184:185], v[186:187], v[184:185], 1.0
	ds_write_b64 v1, v[184:185]
.LBB89_39:
	s_or_b32 exec_lo, exec_lo, s1
	s_waitcnt lgkmcnt(0)
	s_barrier
	buffer_gl0_inv
	ds_read_b64 v[184:185], v1
	s_mov_b32 s1, exec_lo
	s_waitcnt lgkmcnt(0)
	buffer_store_dword v184, off, s[12:15], 0 offset:56 ; 4-byte Folded Spill
	buffer_store_dword v185, off, s[12:15], 0 offset:60 ; 4-byte Folded Spill
	v_cmpx_lt_u32_e32 7, v0
	s_cbranch_execz .LBB89_41
; %bb.40:
	s_clause 0x1
	buffer_load_dword v184, off, s[12:15], 0 offset:56
	buffer_load_dword v185, off, s[12:15], 0 offset:60
	s_waitcnt vmcnt(0)
	v_mul_f64 v[120:121], v[184:185], v[120:121]
	ds_read2_b64 v[184:187], v202 offset0:8 offset1:9
	ds_read2_b64 v[188:191], v202 offset0:10 offset1:11
	ds_read2_b64 v[192:195], v202 offset0:12 offset1:13
	ds_read2_b64 v[196:199], v202 offset0:14 offset1:15
	ds_read2_b64 v[203:206], v202 offset0:16 offset1:17
	ds_read2_b64 v[207:210], v202 offset0:18 offset1:19
	ds_read2_b64 v[211:214], v202 offset0:20 offset1:21
	ds_read2_b64 v[215:218], v202 offset0:22 offset1:23
	ds_read2_b64 v[219:222], v202 offset0:24 offset1:25
	ds_read2_b64 v[223:226], v202 offset0:26 offset1:27
	ds_read2_b64 v[227:230], v202 offset0:28 offset1:29
	ds_read2_b64 v[231:234], v202 offset0:30 offset1:31
	ds_read_b64 v[200:201], v202 offset:352
	s_waitcnt lgkmcnt(12)
	v_fma_f64 v[134:135], -v[120:121], v[184:185], v[134:135]
	v_fma_f64 v[118:119], -v[120:121], v[186:187], v[118:119]
	s_waitcnt lgkmcnt(11)
	v_fma_f64 v[132:133], -v[120:121], v[188:189], v[132:133]
	v_fma_f64 v[116:117], -v[120:121], v[190:191], v[116:117]
	;; [unrolled: 3-line block ×5, first 2 shown]
	s_waitcnt lgkmcnt(7)
	v_fma_f64 v[124:125], -v[120:121], v[207:208], v[124:125]
	ds_read2_b64 v[184:187], v202 offset0:32 offset1:33
	ds_read2_b64 v[188:191], v202 offset0:34 offset1:35
	v_fma_f64 v[100:101], -v[120:121], v[209:210], v[100:101]
	ds_read2_b64 v[192:195], v202 offset0:36 offset1:37
	ds_read2_b64 v[196:199], v202 offset0:38 offset1:39
	;; [unrolled: 1-line block ×4, first 2 shown]
	s_waitcnt lgkmcnt(12)
	v_fma_f64 v[108:109], -v[120:121], v[211:212], v[108:109]
	v_fma_f64 v[98:99], -v[120:121], v[213:214], v[98:99]
	s_waitcnt lgkmcnt(11)
	v_fma_f64 v[106:107], -v[120:121], v[215:216], v[106:107]
	v_fma_f64 v[96:97], -v[120:121], v[217:218], v[96:97]
	;; [unrolled: 3-line block ×6, first 2 shown]
	s_waitcnt lgkmcnt(6)
	v_fma_f64 v[174:175], -v[120:121], v[200:201], v[174:175]
	s_waitcnt lgkmcnt(5)
	v_fma_f64 v[172:173], -v[120:121], v[184:185], v[172:173]
	v_fma_f64 v[160:161], -v[120:121], v[186:187], v[160:161]
	s_waitcnt lgkmcnt(4)
	v_fma_f64 v[170:171], -v[120:121], v[188:189], v[170:171]
	;; [unrolled: 3-line block ×6, first 2 shown]
	v_fma_f64 v[150:151], -v[120:121], v[209:210], v[150:151]
.LBB89_41:
	s_or_b32 exec_lo, exec_lo, s1
	s_mov_b32 s1, exec_lo
	s_waitcnt_vscnt null, 0x0
	s_barrier
	buffer_gl0_inv
	v_cmpx_eq_u32_e32 8, v0
	s_cbranch_execz .LBB89_44
; %bb.42:
	ds_write_b64 v1, v[134:135]
	ds_write2_b64 v202, v[118:119], v[132:133] offset0:9 offset1:10
	ds_write2_b64 v202, v[116:117], v[130:131] offset0:11 offset1:12
	;; [unrolled: 1-line block ×18, first 2 shown]
	ds_read_b64 v[184:185], v1
	s_waitcnt lgkmcnt(0)
	v_cmp_neq_f64_e32 vcc_lo, 0, v[184:185]
	s_and_b32 exec_lo, exec_lo, vcc_lo
	s_cbranch_execz .LBB89_44
; %bb.43:
	v_div_scale_f64 v[186:187], null, v[184:185], v[184:185], 1.0
	v_rcp_f64_e32 v[188:189], v[186:187]
	v_fma_f64 v[190:191], -v[186:187], v[188:189], 1.0
	v_fma_f64 v[188:189], v[188:189], v[190:191], v[188:189]
	v_fma_f64 v[190:191], -v[186:187], v[188:189], 1.0
	v_fma_f64 v[188:189], v[188:189], v[190:191], v[188:189]
	v_div_scale_f64 v[190:191], vcc_lo, 1.0, v[184:185], 1.0
	v_mul_f64 v[192:193], v[190:191], v[188:189]
	v_fma_f64 v[186:187], -v[186:187], v[192:193], v[190:191]
	v_div_fmas_f64 v[186:187], v[186:187], v[188:189], v[192:193]
	v_div_fixup_f64 v[184:185], v[186:187], v[184:185], 1.0
	ds_write_b64 v1, v[184:185]
.LBB89_44:
	s_or_b32 exec_lo, exec_lo, s1
	s_waitcnt lgkmcnt(0)
	s_barrier
	buffer_gl0_inv
	ds_read_b64 v[184:185], v1
	s_mov_b32 s1, exec_lo
	s_waitcnt lgkmcnt(0)
	buffer_store_dword v184, off, s[12:15], 0 offset:64 ; 4-byte Folded Spill
	buffer_store_dword v185, off, s[12:15], 0 offset:68 ; 4-byte Folded Spill
	v_cmpx_lt_u32_e32 8, v0
	s_cbranch_execz .LBB89_46
; %bb.45:
	s_clause 0x1
	buffer_load_dword v184, off, s[12:15], 0 offset:64
	buffer_load_dword v185, off, s[12:15], 0 offset:68
	s_waitcnt vmcnt(0)
	v_mul_f64 v[134:135], v[184:185], v[134:135]
	ds_read2_b64 v[184:187], v202 offset0:9 offset1:10
	ds_read2_b64 v[188:191], v202 offset0:11 offset1:12
	;; [unrolled: 1-line block ×12, first 2 shown]
	s_waitcnt lgkmcnt(11)
	v_fma_f64 v[118:119], -v[134:135], v[184:185], v[118:119]
	v_fma_f64 v[132:133], -v[134:135], v[186:187], v[132:133]
	s_waitcnt lgkmcnt(10)
	v_fma_f64 v[116:117], -v[134:135], v[188:189], v[116:117]
	v_fma_f64 v[130:131], -v[134:135], v[190:191], v[130:131]
	;; [unrolled: 3-line block ×5, first 2 shown]
	ds_read2_b64 v[184:187], v202 offset0:33 offset1:34
	ds_read2_b64 v[188:191], v202 offset0:35 offset1:36
	s_waitcnt lgkmcnt(8)
	v_fma_f64 v[100:101], -v[134:135], v[207:208], v[100:101]
	v_fma_f64 v[108:109], -v[134:135], v[209:210], v[108:109]
	ds_read2_b64 v[192:195], v202 offset0:37 offset1:38
	ds_read2_b64 v[196:199], v202 offset0:39 offset1:40
	ds_read2_b64 v[203:206], v202 offset0:41 offset1:42
	ds_read2_b64 v[207:210], v202 offset0:43 offset1:44
	s_waitcnt lgkmcnt(11)
	v_fma_f64 v[98:99], -v[134:135], v[211:212], v[98:99]
	v_fma_f64 v[106:107], -v[134:135], v[213:214], v[106:107]
	s_waitcnt lgkmcnt(10)
	v_fma_f64 v[96:97], -v[134:135], v[215:216], v[96:97]
	v_fma_f64 v[104:105], -v[134:135], v[217:218], v[104:105]
	;; [unrolled: 3-line block ×12, first 2 shown]
.LBB89_46:
	s_or_b32 exec_lo, exec_lo, s1
	s_mov_b32 s1, exec_lo
	s_waitcnt_vscnt null, 0x0
	s_barrier
	buffer_gl0_inv
	v_cmpx_eq_u32_e32 9, v0
	s_cbranch_execz .LBB89_49
; %bb.47:
	v_mov_b32_e32 v184, v132
	v_mov_b32_e32 v185, v133
	;; [unrolled: 1-line block ×8, first 2 shown]
	ds_write_b64 v1, v[118:119]
	ds_write2_b64 v202, v[184:185], v[186:187] offset0:10 offset1:11
	ds_write2_b64 v202, v[188:189], v[190:191] offset0:12 offset1:13
	v_mov_b32_e32 v184, v128
	v_mov_b32_e32 v185, v129
	v_mov_b32_e32 v186, v112
	v_mov_b32_e32 v187, v113
	v_mov_b32_e32 v188, v126
	v_mov_b32_e32 v189, v127
	v_mov_b32_e32 v190, v110
	v_mov_b32_e32 v191, v111
	v_mov_b32_e32 v192, v124
	v_mov_b32_e32 v193, v125
	v_mov_b32_e32 v194, v100
	v_mov_b32_e32 v195, v101
	v_mov_b32_e32 v196, v108
	v_mov_b32_e32 v197, v109
	v_mov_b32_e32 v198, v98
	v_mov_b32_e32 v199, v99
	v_mov_b32_e32 v200, v106
	v_mov_b32_e32 v201, v107
	v_mov_b32_e32 v203, v96
	v_mov_b32_e32 v204, v97
	ds_write2_b64 v202, v[184:185], v[186:187] offset0:14 offset1:15
	ds_write2_b64 v202, v[188:189], v[190:191] offset0:16 offset1:17
	ds_write2_b64 v202, v[192:193], v[194:195] offset0:18 offset1:19
	ds_write2_b64 v202, v[196:197], v[198:199] offset0:20 offset1:21
	ds_write2_b64 v202, v[200:201], v[203:204] offset0:22 offset1:23
	v_mov_b32_e32 v184, v104
	v_mov_b32_e32 v185, v105
	v_mov_b32_e32 v186, v94
	v_mov_b32_e32 v187, v95
	v_mov_b32_e32 v188, v102
	v_mov_b32_e32 v189, v103
	v_mov_b32_e32 v190, v92
	v_mov_b32_e32 v191, v93
	v_mov_b32_e32 v192, v148
	v_mov_b32_e32 v193, v149
	v_mov_b32_e32 v194, v144
	v_mov_b32_e32 v195, v145
	v_mov_b32_e32 v196, v146
	v_mov_b32_e32 v197, v147
	v_mov_b32_e32 v198, v142
	v_mov_b32_e32 v199, v143
	v_mov_b32_e32 v200, v172
	v_mov_b32_e32 v201, v173
	v_mov_b32_e32 v203, v160
	v_mov_b32_e32 v204, v161
	ds_write2_b64 v202, v[184:185], v[186:187] offset0:24 offset1:25
	ds_write2_b64 v202, v[188:189], v[190:191] offset0:26 offset1:27
	ds_write2_b64 v202, v[192:193], v[194:195] offset0:28 offset1:29
	;; [unrolled: 25-line block ×3, first 2 shown]
	ds_write2_b64 v202, v[196:197], v[198:199] offset0:40 offset1:41
	ds_write2_b64 v202, v[200:201], v[203:204] offset0:42 offset1:43
	ds_write_b64 v202, v[174:175] offset:352
	ds_read_b64 v[184:185], v1
	s_waitcnt lgkmcnt(0)
	v_cmp_neq_f64_e32 vcc_lo, 0, v[184:185]
	s_and_b32 exec_lo, exec_lo, vcc_lo
	s_cbranch_execz .LBB89_49
; %bb.48:
	v_div_scale_f64 v[186:187], null, v[184:185], v[184:185], 1.0
	v_rcp_f64_e32 v[188:189], v[186:187]
	v_fma_f64 v[190:191], -v[186:187], v[188:189], 1.0
	v_fma_f64 v[188:189], v[188:189], v[190:191], v[188:189]
	v_fma_f64 v[190:191], -v[186:187], v[188:189], 1.0
	v_fma_f64 v[188:189], v[188:189], v[190:191], v[188:189]
	v_div_scale_f64 v[190:191], vcc_lo, 1.0, v[184:185], 1.0
	v_mul_f64 v[192:193], v[190:191], v[188:189]
	v_fma_f64 v[186:187], -v[186:187], v[192:193], v[190:191]
	v_div_fmas_f64 v[186:187], v[186:187], v[188:189], v[192:193]
	v_div_fixup_f64 v[184:185], v[186:187], v[184:185], 1.0
	ds_write_b64 v1, v[184:185]
.LBB89_49:
	s_or_b32 exec_lo, exec_lo, s1
	s_waitcnt lgkmcnt(0)
	s_barrier
	buffer_gl0_inv
	ds_read_b64 v[208:209], v1
	s_mov_b32 s1, exec_lo
	v_cmpx_lt_u32_e32 9, v0
	s_cbranch_execz .LBB89_51
; %bb.50:
	s_waitcnt lgkmcnt(0)
	v_mul_f64 v[118:119], v[208:209], v[118:119]
	ds_read2_b64 v[184:187], v202 offset0:10 offset1:11
	ds_read2_b64 v[188:191], v202 offset0:12 offset1:13
	;; [unrolled: 1-line block ×5, first 2 shown]
	v_mov_b32_e32 v200, v208
	v_mov_b32_e32 v201, v209
	ds_read2_b64 v[207:210], v202 offset0:20 offset1:21
	ds_read2_b64 v[211:214], v202 offset0:22 offset1:23
	;; [unrolled: 1-line block ×7, first 2 shown]
	s_waitcnt lgkmcnt(6)
	v_fma_f64 v[108:109], -v[118:119], v[207:208], v[108:109]
	v_fma_f64 v[98:99], -v[118:119], v[209:210], v[98:99]
	v_mov_b32_e32 v209, v201
	v_fma_f64 v[132:133], -v[118:119], v[184:185], v[132:133]
	v_fma_f64 v[116:117], -v[118:119], v[186:187], v[116:117]
	;; [unrolled: 1-line block ×10, first 2 shown]
	ds_read2_b64 v[184:187], v202 offset0:34 offset1:35
	ds_read2_b64 v[188:191], v202 offset0:36 offset1:37
	v_mov_b32_e32 v208, v200
	ds_read2_b64 v[192:195], v202 offset0:38 offset1:39
	ds_read2_b64 v[196:199], v202 offset0:40 offset1:41
	;; [unrolled: 1-line block ×3, first 2 shown]
	ds_read_b64 v[200:201], v202 offset:352
	s_waitcnt lgkmcnt(11)
	v_fma_f64 v[106:107], -v[118:119], v[211:212], v[106:107]
	v_fma_f64 v[96:97], -v[118:119], v[213:214], v[96:97]
	s_waitcnt lgkmcnt(10)
	v_fma_f64 v[104:105], -v[118:119], v[215:216], v[104:105]
	v_fma_f64 v[94:95], -v[118:119], v[217:218], v[94:95]
	;; [unrolled: 3-line block ×11, first 2 shown]
	s_waitcnt lgkmcnt(0)
	v_fma_f64 v[174:175], -v[118:119], v[200:201], v[174:175]
.LBB89_51:
	s_or_b32 exec_lo, exec_lo, s1
	s_mov_b32 s1, exec_lo
	s_waitcnt lgkmcnt(0)
	s_barrier
	buffer_gl0_inv
	v_cmpx_eq_u32_e32 10, v0
	s_cbranch_execz .LBB89_54
; %bb.52:
	ds_write_b64 v1, v[132:133]
	ds_write2_b64 v202, v[116:117], v[130:131] offset0:11 offset1:12
	ds_write2_b64 v202, v[114:115], v[128:129] offset0:13 offset1:14
	;; [unrolled: 1-line block ×17, first 2 shown]
	ds_read_b64 v[184:185], v1
	s_waitcnt lgkmcnt(0)
	v_cmp_neq_f64_e32 vcc_lo, 0, v[184:185]
	s_and_b32 exec_lo, exec_lo, vcc_lo
	s_cbranch_execz .LBB89_54
; %bb.53:
	v_div_scale_f64 v[186:187], null, v[184:185], v[184:185], 1.0
	v_rcp_f64_e32 v[188:189], v[186:187]
	v_fma_f64 v[190:191], -v[186:187], v[188:189], 1.0
	v_fma_f64 v[188:189], v[188:189], v[190:191], v[188:189]
	v_fma_f64 v[190:191], -v[186:187], v[188:189], 1.0
	v_fma_f64 v[188:189], v[188:189], v[190:191], v[188:189]
	v_div_scale_f64 v[190:191], vcc_lo, 1.0, v[184:185], 1.0
	v_mul_f64 v[192:193], v[190:191], v[188:189]
	v_fma_f64 v[186:187], -v[186:187], v[192:193], v[190:191]
	v_div_fmas_f64 v[186:187], v[186:187], v[188:189], v[192:193]
	v_div_fixup_f64 v[184:185], v[186:187], v[184:185], 1.0
	ds_write_b64 v1, v[184:185]
.LBB89_54:
	s_or_b32 exec_lo, exec_lo, s1
	s_waitcnt lgkmcnt(0)
	s_barrier
	buffer_gl0_inv
	ds_read_b64 v[210:211], v1
	s_mov_b32 s1, exec_lo
	v_cmpx_lt_u32_e32 10, v0
	s_cbranch_execz .LBB89_56
; %bb.55:
	s_waitcnt lgkmcnt(0)
	v_mul_f64 v[132:133], v[210:211], v[132:133]
	ds_read2_b64 v[184:187], v202 offset0:11 offset1:12
	s_waitcnt lgkmcnt(0)
	v_fma_f64 v[116:117], -v[132:133], v[184:185], v[116:117]
	v_fma_f64 v[130:131], -v[132:133], v[186:187], v[130:131]
	ds_read2_b64 v[184:187], v202 offset0:13 offset1:14
	s_waitcnt lgkmcnt(0)
	v_fma_f64 v[114:115], -v[132:133], v[184:185], v[114:115]
	v_fma_f64 v[128:129], -v[132:133], v[186:187], v[128:129]
	;; [unrolled: 4-line block ×17, first 2 shown]
.LBB89_56:
	s_or_b32 exec_lo, exec_lo, s1
	s_mov_b32 s1, exec_lo
	s_waitcnt lgkmcnt(0)
	s_barrier
	buffer_gl0_inv
	v_cmpx_eq_u32_e32 11, v0
	s_cbranch_execz .LBB89_59
; %bb.57:
	v_mov_b32_e32 v184, v130
	v_mov_b32_e32 v185, v131
	;; [unrolled: 1-line block ×4, first 2 shown]
	ds_write_b64 v1, v[116:117]
	ds_write2_b64 v202, v[184:185], v[186:187] offset0:12 offset1:13
	v_mov_b32_e32 v184, v128
	v_mov_b32_e32 v185, v129
	v_mov_b32_e32 v186, v112
	v_mov_b32_e32 v187, v113
	v_mov_b32_e32 v188, v126
	v_mov_b32_e32 v189, v127
	v_mov_b32_e32 v190, v110
	v_mov_b32_e32 v191, v111
	v_mov_b32_e32 v192, v124
	v_mov_b32_e32 v193, v125
	v_mov_b32_e32 v194, v100
	v_mov_b32_e32 v195, v101
	v_mov_b32_e32 v196, v108
	v_mov_b32_e32 v197, v109
	v_mov_b32_e32 v198, v98
	v_mov_b32_e32 v199, v99
	v_mov_b32_e32 v200, v106
	v_mov_b32_e32 v201, v107
	v_mov_b32_e32 v203, v96
	v_mov_b32_e32 v204, v97
	ds_write2_b64 v202, v[184:185], v[186:187] offset0:14 offset1:15
	ds_write2_b64 v202, v[188:189], v[190:191] offset0:16 offset1:17
	ds_write2_b64 v202, v[192:193], v[194:195] offset0:18 offset1:19
	ds_write2_b64 v202, v[196:197], v[198:199] offset0:20 offset1:21
	ds_write2_b64 v202, v[200:201], v[203:204] offset0:22 offset1:23
	v_mov_b32_e32 v184, v104
	v_mov_b32_e32 v185, v105
	v_mov_b32_e32 v186, v94
	v_mov_b32_e32 v187, v95
	v_mov_b32_e32 v188, v102
	v_mov_b32_e32 v189, v103
	v_mov_b32_e32 v190, v92
	v_mov_b32_e32 v191, v93
	v_mov_b32_e32 v192, v148
	v_mov_b32_e32 v193, v149
	v_mov_b32_e32 v194, v144
	v_mov_b32_e32 v195, v145
	v_mov_b32_e32 v196, v146
	v_mov_b32_e32 v197, v147
	v_mov_b32_e32 v198, v142
	v_mov_b32_e32 v199, v143
	v_mov_b32_e32 v200, v172
	v_mov_b32_e32 v201, v173
	v_mov_b32_e32 v203, v160
	v_mov_b32_e32 v204, v161
	ds_write2_b64 v202, v[184:185], v[186:187] offset0:24 offset1:25
	ds_write2_b64 v202, v[188:189], v[190:191] offset0:26 offset1:27
	ds_write2_b64 v202, v[192:193], v[194:195] offset0:28 offset1:29
	ds_write2_b64 v202, v[196:197], v[198:199] offset0:30 offset1:31
	;; [unrolled: 25-line block ×3, first 2 shown]
	ds_write2_b64 v202, v[200:201], v[203:204] offset0:42 offset1:43
	ds_write_b64 v202, v[174:175] offset:352
	ds_read_b64 v[184:185], v1
	s_waitcnt lgkmcnt(0)
	v_cmp_neq_f64_e32 vcc_lo, 0, v[184:185]
	s_and_b32 exec_lo, exec_lo, vcc_lo
	s_cbranch_execz .LBB89_59
; %bb.58:
	v_div_scale_f64 v[186:187], null, v[184:185], v[184:185], 1.0
	v_rcp_f64_e32 v[188:189], v[186:187]
	v_fma_f64 v[190:191], -v[186:187], v[188:189], 1.0
	v_fma_f64 v[188:189], v[188:189], v[190:191], v[188:189]
	v_fma_f64 v[190:191], -v[186:187], v[188:189], 1.0
	v_fma_f64 v[188:189], v[188:189], v[190:191], v[188:189]
	v_div_scale_f64 v[190:191], vcc_lo, 1.0, v[184:185], 1.0
	v_mul_f64 v[192:193], v[190:191], v[188:189]
	v_fma_f64 v[186:187], -v[186:187], v[192:193], v[190:191]
	v_div_fmas_f64 v[186:187], v[186:187], v[188:189], v[192:193]
	v_div_fixup_f64 v[184:185], v[186:187], v[184:185], 1.0
	ds_write_b64 v1, v[184:185]
.LBB89_59:
	s_or_b32 exec_lo, exec_lo, s1
	s_waitcnt lgkmcnt(0)
	s_barrier
	buffer_gl0_inv
	ds_read_b64 v[212:213], v1
	s_mov_b32 s1, exec_lo
	v_cmpx_lt_u32_e32 11, v0
	s_cbranch_execz .LBB89_61
; %bb.60:
	s_waitcnt lgkmcnt(0)
	v_mul_f64 v[116:117], v[212:213], v[116:117]
	ds_read2_b64 v[184:187], v202 offset0:12 offset1:13
	s_waitcnt lgkmcnt(0)
	v_fma_f64 v[130:131], -v[116:117], v[184:185], v[130:131]
	v_fma_f64 v[114:115], -v[116:117], v[186:187], v[114:115]
	ds_read2_b64 v[184:187], v202 offset0:14 offset1:15
	s_waitcnt lgkmcnt(0)
	v_fma_f64 v[128:129], -v[116:117], v[184:185], v[128:129]
	v_fma_f64 v[112:113], -v[116:117], v[186:187], v[112:113]
	ds_read2_b64 v[184:187], v202 offset0:16 offset1:17
	s_waitcnt lgkmcnt(0)
	v_fma_f64 v[126:127], -v[116:117], v[184:185], v[126:127]
	v_fma_f64 v[110:111], -v[116:117], v[186:187], v[110:111]
	ds_read2_b64 v[184:187], v202 offset0:18 offset1:19
	s_waitcnt lgkmcnt(0)
	v_fma_f64 v[124:125], -v[116:117], v[184:185], v[124:125]
	v_fma_f64 v[100:101], -v[116:117], v[186:187], v[100:101]
	ds_read2_b64 v[184:187], v202 offset0:20 offset1:21
	s_waitcnt lgkmcnt(0)
	v_fma_f64 v[108:109], -v[116:117], v[184:185], v[108:109]
	v_fma_f64 v[98:99], -v[116:117], v[186:187], v[98:99]
	ds_read2_b64 v[184:187], v202 offset0:22 offset1:23
	s_waitcnt lgkmcnt(0)
	v_fma_f64 v[106:107], -v[116:117], v[184:185], v[106:107]
	v_fma_f64 v[96:97], -v[116:117], v[186:187], v[96:97]
	ds_read2_b64 v[184:187], v202 offset0:24 offset1:25
	s_waitcnt lgkmcnt(0)
	v_fma_f64 v[104:105], -v[116:117], v[184:185], v[104:105]
	v_fma_f64 v[94:95], -v[116:117], v[186:187], v[94:95]
	ds_read2_b64 v[184:187], v202 offset0:26 offset1:27
	s_waitcnt lgkmcnt(0)
	v_fma_f64 v[102:103], -v[116:117], v[184:185], v[102:103]
	v_fma_f64 v[92:93], -v[116:117], v[186:187], v[92:93]
	ds_read2_b64 v[184:187], v202 offset0:28 offset1:29
	s_waitcnt lgkmcnt(0)
	v_fma_f64 v[148:149], -v[116:117], v[184:185], v[148:149]
	v_fma_f64 v[144:145], -v[116:117], v[186:187], v[144:145]
	ds_read2_b64 v[184:187], v202 offset0:30 offset1:31
	s_waitcnt lgkmcnt(0)
	v_fma_f64 v[146:147], -v[116:117], v[184:185], v[146:147]
	v_fma_f64 v[142:143], -v[116:117], v[186:187], v[142:143]
	ds_read2_b64 v[184:187], v202 offset0:32 offset1:33
	s_waitcnt lgkmcnt(0)
	v_fma_f64 v[172:173], -v[116:117], v[184:185], v[172:173]
	v_fma_f64 v[160:161], -v[116:117], v[186:187], v[160:161]
	ds_read2_b64 v[184:187], v202 offset0:34 offset1:35
	s_waitcnt lgkmcnt(0)
	v_fma_f64 v[170:171], -v[116:117], v[184:185], v[170:171]
	v_fma_f64 v[158:159], -v[116:117], v[186:187], v[158:159]
	ds_read2_b64 v[184:187], v202 offset0:36 offset1:37
	s_waitcnt lgkmcnt(0)
	v_fma_f64 v[168:169], -v[116:117], v[184:185], v[168:169]
	v_fma_f64 v[156:157], -v[116:117], v[186:187], v[156:157]
	ds_read2_b64 v[184:187], v202 offset0:38 offset1:39
	s_waitcnt lgkmcnt(0)
	v_fma_f64 v[166:167], -v[116:117], v[184:185], v[166:167]
	v_fma_f64 v[154:155], -v[116:117], v[186:187], v[154:155]
	ds_read2_b64 v[184:187], v202 offset0:40 offset1:41
	s_waitcnt lgkmcnt(0)
	v_fma_f64 v[164:165], -v[116:117], v[184:185], v[164:165]
	v_fma_f64 v[152:153], -v[116:117], v[186:187], v[152:153]
	ds_read2_b64 v[184:187], v202 offset0:42 offset1:43
	s_waitcnt lgkmcnt(0)
	v_fma_f64 v[162:163], -v[116:117], v[184:185], v[162:163]
	ds_read_b64 v[184:185], v202 offset:352
	v_fma_f64 v[150:151], -v[116:117], v[186:187], v[150:151]
	s_waitcnt lgkmcnt(0)
	v_fma_f64 v[174:175], -v[116:117], v[184:185], v[174:175]
.LBB89_61:
	s_or_b32 exec_lo, exec_lo, s1
	s_mov_b32 s1, exec_lo
	s_waitcnt lgkmcnt(0)
	s_barrier
	buffer_gl0_inv
	v_cmpx_eq_u32_e32 12, v0
	s_cbranch_execz .LBB89_64
; %bb.62:
	ds_write_b64 v1, v[130:131]
	ds_write2_b64 v202, v[114:115], v[128:129] offset0:13 offset1:14
	ds_write2_b64 v202, v[112:113], v[126:127] offset0:15 offset1:16
	;; [unrolled: 1-line block ×16, first 2 shown]
	ds_read_b64 v[184:185], v1
	s_waitcnt lgkmcnt(0)
	v_cmp_neq_f64_e32 vcc_lo, 0, v[184:185]
	s_and_b32 exec_lo, exec_lo, vcc_lo
	s_cbranch_execz .LBB89_64
; %bb.63:
	v_div_scale_f64 v[186:187], null, v[184:185], v[184:185], 1.0
	v_rcp_f64_e32 v[188:189], v[186:187]
	v_fma_f64 v[190:191], -v[186:187], v[188:189], 1.0
	v_fma_f64 v[188:189], v[188:189], v[190:191], v[188:189]
	v_fma_f64 v[190:191], -v[186:187], v[188:189], 1.0
	v_fma_f64 v[188:189], v[188:189], v[190:191], v[188:189]
	v_div_scale_f64 v[190:191], vcc_lo, 1.0, v[184:185], 1.0
	v_mul_f64 v[192:193], v[190:191], v[188:189]
	v_fma_f64 v[186:187], -v[186:187], v[192:193], v[190:191]
	v_div_fmas_f64 v[186:187], v[186:187], v[188:189], v[192:193]
	v_div_fixup_f64 v[184:185], v[186:187], v[184:185], 1.0
	ds_write_b64 v1, v[184:185]
.LBB89_64:
	s_or_b32 exec_lo, exec_lo, s1
	s_waitcnt lgkmcnt(0)
	s_barrier
	buffer_gl0_inv
	ds_read_b64 v[214:215], v1
	s_mov_b32 s1, exec_lo
	v_cmpx_lt_u32_e32 12, v0
	s_cbranch_execz .LBB89_66
; %bb.65:
	s_waitcnt lgkmcnt(0)
	v_mul_f64 v[130:131], v[214:215], v[130:131]
	ds_read2_b64 v[184:187], v202 offset0:13 offset1:14
	s_waitcnt lgkmcnt(0)
	v_fma_f64 v[114:115], -v[130:131], v[184:185], v[114:115]
	v_fma_f64 v[128:129], -v[130:131], v[186:187], v[128:129]
	ds_read2_b64 v[184:187], v202 offset0:15 offset1:16
	s_waitcnt lgkmcnt(0)
	v_fma_f64 v[112:113], -v[130:131], v[184:185], v[112:113]
	v_fma_f64 v[126:127], -v[130:131], v[186:187], v[126:127]
	;; [unrolled: 4-line block ×16, first 2 shown]
.LBB89_66:
	s_or_b32 exec_lo, exec_lo, s1
	s_mov_b32 s1, exec_lo
	s_waitcnt lgkmcnt(0)
	s_barrier
	buffer_gl0_inv
	v_cmpx_eq_u32_e32 13, v0
	s_cbranch_execz .LBB89_69
; %bb.67:
	v_mov_b32_e32 v184, v128
	v_mov_b32_e32 v185, v129
	;; [unrolled: 1-line block ×20, first 2 shown]
	ds_write_b64 v1, v[114:115]
	ds_write2_b64 v202, v[184:185], v[186:187] offset0:14 offset1:15
	ds_write2_b64 v202, v[188:189], v[190:191] offset0:16 offset1:17
	;; [unrolled: 1-line block ×5, first 2 shown]
	v_mov_b32_e32 v184, v104
	v_mov_b32_e32 v185, v105
	;; [unrolled: 1-line block ×20, first 2 shown]
	ds_write2_b64 v202, v[184:185], v[186:187] offset0:24 offset1:25
	ds_write2_b64 v202, v[188:189], v[190:191] offset0:26 offset1:27
	;; [unrolled: 1-line block ×5, first 2 shown]
	v_mov_b32_e32 v184, v170
	v_mov_b32_e32 v185, v171
	;; [unrolled: 1-line block ×20, first 2 shown]
	ds_write2_b64 v202, v[184:185], v[186:187] offset0:34 offset1:35
	ds_write2_b64 v202, v[188:189], v[190:191] offset0:36 offset1:37
	;; [unrolled: 1-line block ×5, first 2 shown]
	ds_write_b64 v202, v[174:175] offset:352
	ds_read_b64 v[184:185], v1
	s_waitcnt lgkmcnt(0)
	v_cmp_neq_f64_e32 vcc_lo, 0, v[184:185]
	s_and_b32 exec_lo, exec_lo, vcc_lo
	s_cbranch_execz .LBB89_69
; %bb.68:
	v_div_scale_f64 v[186:187], null, v[184:185], v[184:185], 1.0
	v_rcp_f64_e32 v[188:189], v[186:187]
	v_fma_f64 v[190:191], -v[186:187], v[188:189], 1.0
	v_fma_f64 v[188:189], v[188:189], v[190:191], v[188:189]
	v_fma_f64 v[190:191], -v[186:187], v[188:189], 1.0
	v_fma_f64 v[188:189], v[188:189], v[190:191], v[188:189]
	v_div_scale_f64 v[190:191], vcc_lo, 1.0, v[184:185], 1.0
	v_mul_f64 v[192:193], v[190:191], v[188:189]
	v_fma_f64 v[186:187], -v[186:187], v[192:193], v[190:191]
	v_div_fmas_f64 v[186:187], v[186:187], v[188:189], v[192:193]
	v_div_fixup_f64 v[184:185], v[186:187], v[184:185], 1.0
	ds_write_b64 v1, v[184:185]
.LBB89_69:
	s_or_b32 exec_lo, exec_lo, s1
	s_waitcnt lgkmcnt(0)
	s_barrier
	buffer_gl0_inv
	ds_read_b64 v[216:217], v1
	s_mov_b32 s1, exec_lo
	v_cmpx_lt_u32_e32 13, v0
	s_cbranch_execz .LBB89_71
; %bb.70:
	s_waitcnt lgkmcnt(0)
	v_mul_f64 v[114:115], v[216:217], v[114:115]
	ds_read2_b64 v[184:187], v202 offset0:14 offset1:15
	s_waitcnt lgkmcnt(0)
	v_fma_f64 v[128:129], -v[114:115], v[184:185], v[128:129]
	v_fma_f64 v[112:113], -v[114:115], v[186:187], v[112:113]
	ds_read2_b64 v[184:187], v202 offset0:16 offset1:17
	s_waitcnt lgkmcnt(0)
	v_fma_f64 v[126:127], -v[114:115], v[184:185], v[126:127]
	v_fma_f64 v[110:111], -v[114:115], v[186:187], v[110:111]
	;; [unrolled: 4-line block ×14, first 2 shown]
	ds_read2_b64 v[184:187], v202 offset0:42 offset1:43
	s_waitcnt lgkmcnt(0)
	v_fma_f64 v[162:163], -v[114:115], v[184:185], v[162:163]
	ds_read_b64 v[184:185], v202 offset:352
	v_fma_f64 v[150:151], -v[114:115], v[186:187], v[150:151]
	s_waitcnt lgkmcnt(0)
	v_fma_f64 v[174:175], -v[114:115], v[184:185], v[174:175]
.LBB89_71:
	s_or_b32 exec_lo, exec_lo, s1
	s_mov_b32 s1, exec_lo
	s_waitcnt lgkmcnt(0)
	s_barrier
	buffer_gl0_inv
	v_cmpx_eq_u32_e32 14, v0
	s_cbranch_execz .LBB89_74
; %bb.72:
	ds_write_b64 v1, v[128:129]
	ds_write2_b64 v202, v[112:113], v[126:127] offset0:15 offset1:16
	ds_write2_b64 v202, v[110:111], v[124:125] offset0:17 offset1:18
	;; [unrolled: 1-line block ×15, first 2 shown]
	ds_read_b64 v[184:185], v1
	s_waitcnt lgkmcnt(0)
	v_cmp_neq_f64_e32 vcc_lo, 0, v[184:185]
	s_and_b32 exec_lo, exec_lo, vcc_lo
	s_cbranch_execz .LBB89_74
; %bb.73:
	v_div_scale_f64 v[186:187], null, v[184:185], v[184:185], 1.0
	v_rcp_f64_e32 v[188:189], v[186:187]
	v_fma_f64 v[190:191], -v[186:187], v[188:189], 1.0
	v_fma_f64 v[188:189], v[188:189], v[190:191], v[188:189]
	v_fma_f64 v[190:191], -v[186:187], v[188:189], 1.0
	v_fma_f64 v[188:189], v[188:189], v[190:191], v[188:189]
	v_div_scale_f64 v[190:191], vcc_lo, 1.0, v[184:185], 1.0
	v_mul_f64 v[192:193], v[190:191], v[188:189]
	v_fma_f64 v[186:187], -v[186:187], v[192:193], v[190:191]
	v_div_fmas_f64 v[186:187], v[186:187], v[188:189], v[192:193]
	v_div_fixup_f64 v[184:185], v[186:187], v[184:185], 1.0
	ds_write_b64 v1, v[184:185]
.LBB89_74:
	s_or_b32 exec_lo, exec_lo, s1
	s_waitcnt lgkmcnt(0)
	s_barrier
	buffer_gl0_inv
	ds_read_b64 v[218:219], v1
	s_mov_b32 s1, exec_lo
	v_cmpx_lt_u32_e32 14, v0
	s_cbranch_execz .LBB89_76
; %bb.75:
	s_waitcnt lgkmcnt(0)
	v_mul_f64 v[128:129], v[218:219], v[128:129]
	ds_read2_b64 v[184:187], v202 offset0:15 offset1:16
	s_waitcnt lgkmcnt(0)
	v_fma_f64 v[112:113], -v[128:129], v[184:185], v[112:113]
	v_fma_f64 v[126:127], -v[128:129], v[186:187], v[126:127]
	ds_read2_b64 v[184:187], v202 offset0:17 offset1:18
	s_waitcnt lgkmcnt(0)
	v_fma_f64 v[110:111], -v[128:129], v[184:185], v[110:111]
	v_fma_f64 v[124:125], -v[128:129], v[186:187], v[124:125]
	;; [unrolled: 4-line block ×15, first 2 shown]
.LBB89_76:
	s_or_b32 exec_lo, exec_lo, s1
	s_mov_b32 s1, exec_lo
	s_waitcnt lgkmcnt(0)
	s_barrier
	buffer_gl0_inv
	v_cmpx_eq_u32_e32 15, v0
	s_cbranch_execz .LBB89_79
; %bb.77:
	v_mov_b32_e32 v184, v126
	v_mov_b32_e32 v185, v127
	;; [unrolled: 1-line block ×16, first 2 shown]
	ds_write_b64 v1, v[112:113]
	ds_write2_b64 v202, v[184:185], v[186:187] offset0:16 offset1:17
	ds_write2_b64 v202, v[188:189], v[190:191] offset0:18 offset1:19
	;; [unrolled: 1-line block ×4, first 2 shown]
	v_mov_b32_e32 v184, v104
	v_mov_b32_e32 v185, v105
	;; [unrolled: 1-line block ×20, first 2 shown]
	ds_write2_b64 v202, v[184:185], v[186:187] offset0:24 offset1:25
	ds_write2_b64 v202, v[188:189], v[190:191] offset0:26 offset1:27
	;; [unrolled: 1-line block ×5, first 2 shown]
	v_mov_b32_e32 v184, v170
	v_mov_b32_e32 v185, v171
	;; [unrolled: 1-line block ×20, first 2 shown]
	ds_write2_b64 v202, v[184:185], v[186:187] offset0:34 offset1:35
	ds_write2_b64 v202, v[188:189], v[190:191] offset0:36 offset1:37
	;; [unrolled: 1-line block ×5, first 2 shown]
	ds_write_b64 v202, v[174:175] offset:352
	ds_read_b64 v[184:185], v1
	s_waitcnt lgkmcnt(0)
	v_cmp_neq_f64_e32 vcc_lo, 0, v[184:185]
	s_and_b32 exec_lo, exec_lo, vcc_lo
	s_cbranch_execz .LBB89_79
; %bb.78:
	v_div_scale_f64 v[186:187], null, v[184:185], v[184:185], 1.0
	v_rcp_f64_e32 v[188:189], v[186:187]
	v_fma_f64 v[190:191], -v[186:187], v[188:189], 1.0
	v_fma_f64 v[188:189], v[188:189], v[190:191], v[188:189]
	v_fma_f64 v[190:191], -v[186:187], v[188:189], 1.0
	v_fma_f64 v[188:189], v[188:189], v[190:191], v[188:189]
	v_div_scale_f64 v[190:191], vcc_lo, 1.0, v[184:185], 1.0
	v_mul_f64 v[192:193], v[190:191], v[188:189]
	v_fma_f64 v[186:187], -v[186:187], v[192:193], v[190:191]
	v_div_fmas_f64 v[186:187], v[186:187], v[188:189], v[192:193]
	v_div_fixup_f64 v[184:185], v[186:187], v[184:185], 1.0
	ds_write_b64 v1, v[184:185]
.LBB89_79:
	s_or_b32 exec_lo, exec_lo, s1
	s_waitcnt lgkmcnt(0)
	s_barrier
	buffer_gl0_inv
	ds_read_b64 v[220:221], v1
	s_mov_b32 s1, exec_lo
	v_cmpx_lt_u32_e32 15, v0
	s_cbranch_execz .LBB89_81
; %bb.80:
	s_waitcnt lgkmcnt(0)
	v_mul_f64 v[112:113], v[220:221], v[112:113]
	ds_read2_b64 v[184:187], v202 offset0:16 offset1:17
	s_waitcnt lgkmcnt(0)
	v_fma_f64 v[126:127], -v[112:113], v[184:185], v[126:127]
	v_fma_f64 v[110:111], -v[112:113], v[186:187], v[110:111]
	ds_read2_b64 v[184:187], v202 offset0:18 offset1:19
	s_waitcnt lgkmcnt(0)
	v_fma_f64 v[124:125], -v[112:113], v[184:185], v[124:125]
	v_fma_f64 v[100:101], -v[112:113], v[186:187], v[100:101]
	;; [unrolled: 4-line block ×13, first 2 shown]
	ds_read2_b64 v[184:187], v202 offset0:42 offset1:43
	s_waitcnt lgkmcnt(0)
	v_fma_f64 v[162:163], -v[112:113], v[184:185], v[162:163]
	ds_read_b64 v[184:185], v202 offset:352
	v_fma_f64 v[150:151], -v[112:113], v[186:187], v[150:151]
	s_waitcnt lgkmcnt(0)
	v_fma_f64 v[174:175], -v[112:113], v[184:185], v[174:175]
.LBB89_81:
	s_or_b32 exec_lo, exec_lo, s1
	s_mov_b32 s1, exec_lo
	s_waitcnt lgkmcnt(0)
	s_barrier
	buffer_gl0_inv
	v_cmpx_eq_u32_e32 16, v0
	s_cbranch_execz .LBB89_84
; %bb.82:
	ds_write_b64 v1, v[126:127]
	ds_write2_b64 v202, v[110:111], v[124:125] offset0:17 offset1:18
	ds_write2_b64 v202, v[100:101], v[108:109] offset0:19 offset1:20
	;; [unrolled: 1-line block ×14, first 2 shown]
	ds_read_b64 v[184:185], v1
	s_waitcnt lgkmcnt(0)
	v_cmp_neq_f64_e32 vcc_lo, 0, v[184:185]
	s_and_b32 exec_lo, exec_lo, vcc_lo
	s_cbranch_execz .LBB89_84
; %bb.83:
	v_div_scale_f64 v[186:187], null, v[184:185], v[184:185], 1.0
	v_rcp_f64_e32 v[188:189], v[186:187]
	v_fma_f64 v[190:191], -v[186:187], v[188:189], 1.0
	v_fma_f64 v[188:189], v[188:189], v[190:191], v[188:189]
	v_fma_f64 v[190:191], -v[186:187], v[188:189], 1.0
	v_fma_f64 v[188:189], v[188:189], v[190:191], v[188:189]
	v_div_scale_f64 v[190:191], vcc_lo, 1.0, v[184:185], 1.0
	v_mul_f64 v[192:193], v[190:191], v[188:189]
	v_fma_f64 v[186:187], -v[186:187], v[192:193], v[190:191]
	v_div_fmas_f64 v[186:187], v[186:187], v[188:189], v[192:193]
	v_div_fixup_f64 v[184:185], v[186:187], v[184:185], 1.0
	ds_write_b64 v1, v[184:185]
.LBB89_84:
	s_or_b32 exec_lo, exec_lo, s1
	s_waitcnt lgkmcnt(0)
	s_barrier
	buffer_gl0_inv
	ds_read_b64 v[222:223], v1
	s_mov_b32 s1, exec_lo
	v_cmpx_lt_u32_e32 16, v0
	s_cbranch_execz .LBB89_86
; %bb.85:
	s_waitcnt lgkmcnt(0)
	v_mul_f64 v[126:127], v[222:223], v[126:127]
	ds_read2_b64 v[184:187], v202 offset0:17 offset1:18
	s_waitcnt lgkmcnt(0)
	v_fma_f64 v[110:111], -v[126:127], v[184:185], v[110:111]
	v_fma_f64 v[124:125], -v[126:127], v[186:187], v[124:125]
	ds_read2_b64 v[184:187], v202 offset0:19 offset1:20
	s_waitcnt lgkmcnt(0)
	v_fma_f64 v[100:101], -v[126:127], v[184:185], v[100:101]
	v_fma_f64 v[108:109], -v[126:127], v[186:187], v[108:109]
	;; [unrolled: 4-line block ×14, first 2 shown]
.LBB89_86:
	s_or_b32 exec_lo, exec_lo, s1
	s_mov_b32 s1, exec_lo
	s_waitcnt lgkmcnt(0)
	s_barrier
	buffer_gl0_inv
	v_cmpx_eq_u32_e32 17, v0
	s_cbranch_execz .LBB89_89
; %bb.87:
	v_mov_b32_e32 v184, v124
	v_mov_b32_e32 v185, v125
	;; [unrolled: 1-line block ×12, first 2 shown]
	ds_write_b64 v1, v[110:111]
	ds_write2_b64 v202, v[184:185], v[186:187] offset0:18 offset1:19
	ds_write2_b64 v202, v[188:189], v[190:191] offset0:20 offset1:21
	;; [unrolled: 1-line block ×3, first 2 shown]
	v_mov_b32_e32 v184, v104
	v_mov_b32_e32 v185, v105
	;; [unrolled: 1-line block ×20, first 2 shown]
	ds_write2_b64 v202, v[184:185], v[186:187] offset0:24 offset1:25
	ds_write2_b64 v202, v[188:189], v[190:191] offset0:26 offset1:27
	;; [unrolled: 1-line block ×5, first 2 shown]
	v_mov_b32_e32 v184, v170
	v_mov_b32_e32 v185, v171
	;; [unrolled: 1-line block ×20, first 2 shown]
	ds_write2_b64 v202, v[184:185], v[186:187] offset0:34 offset1:35
	ds_write2_b64 v202, v[188:189], v[190:191] offset0:36 offset1:37
	;; [unrolled: 1-line block ×5, first 2 shown]
	ds_write_b64 v202, v[174:175] offset:352
	ds_read_b64 v[184:185], v1
	s_waitcnt lgkmcnt(0)
	v_cmp_neq_f64_e32 vcc_lo, 0, v[184:185]
	s_and_b32 exec_lo, exec_lo, vcc_lo
	s_cbranch_execz .LBB89_89
; %bb.88:
	v_div_scale_f64 v[186:187], null, v[184:185], v[184:185], 1.0
	v_rcp_f64_e32 v[188:189], v[186:187]
	v_fma_f64 v[190:191], -v[186:187], v[188:189], 1.0
	v_fma_f64 v[188:189], v[188:189], v[190:191], v[188:189]
	v_fma_f64 v[190:191], -v[186:187], v[188:189], 1.0
	v_fma_f64 v[188:189], v[188:189], v[190:191], v[188:189]
	v_div_scale_f64 v[190:191], vcc_lo, 1.0, v[184:185], 1.0
	v_mul_f64 v[192:193], v[190:191], v[188:189]
	v_fma_f64 v[186:187], -v[186:187], v[192:193], v[190:191]
	v_div_fmas_f64 v[186:187], v[186:187], v[188:189], v[192:193]
	v_div_fixup_f64 v[184:185], v[186:187], v[184:185], 1.0
	ds_write_b64 v1, v[184:185]
.LBB89_89:
	s_or_b32 exec_lo, exec_lo, s1
	s_waitcnt lgkmcnt(0)
	s_barrier
	buffer_gl0_inv
	ds_read_b64 v[224:225], v1
	s_mov_b32 s1, exec_lo
	v_cmpx_lt_u32_e32 17, v0
	s_cbranch_execz .LBB89_91
; %bb.90:
	s_waitcnt lgkmcnt(0)
	v_mul_f64 v[110:111], v[224:225], v[110:111]
	ds_read2_b64 v[184:187], v202 offset0:18 offset1:19
	s_waitcnt lgkmcnt(0)
	v_fma_f64 v[124:125], -v[110:111], v[184:185], v[124:125]
	v_fma_f64 v[100:101], -v[110:111], v[186:187], v[100:101]
	ds_read2_b64 v[184:187], v202 offset0:20 offset1:21
	s_waitcnt lgkmcnt(0)
	v_fma_f64 v[108:109], -v[110:111], v[184:185], v[108:109]
	v_fma_f64 v[98:99], -v[110:111], v[186:187], v[98:99]
	;; [unrolled: 4-line block ×12, first 2 shown]
	ds_read2_b64 v[184:187], v202 offset0:42 offset1:43
	s_waitcnt lgkmcnt(0)
	v_fma_f64 v[162:163], -v[110:111], v[184:185], v[162:163]
	ds_read_b64 v[184:185], v202 offset:352
	v_fma_f64 v[150:151], -v[110:111], v[186:187], v[150:151]
	s_waitcnt lgkmcnt(0)
	v_fma_f64 v[174:175], -v[110:111], v[184:185], v[174:175]
.LBB89_91:
	s_or_b32 exec_lo, exec_lo, s1
	s_mov_b32 s1, exec_lo
	s_waitcnt lgkmcnt(0)
	s_barrier
	buffer_gl0_inv
	v_cmpx_eq_u32_e32 18, v0
	s_cbranch_execz .LBB89_94
; %bb.92:
	ds_write_b64 v1, v[124:125]
	ds_write2_b64 v202, v[100:101], v[108:109] offset0:19 offset1:20
	ds_write2_b64 v202, v[98:99], v[106:107] offset0:21 offset1:22
	;; [unrolled: 1-line block ×13, first 2 shown]
	ds_read_b64 v[184:185], v1
	s_waitcnt lgkmcnt(0)
	v_cmp_neq_f64_e32 vcc_lo, 0, v[184:185]
	s_and_b32 exec_lo, exec_lo, vcc_lo
	s_cbranch_execz .LBB89_94
; %bb.93:
	v_div_scale_f64 v[186:187], null, v[184:185], v[184:185], 1.0
	v_rcp_f64_e32 v[188:189], v[186:187]
	v_fma_f64 v[190:191], -v[186:187], v[188:189], 1.0
	v_fma_f64 v[188:189], v[188:189], v[190:191], v[188:189]
	v_fma_f64 v[190:191], -v[186:187], v[188:189], 1.0
	v_fma_f64 v[188:189], v[188:189], v[190:191], v[188:189]
	v_div_scale_f64 v[190:191], vcc_lo, 1.0, v[184:185], 1.0
	v_mul_f64 v[192:193], v[190:191], v[188:189]
	v_fma_f64 v[186:187], -v[186:187], v[192:193], v[190:191]
	v_div_fmas_f64 v[186:187], v[186:187], v[188:189], v[192:193]
	v_div_fixup_f64 v[184:185], v[186:187], v[184:185], 1.0
	ds_write_b64 v1, v[184:185]
.LBB89_94:
	s_or_b32 exec_lo, exec_lo, s1
	s_waitcnt lgkmcnt(0)
	s_barrier
	buffer_gl0_inv
	ds_read_b64 v[226:227], v1
	s_mov_b32 s1, exec_lo
	v_cmpx_lt_u32_e32 18, v0
	s_cbranch_execz .LBB89_96
; %bb.95:
	s_waitcnt lgkmcnt(0)
	v_mul_f64 v[124:125], v[226:227], v[124:125]
	ds_read2_b64 v[184:187], v202 offset0:19 offset1:20
	s_waitcnt lgkmcnt(0)
	v_fma_f64 v[100:101], -v[124:125], v[184:185], v[100:101]
	v_fma_f64 v[108:109], -v[124:125], v[186:187], v[108:109]
	ds_read2_b64 v[184:187], v202 offset0:21 offset1:22
	s_waitcnt lgkmcnt(0)
	v_fma_f64 v[98:99], -v[124:125], v[184:185], v[98:99]
	v_fma_f64 v[106:107], -v[124:125], v[186:187], v[106:107]
	;; [unrolled: 4-line block ×13, first 2 shown]
.LBB89_96:
	s_or_b32 exec_lo, exec_lo, s1
	s_mov_b32 s1, exec_lo
	s_waitcnt lgkmcnt(0)
	s_barrier
	buffer_gl0_inv
	v_cmpx_eq_u32_e32 19, v0
	s_cbranch_execz .LBB89_99
; %bb.97:
	v_mov_b32_e32 v184, v108
	v_mov_b32_e32 v185, v109
	;; [unrolled: 1-line block ×8, first 2 shown]
	ds_write_b64 v1, v[100:101]
	ds_write2_b64 v202, v[184:185], v[186:187] offset0:20 offset1:21
	ds_write2_b64 v202, v[188:189], v[190:191] offset0:22 offset1:23
	v_mov_b32_e32 v184, v104
	v_mov_b32_e32 v185, v105
	;; [unrolled: 1-line block ×20, first 2 shown]
	ds_write2_b64 v202, v[184:185], v[186:187] offset0:24 offset1:25
	ds_write2_b64 v202, v[188:189], v[190:191] offset0:26 offset1:27
	;; [unrolled: 1-line block ×5, first 2 shown]
	v_mov_b32_e32 v184, v170
	v_mov_b32_e32 v185, v171
	;; [unrolled: 1-line block ×20, first 2 shown]
	ds_write2_b64 v202, v[184:185], v[186:187] offset0:34 offset1:35
	ds_write2_b64 v202, v[188:189], v[190:191] offset0:36 offset1:37
	;; [unrolled: 1-line block ×5, first 2 shown]
	ds_write_b64 v202, v[174:175] offset:352
	ds_read_b64 v[184:185], v1
	s_waitcnt lgkmcnt(0)
	v_cmp_neq_f64_e32 vcc_lo, 0, v[184:185]
	s_and_b32 exec_lo, exec_lo, vcc_lo
	s_cbranch_execz .LBB89_99
; %bb.98:
	v_div_scale_f64 v[186:187], null, v[184:185], v[184:185], 1.0
	v_rcp_f64_e32 v[188:189], v[186:187]
	v_fma_f64 v[190:191], -v[186:187], v[188:189], 1.0
	v_fma_f64 v[188:189], v[188:189], v[190:191], v[188:189]
	v_fma_f64 v[190:191], -v[186:187], v[188:189], 1.0
	v_fma_f64 v[188:189], v[188:189], v[190:191], v[188:189]
	v_div_scale_f64 v[190:191], vcc_lo, 1.0, v[184:185], 1.0
	v_mul_f64 v[192:193], v[190:191], v[188:189]
	v_fma_f64 v[186:187], -v[186:187], v[192:193], v[190:191]
	v_div_fmas_f64 v[186:187], v[186:187], v[188:189], v[192:193]
	v_div_fixup_f64 v[184:185], v[186:187], v[184:185], 1.0
	ds_write_b64 v1, v[184:185]
.LBB89_99:
	s_or_b32 exec_lo, exec_lo, s1
	s_waitcnt lgkmcnt(0)
	s_barrier
	buffer_gl0_inv
	ds_read_b64 v[228:229], v1
	s_mov_b32 s1, exec_lo
	v_cmpx_lt_u32_e32 19, v0
	s_cbranch_execz .LBB89_101
; %bb.100:
	s_waitcnt lgkmcnt(0)
	v_mul_f64 v[100:101], v[228:229], v[100:101]
	ds_read2_b64 v[184:187], v202 offset0:20 offset1:21
	s_waitcnt lgkmcnt(0)
	v_fma_f64 v[108:109], -v[100:101], v[184:185], v[108:109]
	v_fma_f64 v[98:99], -v[100:101], v[186:187], v[98:99]
	ds_read2_b64 v[184:187], v202 offset0:22 offset1:23
	s_waitcnt lgkmcnt(0)
	v_fma_f64 v[106:107], -v[100:101], v[184:185], v[106:107]
	v_fma_f64 v[96:97], -v[100:101], v[186:187], v[96:97]
	;; [unrolled: 4-line block ×11, first 2 shown]
	ds_read2_b64 v[184:187], v202 offset0:42 offset1:43
	s_waitcnt lgkmcnt(0)
	v_fma_f64 v[162:163], -v[100:101], v[184:185], v[162:163]
	ds_read_b64 v[184:185], v202 offset:352
	v_fma_f64 v[150:151], -v[100:101], v[186:187], v[150:151]
	s_waitcnt lgkmcnt(0)
	v_fma_f64 v[174:175], -v[100:101], v[184:185], v[174:175]
.LBB89_101:
	s_or_b32 exec_lo, exec_lo, s1
	s_mov_b32 s1, exec_lo
	s_waitcnt lgkmcnt(0)
	s_barrier
	buffer_gl0_inv
	v_cmpx_eq_u32_e32 20, v0
	s_cbranch_execz .LBB89_104
; %bb.102:
	ds_write_b64 v1, v[108:109]
	ds_write2_b64 v202, v[98:99], v[106:107] offset0:21 offset1:22
	ds_write2_b64 v202, v[96:97], v[104:105] offset0:23 offset1:24
	ds_write2_b64 v202, v[94:95], v[102:103] offset0:25 offset1:26
	ds_write2_b64 v202, v[92:93], v[148:149] offset0:27 offset1:28
	ds_write2_b64 v202, v[144:145], v[146:147] offset0:29 offset1:30
	ds_write2_b64 v202, v[142:143], v[172:173] offset0:31 offset1:32
	ds_write2_b64 v202, v[160:161], v[170:171] offset0:33 offset1:34
	ds_write2_b64 v202, v[158:159], v[168:169] offset0:35 offset1:36
	ds_write2_b64 v202, v[156:157], v[166:167] offset0:37 offset1:38
	ds_write2_b64 v202, v[154:155], v[164:165] offset0:39 offset1:40
	ds_write2_b64 v202, v[152:153], v[162:163] offset0:41 offset1:42
	ds_write2_b64 v202, v[150:151], v[174:175] offset0:43 offset1:44
	ds_read_b64 v[184:185], v1
	s_waitcnt lgkmcnt(0)
	v_cmp_neq_f64_e32 vcc_lo, 0, v[184:185]
	s_and_b32 exec_lo, exec_lo, vcc_lo
	s_cbranch_execz .LBB89_104
; %bb.103:
	v_div_scale_f64 v[186:187], null, v[184:185], v[184:185], 1.0
	v_rcp_f64_e32 v[188:189], v[186:187]
	v_fma_f64 v[190:191], -v[186:187], v[188:189], 1.0
	v_fma_f64 v[188:189], v[188:189], v[190:191], v[188:189]
	v_fma_f64 v[190:191], -v[186:187], v[188:189], 1.0
	v_fma_f64 v[188:189], v[188:189], v[190:191], v[188:189]
	v_div_scale_f64 v[190:191], vcc_lo, 1.0, v[184:185], 1.0
	v_mul_f64 v[192:193], v[190:191], v[188:189]
	v_fma_f64 v[186:187], -v[186:187], v[192:193], v[190:191]
	v_div_fmas_f64 v[186:187], v[186:187], v[188:189], v[192:193]
	v_div_fixup_f64 v[184:185], v[186:187], v[184:185], 1.0
	ds_write_b64 v1, v[184:185]
.LBB89_104:
	s_or_b32 exec_lo, exec_lo, s1
	s_waitcnt lgkmcnt(0)
	s_barrier
	buffer_gl0_inv
	ds_read_b64 v[230:231], v1
	s_mov_b32 s1, exec_lo
	v_cmpx_lt_u32_e32 20, v0
	s_cbranch_execz .LBB89_106
; %bb.105:
	s_waitcnt lgkmcnt(0)
	v_mul_f64 v[108:109], v[230:231], v[108:109]
	ds_read2_b64 v[184:187], v202 offset0:21 offset1:22
	s_waitcnt lgkmcnt(0)
	v_fma_f64 v[98:99], -v[108:109], v[184:185], v[98:99]
	v_fma_f64 v[106:107], -v[108:109], v[186:187], v[106:107]
	ds_read2_b64 v[184:187], v202 offset0:23 offset1:24
	s_waitcnt lgkmcnt(0)
	v_fma_f64 v[96:97], -v[108:109], v[184:185], v[96:97]
	v_fma_f64 v[104:105], -v[108:109], v[186:187], v[104:105]
	;; [unrolled: 4-line block ×12, first 2 shown]
.LBB89_106:
	s_or_b32 exec_lo, exec_lo, s1
	s_mov_b32 s1, exec_lo
	s_waitcnt lgkmcnt(0)
	s_barrier
	buffer_gl0_inv
	v_cmpx_eq_u32_e32 21, v0
	s_cbranch_execz .LBB89_109
; %bb.107:
	v_mov_b32_e32 v184, v106
	v_mov_b32_e32 v185, v107
	;; [unrolled: 1-line block ×4, first 2 shown]
	ds_write_b64 v1, v[98:99]
	ds_write2_b64 v202, v[184:185], v[186:187] offset0:22 offset1:23
	v_mov_b32_e32 v184, v104
	v_mov_b32_e32 v185, v105
	;; [unrolled: 1-line block ×20, first 2 shown]
	ds_write2_b64 v202, v[184:185], v[186:187] offset0:24 offset1:25
	ds_write2_b64 v202, v[188:189], v[190:191] offset0:26 offset1:27
	;; [unrolled: 1-line block ×5, first 2 shown]
	v_mov_b32_e32 v184, v170
	v_mov_b32_e32 v185, v171
	;; [unrolled: 1-line block ×20, first 2 shown]
	ds_write2_b64 v202, v[184:185], v[186:187] offset0:34 offset1:35
	ds_write2_b64 v202, v[188:189], v[190:191] offset0:36 offset1:37
	;; [unrolled: 1-line block ×5, first 2 shown]
	ds_write_b64 v202, v[174:175] offset:352
	ds_read_b64 v[184:185], v1
	s_waitcnt lgkmcnt(0)
	v_cmp_neq_f64_e32 vcc_lo, 0, v[184:185]
	s_and_b32 exec_lo, exec_lo, vcc_lo
	s_cbranch_execz .LBB89_109
; %bb.108:
	v_div_scale_f64 v[186:187], null, v[184:185], v[184:185], 1.0
	v_rcp_f64_e32 v[188:189], v[186:187]
	v_fma_f64 v[190:191], -v[186:187], v[188:189], 1.0
	v_fma_f64 v[188:189], v[188:189], v[190:191], v[188:189]
	v_fma_f64 v[190:191], -v[186:187], v[188:189], 1.0
	v_fma_f64 v[188:189], v[188:189], v[190:191], v[188:189]
	v_div_scale_f64 v[190:191], vcc_lo, 1.0, v[184:185], 1.0
	v_mul_f64 v[192:193], v[190:191], v[188:189]
	v_fma_f64 v[186:187], -v[186:187], v[192:193], v[190:191]
	v_div_fmas_f64 v[186:187], v[186:187], v[188:189], v[192:193]
	v_div_fixup_f64 v[184:185], v[186:187], v[184:185], 1.0
	ds_write_b64 v1, v[184:185]
.LBB89_109:
	s_or_b32 exec_lo, exec_lo, s1
	s_waitcnt lgkmcnt(0)
	s_barrier
	buffer_gl0_inv
	ds_read_b64 v[232:233], v1
	s_mov_b32 s1, exec_lo
	v_cmpx_lt_u32_e32 21, v0
	s_cbranch_execz .LBB89_111
; %bb.110:
	s_waitcnt lgkmcnt(0)
	v_mul_f64 v[98:99], v[232:233], v[98:99]
	ds_read2_b64 v[184:187], v202 offset0:22 offset1:23
	s_waitcnt lgkmcnt(0)
	v_fma_f64 v[106:107], -v[98:99], v[184:185], v[106:107]
	v_fma_f64 v[96:97], -v[98:99], v[186:187], v[96:97]
	ds_read2_b64 v[184:187], v202 offset0:24 offset1:25
	s_waitcnt lgkmcnt(0)
	v_fma_f64 v[104:105], -v[98:99], v[184:185], v[104:105]
	v_fma_f64 v[94:95], -v[98:99], v[186:187], v[94:95]
	;; [unrolled: 4-line block ×10, first 2 shown]
	ds_read2_b64 v[184:187], v202 offset0:42 offset1:43
	s_waitcnt lgkmcnt(0)
	v_fma_f64 v[162:163], -v[98:99], v[184:185], v[162:163]
	ds_read_b64 v[184:185], v202 offset:352
	v_fma_f64 v[150:151], -v[98:99], v[186:187], v[150:151]
	s_waitcnt lgkmcnt(0)
	v_fma_f64 v[174:175], -v[98:99], v[184:185], v[174:175]
.LBB89_111:
	s_or_b32 exec_lo, exec_lo, s1
	s_mov_b32 s1, exec_lo
	s_waitcnt lgkmcnt(0)
	s_barrier
	buffer_gl0_inv
	v_cmpx_eq_u32_e32 22, v0
	s_cbranch_execz .LBB89_114
; %bb.112:
	ds_write_b64 v1, v[106:107]
	ds_write2_b64 v202, v[96:97], v[104:105] offset0:23 offset1:24
	ds_write2_b64 v202, v[94:95], v[102:103] offset0:25 offset1:26
	;; [unrolled: 1-line block ×11, first 2 shown]
	ds_read_b64 v[184:185], v1
	s_waitcnt lgkmcnt(0)
	v_cmp_neq_f64_e32 vcc_lo, 0, v[184:185]
	s_and_b32 exec_lo, exec_lo, vcc_lo
	s_cbranch_execz .LBB89_114
; %bb.113:
	v_div_scale_f64 v[186:187], null, v[184:185], v[184:185], 1.0
	v_rcp_f64_e32 v[188:189], v[186:187]
	v_fma_f64 v[190:191], -v[186:187], v[188:189], 1.0
	v_fma_f64 v[188:189], v[188:189], v[190:191], v[188:189]
	v_fma_f64 v[190:191], -v[186:187], v[188:189], 1.0
	v_fma_f64 v[188:189], v[188:189], v[190:191], v[188:189]
	v_div_scale_f64 v[190:191], vcc_lo, 1.0, v[184:185], 1.0
	v_mul_f64 v[192:193], v[190:191], v[188:189]
	v_fma_f64 v[186:187], -v[186:187], v[192:193], v[190:191]
	v_div_fmas_f64 v[186:187], v[186:187], v[188:189], v[192:193]
	v_div_fixup_f64 v[184:185], v[186:187], v[184:185], 1.0
	ds_write_b64 v1, v[184:185]
.LBB89_114:
	s_or_b32 exec_lo, exec_lo, s1
	s_waitcnt lgkmcnt(0)
	s_barrier
	buffer_gl0_inv
	ds_read_b64 v[234:235], v1
	s_mov_b32 s1, exec_lo
	v_cmpx_lt_u32_e32 22, v0
	s_cbranch_execz .LBB89_116
; %bb.115:
	s_waitcnt lgkmcnt(0)
	v_mul_f64 v[106:107], v[234:235], v[106:107]
	ds_read2_b64 v[184:187], v202 offset0:23 offset1:24
	s_waitcnt lgkmcnt(0)
	v_fma_f64 v[96:97], -v[106:107], v[184:185], v[96:97]
	v_fma_f64 v[104:105], -v[106:107], v[186:187], v[104:105]
	ds_read2_b64 v[184:187], v202 offset0:25 offset1:26
	s_waitcnt lgkmcnt(0)
	v_fma_f64 v[94:95], -v[106:107], v[184:185], v[94:95]
	v_fma_f64 v[102:103], -v[106:107], v[186:187], v[102:103]
	;; [unrolled: 4-line block ×11, first 2 shown]
.LBB89_116:
	s_or_b32 exec_lo, exec_lo, s1
	s_mov_b32 s1, exec_lo
	s_waitcnt lgkmcnt(0)
	s_barrier
	buffer_gl0_inv
	v_cmpx_eq_u32_e32 23, v0
	s_cbranch_execz .LBB89_119
; %bb.117:
	v_mov_b32_e32 v184, v104
	v_mov_b32_e32 v185, v105
	;; [unrolled: 1-line block ×20, first 2 shown]
	ds_write_b64 v1, v[96:97]
	ds_write2_b64 v202, v[184:185], v[186:187] offset0:24 offset1:25
	ds_write2_b64 v202, v[188:189], v[190:191] offset0:26 offset1:27
	;; [unrolled: 1-line block ×5, first 2 shown]
	v_mov_b32_e32 v184, v170
	v_mov_b32_e32 v185, v171
	;; [unrolled: 1-line block ×20, first 2 shown]
	ds_write2_b64 v202, v[184:185], v[186:187] offset0:34 offset1:35
	ds_write2_b64 v202, v[188:189], v[190:191] offset0:36 offset1:37
	;; [unrolled: 1-line block ×5, first 2 shown]
	ds_write_b64 v202, v[174:175] offset:352
	ds_read_b64 v[184:185], v1
	s_waitcnt lgkmcnt(0)
	v_cmp_neq_f64_e32 vcc_lo, 0, v[184:185]
	s_and_b32 exec_lo, exec_lo, vcc_lo
	s_cbranch_execz .LBB89_119
; %bb.118:
	v_div_scale_f64 v[186:187], null, v[184:185], v[184:185], 1.0
	v_rcp_f64_e32 v[188:189], v[186:187]
	v_fma_f64 v[190:191], -v[186:187], v[188:189], 1.0
	v_fma_f64 v[188:189], v[188:189], v[190:191], v[188:189]
	v_fma_f64 v[190:191], -v[186:187], v[188:189], 1.0
	v_fma_f64 v[188:189], v[188:189], v[190:191], v[188:189]
	v_div_scale_f64 v[190:191], vcc_lo, 1.0, v[184:185], 1.0
	v_mul_f64 v[192:193], v[190:191], v[188:189]
	v_fma_f64 v[186:187], -v[186:187], v[192:193], v[190:191]
	v_div_fmas_f64 v[186:187], v[186:187], v[188:189], v[192:193]
	v_div_fixup_f64 v[184:185], v[186:187], v[184:185], 1.0
	ds_write_b64 v1, v[184:185]
.LBB89_119:
	s_or_b32 exec_lo, exec_lo, s1
	s_waitcnt lgkmcnt(0)
	s_barrier
	buffer_gl0_inv
	ds_read_b64 v[236:237], v1
	s_mov_b32 s1, exec_lo
	v_cmpx_lt_u32_e32 23, v0
	s_cbranch_execz .LBB89_121
; %bb.120:
	s_waitcnt lgkmcnt(0)
	v_mul_f64 v[96:97], v[236:237], v[96:97]
	ds_read2_b64 v[184:187], v202 offset0:24 offset1:25
	s_waitcnt lgkmcnt(0)
	v_fma_f64 v[104:105], -v[96:97], v[184:185], v[104:105]
	v_fma_f64 v[94:95], -v[96:97], v[186:187], v[94:95]
	ds_read2_b64 v[184:187], v202 offset0:26 offset1:27
	s_waitcnt lgkmcnt(0)
	v_fma_f64 v[102:103], -v[96:97], v[184:185], v[102:103]
	v_fma_f64 v[92:93], -v[96:97], v[186:187], v[92:93]
	;; [unrolled: 4-line block ×9, first 2 shown]
	ds_read2_b64 v[184:187], v202 offset0:42 offset1:43
	s_waitcnt lgkmcnt(0)
	v_fma_f64 v[162:163], -v[96:97], v[184:185], v[162:163]
	ds_read_b64 v[184:185], v202 offset:352
	v_fma_f64 v[150:151], -v[96:97], v[186:187], v[150:151]
	s_waitcnt lgkmcnt(0)
	v_fma_f64 v[174:175], -v[96:97], v[184:185], v[174:175]
.LBB89_121:
	s_or_b32 exec_lo, exec_lo, s1
	s_mov_b32 s1, exec_lo
	s_waitcnt lgkmcnt(0)
	s_barrier
	buffer_gl0_inv
	v_cmpx_eq_u32_e32 24, v0
	s_cbranch_execz .LBB89_124
; %bb.122:
	ds_write_b64 v1, v[104:105]
	ds_write2_b64 v202, v[94:95], v[102:103] offset0:25 offset1:26
	ds_write2_b64 v202, v[92:93], v[148:149] offset0:27 offset1:28
	ds_write2_b64 v202, v[144:145], v[146:147] offset0:29 offset1:30
	ds_write2_b64 v202, v[142:143], v[172:173] offset0:31 offset1:32
	ds_write2_b64 v202, v[160:161], v[170:171] offset0:33 offset1:34
	ds_write2_b64 v202, v[158:159], v[168:169] offset0:35 offset1:36
	ds_write2_b64 v202, v[156:157], v[166:167] offset0:37 offset1:38
	ds_write2_b64 v202, v[154:155], v[164:165] offset0:39 offset1:40
	ds_write2_b64 v202, v[152:153], v[162:163] offset0:41 offset1:42
	ds_write2_b64 v202, v[150:151], v[174:175] offset0:43 offset1:44
	ds_read_b64 v[184:185], v1
	s_waitcnt lgkmcnt(0)
	v_cmp_neq_f64_e32 vcc_lo, 0, v[184:185]
	s_and_b32 exec_lo, exec_lo, vcc_lo
	s_cbranch_execz .LBB89_124
; %bb.123:
	v_div_scale_f64 v[186:187], null, v[184:185], v[184:185], 1.0
	v_rcp_f64_e32 v[188:189], v[186:187]
	v_fma_f64 v[190:191], -v[186:187], v[188:189], 1.0
	v_fma_f64 v[188:189], v[188:189], v[190:191], v[188:189]
	v_fma_f64 v[190:191], -v[186:187], v[188:189], 1.0
	v_fma_f64 v[188:189], v[188:189], v[190:191], v[188:189]
	v_div_scale_f64 v[190:191], vcc_lo, 1.0, v[184:185], 1.0
	v_mul_f64 v[192:193], v[190:191], v[188:189]
	v_fma_f64 v[186:187], -v[186:187], v[192:193], v[190:191]
	v_div_fmas_f64 v[186:187], v[186:187], v[188:189], v[192:193]
	v_div_fixup_f64 v[184:185], v[186:187], v[184:185], 1.0
	ds_write_b64 v1, v[184:185]
.LBB89_124:
	s_or_b32 exec_lo, exec_lo, s1
	s_waitcnt lgkmcnt(0)
	s_barrier
	buffer_gl0_inv
	ds_read_b64 v[238:239], v1
	s_mov_b32 s1, exec_lo
	v_cmpx_lt_u32_e32 24, v0
	s_cbranch_execz .LBB89_126
; %bb.125:
	s_waitcnt lgkmcnt(0)
	v_mul_f64 v[104:105], v[238:239], v[104:105]
	ds_read2_b64 v[184:187], v202 offset0:25 offset1:26
	s_waitcnt lgkmcnt(0)
	v_fma_f64 v[94:95], -v[104:105], v[184:185], v[94:95]
	v_fma_f64 v[102:103], -v[104:105], v[186:187], v[102:103]
	ds_read2_b64 v[184:187], v202 offset0:27 offset1:28
	s_waitcnt lgkmcnt(0)
	v_fma_f64 v[92:93], -v[104:105], v[184:185], v[92:93]
	v_fma_f64 v[148:149], -v[104:105], v[186:187], v[148:149]
	;; [unrolled: 4-line block ×10, first 2 shown]
.LBB89_126:
	s_or_b32 exec_lo, exec_lo, s1
	s_mov_b32 s1, exec_lo
	s_waitcnt lgkmcnt(0)
	s_barrier
	buffer_gl0_inv
	v_cmpx_eq_u32_e32 25, v0
	s_cbranch_execz .LBB89_129
; %bb.127:
	v_mov_b32_e32 v184, v102
	v_mov_b32_e32 v185, v103
	;; [unrolled: 1-line block ×16, first 2 shown]
	ds_write_b64 v1, v[94:95]
	ds_write2_b64 v202, v[184:185], v[186:187] offset0:26 offset1:27
	ds_write2_b64 v202, v[188:189], v[190:191] offset0:28 offset1:29
	;; [unrolled: 1-line block ×4, first 2 shown]
	v_mov_b32_e32 v184, v170
	v_mov_b32_e32 v185, v171
	;; [unrolled: 1-line block ×20, first 2 shown]
	ds_write2_b64 v202, v[184:185], v[186:187] offset0:34 offset1:35
	ds_write2_b64 v202, v[188:189], v[190:191] offset0:36 offset1:37
	;; [unrolled: 1-line block ×5, first 2 shown]
	ds_write_b64 v202, v[174:175] offset:352
	ds_read_b64 v[184:185], v1
	s_waitcnt lgkmcnt(0)
	v_cmp_neq_f64_e32 vcc_lo, 0, v[184:185]
	s_and_b32 exec_lo, exec_lo, vcc_lo
	s_cbranch_execz .LBB89_129
; %bb.128:
	v_div_scale_f64 v[186:187], null, v[184:185], v[184:185], 1.0
	v_rcp_f64_e32 v[188:189], v[186:187]
	v_fma_f64 v[190:191], -v[186:187], v[188:189], 1.0
	v_fma_f64 v[188:189], v[188:189], v[190:191], v[188:189]
	v_fma_f64 v[190:191], -v[186:187], v[188:189], 1.0
	v_fma_f64 v[188:189], v[188:189], v[190:191], v[188:189]
	v_div_scale_f64 v[190:191], vcc_lo, 1.0, v[184:185], 1.0
	v_mul_f64 v[192:193], v[190:191], v[188:189]
	v_fma_f64 v[186:187], -v[186:187], v[192:193], v[190:191]
	v_div_fmas_f64 v[186:187], v[186:187], v[188:189], v[192:193]
	v_div_fixup_f64 v[184:185], v[186:187], v[184:185], 1.0
	ds_write_b64 v1, v[184:185]
.LBB89_129:
	s_or_b32 exec_lo, exec_lo, s1
	s_waitcnt lgkmcnt(0)
	s_barrier
	buffer_gl0_inv
	ds_read_b64 v[240:241], v1
	s_mov_b32 s1, exec_lo
	v_cmpx_lt_u32_e32 25, v0
	s_cbranch_execz .LBB89_131
; %bb.130:
	s_waitcnt lgkmcnt(0)
	v_mul_f64 v[94:95], v[240:241], v[94:95]
	ds_read2_b64 v[184:187], v202 offset0:26 offset1:27
	s_waitcnt lgkmcnt(0)
	v_fma_f64 v[102:103], -v[94:95], v[184:185], v[102:103]
	v_fma_f64 v[92:93], -v[94:95], v[186:187], v[92:93]
	ds_read2_b64 v[184:187], v202 offset0:28 offset1:29
	s_waitcnt lgkmcnt(0)
	v_fma_f64 v[148:149], -v[94:95], v[184:185], v[148:149]
	v_fma_f64 v[144:145], -v[94:95], v[186:187], v[144:145]
	;; [unrolled: 4-line block ×8, first 2 shown]
	ds_read2_b64 v[184:187], v202 offset0:42 offset1:43
	s_waitcnt lgkmcnt(0)
	v_fma_f64 v[162:163], -v[94:95], v[184:185], v[162:163]
	ds_read_b64 v[184:185], v202 offset:352
	v_fma_f64 v[150:151], -v[94:95], v[186:187], v[150:151]
	s_waitcnt lgkmcnt(0)
	v_fma_f64 v[174:175], -v[94:95], v[184:185], v[174:175]
.LBB89_131:
	s_or_b32 exec_lo, exec_lo, s1
	s_mov_b32 s1, exec_lo
	s_waitcnt lgkmcnt(0)
	s_barrier
	buffer_gl0_inv
	v_cmpx_eq_u32_e32 26, v0
	s_cbranch_execz .LBB89_134
; %bb.132:
	ds_write_b64 v1, v[102:103]
	ds_write2_b64 v202, v[92:93], v[148:149] offset0:27 offset1:28
	ds_write2_b64 v202, v[144:145], v[146:147] offset0:29 offset1:30
	;; [unrolled: 1-line block ×9, first 2 shown]
	ds_read_b64 v[184:185], v1
	s_waitcnt lgkmcnt(0)
	v_cmp_neq_f64_e32 vcc_lo, 0, v[184:185]
	s_and_b32 exec_lo, exec_lo, vcc_lo
	s_cbranch_execz .LBB89_134
; %bb.133:
	v_div_scale_f64 v[186:187], null, v[184:185], v[184:185], 1.0
	v_rcp_f64_e32 v[188:189], v[186:187]
	v_fma_f64 v[190:191], -v[186:187], v[188:189], 1.0
	v_fma_f64 v[188:189], v[188:189], v[190:191], v[188:189]
	v_fma_f64 v[190:191], -v[186:187], v[188:189], 1.0
	v_fma_f64 v[188:189], v[188:189], v[190:191], v[188:189]
	v_div_scale_f64 v[190:191], vcc_lo, 1.0, v[184:185], 1.0
	v_mul_f64 v[192:193], v[190:191], v[188:189]
	v_fma_f64 v[186:187], -v[186:187], v[192:193], v[190:191]
	v_div_fmas_f64 v[186:187], v[186:187], v[188:189], v[192:193]
	v_div_fixup_f64 v[184:185], v[186:187], v[184:185], 1.0
	ds_write_b64 v1, v[184:185]
.LBB89_134:
	s_or_b32 exec_lo, exec_lo, s1
	s_waitcnt lgkmcnt(0)
	s_barrier
	buffer_gl0_inv
	ds_read_b64 v[242:243], v1
	s_mov_b32 s1, exec_lo
	v_cmpx_lt_u32_e32 26, v0
	s_cbranch_execz .LBB89_136
; %bb.135:
	s_waitcnt lgkmcnt(0)
	v_mul_f64 v[102:103], v[242:243], v[102:103]
	ds_read2_b64 v[184:187], v202 offset0:27 offset1:28
	s_waitcnt lgkmcnt(0)
	v_fma_f64 v[92:93], -v[102:103], v[184:185], v[92:93]
	v_fma_f64 v[148:149], -v[102:103], v[186:187], v[148:149]
	ds_read2_b64 v[184:187], v202 offset0:29 offset1:30
	s_waitcnt lgkmcnt(0)
	v_fma_f64 v[144:145], -v[102:103], v[184:185], v[144:145]
	v_fma_f64 v[146:147], -v[102:103], v[186:187], v[146:147]
	;; [unrolled: 4-line block ×9, first 2 shown]
.LBB89_136:
	s_or_b32 exec_lo, exec_lo, s1
	s_mov_b32 s1, exec_lo
	s_waitcnt lgkmcnt(0)
	s_barrier
	buffer_gl0_inv
	v_cmpx_eq_u32_e32 27, v0
	s_cbranch_execz .LBB89_139
; %bb.137:
	v_mov_b32_e32 v184, v148
	v_mov_b32_e32 v185, v149
	;; [unrolled: 1-line block ×4, first 2 shown]
	ds_write_b64 v1, v[92:93]
	ds_write2_b64 v202, v[184:185], v[186:187] offset0:28 offset1:29
	v_mov_b32_e32 v184, v146
	v_mov_b32_e32 v185, v147
	v_mov_b32_e32 v186, v142
	v_mov_b32_e32 v187, v143
	ds_write2_b64 v202, v[184:185], v[186:187] offset0:30 offset1:31
	v_mov_b32_e32 v184, v172
	v_mov_b32_e32 v185, v173
	v_mov_b32_e32 v186, v160
	v_mov_b32_e32 v187, v161
	ds_write2_b64 v202, v[184:185], v[186:187] offset0:32 offset1:33
	v_mov_b32_e32 v184, v170
	v_mov_b32_e32 v185, v171
	v_mov_b32_e32 v186, v158
	v_mov_b32_e32 v187, v159
	ds_write2_b64 v202, v[184:185], v[186:187] offset0:34 offset1:35
	v_mov_b32_e32 v184, v168
	v_mov_b32_e32 v185, v169
	v_mov_b32_e32 v186, v156
	v_mov_b32_e32 v187, v157
	ds_write2_b64 v202, v[184:185], v[186:187] offset0:36 offset1:37
	v_mov_b32_e32 v184, v166
	v_mov_b32_e32 v185, v167
	v_mov_b32_e32 v186, v154
	v_mov_b32_e32 v187, v155
	ds_write2_b64 v202, v[184:185], v[186:187] offset0:38 offset1:39
	v_mov_b32_e32 v184, v164
	v_mov_b32_e32 v185, v165
	v_mov_b32_e32 v186, v152
	v_mov_b32_e32 v187, v153
	ds_write2_b64 v202, v[184:185], v[186:187] offset0:40 offset1:41
	v_mov_b32_e32 v184, v162
	v_mov_b32_e32 v185, v163
	v_mov_b32_e32 v186, v150
	v_mov_b32_e32 v187, v151
	ds_write2_b64 v202, v[184:185], v[186:187] offset0:42 offset1:43
	ds_write_b64 v202, v[174:175] offset:352
	ds_read_b64 v[184:185], v1
	s_waitcnt lgkmcnt(0)
	v_cmp_neq_f64_e32 vcc_lo, 0, v[184:185]
	s_and_b32 exec_lo, exec_lo, vcc_lo
	s_cbranch_execz .LBB89_139
; %bb.138:
	v_div_scale_f64 v[186:187], null, v[184:185], v[184:185], 1.0
	v_rcp_f64_e32 v[188:189], v[186:187]
	v_fma_f64 v[190:191], -v[186:187], v[188:189], 1.0
	v_fma_f64 v[188:189], v[188:189], v[190:191], v[188:189]
	v_fma_f64 v[190:191], -v[186:187], v[188:189], 1.0
	v_fma_f64 v[188:189], v[188:189], v[190:191], v[188:189]
	v_div_scale_f64 v[190:191], vcc_lo, 1.0, v[184:185], 1.0
	v_mul_f64 v[192:193], v[190:191], v[188:189]
	v_fma_f64 v[186:187], -v[186:187], v[192:193], v[190:191]
	v_div_fmas_f64 v[186:187], v[186:187], v[188:189], v[192:193]
	v_div_fixup_f64 v[184:185], v[186:187], v[184:185], 1.0
	ds_write_b64 v1, v[184:185]
.LBB89_139:
	s_or_b32 exec_lo, exec_lo, s1
	s_waitcnt lgkmcnt(0)
	s_barrier
	buffer_gl0_inv
	ds_read_b64 v[244:245], v1
	s_mov_b32 s1, exec_lo
	v_cmpx_lt_u32_e32 27, v0
	s_cbranch_execz .LBB89_141
; %bb.140:
	s_waitcnt lgkmcnt(0)
	v_mul_f64 v[92:93], v[244:245], v[92:93]
	ds_read2_b64 v[184:187], v202 offset0:28 offset1:29
	s_waitcnt lgkmcnt(0)
	v_fma_f64 v[148:149], -v[92:93], v[184:185], v[148:149]
	v_fma_f64 v[144:145], -v[92:93], v[186:187], v[144:145]
	ds_read2_b64 v[184:187], v202 offset0:30 offset1:31
	s_waitcnt lgkmcnt(0)
	v_fma_f64 v[146:147], -v[92:93], v[184:185], v[146:147]
	v_fma_f64 v[142:143], -v[92:93], v[186:187], v[142:143]
	;; [unrolled: 4-line block ×7, first 2 shown]
	ds_read2_b64 v[184:187], v202 offset0:42 offset1:43
	s_waitcnt lgkmcnt(0)
	v_fma_f64 v[162:163], -v[92:93], v[184:185], v[162:163]
	ds_read_b64 v[184:185], v202 offset:352
	v_fma_f64 v[150:151], -v[92:93], v[186:187], v[150:151]
	s_waitcnt lgkmcnt(0)
	v_fma_f64 v[174:175], -v[92:93], v[184:185], v[174:175]
.LBB89_141:
	s_or_b32 exec_lo, exec_lo, s1
	s_mov_b32 s1, exec_lo
	s_waitcnt lgkmcnt(0)
	s_barrier
	buffer_gl0_inv
	v_cmpx_eq_u32_e32 28, v0
	s_cbranch_execz .LBB89_144
; %bb.142:
	ds_write_b64 v1, v[148:149]
	ds_write2_b64 v202, v[144:145], v[146:147] offset0:29 offset1:30
	ds_write2_b64 v202, v[142:143], v[172:173] offset0:31 offset1:32
	ds_write2_b64 v202, v[160:161], v[170:171] offset0:33 offset1:34
	ds_write2_b64 v202, v[158:159], v[168:169] offset0:35 offset1:36
	ds_write2_b64 v202, v[156:157], v[166:167] offset0:37 offset1:38
	ds_write2_b64 v202, v[154:155], v[164:165] offset0:39 offset1:40
	ds_write2_b64 v202, v[152:153], v[162:163] offset0:41 offset1:42
	ds_write2_b64 v202, v[150:151], v[174:175] offset0:43 offset1:44
	ds_read_b64 v[184:185], v1
	s_waitcnt lgkmcnt(0)
	v_cmp_neq_f64_e32 vcc_lo, 0, v[184:185]
	s_and_b32 exec_lo, exec_lo, vcc_lo
	s_cbranch_execz .LBB89_144
; %bb.143:
	v_div_scale_f64 v[186:187], null, v[184:185], v[184:185], 1.0
	v_rcp_f64_e32 v[188:189], v[186:187]
	v_fma_f64 v[190:191], -v[186:187], v[188:189], 1.0
	v_fma_f64 v[188:189], v[188:189], v[190:191], v[188:189]
	v_fma_f64 v[190:191], -v[186:187], v[188:189], 1.0
	v_fma_f64 v[188:189], v[188:189], v[190:191], v[188:189]
	v_div_scale_f64 v[190:191], vcc_lo, 1.0, v[184:185], 1.0
	v_mul_f64 v[192:193], v[190:191], v[188:189]
	v_fma_f64 v[186:187], -v[186:187], v[192:193], v[190:191]
	v_div_fmas_f64 v[186:187], v[186:187], v[188:189], v[192:193]
	v_div_fixup_f64 v[184:185], v[186:187], v[184:185], 1.0
	ds_write_b64 v1, v[184:185]
.LBB89_144:
	s_or_b32 exec_lo, exec_lo, s1
	s_waitcnt lgkmcnt(0)
	s_barrier
	buffer_gl0_inv
	ds_read_b64 v[246:247], v1
	s_mov_b32 s1, exec_lo
	v_cmpx_lt_u32_e32 28, v0
	s_cbranch_execz .LBB89_146
; %bb.145:
	s_waitcnt lgkmcnt(0)
	v_mul_f64 v[148:149], v[246:247], v[148:149]
	ds_read2_b64 v[184:187], v202 offset0:29 offset1:30
	s_waitcnt lgkmcnt(0)
	v_fma_f64 v[144:145], -v[148:149], v[184:185], v[144:145]
	v_fma_f64 v[146:147], -v[148:149], v[186:187], v[146:147]
	ds_read2_b64 v[184:187], v202 offset0:31 offset1:32
	s_waitcnt lgkmcnt(0)
	v_fma_f64 v[142:143], -v[148:149], v[184:185], v[142:143]
	v_fma_f64 v[172:173], -v[148:149], v[186:187], v[172:173]
	;; [unrolled: 4-line block ×8, first 2 shown]
.LBB89_146:
	s_or_b32 exec_lo, exec_lo, s1
	s_mov_b32 s1, exec_lo
	s_waitcnt lgkmcnt(0)
	s_barrier
	buffer_gl0_inv
	v_cmpx_eq_u32_e32 29, v0
	s_cbranch_execz .LBB89_149
; %bb.147:
	v_mov_b32_e32 v184, v146
	v_mov_b32_e32 v185, v147
	;; [unrolled: 1-line block ×4, first 2 shown]
	ds_write_b64 v1, v[144:145]
	ds_write2_b64 v202, v[184:185], v[186:187] offset0:30 offset1:31
	v_mov_b32_e32 v184, v172
	v_mov_b32_e32 v185, v173
	v_mov_b32_e32 v186, v160
	v_mov_b32_e32 v187, v161
	ds_write2_b64 v202, v[184:185], v[186:187] offset0:32 offset1:33
	v_mov_b32_e32 v184, v170
	v_mov_b32_e32 v185, v171
	v_mov_b32_e32 v186, v158
	v_mov_b32_e32 v187, v159
	ds_write2_b64 v202, v[184:185], v[186:187] offset0:34 offset1:35
	v_mov_b32_e32 v184, v168
	v_mov_b32_e32 v185, v169
	v_mov_b32_e32 v186, v156
	v_mov_b32_e32 v187, v157
	ds_write2_b64 v202, v[184:185], v[186:187] offset0:36 offset1:37
	v_mov_b32_e32 v184, v166
	v_mov_b32_e32 v185, v167
	v_mov_b32_e32 v186, v154
	v_mov_b32_e32 v187, v155
	ds_write2_b64 v202, v[184:185], v[186:187] offset0:38 offset1:39
	v_mov_b32_e32 v184, v164
	v_mov_b32_e32 v185, v165
	v_mov_b32_e32 v186, v152
	v_mov_b32_e32 v187, v153
	ds_write2_b64 v202, v[184:185], v[186:187] offset0:40 offset1:41
	v_mov_b32_e32 v184, v162
	v_mov_b32_e32 v185, v163
	v_mov_b32_e32 v186, v150
	v_mov_b32_e32 v187, v151
	ds_write2_b64 v202, v[184:185], v[186:187] offset0:42 offset1:43
	ds_write_b64 v202, v[174:175] offset:352
	ds_read_b64 v[184:185], v1
	s_waitcnt lgkmcnt(0)
	v_cmp_neq_f64_e32 vcc_lo, 0, v[184:185]
	s_and_b32 exec_lo, exec_lo, vcc_lo
	s_cbranch_execz .LBB89_149
; %bb.148:
	v_div_scale_f64 v[186:187], null, v[184:185], v[184:185], 1.0
	v_rcp_f64_e32 v[188:189], v[186:187]
	v_fma_f64 v[190:191], -v[186:187], v[188:189], 1.0
	v_fma_f64 v[188:189], v[188:189], v[190:191], v[188:189]
	v_fma_f64 v[190:191], -v[186:187], v[188:189], 1.0
	v_fma_f64 v[188:189], v[188:189], v[190:191], v[188:189]
	v_div_scale_f64 v[190:191], vcc_lo, 1.0, v[184:185], 1.0
	v_mul_f64 v[192:193], v[190:191], v[188:189]
	v_fma_f64 v[186:187], -v[186:187], v[192:193], v[190:191]
	v_div_fmas_f64 v[186:187], v[186:187], v[188:189], v[192:193]
	v_div_fixup_f64 v[184:185], v[186:187], v[184:185], 1.0
	ds_write_b64 v1, v[184:185]
.LBB89_149:
	s_or_b32 exec_lo, exec_lo, s1
	s_waitcnt lgkmcnt(0)
	s_barrier
	buffer_gl0_inv
	ds_read_b64 v[248:249], v1
	s_mov_b32 s1, exec_lo
	v_cmpx_lt_u32_e32 29, v0
	s_cbranch_execz .LBB89_151
; %bb.150:
	s_waitcnt lgkmcnt(0)
	v_mul_f64 v[144:145], v[248:249], v[144:145]
	ds_read2_b64 v[184:187], v202 offset0:30 offset1:31
	s_waitcnt lgkmcnt(0)
	v_fma_f64 v[146:147], -v[144:145], v[184:185], v[146:147]
	v_fma_f64 v[142:143], -v[144:145], v[186:187], v[142:143]
	ds_read2_b64 v[184:187], v202 offset0:32 offset1:33
	s_waitcnt lgkmcnt(0)
	v_fma_f64 v[172:173], -v[144:145], v[184:185], v[172:173]
	v_fma_f64 v[160:161], -v[144:145], v[186:187], v[160:161]
	;; [unrolled: 4-line block ×6, first 2 shown]
	ds_read2_b64 v[184:187], v202 offset0:42 offset1:43
	s_waitcnt lgkmcnt(0)
	v_fma_f64 v[162:163], -v[144:145], v[184:185], v[162:163]
	ds_read_b64 v[184:185], v202 offset:352
	v_fma_f64 v[150:151], -v[144:145], v[186:187], v[150:151]
	s_waitcnt lgkmcnt(0)
	v_fma_f64 v[174:175], -v[144:145], v[184:185], v[174:175]
.LBB89_151:
	s_or_b32 exec_lo, exec_lo, s1
	s_mov_b32 s1, exec_lo
	s_waitcnt lgkmcnt(0)
	s_barrier
	buffer_gl0_inv
	v_cmpx_eq_u32_e32 30, v0
	s_cbranch_execz .LBB89_154
; %bb.152:
	ds_write_b64 v1, v[146:147]
	ds_write2_b64 v202, v[142:143], v[172:173] offset0:31 offset1:32
	ds_write2_b64 v202, v[160:161], v[170:171] offset0:33 offset1:34
	;; [unrolled: 1-line block ×7, first 2 shown]
	ds_read_b64 v[184:185], v1
	s_waitcnt lgkmcnt(0)
	v_cmp_neq_f64_e32 vcc_lo, 0, v[184:185]
	s_and_b32 exec_lo, exec_lo, vcc_lo
	s_cbranch_execz .LBB89_154
; %bb.153:
	v_div_scale_f64 v[186:187], null, v[184:185], v[184:185], 1.0
	v_rcp_f64_e32 v[188:189], v[186:187]
	v_fma_f64 v[190:191], -v[186:187], v[188:189], 1.0
	v_fma_f64 v[188:189], v[188:189], v[190:191], v[188:189]
	v_fma_f64 v[190:191], -v[186:187], v[188:189], 1.0
	v_fma_f64 v[188:189], v[188:189], v[190:191], v[188:189]
	v_div_scale_f64 v[190:191], vcc_lo, 1.0, v[184:185], 1.0
	v_mul_f64 v[192:193], v[190:191], v[188:189]
	v_fma_f64 v[186:187], -v[186:187], v[192:193], v[190:191]
	v_div_fmas_f64 v[186:187], v[186:187], v[188:189], v[192:193]
	v_div_fixup_f64 v[184:185], v[186:187], v[184:185], 1.0
	ds_write_b64 v1, v[184:185]
.LBB89_154:
	s_or_b32 exec_lo, exec_lo, s1
	s_waitcnt lgkmcnt(0)
	s_barrier
	buffer_gl0_inv
	ds_read_b64 v[250:251], v1
	s_mov_b32 s1, exec_lo
	v_cmpx_lt_u32_e32 30, v0
	s_cbranch_execz .LBB89_156
; %bb.155:
	s_waitcnt lgkmcnt(0)
	v_mul_f64 v[146:147], v[250:251], v[146:147]
	ds_read2_b64 v[184:187], v202 offset0:31 offset1:32
	s_waitcnt lgkmcnt(0)
	v_fma_f64 v[142:143], -v[146:147], v[184:185], v[142:143]
	v_fma_f64 v[172:173], -v[146:147], v[186:187], v[172:173]
	ds_read2_b64 v[184:187], v202 offset0:33 offset1:34
	s_waitcnt lgkmcnt(0)
	v_fma_f64 v[160:161], -v[146:147], v[184:185], v[160:161]
	v_fma_f64 v[170:171], -v[146:147], v[186:187], v[170:171]
	;; [unrolled: 4-line block ×7, first 2 shown]
.LBB89_156:
	s_or_b32 exec_lo, exec_lo, s1
	s_mov_b32 s1, exec_lo
	s_waitcnt lgkmcnt(0)
	s_barrier
	buffer_gl0_inv
	v_cmpx_eq_u32_e32 31, v0
	s_cbranch_execz .LBB89_159
; %bb.157:
	v_mov_b32_e32 v184, v172
	v_mov_b32_e32 v185, v173
	;; [unrolled: 1-line block ×4, first 2 shown]
	ds_write_b64 v1, v[142:143]
	ds_write2_b64 v202, v[184:185], v[186:187] offset0:32 offset1:33
	v_mov_b32_e32 v184, v170
	v_mov_b32_e32 v185, v171
	v_mov_b32_e32 v186, v158
	v_mov_b32_e32 v187, v159
	ds_write2_b64 v202, v[184:185], v[186:187] offset0:34 offset1:35
	v_mov_b32_e32 v184, v168
	v_mov_b32_e32 v185, v169
	v_mov_b32_e32 v186, v156
	v_mov_b32_e32 v187, v157
	;; [unrolled: 5-line block ×5, first 2 shown]
	ds_write2_b64 v202, v[184:185], v[186:187] offset0:42 offset1:43
	ds_write_b64 v202, v[174:175] offset:352
	ds_read_b64 v[184:185], v1
	s_waitcnt lgkmcnt(0)
	v_cmp_neq_f64_e32 vcc_lo, 0, v[184:185]
	s_and_b32 exec_lo, exec_lo, vcc_lo
	s_cbranch_execz .LBB89_159
; %bb.158:
	v_div_scale_f64 v[186:187], null, v[184:185], v[184:185], 1.0
	v_rcp_f64_e32 v[188:189], v[186:187]
	v_fma_f64 v[190:191], -v[186:187], v[188:189], 1.0
	v_fma_f64 v[188:189], v[188:189], v[190:191], v[188:189]
	v_fma_f64 v[190:191], -v[186:187], v[188:189], 1.0
	v_fma_f64 v[188:189], v[188:189], v[190:191], v[188:189]
	v_div_scale_f64 v[190:191], vcc_lo, 1.0, v[184:185], 1.0
	v_mul_f64 v[192:193], v[190:191], v[188:189]
	v_fma_f64 v[186:187], -v[186:187], v[192:193], v[190:191]
	v_div_fmas_f64 v[186:187], v[186:187], v[188:189], v[192:193]
	v_div_fixup_f64 v[184:185], v[186:187], v[184:185], 1.0
	ds_write_b64 v1, v[184:185]
.LBB89_159:
	s_or_b32 exec_lo, exec_lo, s1
	s_waitcnt lgkmcnt(0)
	s_barrier
	buffer_gl0_inv
	ds_read_b64 v[252:253], v1
	s_mov_b32 s1, exec_lo
	v_cmpx_lt_u32_e32 31, v0
	s_cbranch_execz .LBB89_161
; %bb.160:
	s_waitcnt lgkmcnt(0)
	v_mul_f64 v[142:143], v[252:253], v[142:143]
	ds_read2_b64 v[184:187], v202 offset0:32 offset1:33
	s_waitcnt lgkmcnt(0)
	v_fma_f64 v[172:173], -v[142:143], v[184:185], v[172:173]
	v_fma_f64 v[160:161], -v[142:143], v[186:187], v[160:161]
	ds_read2_b64 v[184:187], v202 offset0:34 offset1:35
	s_waitcnt lgkmcnt(0)
	v_fma_f64 v[170:171], -v[142:143], v[184:185], v[170:171]
	v_fma_f64 v[158:159], -v[142:143], v[186:187], v[158:159]
	;; [unrolled: 4-line block ×5, first 2 shown]
	ds_read2_b64 v[184:187], v202 offset0:42 offset1:43
	s_waitcnt lgkmcnt(0)
	v_fma_f64 v[162:163], -v[142:143], v[184:185], v[162:163]
	ds_read_b64 v[184:185], v202 offset:352
	v_fma_f64 v[150:151], -v[142:143], v[186:187], v[150:151]
	s_waitcnt lgkmcnt(0)
	v_fma_f64 v[174:175], -v[142:143], v[184:185], v[174:175]
.LBB89_161:
	s_or_b32 exec_lo, exec_lo, s1
	s_mov_b32 s1, exec_lo
	s_waitcnt lgkmcnt(0)
	s_barrier
	buffer_gl0_inv
	v_cmpx_eq_u32_e32 32, v0
	s_cbranch_execz .LBB89_164
; %bb.162:
	ds_write_b64 v1, v[172:173]
	ds_write2_b64 v202, v[160:161], v[170:171] offset0:33 offset1:34
	ds_write2_b64 v202, v[158:159], v[168:169] offset0:35 offset1:36
	;; [unrolled: 1-line block ×6, first 2 shown]
	ds_read_b64 v[184:185], v1
	s_waitcnt lgkmcnt(0)
	v_cmp_neq_f64_e32 vcc_lo, 0, v[184:185]
	s_and_b32 exec_lo, exec_lo, vcc_lo
	s_cbranch_execz .LBB89_164
; %bb.163:
	v_div_scale_f64 v[186:187], null, v[184:185], v[184:185], 1.0
	v_rcp_f64_e32 v[188:189], v[186:187]
	v_fma_f64 v[190:191], -v[186:187], v[188:189], 1.0
	v_fma_f64 v[188:189], v[188:189], v[190:191], v[188:189]
	v_fma_f64 v[190:191], -v[186:187], v[188:189], 1.0
	v_fma_f64 v[188:189], v[188:189], v[190:191], v[188:189]
	v_div_scale_f64 v[190:191], vcc_lo, 1.0, v[184:185], 1.0
	v_mul_f64 v[192:193], v[190:191], v[188:189]
	v_fma_f64 v[186:187], -v[186:187], v[192:193], v[190:191]
	v_div_fmas_f64 v[186:187], v[186:187], v[188:189], v[192:193]
	v_div_fixup_f64 v[184:185], v[186:187], v[184:185], 1.0
	ds_write_b64 v1, v[184:185]
.LBB89_164:
	s_or_b32 exec_lo, exec_lo, s1
	s_waitcnt lgkmcnt(0)
	s_barrier
	buffer_gl0_inv
	ds_read_b64 v[254:255], v1
	s_mov_b32 s1, exec_lo
	v_cmpx_lt_u32_e32 32, v0
	s_cbranch_execz .LBB89_166
; %bb.165:
	s_waitcnt lgkmcnt(0)
	v_mul_f64 v[172:173], v[254:255], v[172:173]
	ds_read2_b64 v[184:187], v202 offset0:33 offset1:34
	s_waitcnt lgkmcnt(0)
	v_fma_f64 v[160:161], -v[172:173], v[184:185], v[160:161]
	v_fma_f64 v[170:171], -v[172:173], v[186:187], v[170:171]
	ds_read2_b64 v[184:187], v202 offset0:35 offset1:36
	s_waitcnt lgkmcnt(0)
	v_fma_f64 v[158:159], -v[172:173], v[184:185], v[158:159]
	v_fma_f64 v[168:169], -v[172:173], v[186:187], v[168:169]
	;; [unrolled: 4-line block ×6, first 2 shown]
.LBB89_166:
	s_or_b32 exec_lo, exec_lo, s1
	s_mov_b32 s1, exec_lo
	s_waitcnt lgkmcnt(0)
	s_barrier
	buffer_gl0_inv
	v_cmpx_eq_u32_e32 33, v0
	s_cbranch_execz .LBB89_169
; %bb.167:
	v_mov_b32_e32 v184, v170
	v_mov_b32_e32 v185, v171
	;; [unrolled: 1-line block ×4, first 2 shown]
	ds_write_b64 v1, v[160:161]
	ds_write2_b64 v202, v[184:185], v[186:187] offset0:34 offset1:35
	v_mov_b32_e32 v184, v168
	v_mov_b32_e32 v185, v169
	v_mov_b32_e32 v186, v156
	v_mov_b32_e32 v187, v157
	ds_write2_b64 v202, v[184:185], v[186:187] offset0:36 offset1:37
	v_mov_b32_e32 v184, v166
	v_mov_b32_e32 v185, v167
	v_mov_b32_e32 v186, v154
	v_mov_b32_e32 v187, v155
	;; [unrolled: 5-line block ×4, first 2 shown]
	ds_write2_b64 v202, v[184:185], v[186:187] offset0:42 offset1:43
	ds_write_b64 v202, v[174:175] offset:352
	ds_read_b64 v[184:185], v1
	s_waitcnt lgkmcnt(0)
	v_cmp_neq_f64_e32 vcc_lo, 0, v[184:185]
	s_and_b32 exec_lo, exec_lo, vcc_lo
	s_cbranch_execz .LBB89_169
; %bb.168:
	v_div_scale_f64 v[186:187], null, v[184:185], v[184:185], 1.0
	v_rcp_f64_e32 v[188:189], v[186:187]
	v_fma_f64 v[190:191], -v[186:187], v[188:189], 1.0
	v_fma_f64 v[188:189], v[188:189], v[190:191], v[188:189]
	v_fma_f64 v[190:191], -v[186:187], v[188:189], 1.0
	v_fma_f64 v[188:189], v[188:189], v[190:191], v[188:189]
	v_div_scale_f64 v[190:191], vcc_lo, 1.0, v[184:185], 1.0
	v_mul_f64 v[192:193], v[190:191], v[188:189]
	v_fma_f64 v[186:187], -v[186:187], v[192:193], v[190:191]
	v_div_fmas_f64 v[186:187], v[186:187], v[188:189], v[192:193]
	v_div_fixup_f64 v[184:185], v[186:187], v[184:185], 1.0
	ds_write_b64 v1, v[184:185]
.LBB89_169:
	s_or_b32 exec_lo, exec_lo, s1
	s_waitcnt lgkmcnt(0)
	s_barrier
	buffer_gl0_inv
	ds_read_b64 v[184:185], v1
	s_mov_b32 s1, exec_lo
	s_waitcnt lgkmcnt(0)
	buffer_store_dword v184, off, s[12:15], 0 offset:72 ; 4-byte Folded Spill
	buffer_store_dword v185, off, s[12:15], 0 offset:76 ; 4-byte Folded Spill
	v_cmpx_lt_u32_e32 33, v0
	s_cbranch_execz .LBB89_171
; %bb.170:
	s_clause 0x1
	buffer_load_dword v184, off, s[12:15], 0 offset:72
	buffer_load_dword v185, off, s[12:15], 0 offset:76
	s_waitcnt vmcnt(0)
	v_mul_f64 v[160:161], v[184:185], v[160:161]
	ds_read2_b64 v[184:187], v202 offset0:34 offset1:35
	s_waitcnt lgkmcnt(0)
	v_fma_f64 v[170:171], -v[160:161], v[184:185], v[170:171]
	v_fma_f64 v[158:159], -v[160:161], v[186:187], v[158:159]
	ds_read2_b64 v[184:187], v202 offset0:36 offset1:37
	s_waitcnt lgkmcnt(0)
	v_fma_f64 v[168:169], -v[160:161], v[184:185], v[168:169]
	v_fma_f64 v[156:157], -v[160:161], v[186:187], v[156:157]
	;; [unrolled: 4-line block ×4, first 2 shown]
	ds_read2_b64 v[184:187], v202 offset0:42 offset1:43
	s_waitcnt lgkmcnt(0)
	v_fma_f64 v[162:163], -v[160:161], v[184:185], v[162:163]
	ds_read_b64 v[184:185], v202 offset:352
	v_fma_f64 v[150:151], -v[160:161], v[186:187], v[150:151]
	s_waitcnt lgkmcnt(0)
	v_fma_f64 v[174:175], -v[160:161], v[184:185], v[174:175]
.LBB89_171:
	s_or_b32 exec_lo, exec_lo, s1
	s_mov_b32 s1, exec_lo
	s_waitcnt_vscnt null, 0x0
	s_barrier
	buffer_gl0_inv
	v_cmpx_eq_u32_e32 34, v0
	s_cbranch_execz .LBB89_174
; %bb.172:
	ds_write_b64 v1, v[170:171]
	ds_write2_b64 v202, v[158:159], v[168:169] offset0:35 offset1:36
	ds_write2_b64 v202, v[156:157], v[166:167] offset0:37 offset1:38
	;; [unrolled: 1-line block ×5, first 2 shown]
	ds_read_b64 v[184:185], v1
	s_waitcnt lgkmcnt(0)
	v_cmp_neq_f64_e32 vcc_lo, 0, v[184:185]
	s_and_b32 exec_lo, exec_lo, vcc_lo
	s_cbranch_execz .LBB89_174
; %bb.173:
	v_div_scale_f64 v[186:187], null, v[184:185], v[184:185], 1.0
	v_rcp_f64_e32 v[188:189], v[186:187]
	v_fma_f64 v[190:191], -v[186:187], v[188:189], 1.0
	v_fma_f64 v[188:189], v[188:189], v[190:191], v[188:189]
	v_fma_f64 v[190:191], -v[186:187], v[188:189], 1.0
	v_fma_f64 v[188:189], v[188:189], v[190:191], v[188:189]
	v_div_scale_f64 v[190:191], vcc_lo, 1.0, v[184:185], 1.0
	v_mul_f64 v[192:193], v[190:191], v[188:189]
	v_fma_f64 v[186:187], -v[186:187], v[192:193], v[190:191]
	v_div_fmas_f64 v[186:187], v[186:187], v[188:189], v[192:193]
	v_div_fixup_f64 v[184:185], v[186:187], v[184:185], 1.0
	ds_write_b64 v1, v[184:185]
.LBB89_174:
	s_or_b32 exec_lo, exec_lo, s1
	s_waitcnt lgkmcnt(0)
	s_barrier
	buffer_gl0_inv
	ds_read_b64 v[184:185], v1
	s_mov_b32 s1, exec_lo
	s_waitcnt lgkmcnt(0)
	buffer_store_dword v184, off, s[12:15], 0 offset:80 ; 4-byte Folded Spill
	buffer_store_dword v185, off, s[12:15], 0 offset:84 ; 4-byte Folded Spill
	v_cmpx_lt_u32_e32 34, v0
	s_cbranch_execz .LBB89_176
; %bb.175:
	s_clause 0x1
	buffer_load_dword v184, off, s[12:15], 0 offset:80
	buffer_load_dword v185, off, s[12:15], 0 offset:84
	s_waitcnt vmcnt(0)
	v_mul_f64 v[170:171], v[184:185], v[170:171]
	ds_read2_b64 v[184:187], v202 offset0:35 offset1:36
	s_waitcnt lgkmcnt(0)
	v_fma_f64 v[158:159], -v[170:171], v[184:185], v[158:159]
	v_fma_f64 v[168:169], -v[170:171], v[186:187], v[168:169]
	ds_read2_b64 v[184:187], v202 offset0:37 offset1:38
	s_waitcnt lgkmcnt(0)
	v_fma_f64 v[156:157], -v[170:171], v[184:185], v[156:157]
	v_fma_f64 v[166:167], -v[170:171], v[186:187], v[166:167]
	;; [unrolled: 4-line block ×5, first 2 shown]
.LBB89_176:
	s_or_b32 exec_lo, exec_lo, s1
	s_mov_b32 s1, exec_lo
	s_waitcnt_vscnt null, 0x0
	s_barrier
	buffer_gl0_inv
	v_cmpx_eq_u32_e32 35, v0
	s_cbranch_execz .LBB89_179
; %bb.177:
	v_mov_b32_e32 v184, v168
	v_mov_b32_e32 v185, v169
	;; [unrolled: 1-line block ×4, first 2 shown]
	ds_write_b64 v1, v[158:159]
	ds_write2_b64 v202, v[184:185], v[186:187] offset0:36 offset1:37
	v_mov_b32_e32 v184, v166
	v_mov_b32_e32 v185, v167
	v_mov_b32_e32 v186, v154
	v_mov_b32_e32 v187, v155
	ds_write2_b64 v202, v[184:185], v[186:187] offset0:38 offset1:39
	v_mov_b32_e32 v184, v164
	v_mov_b32_e32 v185, v165
	v_mov_b32_e32 v186, v152
	v_mov_b32_e32 v187, v153
	;; [unrolled: 5-line block ×3, first 2 shown]
	ds_write2_b64 v202, v[184:185], v[186:187] offset0:42 offset1:43
	ds_write_b64 v202, v[174:175] offset:352
	ds_read_b64 v[184:185], v1
	s_waitcnt lgkmcnt(0)
	v_cmp_neq_f64_e32 vcc_lo, 0, v[184:185]
	s_and_b32 exec_lo, exec_lo, vcc_lo
	s_cbranch_execz .LBB89_179
; %bb.178:
	v_div_scale_f64 v[186:187], null, v[184:185], v[184:185], 1.0
	v_rcp_f64_e32 v[188:189], v[186:187]
	v_fma_f64 v[190:191], -v[186:187], v[188:189], 1.0
	v_fma_f64 v[188:189], v[188:189], v[190:191], v[188:189]
	v_fma_f64 v[190:191], -v[186:187], v[188:189], 1.0
	v_fma_f64 v[188:189], v[188:189], v[190:191], v[188:189]
	v_div_scale_f64 v[190:191], vcc_lo, 1.0, v[184:185], 1.0
	v_mul_f64 v[192:193], v[190:191], v[188:189]
	v_fma_f64 v[186:187], -v[186:187], v[192:193], v[190:191]
	v_div_fmas_f64 v[186:187], v[186:187], v[188:189], v[192:193]
	v_div_fixup_f64 v[184:185], v[186:187], v[184:185], 1.0
	ds_write_b64 v1, v[184:185]
.LBB89_179:
	s_or_b32 exec_lo, exec_lo, s1
	s_waitcnt lgkmcnt(0)
	s_barrier
	buffer_gl0_inv
	ds_read_b64 v[184:185], v1
	s_mov_b32 s1, exec_lo
	s_waitcnt lgkmcnt(0)
	buffer_store_dword v184, off, s[12:15], 0 offset:88 ; 4-byte Folded Spill
	buffer_store_dword v185, off, s[12:15], 0 offset:92 ; 4-byte Folded Spill
	v_cmpx_lt_u32_e32 35, v0
	s_cbranch_execz .LBB89_181
; %bb.180:
	s_clause 0x1
	buffer_load_dword v184, off, s[12:15], 0 offset:88
	buffer_load_dword v185, off, s[12:15], 0 offset:92
	s_waitcnt vmcnt(0)
	v_mul_f64 v[158:159], v[184:185], v[158:159]
	ds_read2_b64 v[184:187], v202 offset0:36 offset1:37
	s_waitcnt lgkmcnt(0)
	v_fma_f64 v[168:169], -v[158:159], v[184:185], v[168:169]
	v_fma_f64 v[156:157], -v[158:159], v[186:187], v[156:157]
	ds_read2_b64 v[184:187], v202 offset0:38 offset1:39
	s_waitcnt lgkmcnt(0)
	v_fma_f64 v[166:167], -v[158:159], v[184:185], v[166:167]
	v_fma_f64 v[154:155], -v[158:159], v[186:187], v[154:155]
	;; [unrolled: 4-line block ×3, first 2 shown]
	ds_read2_b64 v[184:187], v202 offset0:42 offset1:43
	s_waitcnt lgkmcnt(0)
	v_fma_f64 v[162:163], -v[158:159], v[184:185], v[162:163]
	ds_read_b64 v[184:185], v202 offset:352
	v_fma_f64 v[150:151], -v[158:159], v[186:187], v[150:151]
	s_waitcnt lgkmcnt(0)
	v_fma_f64 v[174:175], -v[158:159], v[184:185], v[174:175]
.LBB89_181:
	s_or_b32 exec_lo, exec_lo, s1
	s_mov_b32 s1, exec_lo
	s_waitcnt_vscnt null, 0x0
	s_barrier
	buffer_gl0_inv
	v_cmpx_eq_u32_e32 36, v0
	s_cbranch_execz .LBB89_184
; %bb.182:
	ds_write_b64 v1, v[168:169]
	ds_write2_b64 v202, v[156:157], v[166:167] offset0:37 offset1:38
	ds_write2_b64 v202, v[154:155], v[164:165] offset0:39 offset1:40
	ds_write2_b64 v202, v[152:153], v[162:163] offset0:41 offset1:42
	ds_write2_b64 v202, v[150:151], v[174:175] offset0:43 offset1:44
	ds_read_b64 v[184:185], v1
	s_waitcnt lgkmcnt(0)
	v_cmp_neq_f64_e32 vcc_lo, 0, v[184:185]
	s_and_b32 exec_lo, exec_lo, vcc_lo
	s_cbranch_execz .LBB89_184
; %bb.183:
	v_div_scale_f64 v[186:187], null, v[184:185], v[184:185], 1.0
	v_rcp_f64_e32 v[188:189], v[186:187]
	v_fma_f64 v[190:191], -v[186:187], v[188:189], 1.0
	v_fma_f64 v[188:189], v[188:189], v[190:191], v[188:189]
	v_fma_f64 v[190:191], -v[186:187], v[188:189], 1.0
	v_fma_f64 v[188:189], v[188:189], v[190:191], v[188:189]
	v_div_scale_f64 v[190:191], vcc_lo, 1.0, v[184:185], 1.0
	v_mul_f64 v[192:193], v[190:191], v[188:189]
	v_fma_f64 v[186:187], -v[186:187], v[192:193], v[190:191]
	v_div_fmas_f64 v[186:187], v[186:187], v[188:189], v[192:193]
	v_div_fixup_f64 v[184:185], v[186:187], v[184:185], 1.0
	ds_write_b64 v1, v[184:185]
.LBB89_184:
	s_or_b32 exec_lo, exec_lo, s1
	s_waitcnt lgkmcnt(0)
	s_barrier
	buffer_gl0_inv
	ds_read_b64 v[184:185], v1
	s_mov_b32 s1, exec_lo
	v_cmpx_lt_u32_e32 36, v0
	s_cbranch_execz .LBB89_186
; %bb.185:
	s_waitcnt lgkmcnt(0)
	v_mul_f64 v[168:169], v[184:185], v[168:169]
	ds_read2_b64 v[186:189], v202 offset0:37 offset1:38
	s_waitcnt lgkmcnt(0)
	v_fma_f64 v[156:157], -v[168:169], v[186:187], v[156:157]
	v_fma_f64 v[166:167], -v[168:169], v[188:189], v[166:167]
	ds_read2_b64 v[186:189], v202 offset0:39 offset1:40
	s_waitcnt lgkmcnt(0)
	v_fma_f64 v[154:155], -v[168:169], v[186:187], v[154:155]
	v_fma_f64 v[164:165], -v[168:169], v[188:189], v[164:165]
	;; [unrolled: 4-line block ×4, first 2 shown]
.LBB89_186:
	s_or_b32 exec_lo, exec_lo, s1
	s_mov_b32 s1, exec_lo
	s_waitcnt lgkmcnt(0)
	s_barrier
	buffer_gl0_inv
	v_cmpx_eq_u32_e32 37, v0
	s_cbranch_execz .LBB89_189
; %bb.187:
	v_mov_b32_e32 v186, v166
	v_mov_b32_e32 v187, v167
	;; [unrolled: 1-line block ×4, first 2 shown]
	ds_write_b64 v1, v[156:157]
	ds_write2_b64 v202, v[186:187], v[188:189] offset0:38 offset1:39
	v_mov_b32_e32 v186, v164
	v_mov_b32_e32 v187, v165
	v_mov_b32_e32 v188, v152
	v_mov_b32_e32 v189, v153
	ds_write2_b64 v202, v[186:187], v[188:189] offset0:40 offset1:41
	v_mov_b32_e32 v186, v162
	v_mov_b32_e32 v187, v163
	;; [unrolled: 1-line block ×4, first 2 shown]
	ds_write2_b64 v202, v[186:187], v[188:189] offset0:42 offset1:43
	ds_write_b64 v202, v[174:175] offset:352
	ds_read_b64 v[186:187], v1
	s_waitcnt lgkmcnt(0)
	v_cmp_neq_f64_e32 vcc_lo, 0, v[186:187]
	s_and_b32 exec_lo, exec_lo, vcc_lo
	s_cbranch_execz .LBB89_189
; %bb.188:
	v_div_scale_f64 v[188:189], null, v[186:187], v[186:187], 1.0
	v_rcp_f64_e32 v[190:191], v[188:189]
	v_fma_f64 v[192:193], -v[188:189], v[190:191], 1.0
	v_fma_f64 v[190:191], v[190:191], v[192:193], v[190:191]
	v_fma_f64 v[192:193], -v[188:189], v[190:191], 1.0
	v_fma_f64 v[190:191], v[190:191], v[192:193], v[190:191]
	v_div_scale_f64 v[192:193], vcc_lo, 1.0, v[186:187], 1.0
	v_mul_f64 v[194:195], v[192:193], v[190:191]
	v_fma_f64 v[188:189], -v[188:189], v[194:195], v[192:193]
	v_div_fmas_f64 v[188:189], v[188:189], v[190:191], v[194:195]
	v_div_fixup_f64 v[186:187], v[188:189], v[186:187], 1.0
	ds_write_b64 v1, v[186:187]
.LBB89_189:
	s_or_b32 exec_lo, exec_lo, s1
	s_waitcnt lgkmcnt(0)
	s_barrier
	buffer_gl0_inv
	ds_read_b64 v[188:189], v1
	s_mov_b32 s1, exec_lo
	v_cmpx_lt_u32_e32 37, v0
	s_cbranch_execz .LBB89_191
; %bb.190:
	s_waitcnt lgkmcnt(0)
	v_mul_f64 v[156:157], v[188:189], v[156:157]
	ds_read2_b64 v[190:193], v202 offset0:38 offset1:39
	ds_read_b64 v[186:187], v202 offset:352
	s_waitcnt lgkmcnt(1)
	v_fma_f64 v[166:167], -v[156:157], v[190:191], v[166:167]
	v_fma_f64 v[154:155], -v[156:157], v[192:193], v[154:155]
	ds_read2_b64 v[190:193], v202 offset0:40 offset1:41
	s_waitcnt lgkmcnt(1)
	v_fma_f64 v[174:175], -v[156:157], v[186:187], v[174:175]
	s_waitcnt lgkmcnt(0)
	v_fma_f64 v[164:165], -v[156:157], v[190:191], v[164:165]
	v_fma_f64 v[152:153], -v[156:157], v[192:193], v[152:153]
	ds_read2_b64 v[190:193], v202 offset0:42 offset1:43
	s_waitcnt lgkmcnt(0)
	v_fma_f64 v[162:163], -v[156:157], v[190:191], v[162:163]
	v_fma_f64 v[150:151], -v[156:157], v[192:193], v[150:151]
.LBB89_191:
	s_or_b32 exec_lo, exec_lo, s1
	s_mov_b32 s1, exec_lo
	s_waitcnt lgkmcnt(0)
	s_barrier
	buffer_gl0_inv
	v_cmpx_eq_u32_e32 38, v0
	s_cbranch_execz .LBB89_194
; %bb.192:
	ds_write_b64 v1, v[166:167]
	ds_write2_b64 v202, v[154:155], v[164:165] offset0:39 offset1:40
	ds_write2_b64 v202, v[152:153], v[162:163] offset0:41 offset1:42
	;; [unrolled: 1-line block ×3, first 2 shown]
	ds_read_b64 v[186:187], v1
	s_waitcnt lgkmcnt(0)
	v_cmp_neq_f64_e32 vcc_lo, 0, v[186:187]
	s_and_b32 exec_lo, exec_lo, vcc_lo
	s_cbranch_execz .LBB89_194
; %bb.193:
	v_div_scale_f64 v[190:191], null, v[186:187], v[186:187], 1.0
	v_rcp_f64_e32 v[192:193], v[190:191]
	v_fma_f64 v[194:195], -v[190:191], v[192:193], 1.0
	v_fma_f64 v[192:193], v[192:193], v[194:195], v[192:193]
	v_fma_f64 v[194:195], -v[190:191], v[192:193], 1.0
	v_fma_f64 v[192:193], v[192:193], v[194:195], v[192:193]
	v_div_scale_f64 v[194:195], vcc_lo, 1.0, v[186:187], 1.0
	v_mul_f64 v[196:197], v[194:195], v[192:193]
	v_fma_f64 v[190:191], -v[190:191], v[196:197], v[194:195]
	v_div_fmas_f64 v[190:191], v[190:191], v[192:193], v[196:197]
	v_div_fixup_f64 v[186:187], v[190:191], v[186:187], 1.0
	ds_write_b64 v1, v[186:187]
.LBB89_194:
	s_or_b32 exec_lo, exec_lo, s1
	s_waitcnt lgkmcnt(0)
	s_barrier
	buffer_gl0_inv
	ds_read_b64 v[186:187], v1
	s_mov_b32 s1, exec_lo
	v_cmpx_lt_u32_e32 38, v0
	s_cbranch_execz .LBB89_196
; %bb.195:
	s_waitcnt lgkmcnt(0)
	v_mul_f64 v[166:167], v[186:187], v[166:167]
	ds_read2_b64 v[192:195], v202 offset0:39 offset1:40
	s_waitcnt lgkmcnt(0)
	v_fma_f64 v[154:155], -v[166:167], v[192:193], v[154:155]
	v_fma_f64 v[164:165], -v[166:167], v[194:195], v[164:165]
	ds_read2_b64 v[192:195], v202 offset0:41 offset1:42
	s_waitcnt lgkmcnt(0)
	v_fma_f64 v[152:153], -v[166:167], v[192:193], v[152:153]
	v_fma_f64 v[162:163], -v[166:167], v[194:195], v[162:163]
	;; [unrolled: 4-line block ×3, first 2 shown]
.LBB89_196:
	s_or_b32 exec_lo, exec_lo, s1
	s_mov_b32 s1, exec_lo
	s_waitcnt lgkmcnt(0)
	buffer_store_dword v186, off, s[12:15], 0 offset:96 ; 4-byte Folded Spill
	buffer_store_dword v187, off, s[12:15], 0 offset:100 ; 4-byte Folded Spill
	s_waitcnt_vscnt null, 0x0
	s_barrier
	buffer_gl0_inv
	v_cmpx_eq_u32_e32 39, v0
	s_cbranch_execz .LBB89_199
; %bb.197:
	v_mov_b32_e32 v186, v164
	v_mov_b32_e32 v187, v165
	;; [unrolled: 1-line block ×4, first 2 shown]
	ds_write_b64 v1, v[154:155]
	ds_write2_b64 v202, v[186:187], v[192:193] offset0:40 offset1:41
	v_mov_b32_e32 v186, v162
	v_mov_b32_e32 v187, v163
	;; [unrolled: 1-line block ×4, first 2 shown]
	ds_write2_b64 v202, v[186:187], v[192:193] offset0:42 offset1:43
	ds_write_b64 v202, v[174:175] offset:352
	ds_read_b64 v[186:187], v1
	s_waitcnt lgkmcnt(0)
	v_cmp_neq_f64_e32 vcc_lo, 0, v[186:187]
	s_and_b32 exec_lo, exec_lo, vcc_lo
	s_cbranch_execz .LBB89_199
; %bb.198:
	v_div_scale_f64 v[192:193], null, v[186:187], v[186:187], 1.0
	v_rcp_f64_e32 v[194:195], v[192:193]
	v_fma_f64 v[196:197], -v[192:193], v[194:195], 1.0
	v_fma_f64 v[194:195], v[194:195], v[196:197], v[194:195]
	v_fma_f64 v[196:197], -v[192:193], v[194:195], 1.0
	v_fma_f64 v[194:195], v[194:195], v[196:197], v[194:195]
	v_div_scale_f64 v[196:197], vcc_lo, 1.0, v[186:187], 1.0
	v_mul_f64 v[198:199], v[196:197], v[194:195]
	v_fma_f64 v[192:193], -v[192:193], v[198:199], v[196:197]
	v_div_fmas_f64 v[192:193], v[192:193], v[194:195], v[198:199]
	v_div_fixup_f64 v[186:187], v[192:193], v[186:187], 1.0
	ds_write_b64 v1, v[186:187]
.LBB89_199:
	s_or_b32 exec_lo, exec_lo, s1
	s_waitcnt lgkmcnt(0)
	s_barrier
	buffer_gl0_inv
	ds_read_b64 v[192:193], v1
	s_mov_b32 s1, exec_lo
	v_cmpx_lt_u32_e32 39, v0
	s_cbranch_execz .LBB89_201
; %bb.200:
	s_waitcnt lgkmcnt(0)
	v_mul_f64 v[154:155], v[192:193], v[154:155]
	ds_read2_b64 v[194:197], v202 offset0:40 offset1:41
	ds_read_b64 v[186:187], v202 offset:352
	s_waitcnt lgkmcnt(1)
	v_fma_f64 v[164:165], -v[154:155], v[194:195], v[164:165]
	v_fma_f64 v[152:153], -v[154:155], v[196:197], v[152:153]
	ds_read2_b64 v[194:197], v202 offset0:42 offset1:43
	s_waitcnt lgkmcnt(1)
	v_fma_f64 v[174:175], -v[154:155], v[186:187], v[174:175]
	s_waitcnt lgkmcnt(0)
	v_fma_f64 v[162:163], -v[154:155], v[194:195], v[162:163]
	v_fma_f64 v[150:151], -v[154:155], v[196:197], v[150:151]
.LBB89_201:
	s_or_b32 exec_lo, exec_lo, s1
	s_mov_b32 s1, exec_lo
	s_waitcnt lgkmcnt(0)
	s_barrier
	buffer_gl0_inv
	v_cmpx_eq_u32_e32 40, v0
	s_cbranch_execz .LBB89_204
; %bb.202:
	ds_write_b64 v1, v[164:165]
	ds_write2_b64 v202, v[152:153], v[162:163] offset0:41 offset1:42
	ds_write2_b64 v202, v[150:151], v[174:175] offset0:43 offset1:44
	ds_read_b64 v[186:187], v1
	s_waitcnt lgkmcnt(0)
	v_cmp_neq_f64_e32 vcc_lo, 0, v[186:187]
	s_and_b32 exec_lo, exec_lo, vcc_lo
	s_cbranch_execz .LBB89_204
; %bb.203:
	v_div_scale_f64 v[194:195], null, v[186:187], v[186:187], 1.0
	v_rcp_f64_e32 v[196:197], v[194:195]
	v_fma_f64 v[198:199], -v[194:195], v[196:197], 1.0
	v_fma_f64 v[196:197], v[196:197], v[198:199], v[196:197]
	v_fma_f64 v[198:199], -v[194:195], v[196:197], 1.0
	v_fma_f64 v[196:197], v[196:197], v[198:199], v[196:197]
	v_div_scale_f64 v[198:199], vcc_lo, 1.0, v[186:187], 1.0
	v_mul_f64 v[200:201], v[198:199], v[196:197]
	v_fma_f64 v[194:195], -v[194:195], v[200:201], v[198:199]
	v_div_fmas_f64 v[194:195], v[194:195], v[196:197], v[200:201]
	v_div_fixup_f64 v[186:187], v[194:195], v[186:187], 1.0
	ds_write_b64 v1, v[186:187]
.LBB89_204:
	s_or_b32 exec_lo, exec_lo, s1
	s_waitcnt lgkmcnt(0)
	s_barrier
	buffer_gl0_inv
	ds_read_b64 v[194:195], v1
	s_mov_b32 s1, exec_lo
	v_cmpx_lt_u32_e32 40, v0
	s_cbranch_execz .LBB89_206
; %bb.205:
	s_waitcnt lgkmcnt(0)
	v_mul_f64 v[164:165], v[194:195], v[164:165]
	ds_read2_b64 v[196:199], v202 offset0:41 offset1:42
	s_waitcnt lgkmcnt(0)
	v_fma_f64 v[152:153], -v[164:165], v[196:197], v[152:153]
	v_fma_f64 v[162:163], -v[164:165], v[198:199], v[162:163]
	ds_read2_b64 v[196:199], v202 offset0:43 offset1:44
	s_waitcnt lgkmcnt(0)
	v_fma_f64 v[150:151], -v[164:165], v[196:197], v[150:151]
	v_fma_f64 v[174:175], -v[164:165], v[198:199], v[174:175]
.LBB89_206:
	s_or_b32 exec_lo, exec_lo, s1
	s_mov_b32 s1, exec_lo
	s_waitcnt lgkmcnt(0)
	s_barrier
	buffer_gl0_inv
	v_cmpx_eq_u32_e32 41, v0
	s_cbranch_execz .LBB89_209
; %bb.207:
	v_mov_b32_e32 v186, v162
	v_mov_b32_e32 v187, v163
	;; [unrolled: 1-line block ×4, first 2 shown]
	ds_write_b64 v1, v[152:153]
	ds_write2_b64 v202, v[186:187], v[196:197] offset0:42 offset1:43
	ds_write_b64 v202, v[174:175] offset:352
	ds_read_b64 v[186:187], v1
	s_waitcnt lgkmcnt(0)
	v_cmp_neq_f64_e32 vcc_lo, 0, v[186:187]
	s_and_b32 exec_lo, exec_lo, vcc_lo
	s_cbranch_execz .LBB89_209
; %bb.208:
	v_div_scale_f64 v[196:197], null, v[186:187], v[186:187], 1.0
	v_rcp_f64_e32 v[198:199], v[196:197]
	v_fma_f64 v[200:201], -v[196:197], v[198:199], 1.0
	v_fma_f64 v[198:199], v[198:199], v[200:201], v[198:199]
	v_fma_f64 v[200:201], -v[196:197], v[198:199], 1.0
	v_fma_f64 v[198:199], v[198:199], v[200:201], v[198:199]
	v_div_scale_f64 v[200:201], vcc_lo, 1.0, v[186:187], 1.0
	v_mul_f64 v[203:204], v[200:201], v[198:199]
	v_fma_f64 v[196:197], -v[196:197], v[203:204], v[200:201]
	v_div_fmas_f64 v[196:197], v[196:197], v[198:199], v[203:204]
	v_div_fixup_f64 v[186:187], v[196:197], v[186:187], 1.0
	ds_write_b64 v1, v[186:187]
.LBB89_209:
	s_or_b32 exec_lo, exec_lo, s1
	s_waitcnt lgkmcnt(0)
	s_barrier
	buffer_gl0_inv
	ds_read_b64 v[196:197], v1
	s_mov_b32 s1, exec_lo
	v_cmpx_lt_u32_e32 41, v0
	s_cbranch_execz .LBB89_211
; %bb.210:
	s_waitcnt lgkmcnt(0)
	v_mul_f64 v[152:153], v[196:197], v[152:153]
	ds_read2_b64 v[198:201], v202 offset0:42 offset1:43
	ds_read_b64 v[186:187], v202 offset:352
	s_waitcnt lgkmcnt(1)
	v_fma_f64 v[162:163], -v[152:153], v[198:199], v[162:163]
	v_fma_f64 v[150:151], -v[152:153], v[200:201], v[150:151]
	s_waitcnt lgkmcnt(0)
	v_fma_f64 v[174:175], -v[152:153], v[186:187], v[174:175]
.LBB89_211:
	s_or_b32 exec_lo, exec_lo, s1
	s_mov_b32 s1, exec_lo
	s_waitcnt lgkmcnt(0)
	s_barrier
	buffer_gl0_inv
	v_cmpx_eq_u32_e32 42, v0
	s_cbranch_execz .LBB89_214
; %bb.212:
	ds_write_b64 v1, v[162:163]
	ds_write2_b64 v202, v[150:151], v[174:175] offset0:43 offset1:44
	ds_read_b64 v[186:187], v1
	s_waitcnt lgkmcnt(0)
	v_cmp_neq_f64_e32 vcc_lo, 0, v[186:187]
	s_and_b32 exec_lo, exec_lo, vcc_lo
	s_cbranch_execz .LBB89_214
; %bb.213:
	v_div_scale_f64 v[198:199], null, v[186:187], v[186:187], 1.0
	v_rcp_f64_e32 v[200:201], v[198:199]
	v_fma_f64 v[203:204], -v[198:199], v[200:201], 1.0
	v_fma_f64 v[200:201], v[200:201], v[203:204], v[200:201]
	v_fma_f64 v[203:204], -v[198:199], v[200:201], 1.0
	v_fma_f64 v[200:201], v[200:201], v[203:204], v[200:201]
	v_div_scale_f64 v[203:204], vcc_lo, 1.0, v[186:187], 1.0
	v_mul_f64 v[205:206], v[203:204], v[200:201]
	v_fma_f64 v[198:199], -v[198:199], v[205:206], v[203:204]
	v_div_fmas_f64 v[198:199], v[198:199], v[200:201], v[205:206]
	v_div_fixup_f64 v[186:187], v[198:199], v[186:187], 1.0
	ds_write_b64 v1, v[186:187]
.LBB89_214:
	s_or_b32 exec_lo, exec_lo, s1
	s_waitcnt lgkmcnt(0)
	s_barrier
	buffer_gl0_inv
	ds_read_b64 v[198:199], v1
	s_mov_b32 s1, exec_lo
	v_cmpx_lt_u32_e32 42, v0
	s_cbranch_execz .LBB89_216
; %bb.215:
	s_waitcnt lgkmcnt(0)
	v_mul_f64 v[162:163], v[198:199], v[162:163]
	ds_read2_b64 v[203:206], v202 offset0:43 offset1:44
	s_waitcnt lgkmcnt(0)
	v_fma_f64 v[150:151], -v[162:163], v[203:204], v[150:151]
	v_fma_f64 v[174:175], -v[162:163], v[205:206], v[174:175]
.LBB89_216:
	s_or_b32 exec_lo, exec_lo, s1
	s_mov_b32 s1, exec_lo
	s_waitcnt lgkmcnt(0)
	s_barrier
	buffer_gl0_inv
	v_cmpx_eq_u32_e32 43, v0
	s_cbranch_execz .LBB89_219
; %bb.217:
	ds_write_b64 v1, v[150:151]
	ds_write_b64 v202, v[174:175] offset:352
	ds_read_b64 v[186:187], v1
	s_waitcnt lgkmcnt(0)
	v_cmp_neq_f64_e32 vcc_lo, 0, v[186:187]
	s_and_b32 exec_lo, exec_lo, vcc_lo
	s_cbranch_execz .LBB89_219
; %bb.218:
	v_div_scale_f64 v[200:201], null, v[186:187], v[186:187], 1.0
	v_mov_b32_e32 v191, v139
	v_mov_b32_e32 v190, v138
	;; [unrolled: 1-line block ×20, first 2 shown]
	v_rcp_f64_e32 v[203:204], v[200:201]
	v_mov_b32_e32 v251, v249
	v_mov_b32_e32 v250, v248
	;; [unrolled: 1-line block ×23, first 2 shown]
	v_fma_f64 v[205:206], -v[200:201], v[203:204], 1.0
	v_mov_b32_e32 v232, v230
	v_mov_b32_e32 v231, v229
	;; [unrolled: 1-line block ×21, first 2 shown]
	v_fma_f64 v[203:204], v[203:204], v[205:206], v[203:204]
	v_mov_b32_e32 v81, v79
	v_mov_b32_e32 v80, v78
	;; [unrolled: 1-line block ×21, first 2 shown]
	v_fma_f64 v[205:206], -v[200:201], v[203:204], 1.0
	v_mov_b32_e32 v60, v58
	v_mov_b32_e32 v59, v57
	;; [unrolled: 1-line block ×24, first 2 shown]
	v_fma_f64 v[203:204], v[203:204], v[205:206], v[203:204]
	v_div_scale_f64 v[205:206], vcc_lo, 1.0, v[186:187], 1.0
	v_mov_b32_e32 v36, v34
	v_mov_b32_e32 v35, v33
	;; [unrolled: 1-line block ×45, first 2 shown]
	v_mul_f64 v[207:208], v[205:206], v[203:204]
	v_fma_f64 v[200:201], -v[200:201], v[207:208], v[205:206]
	v_div_fmas_f64 v[200:201], v[200:201], v[203:204], v[207:208]
	v_mov_b32_e32 v208, v209
	v_mov_b32_e32 v209, v210
	;; [unrolled: 1-line block ×121, first 2 shown]
	v_div_fixup_f64 v[186:187], v[200:201], v[186:187], 1.0
	v_mov_b32_e32 v237, v239
	v_mov_b32_e32 v238, v240
	;; [unrolled: 1-line block ×33, first 2 shown]
	ds_write_b64 v1, v[186:187]
.LBB89_219:
	s_or_b32 exec_lo, exec_lo, s1
	s_waitcnt lgkmcnt(0)
	s_barrier
	buffer_gl0_inv
	ds_read_b64 v[200:201], v1
	s_mov_b32 s1, exec_lo
	v_cmpx_lt_u32_e32 43, v0
	s_cbranch_execz .LBB89_221
; %bb.220:
	s_waitcnt lgkmcnt(0)
	v_mul_f64 v[150:151], v[200:201], v[150:151]
	ds_read_b64 v[186:187], v202 offset:352
	s_waitcnt lgkmcnt(0)
	v_fma_f64 v[174:175], -v[150:151], v[186:187], v[174:175]
.LBB89_221:
	s_or_b32 exec_lo, exec_lo, s1
	s_mov_b32 s1, exec_lo
	s_waitcnt lgkmcnt(0)
	s_barrier
	buffer_gl0_inv
	v_cmpx_eq_u32_e32 44, v0
	s_cbranch_execz .LBB89_224
; %bb.222:
	v_cmp_neq_f64_e32 vcc_lo, 0, v[174:175]
	ds_write_b64 v1, v[174:175]
	s_and_b32 exec_lo, exec_lo, vcc_lo
	s_cbranch_execz .LBB89_224
; %bb.223:
	v_div_scale_f64 v[186:187], null, v[174:175], v[174:175], 1.0
	v_rcp_f64_e32 v[202:203], v[186:187]
	v_fma_f64 v[204:205], -v[186:187], v[202:203], 1.0
	v_fma_f64 v[202:203], v[202:203], v[204:205], v[202:203]
	v_fma_f64 v[204:205], -v[186:187], v[202:203], 1.0
	v_fma_f64 v[202:203], v[202:203], v[204:205], v[202:203]
	v_div_scale_f64 v[204:205], vcc_lo, 1.0, v[174:175], 1.0
	v_mul_f64 v[206:207], v[204:205], v[202:203]
	v_fma_f64 v[186:187], -v[186:187], v[206:207], v[204:205]
	v_div_fmas_f64 v[186:187], v[186:187], v[202:203], v[206:207]
	v_div_fixup_f64 v[186:187], v[186:187], v[174:175], 1.0
	ds_write_b64 v1, v[186:187]
.LBB89_224:
	s_or_b32 exec_lo, exec_lo, s1
	s_waitcnt lgkmcnt(0)
	s_barrier
	buffer_gl0_inv
	ds_read_b64 v[186:187], v1
	s_waitcnt lgkmcnt(0)
	s_barrier
	buffer_gl0_inv
	s_and_saveexec_b32 s1, s0
	s_cbranch_execz .LBB89_227
; %bb.225:
	s_clause 0x1
	buffer_load_dword v202, off, s[12:15], 0
	buffer_load_dword v203, off, s[12:15], 0 offset:4
	v_mov_b32_e32 v191, v139
	v_mov_b32_e32 v190, v138
	;; [unrolled: 1-line block ×14, first 2 shown]
	s_load_dwordx2 s[2:3], s[4:5], 0x28
	s_waitcnt vmcnt(0)
	v_cmp_eq_f64_e32 vcc_lo, 0, v[202:203]
	s_clause 0x1
	buffer_load_dword v202, off, s[12:15], 0 offset:8
	buffer_load_dword v203, off, s[12:15], 0 offset:12
	v_cndmask_b32_e64 v1, 0, 1, vcc_lo
	s_waitcnt vmcnt(0)
	v_cmp_neq_f64_e64 s0, 0, v[202:203]
	s_clause 0x1
	buffer_load_dword v202, off, s[12:15], 0 offset:16
	buffer_load_dword v203, off, s[12:15], 0 offset:20
	s_or_b32 vcc_lo, s0, vcc_lo
	v_cndmask_b32_e32 v1, 2, v1, vcc_lo
	v_cmp_eq_u32_e64 s0, 0, v1
	s_waitcnt vmcnt(0)
	v_cmp_eq_f64_e32 vcc_lo, 0, v[202:203]
	s_clause 0x1
	buffer_load_dword v202, off, s[12:15], 0 offset:24
	buffer_load_dword v203, off, s[12:15], 0 offset:28
	s_and_b32 s0, vcc_lo, s0
	v_cndmask_b32_e64 v1, v1, 3, s0
	v_cmp_eq_u32_e64 s0, 0, v1
	s_waitcnt vmcnt(0)
	v_cmp_eq_f64_e32 vcc_lo, 0, v[202:203]
	s_clause 0x1
	buffer_load_dword v202, off, s[12:15], 0 offset:32
	buffer_load_dword v203, off, s[12:15], 0 offset:36
	s_and_b32 s0, vcc_lo, s0
	v_cndmask_b32_e64 v1, v1, 4, s0
	;; [unrolled: 8-line block ×5, first 2 shown]
	v_cmp_eq_u32_e64 s0, 0, v1
	s_waitcnt vmcnt(0)
	v_cmp_eq_f64_e32 vcc_lo, 0, v[202:203]
	s_clause 0x3
	buffer_load_dword v202, off, s[12:15], 0 offset:64
	buffer_load_dword v203, off, s[12:15], 0 offset:68
	;; [unrolled: 1-line block ×4, first 2 shown]
	s_and_b32 s0, vcc_lo, s0
	v_cndmask_b32_e64 v1, v1, 8, s0
	v_cmp_eq_u32_e64 s0, 0, v1
	s_waitcnt vmcnt(2)
	v_cmp_eq_f64_e32 vcc_lo, 0, v[202:203]
	s_and_b32 s0, vcc_lo, s0
	v_cmp_eq_f64_e32 vcc_lo, 0, v[208:209]
	v_cndmask_b32_e64 v1, v1, 9, s0
	v_cmp_eq_u32_e64 s0, 0, v1
	s_and_b32 s0, vcc_lo, s0
	v_cmp_eq_f64_e32 vcc_lo, 0, v[210:211]
	v_cndmask_b32_e64 v1, v1, 10, s0
	v_cmp_eq_u32_e64 s0, 0, v1
	s_and_b32 s0, vcc_lo, s0
	v_cmp_eq_f64_e32 vcc_lo, 0, v[212:213]
	v_cndmask_b32_e64 v1, v1, 11, s0
	v_cmp_eq_u32_e64 s0, 0, v1
	s_and_b32 s0, vcc_lo, s0
	v_cmp_eq_f64_e32 vcc_lo, 0, v[214:215]
	v_cndmask_b32_e64 v1, v1, 12, s0
	v_cmp_eq_u32_e64 s0, 0, v1
	s_and_b32 s0, vcc_lo, s0
	v_cmp_eq_f64_e32 vcc_lo, 0, v[216:217]
	v_cndmask_b32_e64 v1, v1, 13, s0
	v_cmp_eq_u32_e64 s0, 0, v1
	s_and_b32 s0, vcc_lo, s0
	v_cmp_eq_f64_e32 vcc_lo, 0, v[218:219]
	v_cndmask_b32_e64 v1, v1, 14, s0
	v_cmp_eq_u32_e64 s0, 0, v1
	s_and_b32 s0, vcc_lo, s0
	v_cmp_eq_f64_e32 vcc_lo, 0, v[220:221]
	v_cndmask_b32_e64 v1, v1, 15, s0
	v_cmp_eq_u32_e64 s0, 0, v1
	s_and_b32 s0, vcc_lo, s0
	v_cmp_eq_f64_e32 vcc_lo, 0, v[222:223]
	v_cndmask_b32_e64 v1, v1, 16, s0
	v_cmp_eq_u32_e64 s0, 0, v1
	s_and_b32 s0, vcc_lo, s0
	v_cmp_eq_f64_e32 vcc_lo, 0, v[224:225]
	v_cndmask_b32_e64 v1, v1, 17, s0
	v_cmp_eq_u32_e64 s0, 0, v1
	s_and_b32 s0, vcc_lo, s0
	v_cmp_eq_f64_e32 vcc_lo, 0, v[226:227]
	v_cndmask_b32_e64 v1, v1, 18, s0
	v_cmp_eq_u32_e64 s0, 0, v1
	s_and_b32 s0, vcc_lo, s0
	v_cmp_eq_f64_e32 vcc_lo, 0, v[228:229]
	v_cndmask_b32_e64 v1, v1, 19, s0
	v_cmp_eq_u32_e64 s0, 0, v1
	s_and_b32 s0, vcc_lo, s0
	v_cmp_eq_f64_e32 vcc_lo, 0, v[230:231]
	v_cndmask_b32_e64 v1, v1, 20, s0
	v_cmp_eq_u32_e64 s0, 0, v1
	s_and_b32 s0, vcc_lo, s0
	v_cmp_eq_f64_e32 vcc_lo, 0, v[232:233]
	v_cndmask_b32_e64 v1, v1, 21, s0
	v_cmp_eq_u32_e64 s0, 0, v1
	s_and_b32 s0, vcc_lo, s0
	v_cmp_eq_f64_e32 vcc_lo, 0, v[234:235]
	v_cndmask_b32_e64 v1, v1, 22, s0
	v_cmp_eq_u32_e64 s0, 0, v1
	s_and_b32 s0, vcc_lo, s0
	v_cmp_eq_f64_e32 vcc_lo, 0, v[236:237]
	v_cndmask_b32_e64 v1, v1, 23, s0
	v_cmp_eq_u32_e64 s0, 0, v1
	s_and_b32 s0, vcc_lo, s0
	v_cmp_eq_f64_e32 vcc_lo, 0, v[238:239]
	v_cndmask_b32_e64 v1, v1, 24, s0
	v_cmp_eq_u32_e64 s0, 0, v1
	s_and_b32 s0, vcc_lo, s0
	v_cmp_eq_f64_e32 vcc_lo, 0, v[240:241]
	v_cndmask_b32_e64 v1, v1, 25, s0
	v_cmp_eq_u32_e64 s0, 0, v1
	s_and_b32 s0, vcc_lo, s0
	v_cmp_eq_f64_e32 vcc_lo, 0, v[242:243]
	v_cndmask_b32_e64 v1, v1, 26, s0
	v_cmp_eq_u32_e64 s0, 0, v1
	s_and_b32 s0, vcc_lo, s0
	v_cmp_eq_f64_e32 vcc_lo, 0, v[244:245]
	v_cndmask_b32_e64 v1, v1, 27, s0
	v_cmp_eq_u32_e64 s0, 0, v1
	s_and_b32 s0, vcc_lo, s0
	v_cmp_eq_f64_e32 vcc_lo, 0, v[246:247]
	v_cndmask_b32_e64 v1, v1, 28, s0
	v_cmp_eq_u32_e64 s0, 0, v1
	s_and_b32 s0, vcc_lo, s0
	v_cmp_eq_f64_e32 vcc_lo, 0, v[248:249]
	v_cndmask_b32_e64 v1, v1, 29, s0
	v_cmp_eq_u32_e64 s0, 0, v1
	s_and_b32 s0, vcc_lo, s0
	v_cmp_eq_f64_e32 vcc_lo, 0, v[250:251]
	v_cndmask_b32_e64 v1, v1, 30, s0
	v_cmp_eq_u32_e64 s0, 0, v1
	s_and_b32 s0, vcc_lo, s0
	v_cmp_eq_f64_e32 vcc_lo, 0, v[252:253]
	v_cndmask_b32_e64 v1, v1, 31, s0
	v_cmp_eq_u32_e64 s0, 0, v1
	s_and_b32 s0, vcc_lo, s0
	v_cmp_eq_f64_e32 vcc_lo, 0, v[254:255]
	v_cndmask_b32_e64 v1, v1, 32, s0
	v_cmp_eq_u32_e64 s0, 0, v1
	s_and_b32 s0, vcc_lo, s0
	s_waitcnt vmcnt(0)
	v_cmp_eq_f64_e32 vcc_lo, 0, v[184:185]
	s_clause 0x1
	buffer_load_dword v184, off, s[12:15], 0 offset:80
	buffer_load_dword v185, off, s[12:15], 0 offset:84
	v_cndmask_b32_e64 v1, v1, 33, s0
	v_cmp_eq_u32_e64 s0, 0, v1
	s_and_b32 s0, vcc_lo, s0
	v_cndmask_b32_e64 v1, v1, 34, s0
	v_cmp_eq_u32_e64 s0, 0, v1
	s_waitcnt vmcnt(0)
	v_cmp_eq_f64_e32 vcc_lo, 0, v[184:185]
	s_clause 0x1
	buffer_load_dword v184, off, s[12:15], 0 offset:88
	buffer_load_dword v185, off, s[12:15], 0 offset:92
	s_and_b32 s0, vcc_lo, s0
	v_cndmask_b32_e64 v1, v1, 35, s0
	v_cmp_eq_u32_e64 s0, 0, v1
	s_waitcnt vmcnt(0)
	v_cmp_eq_f64_e32 vcc_lo, 0, v[184:185]
	s_clause 0x1
	buffer_load_dword v184, off, s[12:15], 0 offset:96
	buffer_load_dword v185, off, s[12:15], 0 offset:100
	s_and_b32 s0, vcc_lo, s0
	v_cmp_eq_f64_e32 vcc_lo, 0, v[176:177]
	v_cndmask_b32_e64 v1, v1, 36, s0
	v_mov_b32_e32 v176, v180
	v_mov_b32_e32 v177, v181
	;; [unrolled: 1-line block ×4, first 2 shown]
	v_cmp_eq_u32_e64 s0, 0, v1
	s_and_b32 s0, vcc_lo, s0
	v_cmp_eq_f64_e32 vcc_lo, 0, v[182:183]
	v_cndmask_b32_e64 v1, v1, 37, s0
	v_mov_b32_e32 v183, v179
	v_mov_b32_e32 v182, v178
	;; [unrolled: 1-line block ×4, first 2 shown]
	v_cmp_eq_u32_e64 s0, 0, v1
	v_mov_b32_e32 v138, v190
	v_mov_b32_e32 v139, v191
	s_and_b32 s0, vcc_lo, s0
	v_cndmask_b32_e64 v1, v1, 38, s0
	v_cmp_eq_u32_e64 s0, 0, v1
	s_waitcnt vmcnt(0)
	v_cmp_eq_f64_e32 vcc_lo, 0, v[184:185]
	s_and_b32 s0, vcc_lo, s0
	v_cmp_eq_f64_e32 vcc_lo, 0, v[192:193]
	v_cndmask_b32_e64 v1, v1, 39, s0
	v_cmp_eq_u32_e64 s0, 0, v1
	s_and_b32 s0, vcc_lo, s0
	v_cmp_eq_f64_e32 vcc_lo, 0, v[194:195]
	v_cndmask_b32_e64 v1, v1, 40, s0
	v_cmp_eq_u32_e64 s0, 0, v1
	;; [unrolled: 4-line block ×6, first 2 shown]
	s_and_b32 s0, vcc_lo, s0
	v_cndmask_b32_e64 v184, v1, 45, s0
	v_lshlrev_b64 v[1:2], 2, v[2:3]
	v_cmp_ne_u32_e64 s0, 0, v184
	s_waitcnt lgkmcnt(0)
	v_add_co_u32 v1, vcc_lo, s2, v1
	v_add_co_ci_u32_e64 v2, null, s3, v2, vcc_lo
	global_load_dword v3, v[1:2], off
	s_waitcnt vmcnt(0)
	v_cmp_eq_u32_e32 vcc_lo, 0, v3
	s_and_b32 s0, vcc_lo, s0
	s_and_b32 exec_lo, exec_lo, s0
	s_cbranch_execz .LBB89_227
; %bb.226:
	v_add_nc_u32_e32 v3, s9, v184
	global_store_dword v[1:2], v3, off
.LBB89_227:
	s_or_b32 exec_lo, exec_lo, s1
	v_mul_f64 v[1:2], v[186:187], v[174:175]
	v_cmp_lt_u32_e32 vcc_lo, 44, v0
	flat_store_dwordx2 v[90:91], v[176:177]
	flat_store_dwordx2 v[140:141], v[180:181]
	;; [unrolled: 1-line block ×19, first 2 shown]
	v_cndmask_b32_e32 v2, v175, v2, vcc_lo
	v_cndmask_b32_e32 v1, v174, v1, vcc_lo
	flat_store_dwordx2 v[36:37], v[100:101]
	flat_store_dwordx2 v[40:41], v[108:109]
	;; [unrolled: 1-line block ×26, first 2 shown]
.LBB89_228:
	s_endpgm
	.section	.rodata,"a",@progbits
	.p2align	6, 0x0
	.amdhsa_kernel _ZN9rocsolver6v33100L23getf2_npvt_small_kernelILi45EdiiPKPdEEvT1_T3_lS5_lPT2_S5_S5_
		.amdhsa_group_segment_fixed_size 0
		.amdhsa_private_segment_fixed_size 108
		.amdhsa_kernarg_size 312
		.amdhsa_user_sgpr_count 6
		.amdhsa_user_sgpr_private_segment_buffer 1
		.amdhsa_user_sgpr_dispatch_ptr 0
		.amdhsa_user_sgpr_queue_ptr 0
		.amdhsa_user_sgpr_kernarg_segment_ptr 1
		.amdhsa_user_sgpr_dispatch_id 0
		.amdhsa_user_sgpr_flat_scratch_init 0
		.amdhsa_user_sgpr_private_segment_size 0
		.amdhsa_wavefront_size32 1
		.amdhsa_uses_dynamic_stack 0
		.amdhsa_system_sgpr_private_segment_wavefront_offset 1
		.amdhsa_system_sgpr_workgroup_id_x 1
		.amdhsa_system_sgpr_workgroup_id_y 1
		.amdhsa_system_sgpr_workgroup_id_z 0
		.amdhsa_system_sgpr_workgroup_info 0
		.amdhsa_system_vgpr_workitem_id 1
		.amdhsa_next_free_vgpr 256
		.amdhsa_next_free_sgpr 16
		.amdhsa_reserve_vcc 1
		.amdhsa_reserve_flat_scratch 1
		.amdhsa_float_round_mode_32 0
		.amdhsa_float_round_mode_16_64 0
		.amdhsa_float_denorm_mode_32 3
		.amdhsa_float_denorm_mode_16_64 3
		.amdhsa_dx10_clamp 1
		.amdhsa_ieee_mode 1
		.amdhsa_fp16_overflow 0
		.amdhsa_workgroup_processor_mode 1
		.amdhsa_memory_ordered 1
		.amdhsa_forward_progress 1
		.amdhsa_shared_vgpr_count 0
		.amdhsa_exception_fp_ieee_invalid_op 0
		.amdhsa_exception_fp_denorm_src 0
		.amdhsa_exception_fp_ieee_div_zero 0
		.amdhsa_exception_fp_ieee_overflow 0
		.amdhsa_exception_fp_ieee_underflow 0
		.amdhsa_exception_fp_ieee_inexact 0
		.amdhsa_exception_int_div_zero 0
	.end_amdhsa_kernel
	.section	.text._ZN9rocsolver6v33100L23getf2_npvt_small_kernelILi45EdiiPKPdEEvT1_T3_lS5_lPT2_S5_S5_,"axG",@progbits,_ZN9rocsolver6v33100L23getf2_npvt_small_kernelILi45EdiiPKPdEEvT1_T3_lS5_lPT2_S5_S5_,comdat
.Lfunc_end89:
	.size	_ZN9rocsolver6v33100L23getf2_npvt_small_kernelILi45EdiiPKPdEEvT1_T3_lS5_lPT2_S5_S5_, .Lfunc_end89-_ZN9rocsolver6v33100L23getf2_npvt_small_kernelILi45EdiiPKPdEEvT1_T3_lS5_lPT2_S5_S5_
                                        ; -- End function
	.set _ZN9rocsolver6v33100L23getf2_npvt_small_kernelILi45EdiiPKPdEEvT1_T3_lS5_lPT2_S5_S5_.num_vgpr, 256
	.set _ZN9rocsolver6v33100L23getf2_npvt_small_kernelILi45EdiiPKPdEEvT1_T3_lS5_lPT2_S5_S5_.num_agpr, 0
	.set _ZN9rocsolver6v33100L23getf2_npvt_small_kernelILi45EdiiPKPdEEvT1_T3_lS5_lPT2_S5_S5_.numbered_sgpr, 16
	.set _ZN9rocsolver6v33100L23getf2_npvt_small_kernelILi45EdiiPKPdEEvT1_T3_lS5_lPT2_S5_S5_.num_named_barrier, 0
	.set _ZN9rocsolver6v33100L23getf2_npvt_small_kernelILi45EdiiPKPdEEvT1_T3_lS5_lPT2_S5_S5_.private_seg_size, 108
	.set _ZN9rocsolver6v33100L23getf2_npvt_small_kernelILi45EdiiPKPdEEvT1_T3_lS5_lPT2_S5_S5_.uses_vcc, 1
	.set _ZN9rocsolver6v33100L23getf2_npvt_small_kernelILi45EdiiPKPdEEvT1_T3_lS5_lPT2_S5_S5_.uses_flat_scratch, 1
	.set _ZN9rocsolver6v33100L23getf2_npvt_small_kernelILi45EdiiPKPdEEvT1_T3_lS5_lPT2_S5_S5_.has_dyn_sized_stack, 0
	.set _ZN9rocsolver6v33100L23getf2_npvt_small_kernelILi45EdiiPKPdEEvT1_T3_lS5_lPT2_S5_S5_.has_recursion, 0
	.set _ZN9rocsolver6v33100L23getf2_npvt_small_kernelILi45EdiiPKPdEEvT1_T3_lS5_lPT2_S5_S5_.has_indirect_call, 0
	.section	.AMDGPU.csdata,"",@progbits
; Kernel info:
; codeLenInByte = 36740
; TotalNumSgprs: 18
; NumVgprs: 256
; ScratchSize: 108
; MemoryBound: 0
; FloatMode: 240
; IeeeMode: 1
; LDSByteSize: 0 bytes/workgroup (compile time only)
; SGPRBlocks: 0
; VGPRBlocks: 31
; NumSGPRsForWavesPerEU: 18
; NumVGPRsForWavesPerEU: 256
; Occupancy: 4
; WaveLimiterHint : 1
; COMPUTE_PGM_RSRC2:SCRATCH_EN: 1
; COMPUTE_PGM_RSRC2:USER_SGPR: 6
; COMPUTE_PGM_RSRC2:TRAP_HANDLER: 0
; COMPUTE_PGM_RSRC2:TGID_X_EN: 1
; COMPUTE_PGM_RSRC2:TGID_Y_EN: 1
; COMPUTE_PGM_RSRC2:TGID_Z_EN: 0
; COMPUTE_PGM_RSRC2:TIDIG_COMP_CNT: 1
	.section	.text._ZN9rocsolver6v33100L18getf2_small_kernelILi46EdiiPKPdEEvT1_T3_lS5_lPS5_llPT2_S5_S5_S7_l,"axG",@progbits,_ZN9rocsolver6v33100L18getf2_small_kernelILi46EdiiPKPdEEvT1_T3_lS5_lPS5_llPT2_S5_S5_S7_l,comdat
	.globl	_ZN9rocsolver6v33100L18getf2_small_kernelILi46EdiiPKPdEEvT1_T3_lS5_lPS5_llPT2_S5_S5_S7_l ; -- Begin function _ZN9rocsolver6v33100L18getf2_small_kernelILi46EdiiPKPdEEvT1_T3_lS5_lPS5_llPT2_S5_S5_S7_l
	.p2align	8
	.type	_ZN9rocsolver6v33100L18getf2_small_kernelILi46EdiiPKPdEEvT1_T3_lS5_lPS5_llPT2_S5_S5_S7_l,@function
_ZN9rocsolver6v33100L18getf2_small_kernelILi46EdiiPKPdEEvT1_T3_lS5_lPS5_llPT2_S5_S5_S7_l: ; @_ZN9rocsolver6v33100L18getf2_small_kernelILi46EdiiPKPdEEvT1_T3_lS5_lPS5_llPT2_S5_S5_S7_l
; %bb.0:
	s_clause 0x1
	s_load_dword s0, s[4:5], 0x6c
	s_load_dwordx2 s[12:13], s[4:5], 0x48
	s_waitcnt lgkmcnt(0)
	s_lshr_b32 s0, s0, 16
	v_mad_u64_u32 v[2:3], null, s7, s0, v[1:2]
	s_mov_b32 s0, exec_lo
	v_cmpx_gt_i32_e64 s12, v2
	s_cbranch_execz .LBB90_779
; %bb.1:
	s_clause 0x1
	s_load_dwordx4 s[0:3], s[4:5], 0x8
	s_load_dwordx4 s[8:11], s[4:5], 0x50
	v_ashrrev_i32_e32 v3, 31, v2
	v_lshlrev_b64 v[4:5], 3, v[2:3]
	s_waitcnt lgkmcnt(0)
	v_add_co_u32 v4, vcc_lo, s0, v4
	v_add_co_ci_u32_e64 v5, null, s1, v5, vcc_lo
	s_cmp_eq_u64 s[8:9], 0
	s_cselect_b32 s6, -1, 0
	global_load_dwordx2 v[6:7], v[4:5], off
	v_mov_b32_e32 v4, 0
	v_mov_b32_e32 v5, 0
	s_and_b32 vcc_lo, exec_lo, s6
	s_cbranch_vccnz .LBB90_3
; %bb.2:
	v_mul_lo_u32 v8, s11, v2
	v_mul_lo_u32 v9, s10, v3
	v_mad_u64_u32 v[4:5], null, s10, v2, 0
	v_add3_u32 v5, v5, v9, v8
	v_lshlrev_b64 v[4:5], 2, v[4:5]
	v_add_co_u32 v4, vcc_lo, s8, v4
	v_add_co_ci_u32_e64 v5, null, s9, v5, vcc_lo
.LBB90_3:
	s_clause 0x1
	s_load_dword s8, s[4:5], 0x18
	s_load_dword s7, s[4:5], 0x0
	s_lshl_b64 s[0:1], s[2:3], 3
	v_lshlrev_b32_e32 v142, 3, v0
	s_waitcnt vmcnt(0)
	v_add_co_u32 v102, vcc_lo, v6, s0
	v_add_co_ci_u32_e64 v103, null, s1, v7, vcc_lo
	s_waitcnt lgkmcnt(0)
	v_add3_u32 v8, s8, s8, v0
	s_ashr_i32 s9, s8, 31
	s_max_i32 s0, s7, 46
	s_lshl_b64 s[10:11], s[8:9], 3
	v_mul_lo_u32 v1, s0, v1
	v_add_nc_u32_e32 v10, s8, v8
	v_ashrrev_i32_e32 v9, 31, v8
	s_cmp_lt_i32 s7, 2
	v_ashrrev_i32_e32 v11, 31, v10
	v_add_nc_u32_e32 v12, s8, v10
	v_lshlrev_b64 v[8:9], 3, v[8:9]
	v_lshlrev_b64 v[6:7], 3, v[10:11]
	v_add_nc_u32_e32 v10, s8, v12
	v_ashrrev_i32_e32 v13, 31, v12
	v_add_co_u32 v8, vcc_lo, v102, v8
	v_add_co_ci_u32_e64 v9, null, v103, v9, vcc_lo
	v_add_nc_u32_e32 v14, s8, v10
	v_ashrrev_i32_e32 v11, 31, v10
	v_lshlrev_b64 v[12:13], 3, v[12:13]
	v_add_co_u32 v6, vcc_lo, v102, v6
	v_add_nc_u32_e32 v16, s8, v14
	v_ashrrev_i32_e32 v15, 31, v14
	v_lshlrev_b64 v[10:11], 3, v[10:11]
	v_add_co_ci_u32_e64 v7, null, v103, v7, vcc_lo
	v_add_nc_u32_e32 v18, s8, v16
	v_ashrrev_i32_e32 v17, 31, v16
	v_lshlrev_b64 v[14:15], 3, v[14:15]
	v_add_co_u32 v12, vcc_lo, v102, v12
	v_add_nc_u32_e32 v20, s8, v18
	v_ashrrev_i32_e32 v19, 31, v18
	v_lshlrev_b64 v[16:17], 3, v[16:17]
	v_add_co_ci_u32_e64 v13, null, v103, v13, vcc_lo
	v_add_nc_u32_e32 v22, s8, v20
	v_ashrrev_i32_e32 v21, 31, v20
	v_add_co_u32 v10, vcc_lo, v102, v10
	v_lshlrev_b64 v[18:19], 3, v[18:19]
	v_add_nc_u32_e32 v24, s8, v22
	v_ashrrev_i32_e32 v23, 31, v22
	v_add_co_ci_u32_e64 v11, null, v103, v11, vcc_lo
	v_add_co_u32 v14, vcc_lo, v102, v14
	v_add_nc_u32_e32 v26, s8, v24
	v_ashrrev_i32_e32 v25, 31, v24
	v_lshlrev_b64 v[20:21], 3, v[20:21]
	v_add_co_ci_u32_e64 v15, null, v103, v15, vcc_lo
	v_add_nc_u32_e32 v28, s8, v26
	v_ashrrev_i32_e32 v27, 31, v26
	v_add_co_u32 v16, vcc_lo, v102, v16
	v_lshlrev_b64 v[22:23], 3, v[22:23]
	v_add_nc_u32_e32 v30, s8, v28
	v_ashrrev_i32_e32 v29, 31, v28
	v_add_co_ci_u32_e64 v17, null, v103, v17, vcc_lo
	v_add_co_u32 v18, vcc_lo, v102, v18
	v_add_nc_u32_e32 v32, s8, v30
	v_lshlrev_b64 v[24:25], 3, v[24:25]
	v_ashrrev_i32_e32 v31, 31, v30
	v_add_co_ci_u32_e64 v19, null, v103, v19, vcc_lo
	v_add_nc_u32_e32 v34, s8, v32
	v_add_co_u32 v20, vcc_lo, v102, v20
	v_lshlrev_b64 v[26:27], 3, v[26:27]
	v_ashrrev_i32_e32 v33, 31, v32
	v_add_nc_u32_e32 v36, s8, v34
	v_add_co_ci_u32_e64 v21, null, v103, v21, vcc_lo
	v_add_co_u32 v22, vcc_lo, v102, v22
	v_add_nc_u32_e32 v38, s8, v36
	v_lshlrev_b64 v[28:29], 3, v[28:29]
	v_ashrrev_i32_e32 v35, 31, v34
	v_add_co_ci_u32_e64 v23, null, v103, v23, vcc_lo
	v_add_nc_u32_e32 v40, s8, v38
	v_add_co_u32 v24, vcc_lo, v102, v24
	v_lshlrev_b64 v[30:31], 3, v[30:31]
	v_ashrrev_i32_e32 v37, 31, v36
	v_add_nc_u32_e32 v42, s8, v40
	;; [unrolled: 11-line block ×3, first 2 shown]
	v_add_co_ci_u32_e64 v29, null, v103, v29, vcc_lo
	v_add_co_u32 v30, vcc_lo, v102, v30
	v_lshlrev_b64 v[36:37], 3, v[36:37]
	v_ashrrev_i32_e32 v43, 31, v42
	v_add_co_ci_u32_e64 v31, null, v103, v31, vcc_lo
	v_add_co_u32 v32, vcc_lo, v102, v32
	v_lshlrev_b64 v[38:39], 3, v[38:39]
	v_add_nc_u32_e32 v50, s8, v48
	v_ashrrev_i32_e32 v45, 31, v44
	v_add_co_ci_u32_e64 v33, null, v103, v33, vcc_lo
	v_add_co_u32 v34, vcc_lo, v102, v34
	v_lshlrev_b64 v[40:41], 3, v[40:41]
	v_ashrrev_i32_e32 v47, 31, v46
	v_add_co_ci_u32_e64 v35, null, v103, v35, vcc_lo
	v_add_co_u32 v36, vcc_lo, v102, v36
	v_lshlrev_b64 v[42:43], 3, v[42:43]
	v_ashrrev_i32_e32 v49, 31, v48
	v_add_nc_u32_e32 v52, s8, v50
	v_add_co_ci_u32_e64 v37, null, v103, v37, vcc_lo
	v_add_co_u32 v38, vcc_lo, v102, v38
	v_lshlrev_b64 v[44:45], 3, v[44:45]
	v_ashrrev_i32_e32 v51, 31, v50
	v_add_co_ci_u32_e64 v39, null, v103, v39, vcc_lo
	v_add_co_u32 v40, vcc_lo, v102, v40
	v_lshlrev_b64 v[46:47], 3, v[46:47]
	v_add_co_ci_u32_e64 v41, null, v103, v41, vcc_lo
	v_add_co_u32 v42, vcc_lo, v102, v42
	v_lshlrev_b64 v[48:49], 3, v[48:49]
	v_add_nc_u32_e32 v54, s8, v52
	v_add_co_ci_u32_e64 v43, null, v103, v43, vcc_lo
	v_add_co_u32 v44, vcc_lo, v102, v44
	v_lshlrev_b64 v[50:51], 3, v[50:51]
	v_ashrrev_i32_e32 v53, 31, v52
	v_add_co_ci_u32_e64 v45, null, v103, v45, vcc_lo
	v_add_co_u32 v46, vcc_lo, v102, v46
	v_ashrrev_i32_e32 v55, 31, v54
	v_add_nc_u32_e32 v56, s8, v54
	v_add_co_ci_u32_e64 v47, null, v103, v47, vcc_lo
	v_add_co_u32 v48, vcc_lo, v102, v48
	v_lshlrev_b64 v[52:53], 3, v[52:53]
	v_add_co_ci_u32_e64 v49, null, v103, v49, vcc_lo
	v_add_co_u32 v96, vcc_lo, v102, v50
	v_add_co_ci_u32_e64 v97, null, v103, v51, vcc_lo
	v_lshlrev_b64 v[50:51], 3, v[54:55]
	v_ashrrev_i32_e32 v57, 31, v56
	v_add_nc_u32_e32 v54, s8, v56
	v_add_co_u32 v98, vcc_lo, v102, v52
	v_add_co_ci_u32_e64 v99, null, v103, v53, vcc_lo
	v_lshlrev_b64 v[52:53], 3, v[56:57]
	v_ashrrev_i32_e32 v55, 31, v54
	v_add_nc_u32_e32 v56, s8, v54
	;; [unrolled: 5-line block ×16, first 2 shown]
	v_add_co_u32 v130, vcc_lo, v102, v50
	v_add_co_ci_u32_e64 v131, null, v103, v51, vcc_lo
	v_lshlrev_b64 v[50:51], 3, v[54:55]
	v_add_nc_u32_e32 v54, s8, v56
	v_ashrrev_i32_e32 v57, 31, v56
	v_add_co_u32 v132, vcc_lo, v102, v52
	v_add_co_ci_u32_e64 v133, null, v103, v53, vcc_lo
	v_ashrrev_i32_e32 v55, 31, v54
	v_lshlrev_b64 v[52:53], 3, v[56:57]
	v_add_co_u32 v134, vcc_lo, v102, v50
	v_add_co_ci_u32_e64 v135, null, v103, v51, vcc_lo
	v_lshlrev_b64 v[50:51], 3, v[54:55]
	v_add_nc_u32_e32 v54, s8, v54
	v_add_co_u32 v136, vcc_lo, v102, v52
	v_add_co_ci_u32_e64 v137, null, v103, v53, vcc_lo
	v_ashrrev_i32_e32 v55, 31, v54
	v_add_co_u32 v138, vcc_lo, v102, v50
	v_add_co_ci_u32_e64 v139, null, v103, v51, vcc_lo
	v_add_co_u32 v52, vcc_lo, v102, v142
	v_add_co_ci_u32_e64 v53, null, 0, v103, vcc_lo
	v_lshlrev_b64 v[50:51], 3, v[54:55]
	v_add_co_u32 v54, vcc_lo, v52, s10
	v_add_co_ci_u32_e64 v55, null, s11, v53, vcc_lo
	v_add_co_u32 v140, vcc_lo, v102, v50
	v_add_co_ci_u32_e64 v141, null, v103, v51, vcc_lo
	s_clause 0x2d
	flat_load_dwordx2 v[94:95], v[52:53]
	flat_load_dwordx2 v[92:93], v[54:55]
	;; [unrolled: 1-line block ×46, first 2 shown]
	v_lshl_add_u32 v104, v1, 3, 0
	v_lshlrev_b32_e32 v105, 3, v1
	v_mov_b32_e32 v100, 0
	v_add_nc_u32_e32 v98, v104, v142
	s_waitcnt vmcnt(45) lgkmcnt(45)
	ds_write_b64 v98, v[94:95]
	s_waitcnt vmcnt(0) lgkmcnt(0)
	s_barrier
	buffer_gl0_inv
	ds_read_b64 v[98:99], v104
	s_cbranch_scc1 .LBB90_6
; %bb.4:
	v_add3_u32 v1, v105, 0, 8
	v_mov_b32_e32 v100, 0
	s_mov_b32 s0, 1
.LBB90_5:                               ; =>This Inner Loop Header: Depth=1
	ds_read_b64 v[106:107], v1
	v_add_nc_u32_e32 v1, 8, v1
	s_waitcnt lgkmcnt(0)
	v_cmp_lt_f64_e64 vcc_lo, |v[98:99]|, |v[106:107]|
	v_cndmask_b32_e32 v99, v99, v107, vcc_lo
	v_cndmask_b32_e32 v98, v98, v106, vcc_lo
	v_cndmask_b32_e64 v100, v100, s0, vcc_lo
	s_add_i32 s0, s0, 1
	s_cmp_eq_u32 s7, s0
	s_cbranch_scc0 .LBB90_5
.LBB90_6:
	s_mov_b32 s0, exec_lo
                                        ; implicit-def: $vgpr107
	v_cmpx_ne_u32_e64 v0, v100
	s_xor_b32 s0, exec_lo, s0
	s_cbranch_execz .LBB90_12
; %bb.7:
	s_mov_b32 s1, exec_lo
	v_cmpx_eq_u32_e32 0, v0
	s_cbranch_execz .LBB90_11
; %bb.8:
	v_cmp_ne_u32_e32 vcc_lo, 0, v100
	s_xor_b32 s2, s6, -1
	s_and_b32 s3, s2, vcc_lo
	s_and_saveexec_b32 s2, s3
	s_cbranch_execz .LBB90_10
; %bb.9:
	v_ashrrev_i32_e32 v101, 31, v100
	v_lshlrev_b64 v[0:1], 2, v[100:101]
	v_add_co_u32 v0, vcc_lo, v4, v0
	v_add_co_ci_u32_e64 v1, null, v5, v1, vcc_lo
	s_clause 0x1
	global_load_dword v101, v[0:1], off
	global_load_dword v106, v[4:5], off
	s_waitcnt vmcnt(1)
	global_store_dword v[4:5], v101, off
	s_waitcnt vmcnt(0)
	global_store_dword v[0:1], v106, off
.LBB90_10:
	s_or_b32 exec_lo, exec_lo, s2
	v_mov_b32_e32 v0, v100
.LBB90_11:
	s_or_b32 exec_lo, exec_lo, s1
	v_mov_b32_e32 v107, v0
                                        ; implicit-def: $vgpr0
.LBB90_12:
	s_or_saveexec_b32 s0, s0
	v_mov_b32_e32 v106, v107
	s_xor_b32 exec_lo, exec_lo, s0
	s_cbranch_execz .LBB90_14
; %bb.13:
	v_mov_b32_e32 v107, 0
	v_mov_b32_e32 v106, v0
	ds_write2_b64 v104, v[92:93], v[90:91] offset0:1 offset1:2
	ds_write2_b64 v104, v[88:89], v[86:87] offset0:3 offset1:4
	;; [unrolled: 1-line block ×22, first 2 shown]
	ds_write_b64 v104, v[96:97] offset:360
.LBB90_14:
	s_or_b32 exec_lo, exec_lo, s0
	s_waitcnt lgkmcnt(0)
	v_cmp_eq_f64_e64 s0, 0, v[98:99]
	s_mov_b32 s1, exec_lo
	s_waitcnt_vscnt null, 0x0
	s_barrier
	buffer_gl0_inv
	v_cmpx_lt_i32_e32 0, v107
	s_cbranch_execz .LBB90_16
; %bb.15:
	v_div_scale_f64 v[0:1], null, v[98:99], v[98:99], 1.0
	v_div_scale_f64 v[110:111], vcc_lo, 1.0, v[98:99], 1.0
	v_rcp_f64_e32 v[100:101], v[0:1]
	v_fma_f64 v[108:109], -v[0:1], v[100:101], 1.0
	v_fma_f64 v[100:101], v[100:101], v[108:109], v[100:101]
	v_fma_f64 v[108:109], -v[0:1], v[100:101], 1.0
	v_fma_f64 v[100:101], v[100:101], v[108:109], v[100:101]
	v_mul_f64 v[108:109], v[110:111], v[100:101]
	v_fma_f64 v[0:1], -v[0:1], v[108:109], v[110:111]
	v_div_fmas_f64 v[0:1], v[0:1], v[100:101], v[108:109]
	v_div_fixup_f64 v[0:1], v[0:1], v[98:99], 1.0
	v_cndmask_b32_e64 v1, v1, v99, s0
	v_cndmask_b32_e64 v0, v0, v98, s0
	ds_read2_b64 v[98:101], v104 offset0:1 offset1:2
	ds_read2_b64 v[108:111], v104 offset0:3 offset1:4
	;; [unrolled: 1-line block ×14, first 2 shown]
	v_mul_f64 v[94:95], v[0:1], v[94:95]
	s_waitcnt lgkmcnt(13)
	v_fma_f64 v[92:93], -v[94:95], v[98:99], v[92:93]
	v_fma_f64 v[90:91], -v[94:95], v[100:101], v[90:91]
	ds_read2_b64 v[98:101], v104 offset0:29 offset1:30
	ds_read2_b64 v[160:163], v104 offset0:31 offset1:32
	s_waitcnt lgkmcnt(14)
	v_fma_f64 v[88:89], -v[94:95], v[108:109], v[88:89]
	v_fma_f64 v[86:87], -v[94:95], v[110:111], v[86:87]
	s_waitcnt lgkmcnt(13)
	v_fma_f64 v[84:85], -v[94:95], v[112:113], v[84:85]
	v_fma_f64 v[82:83], -v[94:95], v[114:115], v[82:83]
	ds_read2_b64 v[108:111], v104 offset0:33 offset1:34
	ds_read2_b64 v[112:115], v104 offset0:35 offset1:36
	s_waitcnt lgkmcnt(14)
	v_fma_f64 v[78:79], -v[94:95], v[116:117], v[78:79]
	v_fma_f64 v[80:81], -v[94:95], v[118:119], v[80:81]
	;; [unrolled: 8-line block ×3, first 2 shown]
	s_waitcnt lgkmcnt(13)
	v_fma_f64 v[68:69], -v[94:95], v[128:129], v[68:69]
	v_fma_f64 v[66:67], -v[94:95], v[130:131], v[66:67]
	ds_read2_b64 v[124:127], v104 offset0:41 offset1:42
	ds_read2_b64 v[128:131], v104 offset0:43 offset1:44
	ds_read_b64 v[0:1], v104 offset:360
	s_waitcnt lgkmcnt(15)
	v_fma_f64 v[64:65], -v[94:95], v[132:133], v[64:65]
	v_fma_f64 v[62:63], -v[94:95], v[134:135], v[62:63]
	s_waitcnt lgkmcnt(14)
	v_fma_f64 v[58:59], -v[94:95], v[136:137], v[58:59]
	v_fma_f64 v[60:61], -v[94:95], v[138:139], v[60:61]
	;; [unrolled: 3-line block ×15, first 2 shown]
	s_waitcnt lgkmcnt(0)
	v_fma_f64 v[96:97], -v[94:95], v[0:1], v[96:97]
.LBB90_16:
	s_or_b32 exec_lo, exec_lo, s1
	v_lshl_add_u32 v0, v107, 3, v104
	s_barrier
	buffer_gl0_inv
	v_mov_b32_e32 v98, 1
	ds_write_b64 v0, v[92:93]
	s_waitcnt lgkmcnt(0)
	s_barrier
	buffer_gl0_inv
	ds_read_b64 v[0:1], v104 offset:8
	s_cmp_lt_i32 s7, 3
	s_cbranch_scc1 .LBB90_19
; %bb.17:
	v_add3_u32 v99, v105, 0, 16
	v_mov_b32_e32 v98, 1
	s_mov_b32 s1, 2
.LBB90_18:                              ; =>This Inner Loop Header: Depth=1
	ds_read_b64 v[100:101], v99
	v_add_nc_u32_e32 v99, 8, v99
	s_waitcnt lgkmcnt(0)
	v_cmp_lt_f64_e64 vcc_lo, |v[0:1]|, |v[100:101]|
	v_cndmask_b32_e32 v1, v1, v101, vcc_lo
	v_cndmask_b32_e32 v0, v0, v100, vcc_lo
	v_cndmask_b32_e64 v98, v98, s1, vcc_lo
	s_add_i32 s1, s1, 1
	s_cmp_lg_u32 s7, s1
	s_cbranch_scc1 .LBB90_18
.LBB90_19:
	s_mov_b32 s1, exec_lo
	v_cmpx_ne_u32_e64 v107, v98
	s_xor_b32 s1, exec_lo, s1
	s_cbranch_execz .LBB90_25
; %bb.20:
	s_mov_b32 s2, exec_lo
	v_cmpx_eq_u32_e32 1, v107
	s_cbranch_execz .LBB90_24
; %bb.21:
	v_cmp_ne_u32_e32 vcc_lo, 1, v98
	s_xor_b32 s3, s6, -1
	s_and_b32 s9, s3, vcc_lo
	s_and_saveexec_b32 s3, s9
	s_cbranch_execz .LBB90_23
; %bb.22:
	v_ashrrev_i32_e32 v99, 31, v98
	v_lshlrev_b64 v[99:100], 2, v[98:99]
	v_add_co_u32 v99, vcc_lo, v4, v99
	v_add_co_ci_u32_e64 v100, null, v5, v100, vcc_lo
	s_clause 0x1
	global_load_dword v101, v[99:100], off
	global_load_dword v106, v[4:5], off offset:4
	s_waitcnt vmcnt(1)
	global_store_dword v[4:5], v101, off offset:4
	s_waitcnt vmcnt(0)
	global_store_dword v[99:100], v106, off
.LBB90_23:
	s_or_b32 exec_lo, exec_lo, s3
	v_mov_b32_e32 v106, v98
	v_mov_b32_e32 v107, v98
.LBB90_24:
	s_or_b32 exec_lo, exec_lo, s2
.LBB90_25:
	s_andn2_saveexec_b32 s1, s1
	s_cbranch_execz .LBB90_27
; %bb.26:
	v_mov_b32_e32 v98, v90
	v_mov_b32_e32 v99, v91
	;; [unrolled: 1-line block ×12, first 2 shown]
	ds_write2_b64 v104, v[98:99], v[100:101] offset0:2 offset1:3
	ds_write2_b64 v104, v[107:108], v[109:110] offset0:4 offset1:5
	ds_write2_b64 v104, v[111:112], v[113:114] offset0:6 offset1:7
	v_mov_b32_e32 v98, v80
	v_mov_b32_e32 v99, v81
	v_mov_b32_e32 v100, v74
	v_mov_b32_e32 v101, v75
	v_mov_b32_e32 v107, v76
	v_mov_b32_e32 v108, v77
	v_mov_b32_e32 v109, v72
	v_mov_b32_e32 v110, v73
	v_mov_b32_e32 v111, v70
	v_mov_b32_e32 v112, v71
	v_mov_b32_e32 v113, v68
	v_mov_b32_e32 v114, v69
	v_mov_b32_e32 v115, v66
	v_mov_b32_e32 v116, v67
	v_mov_b32_e32 v117, v64
	v_mov_b32_e32 v118, v65
	v_mov_b32_e32 v119, v62
	v_mov_b32_e32 v120, v63
	v_mov_b32_e32 v121, v58
	v_mov_b32_e32 v122, v59
	ds_write2_b64 v104, v[98:99], v[100:101] offset0:8 offset1:9
	ds_write2_b64 v104, v[107:108], v[109:110] offset0:10 offset1:11
	ds_write2_b64 v104, v[111:112], v[113:114] offset0:12 offset1:13
	ds_write2_b64 v104, v[115:116], v[117:118] offset0:14 offset1:15
	ds_write2_b64 v104, v[119:120], v[121:122] offset0:16 offset1:17
	v_mov_b32_e32 v98, v60
	v_mov_b32_e32 v99, v61
	v_mov_b32_e32 v100, v54
	v_mov_b32_e32 v101, v55
	v_mov_b32_e32 v107, v56
	v_mov_b32_e32 v108, v57
	v_mov_b32_e32 v109, v52
	v_mov_b32_e32 v110, v53
	v_mov_b32_e32 v111, v50
	v_mov_b32_e32 v112, v51
	v_mov_b32_e32 v113, v48
	v_mov_b32_e32 v114, v49
	v_mov_b32_e32 v115, v46
	v_mov_b32_e32 v116, v47
	v_mov_b32_e32 v117, v44
	v_mov_b32_e32 v118, v45
	v_mov_b32_e32 v119, v42
	v_mov_b32_e32 v120, v43
	v_mov_b32_e32 v121, v38
	v_mov_b32_e32 v122, v39
	ds_write2_b64 v104, v[98:99], v[100:101] offset0:18 offset1:19
	ds_write2_b64 v104, v[107:108], v[109:110] offset0:20 offset1:21
	;; [unrolled: 25-line block ×3, first 2 shown]
	ds_write2_b64 v104, v[111:112], v[113:114] offset0:32 offset1:33
	ds_write2_b64 v104, v[115:116], v[117:118] offset0:34 offset1:35
	;; [unrolled: 1-line block ×3, first 2 shown]
	v_mov_b32_e32 v98, v20
	v_mov_b32_e32 v99, v21
	v_mov_b32_e32 v100, v16
	v_mov_b32_e32 v101, v17
	v_mov_b32_e32 v107, 1
	v_mov_b32_e32 v108, v14
	v_mov_b32_e32 v109, v15
	v_mov_b32_e32 v110, v8
	v_mov_b32_e32 v111, v9
	v_mov_b32_e32 v112, v12
	v_mov_b32_e32 v113, v13
	v_mov_b32_e32 v114, v6
	v_mov_b32_e32 v115, v7
	v_mov_b32_e32 v116, v10
	v_mov_b32_e32 v117, v11
	ds_write2_b64 v104, v[98:99], v[100:101] offset0:38 offset1:39
	ds_write2_b64 v104, v[108:109], v[110:111] offset0:40 offset1:41
	;; [unrolled: 1-line block ×4, first 2 shown]
.LBB90_27:
	s_or_b32 exec_lo, exec_lo, s1
	s_waitcnt lgkmcnt(0)
	v_cmp_neq_f64_e64 s1, 0, v[0:1]
	s_mov_b32 s2, exec_lo
	s_waitcnt_vscnt null, 0x0
	s_barrier
	buffer_gl0_inv
	v_cmpx_lt_i32_e32 1, v107
	s_cbranch_execz .LBB90_29
; %bb.28:
	v_div_scale_f64 v[98:99], null, v[0:1], v[0:1], 1.0
	v_div_scale_f64 v[110:111], vcc_lo, 1.0, v[0:1], 1.0
	v_rcp_f64_e32 v[100:101], v[98:99]
	v_fma_f64 v[108:109], -v[98:99], v[100:101], 1.0
	v_fma_f64 v[100:101], v[100:101], v[108:109], v[100:101]
	v_fma_f64 v[108:109], -v[98:99], v[100:101], 1.0
	v_fma_f64 v[100:101], v[100:101], v[108:109], v[100:101]
	v_mul_f64 v[108:109], v[110:111], v[100:101]
	v_fma_f64 v[98:99], -v[98:99], v[108:109], v[110:111]
	v_div_fmas_f64 v[98:99], v[98:99], v[100:101], v[108:109]
	v_div_fixup_f64 v[98:99], v[98:99], v[0:1], 1.0
	v_cndmask_b32_e64 v1, v1, v99, s1
	v_cndmask_b32_e64 v0, v0, v98, s1
	ds_read2_b64 v[98:101], v104 offset0:2 offset1:3
	ds_read2_b64 v[108:111], v104 offset0:4 offset1:5
	;; [unrolled: 1-line block ×22, first 2 shown]
	v_mul_f64 v[92:93], v[0:1], v[92:93]
	s_waitcnt lgkmcnt(21)
	v_fma_f64 v[90:91], -v[92:93], v[98:99], v[90:91]
	v_fma_f64 v[88:89], -v[92:93], v[100:101], v[88:89]
	s_waitcnt lgkmcnt(20)
	v_fma_f64 v[86:87], -v[92:93], v[108:109], v[86:87]
	v_fma_f64 v[84:85], -v[92:93], v[110:111], v[84:85]
	;; [unrolled: 3-line block ×22, first 2 shown]
.LBB90_29:
	s_or_b32 exec_lo, exec_lo, s2
	v_lshl_add_u32 v0, v107, 3, v104
	s_barrier
	buffer_gl0_inv
	v_mov_b32_e32 v98, 2
	ds_write_b64 v0, v[90:91]
	s_waitcnt lgkmcnt(0)
	s_barrier
	buffer_gl0_inv
	ds_read_b64 v[0:1], v104 offset:16
	s_cmp_lt_i32 s7, 4
	s_mov_b32 s2, 3
	s_cbranch_scc1 .LBB90_32
; %bb.30:
	v_add3_u32 v99, v105, 0, 24
	v_mov_b32_e32 v98, 2
.LBB90_31:                              ; =>This Inner Loop Header: Depth=1
	ds_read_b64 v[100:101], v99
	v_add_nc_u32_e32 v99, 8, v99
	s_waitcnt lgkmcnt(0)
	v_cmp_lt_f64_e64 vcc_lo, |v[0:1]|, |v[100:101]|
	v_cndmask_b32_e32 v1, v1, v101, vcc_lo
	v_cndmask_b32_e32 v0, v0, v100, vcc_lo
	v_cndmask_b32_e64 v98, v98, s2, vcc_lo
	s_add_i32 s2, s2, 1
	s_cmp_lg_u32 s7, s2
	s_cbranch_scc1 .LBB90_31
.LBB90_32:
	v_cndmask_b32_e64 v99, 2, 1, s0
	v_cndmask_b32_e64 v100, 0, 1, s0
	s_mov_b32 s0, exec_lo
	v_cndmask_b32_e64 v101, v99, v100, s1
	s_waitcnt lgkmcnt(0)
	v_cmpx_eq_f64_e32 0, v[0:1]
	s_xor_b32 s0, exec_lo, s0
; %bb.33:
	v_cmp_ne_u32_e32 vcc_lo, 0, v101
	v_cndmask_b32_e32 v101, 3, v101, vcc_lo
; %bb.34:
	s_andn2_saveexec_b32 s0, s0
	s_cbranch_execz .LBB90_36
; %bb.35:
	v_div_scale_f64 v[99:100], null, v[0:1], v[0:1], 1.0
	v_rcp_f64_e32 v[108:109], v[99:100]
	v_fma_f64 v[110:111], -v[99:100], v[108:109], 1.0
	v_fma_f64 v[108:109], v[108:109], v[110:111], v[108:109]
	v_fma_f64 v[110:111], -v[99:100], v[108:109], 1.0
	v_fma_f64 v[108:109], v[108:109], v[110:111], v[108:109]
	v_div_scale_f64 v[110:111], vcc_lo, 1.0, v[0:1], 1.0
	v_mul_f64 v[112:113], v[110:111], v[108:109]
	v_fma_f64 v[99:100], -v[99:100], v[112:113], v[110:111]
	v_div_fmas_f64 v[99:100], v[99:100], v[108:109], v[112:113]
	v_div_fixup_f64 v[0:1], v[99:100], v[0:1], 1.0
.LBB90_36:
	s_or_b32 exec_lo, exec_lo, s0
	s_mov_b32 s0, exec_lo
	v_cmpx_ne_u32_e64 v107, v98
	s_xor_b32 s0, exec_lo, s0
	s_cbranch_execz .LBB90_42
; %bb.37:
	s_mov_b32 s1, exec_lo
	v_cmpx_eq_u32_e32 2, v107
	s_cbranch_execz .LBB90_41
; %bb.38:
	v_cmp_ne_u32_e32 vcc_lo, 2, v98
	s_xor_b32 s2, s6, -1
	s_and_b32 s3, s2, vcc_lo
	s_and_saveexec_b32 s2, s3
	s_cbranch_execz .LBB90_40
; %bb.39:
	v_ashrrev_i32_e32 v99, 31, v98
	v_lshlrev_b64 v[99:100], 2, v[98:99]
	v_add_co_u32 v99, vcc_lo, v4, v99
	v_add_co_ci_u32_e64 v100, null, v5, v100, vcc_lo
	s_clause 0x1
	global_load_dword v106, v[99:100], off
	global_load_dword v107, v[4:5], off offset:8
	s_waitcnt vmcnt(1)
	global_store_dword v[4:5], v106, off offset:8
	s_waitcnt vmcnt(0)
	global_store_dword v[99:100], v107, off
.LBB90_40:
	s_or_b32 exec_lo, exec_lo, s2
	v_mov_b32_e32 v106, v98
	v_mov_b32_e32 v107, v98
.LBB90_41:
	s_or_b32 exec_lo, exec_lo, s1
.LBB90_42:
	s_andn2_saveexec_b32 s0, s0
	s_cbranch_execz .LBB90_44
; %bb.43:
	v_mov_b32_e32 v107, 2
	ds_write2_b64 v104, v[88:89], v[86:87] offset0:3 offset1:4
	ds_write2_b64 v104, v[84:85], v[82:83] offset0:5 offset1:6
	;; [unrolled: 1-line block ×21, first 2 shown]
	ds_write_b64 v104, v[96:97] offset:360
.LBB90_44:
	s_or_b32 exec_lo, exec_lo, s0
	s_mov_b32 s0, exec_lo
	s_waitcnt lgkmcnt(0)
	s_waitcnt_vscnt null, 0x0
	s_barrier
	buffer_gl0_inv
	v_cmpx_lt_i32_e32 2, v107
	s_cbranch_execz .LBB90_46
; %bb.45:
	v_mul_f64 v[90:91], v[0:1], v[90:91]
	ds_read2_b64 v[108:111], v104 offset0:3 offset1:4
	ds_read2_b64 v[112:115], v104 offset0:5 offset1:6
	;; [unrolled: 1-line block ×11, first 2 shown]
	ds_read_b64 v[0:1], v104 offset:360
	s_waitcnt lgkmcnt(11)
	v_fma_f64 v[88:89], -v[90:91], v[108:109], v[88:89]
	v_fma_f64 v[86:87], -v[90:91], v[110:111], v[86:87]
	s_waitcnt lgkmcnt(10)
	v_fma_f64 v[84:85], -v[90:91], v[112:113], v[84:85]
	v_fma_f64 v[82:83], -v[90:91], v[114:115], v[82:83]
	s_waitcnt lgkmcnt(9)
	v_fma_f64 v[78:79], -v[90:91], v[116:117], v[78:79]
	v_fma_f64 v[80:81], -v[90:91], v[118:119], v[80:81]
	s_waitcnt lgkmcnt(8)
	v_fma_f64 v[74:75], -v[90:91], v[120:121], v[74:75]
	v_fma_f64 v[76:77], -v[90:91], v[122:123], v[76:77]
	s_waitcnt lgkmcnt(7)
	v_fma_f64 v[72:73], -v[90:91], v[124:125], v[72:73]
	v_fma_f64 v[70:71], -v[90:91], v[126:127], v[70:71]
	s_waitcnt lgkmcnt(6)
	v_fma_f64 v[68:69], -v[90:91], v[128:129], v[68:69]
	v_fma_f64 v[66:67], -v[90:91], v[130:131], v[66:67]
	ds_read2_b64 v[108:111], v104 offset0:25 offset1:26
	ds_read2_b64 v[112:115], v104 offset0:27 offset1:28
	s_waitcnt lgkmcnt(7)
	v_fma_f64 v[64:65], -v[90:91], v[132:133], v[64:65]
	v_fma_f64 v[62:63], -v[90:91], v[134:135], v[62:63]
	s_waitcnt lgkmcnt(6)
	v_fma_f64 v[58:59], -v[90:91], v[136:137], v[58:59]
	ds_read2_b64 v[116:119], v104 offset0:29 offset1:30
	ds_read2_b64 v[120:123], v104 offset0:31 offset1:32
	v_fma_f64 v[60:61], -v[90:91], v[138:139], v[60:61]
	s_waitcnt lgkmcnt(7)
	v_fma_f64 v[54:55], -v[90:91], v[140:141], v[54:55]
	ds_read2_b64 v[124:127], v104 offset0:33 offset1:34
	ds_read2_b64 v[128:131], v104 offset0:35 offset1:36
	;; [unrolled: 5-line block ×3, first 2 shown]
	v_fma_f64 v[50:51], -v[90:91], v[146:147], v[50:51]
	ds_read2_b64 v[140:143], v104 offset0:41 offset1:42
	ds_read2_b64 v[144:147], v104 offset0:43 offset1:44
	s_waitcnt lgkmcnt(11)
	v_fma_f64 v[48:49], -v[90:91], v[148:149], v[48:49]
	v_fma_f64 v[46:47], -v[90:91], v[150:151], v[46:47]
	s_waitcnt lgkmcnt(9)
	v_fma_f64 v[44:45], -v[90:91], v[108:109], v[44:45]
	v_fma_f64 v[42:43], -v[90:91], v[110:111], v[42:43]
	s_waitcnt lgkmcnt(8)
	v_fma_f64 v[38:39], -v[90:91], v[112:113], v[38:39]
	v_fma_f64 v[40:41], -v[90:91], v[114:115], v[40:41]
	v_fma_f64 v[96:97], -v[90:91], v[0:1], v[96:97]
	s_waitcnt lgkmcnt(7)
	v_fma_f64 v[34:35], -v[90:91], v[116:117], v[34:35]
	v_fma_f64 v[36:37], -v[90:91], v[118:119], v[36:37]
	s_waitcnt lgkmcnt(6)
	v_fma_f64 v[32:33], -v[90:91], v[120:121], v[32:33]
	;; [unrolled: 3-line block ×8, first 2 shown]
	v_fma_f64 v[10:11], -v[90:91], v[146:147], v[10:11]
.LBB90_46:
	s_or_b32 exec_lo, exec_lo, s0
	v_lshl_add_u32 v0, v107, 3, v104
	s_barrier
	buffer_gl0_inv
	v_mov_b32_e32 v98, 3
	ds_write_b64 v0, v[88:89]
	s_waitcnt lgkmcnt(0)
	s_barrier
	buffer_gl0_inv
	ds_read_b64 v[0:1], v104 offset:24
	s_cmp_lt_i32 s7, 5
	s_cbranch_scc1 .LBB90_49
; %bb.47:
	v_mov_b32_e32 v98, 3
	v_add3_u32 v99, v105, 0, 32
	s_mov_b32 s0, 4
.LBB90_48:                              ; =>This Inner Loop Header: Depth=1
	ds_read_b64 v[108:109], v99
	v_add_nc_u32_e32 v99, 8, v99
	s_waitcnt lgkmcnt(0)
	v_cmp_lt_f64_e64 vcc_lo, |v[0:1]|, |v[108:109]|
	v_cndmask_b32_e32 v1, v1, v109, vcc_lo
	v_cndmask_b32_e32 v0, v0, v108, vcc_lo
	v_cndmask_b32_e64 v98, v98, s0, vcc_lo
	s_add_i32 s0, s0, 1
	s_cmp_lg_u32 s7, s0
	s_cbranch_scc1 .LBB90_48
.LBB90_49:
	s_mov_b32 s0, exec_lo
	s_waitcnt lgkmcnt(0)
	v_cmpx_eq_f64_e32 0, v[0:1]
	s_xor_b32 s0, exec_lo, s0
; %bb.50:
	v_cmp_ne_u32_e32 vcc_lo, 0, v101
	v_cndmask_b32_e32 v101, 4, v101, vcc_lo
; %bb.51:
	s_andn2_saveexec_b32 s0, s0
	s_cbranch_execz .LBB90_53
; %bb.52:
	v_div_scale_f64 v[99:100], null, v[0:1], v[0:1], 1.0
	v_rcp_f64_e32 v[108:109], v[99:100]
	v_fma_f64 v[110:111], -v[99:100], v[108:109], 1.0
	v_fma_f64 v[108:109], v[108:109], v[110:111], v[108:109]
	v_fma_f64 v[110:111], -v[99:100], v[108:109], 1.0
	v_fma_f64 v[108:109], v[108:109], v[110:111], v[108:109]
	v_div_scale_f64 v[110:111], vcc_lo, 1.0, v[0:1], 1.0
	v_mul_f64 v[112:113], v[110:111], v[108:109]
	v_fma_f64 v[99:100], -v[99:100], v[112:113], v[110:111]
	v_div_fmas_f64 v[99:100], v[99:100], v[108:109], v[112:113]
	v_div_fixup_f64 v[0:1], v[99:100], v[0:1], 1.0
.LBB90_53:
	s_or_b32 exec_lo, exec_lo, s0
	s_mov_b32 s0, exec_lo
	v_cmpx_ne_u32_e64 v107, v98
	s_xor_b32 s0, exec_lo, s0
	s_cbranch_execz .LBB90_59
; %bb.54:
	s_mov_b32 s1, exec_lo
	v_cmpx_eq_u32_e32 3, v107
	s_cbranch_execz .LBB90_58
; %bb.55:
	v_cmp_ne_u32_e32 vcc_lo, 3, v98
	s_xor_b32 s2, s6, -1
	s_and_b32 s3, s2, vcc_lo
	s_and_saveexec_b32 s2, s3
	s_cbranch_execz .LBB90_57
; %bb.56:
	v_ashrrev_i32_e32 v99, 31, v98
	v_lshlrev_b64 v[99:100], 2, v[98:99]
	v_add_co_u32 v99, vcc_lo, v4, v99
	v_add_co_ci_u32_e64 v100, null, v5, v100, vcc_lo
	s_clause 0x1
	global_load_dword v106, v[99:100], off
	global_load_dword v107, v[4:5], off offset:12
	s_waitcnt vmcnt(1)
	global_store_dword v[4:5], v106, off offset:12
	s_waitcnt vmcnt(0)
	global_store_dword v[99:100], v107, off
.LBB90_57:
	s_or_b32 exec_lo, exec_lo, s2
	v_mov_b32_e32 v106, v98
	v_mov_b32_e32 v107, v98
.LBB90_58:
	s_or_b32 exec_lo, exec_lo, s1
.LBB90_59:
	s_andn2_saveexec_b32 s0, s0
	s_cbranch_execz .LBB90_61
; %bb.60:
	v_mov_b32_e32 v98, v86
	v_mov_b32_e32 v99, v87
	;; [unrolled: 1-line block ×8, first 2 shown]
	ds_write2_b64 v104, v[98:99], v[107:108] offset0:4 offset1:5
	ds_write2_b64 v104, v[109:110], v[111:112] offset0:6 offset1:7
	v_mov_b32_e32 v98, v80
	v_mov_b32_e32 v99, v81
	v_mov_b32_e32 v107, v74
	v_mov_b32_e32 v108, v75
	v_mov_b32_e32 v109, v76
	v_mov_b32_e32 v110, v77
	v_mov_b32_e32 v111, v72
	v_mov_b32_e32 v112, v73
	v_mov_b32_e32 v113, v70
	v_mov_b32_e32 v114, v71
	v_mov_b32_e32 v115, v68
	v_mov_b32_e32 v116, v69
	v_mov_b32_e32 v117, v66
	v_mov_b32_e32 v118, v67
	v_mov_b32_e32 v119, v64
	v_mov_b32_e32 v120, v65
	v_mov_b32_e32 v121, v62
	v_mov_b32_e32 v122, v63
	v_mov_b32_e32 v123, v58
	v_mov_b32_e32 v124, v59
	ds_write2_b64 v104, v[98:99], v[107:108] offset0:8 offset1:9
	ds_write2_b64 v104, v[109:110], v[111:112] offset0:10 offset1:11
	ds_write2_b64 v104, v[113:114], v[115:116] offset0:12 offset1:13
	ds_write2_b64 v104, v[117:118], v[119:120] offset0:14 offset1:15
	ds_write2_b64 v104, v[121:122], v[123:124] offset0:16 offset1:17
	v_mov_b32_e32 v98, v60
	v_mov_b32_e32 v99, v61
	v_mov_b32_e32 v107, v54
	v_mov_b32_e32 v108, v55
	v_mov_b32_e32 v109, v56
	v_mov_b32_e32 v110, v57
	v_mov_b32_e32 v111, v52
	v_mov_b32_e32 v112, v53
	v_mov_b32_e32 v113, v50
	v_mov_b32_e32 v114, v51
	v_mov_b32_e32 v115, v48
	v_mov_b32_e32 v116, v49
	v_mov_b32_e32 v117, v46
	v_mov_b32_e32 v118, v47
	v_mov_b32_e32 v119, v44
	v_mov_b32_e32 v120, v45
	v_mov_b32_e32 v121, v42
	v_mov_b32_e32 v122, v43
	v_mov_b32_e32 v123, v38
	v_mov_b32_e32 v124, v39
	ds_write2_b64 v104, v[98:99], v[107:108] offset0:18 offset1:19
	ds_write2_b64 v104, v[109:110], v[111:112] offset0:20 offset1:21
	ds_write2_b64 v104, v[113:114], v[115:116] offset0:22 offset1:23
	;; [unrolled: 25-line block ×3, first 2 shown]
	ds_write2_b64 v104, v[117:118], v[119:120] offset0:34 offset1:35
	ds_write2_b64 v104, v[121:122], v[123:124] offset0:36 offset1:37
	v_mov_b32_e32 v98, v20
	v_mov_b32_e32 v99, v21
	;; [unrolled: 1-line block ×15, first 2 shown]
	ds_write2_b64 v104, v[98:99], v[108:109] offset0:38 offset1:39
	ds_write2_b64 v104, v[110:111], v[112:113] offset0:40 offset1:41
	ds_write2_b64 v104, v[114:115], v[116:117] offset0:42 offset1:43
	ds_write2_b64 v104, v[118:119], v[96:97] offset0:44 offset1:45
.LBB90_61:
	s_or_b32 exec_lo, exec_lo, s0
	s_mov_b32 s0, exec_lo
	s_waitcnt lgkmcnt(0)
	s_waitcnt_vscnt null, 0x0
	s_barrier
	buffer_gl0_inv
	v_cmpx_lt_i32_e32 3, v107
	s_cbranch_execz .LBB90_63
; %bb.62:
	v_mul_f64 v[88:89], v[0:1], v[88:89]
	ds_read2_b64 v[108:111], v104 offset0:4 offset1:5
	ds_read2_b64 v[112:115], v104 offset0:6 offset1:7
	;; [unrolled: 1-line block ×11, first 2 shown]
	s_waitcnt lgkmcnt(10)
	v_fma_f64 v[86:87], -v[88:89], v[108:109], v[86:87]
	v_fma_f64 v[84:85], -v[88:89], v[110:111], v[84:85]
	s_waitcnt lgkmcnt(9)
	v_fma_f64 v[82:83], -v[88:89], v[112:113], v[82:83]
	v_fma_f64 v[78:79], -v[88:89], v[114:115], v[78:79]
	;; [unrolled: 3-line block ×6, first 2 shown]
	ds_read2_b64 v[108:111], v104 offset0:26 offset1:27
	ds_read2_b64 v[112:115], v104 offset0:28 offset1:29
	s_waitcnt lgkmcnt(6)
	v_fma_f64 v[62:63], -v[88:89], v[132:133], v[62:63]
	v_fma_f64 v[58:59], -v[88:89], v[134:135], v[58:59]
	ds_read2_b64 v[116:119], v104 offset0:30 offset1:31
	ds_read2_b64 v[120:123], v104 offset0:32 offset1:33
	s_waitcnt lgkmcnt(7)
	v_fma_f64 v[60:61], -v[88:89], v[136:137], v[60:61]
	v_fma_f64 v[54:55], -v[88:89], v[138:139], v[54:55]
	;; [unrolled: 5-line block ×5, first 2 shown]
	s_waitcnt lgkmcnt(9)
	v_fma_f64 v[42:43], -v[88:89], v[108:109], v[42:43]
	v_fma_f64 v[38:39], -v[88:89], v[110:111], v[38:39]
	s_waitcnt lgkmcnt(8)
	v_fma_f64 v[40:41], -v[88:89], v[112:113], v[40:41]
	v_fma_f64 v[34:35], -v[88:89], v[114:115], v[34:35]
	;; [unrolled: 3-line block ×10, first 2 shown]
.LBB90_63:
	s_or_b32 exec_lo, exec_lo, s0
	v_lshl_add_u32 v0, v107, 3, v104
	s_barrier
	buffer_gl0_inv
	v_mov_b32_e32 v98, 4
	ds_write_b64 v0, v[86:87]
	s_waitcnt lgkmcnt(0)
	s_barrier
	buffer_gl0_inv
	ds_read_b64 v[0:1], v104 offset:32
	s_cmp_lt_i32 s7, 6
	s_cbranch_scc1 .LBB90_66
; %bb.64:
	v_add3_u32 v99, v105, 0, 40
	v_mov_b32_e32 v98, 4
	s_mov_b32 s0, 5
.LBB90_65:                              ; =>This Inner Loop Header: Depth=1
	ds_read_b64 v[108:109], v99
	v_add_nc_u32_e32 v99, 8, v99
	s_waitcnt lgkmcnt(0)
	v_cmp_lt_f64_e64 vcc_lo, |v[0:1]|, |v[108:109]|
	v_cndmask_b32_e32 v1, v1, v109, vcc_lo
	v_cndmask_b32_e32 v0, v0, v108, vcc_lo
	v_cndmask_b32_e64 v98, v98, s0, vcc_lo
	s_add_i32 s0, s0, 1
	s_cmp_lg_u32 s7, s0
	s_cbranch_scc1 .LBB90_65
.LBB90_66:
	s_mov_b32 s0, exec_lo
	s_waitcnt lgkmcnt(0)
	v_cmpx_eq_f64_e32 0, v[0:1]
	s_xor_b32 s0, exec_lo, s0
; %bb.67:
	v_cmp_ne_u32_e32 vcc_lo, 0, v101
	v_cndmask_b32_e32 v101, 5, v101, vcc_lo
; %bb.68:
	s_andn2_saveexec_b32 s0, s0
	s_cbranch_execz .LBB90_70
; %bb.69:
	v_div_scale_f64 v[99:100], null, v[0:1], v[0:1], 1.0
	v_rcp_f64_e32 v[108:109], v[99:100]
	v_fma_f64 v[110:111], -v[99:100], v[108:109], 1.0
	v_fma_f64 v[108:109], v[108:109], v[110:111], v[108:109]
	v_fma_f64 v[110:111], -v[99:100], v[108:109], 1.0
	v_fma_f64 v[108:109], v[108:109], v[110:111], v[108:109]
	v_div_scale_f64 v[110:111], vcc_lo, 1.0, v[0:1], 1.0
	v_mul_f64 v[112:113], v[110:111], v[108:109]
	v_fma_f64 v[99:100], -v[99:100], v[112:113], v[110:111]
	v_div_fmas_f64 v[99:100], v[99:100], v[108:109], v[112:113]
	v_div_fixup_f64 v[0:1], v[99:100], v[0:1], 1.0
.LBB90_70:
	s_or_b32 exec_lo, exec_lo, s0
	s_mov_b32 s0, exec_lo
	v_cmpx_ne_u32_e64 v107, v98
	s_xor_b32 s0, exec_lo, s0
	s_cbranch_execz .LBB90_76
; %bb.71:
	s_mov_b32 s1, exec_lo
	v_cmpx_eq_u32_e32 4, v107
	s_cbranch_execz .LBB90_75
; %bb.72:
	v_cmp_ne_u32_e32 vcc_lo, 4, v98
	s_xor_b32 s2, s6, -1
	s_and_b32 s3, s2, vcc_lo
	s_and_saveexec_b32 s2, s3
	s_cbranch_execz .LBB90_74
; %bb.73:
	v_ashrrev_i32_e32 v99, 31, v98
	v_lshlrev_b64 v[99:100], 2, v[98:99]
	v_add_co_u32 v99, vcc_lo, v4, v99
	v_add_co_ci_u32_e64 v100, null, v5, v100, vcc_lo
	s_clause 0x1
	global_load_dword v106, v[99:100], off
	global_load_dword v107, v[4:5], off offset:16
	s_waitcnt vmcnt(1)
	global_store_dword v[4:5], v106, off offset:16
	s_waitcnt vmcnt(0)
	global_store_dword v[99:100], v107, off
.LBB90_74:
	s_or_b32 exec_lo, exec_lo, s2
	v_mov_b32_e32 v106, v98
	v_mov_b32_e32 v107, v98
.LBB90_75:
	s_or_b32 exec_lo, exec_lo, s1
.LBB90_76:
	s_andn2_saveexec_b32 s0, s0
	s_cbranch_execz .LBB90_78
; %bb.77:
	v_mov_b32_e32 v107, 4
	ds_write2_b64 v104, v[84:85], v[82:83] offset0:5 offset1:6
	ds_write2_b64 v104, v[78:79], v[80:81] offset0:7 offset1:8
	;; [unrolled: 1-line block ×20, first 2 shown]
	ds_write_b64 v104, v[96:97] offset:360
.LBB90_78:
	s_or_b32 exec_lo, exec_lo, s0
	s_mov_b32 s0, exec_lo
	s_waitcnt lgkmcnt(0)
	s_waitcnt_vscnt null, 0x0
	s_barrier
	buffer_gl0_inv
	v_cmpx_lt_i32_e32 4, v107
	s_cbranch_execz .LBB90_80
; %bb.79:
	v_mul_f64 v[86:87], v[0:1], v[86:87]
	ds_read2_b64 v[108:111], v104 offset0:5 offset1:6
	ds_read2_b64 v[112:115], v104 offset0:7 offset1:8
	;; [unrolled: 1-line block ×11, first 2 shown]
	ds_read_b64 v[0:1], v104 offset:360
	s_waitcnt lgkmcnt(11)
	v_fma_f64 v[84:85], -v[86:87], v[108:109], v[84:85]
	v_fma_f64 v[82:83], -v[86:87], v[110:111], v[82:83]
	s_waitcnt lgkmcnt(10)
	v_fma_f64 v[78:79], -v[86:87], v[112:113], v[78:79]
	v_fma_f64 v[80:81], -v[86:87], v[114:115], v[80:81]
	;; [unrolled: 3-line block ×6, first 2 shown]
	ds_read2_b64 v[108:111], v104 offset0:27 offset1:28
	ds_read2_b64 v[112:115], v104 offset0:29 offset1:30
	s_waitcnt lgkmcnt(7)
	v_fma_f64 v[58:59], -v[86:87], v[132:133], v[58:59]
	v_fma_f64 v[60:61], -v[86:87], v[134:135], v[60:61]
	ds_read2_b64 v[116:119], v104 offset0:31 offset1:32
	ds_read2_b64 v[120:123], v104 offset0:33 offset1:34
	s_waitcnt lgkmcnt(8)
	v_fma_f64 v[54:55], -v[86:87], v[136:137], v[54:55]
	v_fma_f64 v[56:57], -v[86:87], v[138:139], v[56:57]
	;; [unrolled: 5-line block ×3, first 2 shown]
	ds_read2_b64 v[132:135], v104 offset0:39 offset1:40
	ds_read2_b64 v[136:139], v104 offset0:41 offset1:42
	;; [unrolled: 1-line block ×3, first 2 shown]
	s_waitcnt lgkmcnt(11)
	v_fma_f64 v[48:49], -v[86:87], v[144:145], v[48:49]
	v_fma_f64 v[46:47], -v[86:87], v[146:147], v[46:47]
	s_waitcnt lgkmcnt(10)
	v_fma_f64 v[44:45], -v[86:87], v[148:149], v[44:45]
	v_fma_f64 v[42:43], -v[86:87], v[150:151], v[42:43]
	s_waitcnt lgkmcnt(9)
	v_fma_f64 v[96:97], -v[86:87], v[0:1], v[96:97]
	s_waitcnt lgkmcnt(8)
	v_fma_f64 v[38:39], -v[86:87], v[108:109], v[38:39]
	v_fma_f64 v[40:41], -v[86:87], v[110:111], v[40:41]
	s_waitcnt lgkmcnt(7)
	v_fma_f64 v[34:35], -v[86:87], v[112:113], v[34:35]
	v_fma_f64 v[36:37], -v[86:87], v[114:115], v[36:37]
	s_waitcnt lgkmcnt(6)
	v_fma_f64 v[32:33], -v[86:87], v[116:117], v[32:33]
	v_fma_f64 v[30:31], -v[86:87], v[118:119], v[30:31]
	s_waitcnt lgkmcnt(5)
	v_fma_f64 v[28:29], -v[86:87], v[120:121], v[28:29]
	v_fma_f64 v[26:27], -v[86:87], v[122:123], v[26:27]
	s_waitcnt lgkmcnt(4)
	v_fma_f64 v[24:25], -v[86:87], v[124:125], v[24:25]
	v_fma_f64 v[22:23], -v[86:87], v[126:127], v[22:23]
	s_waitcnt lgkmcnt(3)
	v_fma_f64 v[18:19], -v[86:87], v[128:129], v[18:19]
	v_fma_f64 v[20:21], -v[86:87], v[130:131], v[20:21]
	s_waitcnt lgkmcnt(2)
	v_fma_f64 v[16:17], -v[86:87], v[132:133], v[16:17]
	v_fma_f64 v[14:15], -v[86:87], v[134:135], v[14:15]
	s_waitcnt lgkmcnt(1)
	v_fma_f64 v[8:9], -v[86:87], v[136:137], v[8:9]
	v_fma_f64 v[12:13], -v[86:87], v[138:139], v[12:13]
	s_waitcnt lgkmcnt(0)
	v_fma_f64 v[6:7], -v[86:87], v[140:141], v[6:7]
	v_fma_f64 v[10:11], -v[86:87], v[142:143], v[10:11]
.LBB90_80:
	s_or_b32 exec_lo, exec_lo, s0
	v_lshl_add_u32 v0, v107, 3, v104
	s_barrier
	buffer_gl0_inv
	v_mov_b32_e32 v98, 5
	ds_write_b64 v0, v[84:85]
	s_waitcnt lgkmcnt(0)
	s_barrier
	buffer_gl0_inv
	ds_read_b64 v[0:1], v104 offset:40
	s_cmp_lt_i32 s7, 7
	s_cbranch_scc1 .LBB90_83
; %bb.81:
	v_add3_u32 v99, v105, 0, 48
	v_mov_b32_e32 v98, 5
	s_mov_b32 s0, 6
.LBB90_82:                              ; =>This Inner Loop Header: Depth=1
	ds_read_b64 v[108:109], v99
	v_add_nc_u32_e32 v99, 8, v99
	s_waitcnt lgkmcnt(0)
	v_cmp_lt_f64_e64 vcc_lo, |v[0:1]|, |v[108:109]|
	v_cndmask_b32_e32 v1, v1, v109, vcc_lo
	v_cndmask_b32_e32 v0, v0, v108, vcc_lo
	v_cndmask_b32_e64 v98, v98, s0, vcc_lo
	s_add_i32 s0, s0, 1
	s_cmp_lg_u32 s7, s0
	s_cbranch_scc1 .LBB90_82
.LBB90_83:
	s_mov_b32 s0, exec_lo
	s_waitcnt lgkmcnt(0)
	v_cmpx_eq_f64_e32 0, v[0:1]
	s_xor_b32 s0, exec_lo, s0
; %bb.84:
	v_cmp_ne_u32_e32 vcc_lo, 0, v101
	v_cndmask_b32_e32 v101, 6, v101, vcc_lo
; %bb.85:
	s_andn2_saveexec_b32 s0, s0
	s_cbranch_execz .LBB90_87
; %bb.86:
	v_div_scale_f64 v[99:100], null, v[0:1], v[0:1], 1.0
	v_rcp_f64_e32 v[108:109], v[99:100]
	v_fma_f64 v[110:111], -v[99:100], v[108:109], 1.0
	v_fma_f64 v[108:109], v[108:109], v[110:111], v[108:109]
	v_fma_f64 v[110:111], -v[99:100], v[108:109], 1.0
	v_fma_f64 v[108:109], v[108:109], v[110:111], v[108:109]
	v_div_scale_f64 v[110:111], vcc_lo, 1.0, v[0:1], 1.0
	v_mul_f64 v[112:113], v[110:111], v[108:109]
	v_fma_f64 v[99:100], -v[99:100], v[112:113], v[110:111]
	v_div_fmas_f64 v[99:100], v[99:100], v[108:109], v[112:113]
	v_div_fixup_f64 v[0:1], v[99:100], v[0:1], 1.0
.LBB90_87:
	s_or_b32 exec_lo, exec_lo, s0
	s_mov_b32 s0, exec_lo
	v_cmpx_ne_u32_e64 v107, v98
	s_xor_b32 s0, exec_lo, s0
	s_cbranch_execz .LBB90_93
; %bb.88:
	s_mov_b32 s1, exec_lo
	v_cmpx_eq_u32_e32 5, v107
	s_cbranch_execz .LBB90_92
; %bb.89:
	v_cmp_ne_u32_e32 vcc_lo, 5, v98
	s_xor_b32 s2, s6, -1
	s_and_b32 s3, s2, vcc_lo
	s_and_saveexec_b32 s2, s3
	s_cbranch_execz .LBB90_91
; %bb.90:
	v_ashrrev_i32_e32 v99, 31, v98
	v_lshlrev_b64 v[99:100], 2, v[98:99]
	v_add_co_u32 v99, vcc_lo, v4, v99
	v_add_co_ci_u32_e64 v100, null, v5, v100, vcc_lo
	s_clause 0x1
	global_load_dword v106, v[99:100], off
	global_load_dword v107, v[4:5], off offset:20
	s_waitcnt vmcnt(1)
	global_store_dword v[4:5], v106, off offset:20
	s_waitcnt vmcnt(0)
	global_store_dword v[99:100], v107, off
.LBB90_91:
	s_or_b32 exec_lo, exec_lo, s2
	v_mov_b32_e32 v106, v98
	v_mov_b32_e32 v107, v98
.LBB90_92:
	s_or_b32 exec_lo, exec_lo, s1
.LBB90_93:
	s_andn2_saveexec_b32 s0, s0
	s_cbranch_execz .LBB90_95
; %bb.94:
	v_mov_b32_e32 v98, v82
	v_mov_b32_e32 v99, v83
	;; [unrolled: 1-line block ×8, first 2 shown]
	ds_write2_b64 v104, v[98:99], v[107:108] offset0:6 offset1:7
	v_mov_b32_e32 v98, v74
	v_mov_b32_e32 v99, v75
	v_mov_b32_e32 v107, v76
	v_mov_b32_e32 v108, v77
	v_mov_b32_e32 v113, v70
	v_mov_b32_e32 v114, v71
	v_mov_b32_e32 v115, v68
	v_mov_b32_e32 v116, v69
	v_mov_b32_e32 v117, v66
	v_mov_b32_e32 v118, v67
	v_mov_b32_e32 v119, v64
	v_mov_b32_e32 v120, v65
	v_mov_b32_e32 v121, v62
	v_mov_b32_e32 v122, v63
	v_mov_b32_e32 v123, v58
	v_mov_b32_e32 v124, v59
	ds_write2_b64 v104, v[109:110], v[98:99] offset0:8 offset1:9
	ds_write2_b64 v104, v[107:108], v[111:112] offset0:10 offset1:11
	ds_write2_b64 v104, v[113:114], v[115:116] offset0:12 offset1:13
	ds_write2_b64 v104, v[117:118], v[119:120] offset0:14 offset1:15
	ds_write2_b64 v104, v[121:122], v[123:124] offset0:16 offset1:17
	v_mov_b32_e32 v98, v60
	v_mov_b32_e32 v99, v61
	v_mov_b32_e32 v107, v54
	v_mov_b32_e32 v108, v55
	v_mov_b32_e32 v109, v56
	v_mov_b32_e32 v110, v57
	v_mov_b32_e32 v111, v52
	v_mov_b32_e32 v112, v53
	v_mov_b32_e32 v113, v50
	v_mov_b32_e32 v114, v51
	v_mov_b32_e32 v115, v48
	v_mov_b32_e32 v116, v49
	v_mov_b32_e32 v117, v46
	v_mov_b32_e32 v118, v47
	v_mov_b32_e32 v119, v44
	v_mov_b32_e32 v120, v45
	v_mov_b32_e32 v121, v42
	v_mov_b32_e32 v122, v43
	v_mov_b32_e32 v123, v38
	v_mov_b32_e32 v124, v39
	ds_write2_b64 v104, v[98:99], v[107:108] offset0:18 offset1:19
	ds_write2_b64 v104, v[109:110], v[111:112] offset0:20 offset1:21
	ds_write2_b64 v104, v[113:114], v[115:116] offset0:22 offset1:23
	ds_write2_b64 v104, v[117:118], v[119:120] offset0:24 offset1:25
	ds_write2_b64 v104, v[121:122], v[123:124] offset0:26 offset1:27
	v_mov_b32_e32 v98, v40
	v_mov_b32_e32 v99, v41
	v_mov_b32_e32 v107, v34
	v_mov_b32_e32 v108, v35
	;; [unrolled: 25-line block ×3, first 2 shown]
	v_mov_b32_e32 v107, 5
	v_mov_b32_e32 v110, v14
	;; [unrolled: 1-line block ×11, first 2 shown]
	ds_write2_b64 v104, v[98:99], v[108:109] offset0:38 offset1:39
	ds_write2_b64 v104, v[110:111], v[112:113] offset0:40 offset1:41
	;; [unrolled: 1-line block ×4, first 2 shown]
.LBB90_95:
	s_or_b32 exec_lo, exec_lo, s0
	s_mov_b32 s0, exec_lo
	s_waitcnt lgkmcnt(0)
	s_waitcnt_vscnt null, 0x0
	s_barrier
	buffer_gl0_inv
	v_cmpx_lt_i32_e32 5, v107
	s_cbranch_execz .LBB90_97
; %bb.96:
	v_mul_f64 v[84:85], v[0:1], v[84:85]
	ds_read2_b64 v[108:111], v104 offset0:6 offset1:7
	ds_read2_b64 v[112:115], v104 offset0:8 offset1:9
	ds_read2_b64 v[116:119], v104 offset0:10 offset1:11
	ds_read2_b64 v[120:123], v104 offset0:12 offset1:13
	ds_read2_b64 v[124:127], v104 offset0:14 offset1:15
	ds_read2_b64 v[128:131], v104 offset0:16 offset1:17
	ds_read2_b64 v[132:135], v104 offset0:18 offset1:19
	ds_read2_b64 v[136:139], v104 offset0:20 offset1:21
	ds_read2_b64 v[140:143], v104 offset0:22 offset1:23
	ds_read2_b64 v[144:147], v104 offset0:24 offset1:25
	ds_read2_b64 v[148:151], v104 offset0:26 offset1:27
	s_waitcnt lgkmcnt(10)
	v_fma_f64 v[82:83], -v[84:85], v[108:109], v[82:83]
	v_fma_f64 v[78:79], -v[84:85], v[110:111], v[78:79]
	s_waitcnt lgkmcnt(9)
	v_fma_f64 v[80:81], -v[84:85], v[112:113], v[80:81]
	v_fma_f64 v[74:75], -v[84:85], v[114:115], v[74:75]
	;; [unrolled: 3-line block ×5, first 2 shown]
	s_waitcnt lgkmcnt(5)
	v_fma_f64 v[62:63], -v[84:85], v[128:129], v[62:63]
	ds_read2_b64 v[108:111], v104 offset0:28 offset1:29
	ds_read2_b64 v[112:115], v104 offset0:30 offset1:31
	v_fma_f64 v[58:59], -v[84:85], v[130:131], v[58:59]
	s_waitcnt lgkmcnt(6)
	v_fma_f64 v[60:61], -v[84:85], v[132:133], v[60:61]
	ds_read2_b64 v[116:119], v104 offset0:32 offset1:33
	ds_read2_b64 v[120:123], v104 offset0:34 offset1:35
	v_fma_f64 v[54:55], -v[84:85], v[134:135], v[54:55]
	;; [unrolled: 5-line block ×4, first 2 shown]
	ds_read2_b64 v[140:143], v104 offset0:44 offset1:45
	s_waitcnt lgkmcnt(10)
	v_fma_f64 v[46:47], -v[84:85], v[144:145], v[46:47]
	v_fma_f64 v[44:45], -v[84:85], v[146:147], v[44:45]
	s_waitcnt lgkmcnt(9)
	v_fma_f64 v[42:43], -v[84:85], v[148:149], v[42:43]
	v_fma_f64 v[38:39], -v[84:85], v[150:151], v[38:39]
	;; [unrolled: 3-line block ×11, first 2 shown]
.LBB90_97:
	s_or_b32 exec_lo, exec_lo, s0
	v_lshl_add_u32 v0, v107, 3, v104
	s_barrier
	buffer_gl0_inv
	v_mov_b32_e32 v98, 6
	ds_write_b64 v0, v[82:83]
	s_waitcnt lgkmcnt(0)
	s_barrier
	buffer_gl0_inv
	ds_read_b64 v[0:1], v104 offset:48
	s_cmp_lt_i32 s7, 8
	s_cbranch_scc1 .LBB90_100
; %bb.98:
	v_add3_u32 v99, v105, 0, 56
	v_mov_b32_e32 v98, 6
	s_mov_b32 s0, 7
.LBB90_99:                              ; =>This Inner Loop Header: Depth=1
	ds_read_b64 v[108:109], v99
	v_add_nc_u32_e32 v99, 8, v99
	s_waitcnt lgkmcnt(0)
	v_cmp_lt_f64_e64 vcc_lo, |v[0:1]|, |v[108:109]|
	v_cndmask_b32_e32 v1, v1, v109, vcc_lo
	v_cndmask_b32_e32 v0, v0, v108, vcc_lo
	v_cndmask_b32_e64 v98, v98, s0, vcc_lo
	s_add_i32 s0, s0, 1
	s_cmp_lg_u32 s7, s0
	s_cbranch_scc1 .LBB90_99
.LBB90_100:
	s_mov_b32 s0, exec_lo
	s_waitcnt lgkmcnt(0)
	v_cmpx_eq_f64_e32 0, v[0:1]
	s_xor_b32 s0, exec_lo, s0
; %bb.101:
	v_cmp_ne_u32_e32 vcc_lo, 0, v101
	v_cndmask_b32_e32 v101, 7, v101, vcc_lo
; %bb.102:
	s_andn2_saveexec_b32 s0, s0
	s_cbranch_execz .LBB90_104
; %bb.103:
	v_div_scale_f64 v[99:100], null, v[0:1], v[0:1], 1.0
	v_rcp_f64_e32 v[108:109], v[99:100]
	v_fma_f64 v[110:111], -v[99:100], v[108:109], 1.0
	v_fma_f64 v[108:109], v[108:109], v[110:111], v[108:109]
	v_fma_f64 v[110:111], -v[99:100], v[108:109], 1.0
	v_fma_f64 v[108:109], v[108:109], v[110:111], v[108:109]
	v_div_scale_f64 v[110:111], vcc_lo, 1.0, v[0:1], 1.0
	v_mul_f64 v[112:113], v[110:111], v[108:109]
	v_fma_f64 v[99:100], -v[99:100], v[112:113], v[110:111]
	v_div_fmas_f64 v[99:100], v[99:100], v[108:109], v[112:113]
	v_div_fixup_f64 v[0:1], v[99:100], v[0:1], 1.0
.LBB90_104:
	s_or_b32 exec_lo, exec_lo, s0
	s_mov_b32 s0, exec_lo
	v_cmpx_ne_u32_e64 v107, v98
	s_xor_b32 s0, exec_lo, s0
	s_cbranch_execz .LBB90_110
; %bb.105:
	s_mov_b32 s1, exec_lo
	v_cmpx_eq_u32_e32 6, v107
	s_cbranch_execz .LBB90_109
; %bb.106:
	v_cmp_ne_u32_e32 vcc_lo, 6, v98
	s_xor_b32 s2, s6, -1
	s_and_b32 s3, s2, vcc_lo
	s_and_saveexec_b32 s2, s3
	s_cbranch_execz .LBB90_108
; %bb.107:
	v_ashrrev_i32_e32 v99, 31, v98
	v_lshlrev_b64 v[99:100], 2, v[98:99]
	v_add_co_u32 v99, vcc_lo, v4, v99
	v_add_co_ci_u32_e64 v100, null, v5, v100, vcc_lo
	s_clause 0x1
	global_load_dword v106, v[99:100], off
	global_load_dword v107, v[4:5], off offset:24
	s_waitcnt vmcnt(1)
	global_store_dword v[4:5], v106, off offset:24
	s_waitcnt vmcnt(0)
	global_store_dword v[99:100], v107, off
.LBB90_108:
	s_or_b32 exec_lo, exec_lo, s2
	v_mov_b32_e32 v106, v98
	v_mov_b32_e32 v107, v98
.LBB90_109:
	s_or_b32 exec_lo, exec_lo, s1
.LBB90_110:
	s_andn2_saveexec_b32 s0, s0
	s_cbranch_execz .LBB90_112
; %bb.111:
	v_mov_b32_e32 v107, 6
	ds_write2_b64 v104, v[78:79], v[80:81] offset0:7 offset1:8
	ds_write2_b64 v104, v[74:75], v[76:77] offset0:9 offset1:10
	;; [unrolled: 1-line block ×19, first 2 shown]
	ds_write_b64 v104, v[96:97] offset:360
.LBB90_112:
	s_or_b32 exec_lo, exec_lo, s0
	s_mov_b32 s0, exec_lo
	s_waitcnt lgkmcnt(0)
	s_waitcnt_vscnt null, 0x0
	s_barrier
	buffer_gl0_inv
	v_cmpx_lt_i32_e32 6, v107
	s_cbranch_execz .LBB90_114
; %bb.113:
	v_mul_f64 v[82:83], v[0:1], v[82:83]
	ds_read2_b64 v[108:111], v104 offset0:7 offset1:8
	ds_read2_b64 v[112:115], v104 offset0:9 offset1:10
	;; [unrolled: 1-line block ×11, first 2 shown]
	ds_read_b64 v[0:1], v104 offset:360
	s_waitcnt lgkmcnt(11)
	v_fma_f64 v[78:79], -v[82:83], v[108:109], v[78:79]
	v_fma_f64 v[80:81], -v[82:83], v[110:111], v[80:81]
	s_waitcnt lgkmcnt(10)
	v_fma_f64 v[74:75], -v[82:83], v[112:113], v[74:75]
	v_fma_f64 v[76:77], -v[82:83], v[114:115], v[76:77]
	;; [unrolled: 3-line block ×5, first 2 shown]
	s_waitcnt lgkmcnt(6)
	v_fma_f64 v[58:59], -v[82:83], v[128:129], v[58:59]
	ds_read2_b64 v[108:111], v104 offset0:29 offset1:30
	ds_read2_b64 v[112:115], v104 offset0:31 offset1:32
	v_fma_f64 v[60:61], -v[82:83], v[130:131], v[60:61]
	s_waitcnt lgkmcnt(7)
	v_fma_f64 v[54:55], -v[82:83], v[132:133], v[54:55]
	ds_read2_b64 v[116:119], v104 offset0:33 offset1:34
	ds_read2_b64 v[120:123], v104 offset0:35 offset1:36
	v_fma_f64 v[56:57], -v[82:83], v[134:135], v[56:57]
	s_waitcnt lgkmcnt(8)
	v_fma_f64 v[52:53], -v[82:83], v[136:137], v[52:53]
	ds_read2_b64 v[124:127], v104 offset0:37 offset1:38
	ds_read2_b64 v[128:131], v104 offset0:39 offset1:40
	v_fma_f64 v[50:51], -v[82:83], v[138:139], v[50:51]
	ds_read2_b64 v[132:135], v104 offset0:41 offset1:42
	ds_read2_b64 v[136:139], v104 offset0:43 offset1:44
	s_waitcnt lgkmcnt(11)
	v_fma_f64 v[48:49], -v[82:83], v[140:141], v[48:49]
	v_fma_f64 v[46:47], -v[82:83], v[142:143], v[46:47]
	s_waitcnt lgkmcnt(10)
	v_fma_f64 v[44:45], -v[82:83], v[144:145], v[44:45]
	v_fma_f64 v[42:43], -v[82:83], v[146:147], v[42:43]
	;; [unrolled: 3-line block ×3, first 2 shown]
	s_waitcnt lgkmcnt(8)
	v_fma_f64 v[96:97], -v[82:83], v[0:1], v[96:97]
	s_waitcnt lgkmcnt(7)
	v_fma_f64 v[34:35], -v[82:83], v[108:109], v[34:35]
	v_fma_f64 v[36:37], -v[82:83], v[110:111], v[36:37]
	s_waitcnt lgkmcnt(6)
	v_fma_f64 v[32:33], -v[82:83], v[112:113], v[32:33]
	;; [unrolled: 3-line block ×8, first 2 shown]
	v_fma_f64 v[10:11], -v[82:83], v[138:139], v[10:11]
.LBB90_114:
	s_or_b32 exec_lo, exec_lo, s0
	v_lshl_add_u32 v0, v107, 3, v104
	s_barrier
	buffer_gl0_inv
	v_mov_b32_e32 v98, 7
	ds_write_b64 v0, v[78:79]
	s_waitcnt lgkmcnt(0)
	s_barrier
	buffer_gl0_inv
	ds_read_b64 v[0:1], v104 offset:56
	s_cmp_lt_i32 s7, 9
	s_cbranch_scc1 .LBB90_117
; %bb.115:
	v_add3_u32 v99, v105, 0, 64
	v_mov_b32_e32 v98, 7
	s_mov_b32 s0, 8
.LBB90_116:                             ; =>This Inner Loop Header: Depth=1
	ds_read_b64 v[108:109], v99
	v_add_nc_u32_e32 v99, 8, v99
	s_waitcnt lgkmcnt(0)
	v_cmp_lt_f64_e64 vcc_lo, |v[0:1]|, |v[108:109]|
	v_cndmask_b32_e32 v1, v1, v109, vcc_lo
	v_cndmask_b32_e32 v0, v0, v108, vcc_lo
	v_cndmask_b32_e64 v98, v98, s0, vcc_lo
	s_add_i32 s0, s0, 1
	s_cmp_lg_u32 s7, s0
	s_cbranch_scc1 .LBB90_116
.LBB90_117:
	s_mov_b32 s0, exec_lo
	s_waitcnt lgkmcnt(0)
	v_cmpx_eq_f64_e32 0, v[0:1]
	s_xor_b32 s0, exec_lo, s0
; %bb.118:
	v_cmp_ne_u32_e32 vcc_lo, 0, v101
	v_cndmask_b32_e32 v101, 8, v101, vcc_lo
; %bb.119:
	s_andn2_saveexec_b32 s0, s0
	s_cbranch_execz .LBB90_121
; %bb.120:
	v_div_scale_f64 v[99:100], null, v[0:1], v[0:1], 1.0
	v_rcp_f64_e32 v[108:109], v[99:100]
	v_fma_f64 v[110:111], -v[99:100], v[108:109], 1.0
	v_fma_f64 v[108:109], v[108:109], v[110:111], v[108:109]
	v_fma_f64 v[110:111], -v[99:100], v[108:109], 1.0
	v_fma_f64 v[108:109], v[108:109], v[110:111], v[108:109]
	v_div_scale_f64 v[110:111], vcc_lo, 1.0, v[0:1], 1.0
	v_mul_f64 v[112:113], v[110:111], v[108:109]
	v_fma_f64 v[99:100], -v[99:100], v[112:113], v[110:111]
	v_div_fmas_f64 v[99:100], v[99:100], v[108:109], v[112:113]
	v_div_fixup_f64 v[0:1], v[99:100], v[0:1], 1.0
.LBB90_121:
	s_or_b32 exec_lo, exec_lo, s0
	s_mov_b32 s0, exec_lo
	v_cmpx_ne_u32_e64 v107, v98
	s_xor_b32 s0, exec_lo, s0
	s_cbranch_execz .LBB90_127
; %bb.122:
	s_mov_b32 s1, exec_lo
	v_cmpx_eq_u32_e32 7, v107
	s_cbranch_execz .LBB90_126
; %bb.123:
	v_cmp_ne_u32_e32 vcc_lo, 7, v98
	s_xor_b32 s2, s6, -1
	s_and_b32 s3, s2, vcc_lo
	s_and_saveexec_b32 s2, s3
	s_cbranch_execz .LBB90_125
; %bb.124:
	v_ashrrev_i32_e32 v99, 31, v98
	v_lshlrev_b64 v[99:100], 2, v[98:99]
	v_add_co_u32 v99, vcc_lo, v4, v99
	v_add_co_ci_u32_e64 v100, null, v5, v100, vcc_lo
	s_clause 0x1
	global_load_dword v106, v[99:100], off
	global_load_dword v107, v[4:5], off offset:28
	s_waitcnt vmcnt(1)
	global_store_dword v[4:5], v106, off offset:28
	s_waitcnt vmcnt(0)
	global_store_dword v[99:100], v107, off
.LBB90_125:
	s_or_b32 exec_lo, exec_lo, s2
	v_mov_b32_e32 v106, v98
	v_mov_b32_e32 v107, v98
.LBB90_126:
	s_or_b32 exec_lo, exec_lo, s1
.LBB90_127:
	s_andn2_saveexec_b32 s0, s0
	s_cbranch_execz .LBB90_129
; %bb.128:
	v_mov_b32_e32 v98, v80
	v_mov_b32_e32 v99, v81
	v_mov_b32_e32 v107, v74
	v_mov_b32_e32 v108, v75
	v_mov_b32_e32 v109, v76
	v_mov_b32_e32 v110, v77
	v_mov_b32_e32 v111, v72
	v_mov_b32_e32 v112, v73
	v_mov_b32_e32 v113, v70
	v_mov_b32_e32 v114, v71
	v_mov_b32_e32 v115, v68
	v_mov_b32_e32 v116, v69
	v_mov_b32_e32 v117, v66
	v_mov_b32_e32 v118, v67
	v_mov_b32_e32 v119, v64
	v_mov_b32_e32 v120, v65
	v_mov_b32_e32 v121, v62
	v_mov_b32_e32 v122, v63
	v_mov_b32_e32 v123, v58
	v_mov_b32_e32 v124, v59
	ds_write2_b64 v104, v[98:99], v[107:108] offset0:8 offset1:9
	ds_write2_b64 v104, v[109:110], v[111:112] offset0:10 offset1:11
	ds_write2_b64 v104, v[113:114], v[115:116] offset0:12 offset1:13
	ds_write2_b64 v104, v[117:118], v[119:120] offset0:14 offset1:15
	ds_write2_b64 v104, v[121:122], v[123:124] offset0:16 offset1:17
	v_mov_b32_e32 v98, v60
	v_mov_b32_e32 v99, v61
	v_mov_b32_e32 v107, v54
	v_mov_b32_e32 v108, v55
	v_mov_b32_e32 v109, v56
	v_mov_b32_e32 v110, v57
	v_mov_b32_e32 v111, v52
	v_mov_b32_e32 v112, v53
	v_mov_b32_e32 v113, v50
	v_mov_b32_e32 v114, v51
	v_mov_b32_e32 v115, v48
	v_mov_b32_e32 v116, v49
	v_mov_b32_e32 v117, v46
	v_mov_b32_e32 v118, v47
	v_mov_b32_e32 v119, v44
	v_mov_b32_e32 v120, v45
	v_mov_b32_e32 v121, v42
	v_mov_b32_e32 v122, v43
	v_mov_b32_e32 v123, v38
	v_mov_b32_e32 v124, v39
	ds_write2_b64 v104, v[98:99], v[107:108] offset0:18 offset1:19
	ds_write2_b64 v104, v[109:110], v[111:112] offset0:20 offset1:21
	ds_write2_b64 v104, v[113:114], v[115:116] offset0:22 offset1:23
	ds_write2_b64 v104, v[117:118], v[119:120] offset0:24 offset1:25
	ds_write2_b64 v104, v[121:122], v[123:124] offset0:26 offset1:27
	;; [unrolled: 25-line block ×3, first 2 shown]
	v_mov_b32_e32 v98, v20
	v_mov_b32_e32 v99, v21
	;; [unrolled: 1-line block ×15, first 2 shown]
	ds_write2_b64 v104, v[98:99], v[108:109] offset0:38 offset1:39
	ds_write2_b64 v104, v[110:111], v[112:113] offset0:40 offset1:41
	;; [unrolled: 1-line block ×4, first 2 shown]
.LBB90_129:
	s_or_b32 exec_lo, exec_lo, s0
	s_mov_b32 s0, exec_lo
	s_waitcnt lgkmcnt(0)
	s_waitcnt_vscnt null, 0x0
	s_barrier
	buffer_gl0_inv
	v_cmpx_lt_i32_e32 7, v107
	s_cbranch_execz .LBB90_131
; %bb.130:
	v_mul_f64 v[78:79], v[0:1], v[78:79]
	ds_read2_b64 v[108:111], v104 offset0:8 offset1:9
	ds_read2_b64 v[112:115], v104 offset0:10 offset1:11
	;; [unrolled: 1-line block ×12, first 2 shown]
	s_waitcnt lgkmcnt(11)
	v_fma_f64 v[80:81], -v[78:79], v[108:109], v[80:81]
	v_fma_f64 v[74:75], -v[78:79], v[110:111], v[74:75]
	s_waitcnt lgkmcnt(10)
	v_fma_f64 v[76:77], -v[78:79], v[112:113], v[76:77]
	v_fma_f64 v[72:73], -v[78:79], v[114:115], v[72:73]
	;; [unrolled: 3-line block ×5, first 2 shown]
	s_waitcnt lgkmcnt(6)
	v_fma_f64 v[60:61], -v[78:79], v[128:129], v[60:61]
	ds_read2_b64 v[108:111], v104 offset0:32 offset1:33
	ds_read2_b64 v[112:115], v104 offset0:34 offset1:35
	v_fma_f64 v[54:55], -v[78:79], v[130:131], v[54:55]
	s_waitcnt lgkmcnt(7)
	v_fma_f64 v[56:57], -v[78:79], v[132:133], v[56:57]
	ds_read2_b64 v[116:119], v104 offset0:36 offset1:37
	ds_read2_b64 v[120:123], v104 offset0:38 offset1:39
	v_fma_f64 v[52:53], -v[78:79], v[134:135], v[52:53]
	ds_read2_b64 v[124:127], v104 offset0:40 offset1:41
	ds_read2_b64 v[128:131], v104 offset0:42 offset1:43
	;; [unrolled: 1-line block ×3, first 2 shown]
	s_waitcnt lgkmcnt(11)
	v_fma_f64 v[50:51], -v[78:79], v[136:137], v[50:51]
	v_fma_f64 v[48:49], -v[78:79], v[138:139], v[48:49]
	s_waitcnt lgkmcnt(10)
	v_fma_f64 v[46:47], -v[78:79], v[140:141], v[46:47]
	v_fma_f64 v[44:45], -v[78:79], v[142:143], v[44:45]
	;; [unrolled: 3-line block ×12, first 2 shown]
.LBB90_131:
	s_or_b32 exec_lo, exec_lo, s0
	v_lshl_add_u32 v0, v107, 3, v104
	s_barrier
	buffer_gl0_inv
	v_mov_b32_e32 v98, 8
	ds_write_b64 v0, v[80:81]
	s_waitcnt lgkmcnt(0)
	s_barrier
	buffer_gl0_inv
	ds_read_b64 v[0:1], v104 offset:64
	s_cmp_lt_i32 s7, 10
	s_cbranch_scc1 .LBB90_134
; %bb.132:
	v_add3_u32 v99, v105, 0, 0x48
	v_mov_b32_e32 v98, 8
	s_mov_b32 s0, 9
.LBB90_133:                             ; =>This Inner Loop Header: Depth=1
	ds_read_b64 v[108:109], v99
	v_add_nc_u32_e32 v99, 8, v99
	s_waitcnt lgkmcnt(0)
	v_cmp_lt_f64_e64 vcc_lo, |v[0:1]|, |v[108:109]|
	v_cndmask_b32_e32 v1, v1, v109, vcc_lo
	v_cndmask_b32_e32 v0, v0, v108, vcc_lo
	v_cndmask_b32_e64 v98, v98, s0, vcc_lo
	s_add_i32 s0, s0, 1
	s_cmp_lg_u32 s7, s0
	s_cbranch_scc1 .LBB90_133
.LBB90_134:
	s_mov_b32 s0, exec_lo
	s_waitcnt lgkmcnt(0)
	v_cmpx_eq_f64_e32 0, v[0:1]
	s_xor_b32 s0, exec_lo, s0
; %bb.135:
	v_cmp_ne_u32_e32 vcc_lo, 0, v101
	v_cndmask_b32_e32 v101, 9, v101, vcc_lo
; %bb.136:
	s_andn2_saveexec_b32 s0, s0
	s_cbranch_execz .LBB90_138
; %bb.137:
	v_div_scale_f64 v[99:100], null, v[0:1], v[0:1], 1.0
	v_rcp_f64_e32 v[108:109], v[99:100]
	v_fma_f64 v[110:111], -v[99:100], v[108:109], 1.0
	v_fma_f64 v[108:109], v[108:109], v[110:111], v[108:109]
	v_fma_f64 v[110:111], -v[99:100], v[108:109], 1.0
	v_fma_f64 v[108:109], v[108:109], v[110:111], v[108:109]
	v_div_scale_f64 v[110:111], vcc_lo, 1.0, v[0:1], 1.0
	v_mul_f64 v[112:113], v[110:111], v[108:109]
	v_fma_f64 v[99:100], -v[99:100], v[112:113], v[110:111]
	v_div_fmas_f64 v[99:100], v[99:100], v[108:109], v[112:113]
	v_div_fixup_f64 v[0:1], v[99:100], v[0:1], 1.0
.LBB90_138:
	s_or_b32 exec_lo, exec_lo, s0
	s_mov_b32 s0, exec_lo
	v_cmpx_ne_u32_e64 v107, v98
	s_xor_b32 s0, exec_lo, s0
	s_cbranch_execz .LBB90_144
; %bb.139:
	s_mov_b32 s1, exec_lo
	v_cmpx_eq_u32_e32 8, v107
	s_cbranch_execz .LBB90_143
; %bb.140:
	v_cmp_ne_u32_e32 vcc_lo, 8, v98
	s_xor_b32 s2, s6, -1
	s_and_b32 s3, s2, vcc_lo
	s_and_saveexec_b32 s2, s3
	s_cbranch_execz .LBB90_142
; %bb.141:
	v_ashrrev_i32_e32 v99, 31, v98
	v_lshlrev_b64 v[99:100], 2, v[98:99]
	v_add_co_u32 v99, vcc_lo, v4, v99
	v_add_co_ci_u32_e64 v100, null, v5, v100, vcc_lo
	s_clause 0x1
	global_load_dword v106, v[99:100], off
	global_load_dword v107, v[4:5], off offset:32
	s_waitcnt vmcnt(1)
	global_store_dword v[4:5], v106, off offset:32
	s_waitcnt vmcnt(0)
	global_store_dword v[99:100], v107, off
.LBB90_142:
	s_or_b32 exec_lo, exec_lo, s2
	v_mov_b32_e32 v106, v98
	v_mov_b32_e32 v107, v98
.LBB90_143:
	s_or_b32 exec_lo, exec_lo, s1
.LBB90_144:
	s_andn2_saveexec_b32 s0, s0
	s_cbranch_execz .LBB90_146
; %bb.145:
	v_mov_b32_e32 v107, 8
	ds_write2_b64 v104, v[74:75], v[76:77] offset0:9 offset1:10
	ds_write2_b64 v104, v[72:73], v[70:71] offset0:11 offset1:12
	;; [unrolled: 1-line block ×18, first 2 shown]
	ds_write_b64 v104, v[96:97] offset:360
.LBB90_146:
	s_or_b32 exec_lo, exec_lo, s0
	s_mov_b32 s0, exec_lo
	s_waitcnt lgkmcnt(0)
	s_waitcnt_vscnt null, 0x0
	s_barrier
	buffer_gl0_inv
	v_cmpx_lt_i32_e32 8, v107
	s_cbranch_execz .LBB90_148
; %bb.147:
	v_mul_f64 v[80:81], v[0:1], v[80:81]
	ds_read2_b64 v[108:111], v104 offset0:9 offset1:10
	ds_read2_b64 v[112:115], v104 offset0:11 offset1:12
	;; [unrolled: 1-line block ×12, first 2 shown]
	ds_read_b64 v[0:1], v104 offset:360
	s_waitcnt lgkmcnt(12)
	v_fma_f64 v[74:75], -v[80:81], v[108:109], v[74:75]
	v_fma_f64 v[76:77], -v[80:81], v[110:111], v[76:77]
	s_waitcnt lgkmcnt(11)
	v_fma_f64 v[72:73], -v[80:81], v[112:113], v[72:73]
	v_fma_f64 v[70:71], -v[80:81], v[114:115], v[70:71]
	;; [unrolled: 3-line block ×5, first 2 shown]
	s_waitcnt lgkmcnt(7)
	v_fma_f64 v[54:55], -v[80:81], v[128:129], v[54:55]
	ds_read2_b64 v[108:111], v104 offset0:33 offset1:34
	ds_read2_b64 v[112:115], v104 offset0:35 offset1:36
	v_fma_f64 v[56:57], -v[80:81], v[130:131], v[56:57]
	ds_read2_b64 v[116:119], v104 offset0:37 offset1:38
	ds_read2_b64 v[120:123], v104 offset0:39 offset1:40
	;; [unrolled: 1-line block ×4, first 2 shown]
	s_waitcnt lgkmcnt(12)
	v_fma_f64 v[52:53], -v[80:81], v[132:133], v[52:53]
	v_fma_f64 v[50:51], -v[80:81], v[134:135], v[50:51]
	s_waitcnt lgkmcnt(11)
	v_fma_f64 v[48:49], -v[80:81], v[136:137], v[48:49]
	v_fma_f64 v[46:47], -v[80:81], v[138:139], v[46:47]
	;; [unrolled: 3-line block ×6, first 2 shown]
	s_waitcnt lgkmcnt(6)
	v_fma_f64 v[96:97], -v[80:81], v[0:1], v[96:97]
	s_waitcnt lgkmcnt(5)
	v_fma_f64 v[28:29], -v[80:81], v[108:109], v[28:29]
	v_fma_f64 v[26:27], -v[80:81], v[110:111], v[26:27]
	s_waitcnt lgkmcnt(4)
	v_fma_f64 v[24:25], -v[80:81], v[112:113], v[24:25]
	;; [unrolled: 3-line block ×6, first 2 shown]
	v_fma_f64 v[10:11], -v[80:81], v[130:131], v[10:11]
.LBB90_148:
	s_or_b32 exec_lo, exec_lo, s0
	v_lshl_add_u32 v0, v107, 3, v104
	s_barrier
	buffer_gl0_inv
	v_mov_b32_e32 v98, 9
	ds_write_b64 v0, v[74:75]
	s_waitcnt lgkmcnt(0)
	s_barrier
	buffer_gl0_inv
	ds_read_b64 v[0:1], v104 offset:72
	s_cmp_lt_i32 s7, 11
	s_cbranch_scc1 .LBB90_151
; %bb.149:
	v_add3_u32 v99, v105, 0, 0x50
	v_mov_b32_e32 v98, 9
	s_mov_b32 s0, 10
.LBB90_150:                             ; =>This Inner Loop Header: Depth=1
	ds_read_b64 v[108:109], v99
	v_add_nc_u32_e32 v99, 8, v99
	s_waitcnt lgkmcnt(0)
	v_cmp_lt_f64_e64 vcc_lo, |v[0:1]|, |v[108:109]|
	v_cndmask_b32_e32 v1, v1, v109, vcc_lo
	v_cndmask_b32_e32 v0, v0, v108, vcc_lo
	v_cndmask_b32_e64 v98, v98, s0, vcc_lo
	s_add_i32 s0, s0, 1
	s_cmp_lg_u32 s7, s0
	s_cbranch_scc1 .LBB90_150
.LBB90_151:
	s_mov_b32 s0, exec_lo
	s_waitcnt lgkmcnt(0)
	v_cmpx_eq_f64_e32 0, v[0:1]
	s_xor_b32 s0, exec_lo, s0
; %bb.152:
	v_cmp_ne_u32_e32 vcc_lo, 0, v101
	v_cndmask_b32_e32 v101, 10, v101, vcc_lo
; %bb.153:
	s_andn2_saveexec_b32 s0, s0
	s_cbranch_execz .LBB90_155
; %bb.154:
	v_div_scale_f64 v[99:100], null, v[0:1], v[0:1], 1.0
	v_rcp_f64_e32 v[108:109], v[99:100]
	v_fma_f64 v[110:111], -v[99:100], v[108:109], 1.0
	v_fma_f64 v[108:109], v[108:109], v[110:111], v[108:109]
	v_fma_f64 v[110:111], -v[99:100], v[108:109], 1.0
	v_fma_f64 v[108:109], v[108:109], v[110:111], v[108:109]
	v_div_scale_f64 v[110:111], vcc_lo, 1.0, v[0:1], 1.0
	v_mul_f64 v[112:113], v[110:111], v[108:109]
	v_fma_f64 v[99:100], -v[99:100], v[112:113], v[110:111]
	v_div_fmas_f64 v[99:100], v[99:100], v[108:109], v[112:113]
	v_div_fixup_f64 v[0:1], v[99:100], v[0:1], 1.0
.LBB90_155:
	s_or_b32 exec_lo, exec_lo, s0
	s_mov_b32 s0, exec_lo
	v_cmpx_ne_u32_e64 v107, v98
	s_xor_b32 s0, exec_lo, s0
	s_cbranch_execz .LBB90_161
; %bb.156:
	s_mov_b32 s1, exec_lo
	v_cmpx_eq_u32_e32 9, v107
	s_cbranch_execz .LBB90_160
; %bb.157:
	v_cmp_ne_u32_e32 vcc_lo, 9, v98
	s_xor_b32 s2, s6, -1
	s_and_b32 s3, s2, vcc_lo
	s_and_saveexec_b32 s2, s3
	s_cbranch_execz .LBB90_159
; %bb.158:
	v_ashrrev_i32_e32 v99, 31, v98
	v_lshlrev_b64 v[99:100], 2, v[98:99]
	v_add_co_u32 v99, vcc_lo, v4, v99
	v_add_co_ci_u32_e64 v100, null, v5, v100, vcc_lo
	s_clause 0x1
	global_load_dword v106, v[99:100], off
	global_load_dword v107, v[4:5], off offset:36
	s_waitcnt vmcnt(1)
	global_store_dword v[4:5], v106, off offset:36
	s_waitcnt vmcnt(0)
	global_store_dword v[99:100], v107, off
.LBB90_159:
	s_or_b32 exec_lo, exec_lo, s2
	v_mov_b32_e32 v106, v98
	v_mov_b32_e32 v107, v98
.LBB90_160:
	s_or_b32 exec_lo, exec_lo, s1
.LBB90_161:
	s_andn2_saveexec_b32 s0, s0
	s_cbranch_execz .LBB90_163
; %bb.162:
	v_mov_b32_e32 v98, v76
	v_mov_b32_e32 v99, v77
	;; [unrolled: 1-line block ×16, first 2 shown]
	ds_write2_b64 v104, v[98:99], v[107:108] offset0:10 offset1:11
	ds_write2_b64 v104, v[109:110], v[111:112] offset0:12 offset1:13
	;; [unrolled: 1-line block ×4, first 2 shown]
	v_mov_b32_e32 v98, v60
	v_mov_b32_e32 v99, v61
	;; [unrolled: 1-line block ×20, first 2 shown]
	ds_write2_b64 v104, v[98:99], v[107:108] offset0:18 offset1:19
	ds_write2_b64 v104, v[109:110], v[111:112] offset0:20 offset1:21
	;; [unrolled: 1-line block ×5, first 2 shown]
	v_mov_b32_e32 v98, v40
	v_mov_b32_e32 v99, v41
	;; [unrolled: 1-line block ×20, first 2 shown]
	ds_write2_b64 v104, v[98:99], v[107:108] offset0:28 offset1:29
	ds_write2_b64 v104, v[109:110], v[111:112] offset0:30 offset1:31
	;; [unrolled: 1-line block ×5, first 2 shown]
	v_mov_b32_e32 v98, v20
	v_mov_b32_e32 v99, v21
	;; [unrolled: 1-line block ×15, first 2 shown]
	ds_write2_b64 v104, v[98:99], v[108:109] offset0:38 offset1:39
	ds_write2_b64 v104, v[110:111], v[112:113] offset0:40 offset1:41
	;; [unrolled: 1-line block ×4, first 2 shown]
.LBB90_163:
	s_or_b32 exec_lo, exec_lo, s0
	s_mov_b32 s0, exec_lo
	s_waitcnt lgkmcnt(0)
	s_waitcnt_vscnt null, 0x0
	s_barrier
	buffer_gl0_inv
	v_cmpx_lt_i32_e32 9, v107
	s_cbranch_execz .LBB90_165
; %bb.164:
	v_mul_f64 v[74:75], v[0:1], v[74:75]
	ds_read2_b64 v[108:111], v104 offset0:10 offset1:11
	ds_read2_b64 v[112:115], v104 offset0:12 offset1:13
	;; [unrolled: 1-line block ×12, first 2 shown]
	s_waitcnt lgkmcnt(11)
	v_fma_f64 v[76:77], -v[74:75], v[108:109], v[76:77]
	v_fma_f64 v[72:73], -v[74:75], v[110:111], v[72:73]
	s_waitcnt lgkmcnt(10)
	v_fma_f64 v[70:71], -v[74:75], v[112:113], v[70:71]
	v_fma_f64 v[68:69], -v[74:75], v[114:115], v[68:69]
	;; [unrolled: 3-line block ×5, first 2 shown]
	ds_read2_b64 v[108:111], v104 offset0:34 offset1:35
	ds_read2_b64 v[112:115], v104 offset0:36 offset1:37
	s_waitcnt lgkmcnt(8)
	v_fma_f64 v[56:57], -v[74:75], v[128:129], v[56:57]
	v_fma_f64 v[52:53], -v[74:75], v[130:131], v[52:53]
	ds_read2_b64 v[116:119], v104 offset0:38 offset1:39
	ds_read2_b64 v[120:123], v104 offset0:40 offset1:41
	;; [unrolled: 1-line block ×4, first 2 shown]
	s_waitcnt lgkmcnt(11)
	v_fma_f64 v[50:51], -v[74:75], v[132:133], v[50:51]
	v_fma_f64 v[48:49], -v[74:75], v[134:135], v[48:49]
	s_waitcnt lgkmcnt(10)
	v_fma_f64 v[46:47], -v[74:75], v[136:137], v[46:47]
	v_fma_f64 v[44:45], -v[74:75], v[138:139], v[44:45]
	;; [unrolled: 3-line block ×12, first 2 shown]
.LBB90_165:
	s_or_b32 exec_lo, exec_lo, s0
	v_lshl_add_u32 v0, v107, 3, v104
	s_barrier
	buffer_gl0_inv
	v_mov_b32_e32 v98, 10
	ds_write_b64 v0, v[76:77]
	s_waitcnt lgkmcnt(0)
	s_barrier
	buffer_gl0_inv
	ds_read_b64 v[0:1], v104 offset:80
	s_cmp_lt_i32 s7, 12
	s_cbranch_scc1 .LBB90_168
; %bb.166:
	v_add3_u32 v99, v105, 0, 0x58
	v_mov_b32_e32 v98, 10
	s_mov_b32 s0, 11
.LBB90_167:                             ; =>This Inner Loop Header: Depth=1
	ds_read_b64 v[108:109], v99
	v_add_nc_u32_e32 v99, 8, v99
	s_waitcnt lgkmcnt(0)
	v_cmp_lt_f64_e64 vcc_lo, |v[0:1]|, |v[108:109]|
	v_cndmask_b32_e32 v1, v1, v109, vcc_lo
	v_cndmask_b32_e32 v0, v0, v108, vcc_lo
	v_cndmask_b32_e64 v98, v98, s0, vcc_lo
	s_add_i32 s0, s0, 1
	s_cmp_lg_u32 s7, s0
	s_cbranch_scc1 .LBB90_167
.LBB90_168:
	s_mov_b32 s0, exec_lo
	s_waitcnt lgkmcnt(0)
	v_cmpx_eq_f64_e32 0, v[0:1]
	s_xor_b32 s0, exec_lo, s0
; %bb.169:
	v_cmp_ne_u32_e32 vcc_lo, 0, v101
	v_cndmask_b32_e32 v101, 11, v101, vcc_lo
; %bb.170:
	s_andn2_saveexec_b32 s0, s0
	s_cbranch_execz .LBB90_172
; %bb.171:
	v_div_scale_f64 v[99:100], null, v[0:1], v[0:1], 1.0
	v_rcp_f64_e32 v[108:109], v[99:100]
	v_fma_f64 v[110:111], -v[99:100], v[108:109], 1.0
	v_fma_f64 v[108:109], v[108:109], v[110:111], v[108:109]
	v_fma_f64 v[110:111], -v[99:100], v[108:109], 1.0
	v_fma_f64 v[108:109], v[108:109], v[110:111], v[108:109]
	v_div_scale_f64 v[110:111], vcc_lo, 1.0, v[0:1], 1.0
	v_mul_f64 v[112:113], v[110:111], v[108:109]
	v_fma_f64 v[99:100], -v[99:100], v[112:113], v[110:111]
	v_div_fmas_f64 v[99:100], v[99:100], v[108:109], v[112:113]
	v_div_fixup_f64 v[0:1], v[99:100], v[0:1], 1.0
.LBB90_172:
	s_or_b32 exec_lo, exec_lo, s0
	s_mov_b32 s0, exec_lo
	v_cmpx_ne_u32_e64 v107, v98
	s_xor_b32 s0, exec_lo, s0
	s_cbranch_execz .LBB90_178
; %bb.173:
	s_mov_b32 s1, exec_lo
	v_cmpx_eq_u32_e32 10, v107
	s_cbranch_execz .LBB90_177
; %bb.174:
	v_cmp_ne_u32_e32 vcc_lo, 10, v98
	s_xor_b32 s2, s6, -1
	s_and_b32 s3, s2, vcc_lo
	s_and_saveexec_b32 s2, s3
	s_cbranch_execz .LBB90_176
; %bb.175:
	v_ashrrev_i32_e32 v99, 31, v98
	v_lshlrev_b64 v[99:100], 2, v[98:99]
	v_add_co_u32 v99, vcc_lo, v4, v99
	v_add_co_ci_u32_e64 v100, null, v5, v100, vcc_lo
	s_clause 0x1
	global_load_dword v106, v[99:100], off
	global_load_dword v107, v[4:5], off offset:40
	s_waitcnt vmcnt(1)
	global_store_dword v[4:5], v106, off offset:40
	s_waitcnt vmcnt(0)
	global_store_dword v[99:100], v107, off
.LBB90_176:
	s_or_b32 exec_lo, exec_lo, s2
	v_mov_b32_e32 v106, v98
	v_mov_b32_e32 v107, v98
.LBB90_177:
	s_or_b32 exec_lo, exec_lo, s1
.LBB90_178:
	s_andn2_saveexec_b32 s0, s0
	s_cbranch_execz .LBB90_180
; %bb.179:
	v_mov_b32_e32 v107, 10
	ds_write2_b64 v104, v[72:73], v[70:71] offset0:11 offset1:12
	ds_write2_b64 v104, v[68:69], v[66:67] offset0:13 offset1:14
	;; [unrolled: 1-line block ×17, first 2 shown]
	ds_write_b64 v104, v[96:97] offset:360
.LBB90_180:
	s_or_b32 exec_lo, exec_lo, s0
	s_mov_b32 s0, exec_lo
	s_waitcnt lgkmcnt(0)
	s_waitcnt_vscnt null, 0x0
	s_barrier
	buffer_gl0_inv
	v_cmpx_lt_i32_e32 10, v107
	s_cbranch_execz .LBB90_182
; %bb.181:
	v_mul_f64 v[76:77], v[0:1], v[76:77]
	ds_read2_b64 v[108:111], v104 offset0:11 offset1:12
	ds_read2_b64 v[112:115], v104 offset0:13 offset1:14
	ds_read2_b64 v[116:119], v104 offset0:15 offset1:16
	ds_read2_b64 v[120:123], v104 offset0:17 offset1:18
	ds_read2_b64 v[124:127], v104 offset0:19 offset1:20
	ds_read2_b64 v[128:131], v104 offset0:21 offset1:22
	ds_read2_b64 v[132:135], v104 offset0:23 offset1:24
	ds_read2_b64 v[136:139], v104 offset0:25 offset1:26
	ds_read2_b64 v[140:143], v104 offset0:27 offset1:28
	ds_read2_b64 v[144:147], v104 offset0:29 offset1:30
	ds_read2_b64 v[148:151], v104 offset0:31 offset1:32
	ds_read2_b64 v[152:155], v104 offset0:33 offset1:34
	ds_read_b64 v[0:1], v104 offset:360
	s_waitcnt lgkmcnt(12)
	v_fma_f64 v[72:73], -v[76:77], v[108:109], v[72:73]
	v_fma_f64 v[70:71], -v[76:77], v[110:111], v[70:71]
	s_waitcnt lgkmcnt(11)
	v_fma_f64 v[68:69], -v[76:77], v[112:113], v[68:69]
	v_fma_f64 v[66:67], -v[76:77], v[114:115], v[66:67]
	;; [unrolled: 3-line block ×5, first 2 shown]
	ds_read2_b64 v[108:111], v104 offset0:35 offset1:36
	ds_read2_b64 v[112:115], v104 offset0:37 offset1:38
	;; [unrolled: 1-line block ×5, first 2 shown]
	s_waitcnt lgkmcnt(12)
	v_fma_f64 v[52:53], -v[76:77], v[128:129], v[52:53]
	v_fma_f64 v[50:51], -v[76:77], v[130:131], v[50:51]
	s_waitcnt lgkmcnt(11)
	v_fma_f64 v[48:49], -v[76:77], v[132:133], v[48:49]
	v_fma_f64 v[46:47], -v[76:77], v[134:135], v[46:47]
	;; [unrolled: 3-line block ×7, first 2 shown]
	s_waitcnt lgkmcnt(5)
	v_fma_f64 v[96:97], -v[76:77], v[0:1], v[96:97]
	s_waitcnt lgkmcnt(4)
	v_fma_f64 v[24:25], -v[76:77], v[108:109], v[24:25]
	v_fma_f64 v[22:23], -v[76:77], v[110:111], v[22:23]
	s_waitcnt lgkmcnt(3)
	v_fma_f64 v[18:19], -v[76:77], v[112:113], v[18:19]
	;; [unrolled: 3-line block ×5, first 2 shown]
	v_fma_f64 v[10:11], -v[76:77], v[126:127], v[10:11]
.LBB90_182:
	s_or_b32 exec_lo, exec_lo, s0
	v_lshl_add_u32 v0, v107, 3, v104
	s_barrier
	buffer_gl0_inv
	v_mov_b32_e32 v98, 11
	ds_write_b64 v0, v[72:73]
	s_waitcnt lgkmcnt(0)
	s_barrier
	buffer_gl0_inv
	ds_read_b64 v[0:1], v104 offset:88
	s_cmp_lt_i32 s7, 13
	s_cbranch_scc1 .LBB90_185
; %bb.183:
	v_add3_u32 v99, v105, 0, 0x60
	v_mov_b32_e32 v98, 11
	s_mov_b32 s0, 12
.LBB90_184:                             ; =>This Inner Loop Header: Depth=1
	ds_read_b64 v[108:109], v99
	v_add_nc_u32_e32 v99, 8, v99
	s_waitcnt lgkmcnt(0)
	v_cmp_lt_f64_e64 vcc_lo, |v[0:1]|, |v[108:109]|
	v_cndmask_b32_e32 v1, v1, v109, vcc_lo
	v_cndmask_b32_e32 v0, v0, v108, vcc_lo
	v_cndmask_b32_e64 v98, v98, s0, vcc_lo
	s_add_i32 s0, s0, 1
	s_cmp_lg_u32 s7, s0
	s_cbranch_scc1 .LBB90_184
.LBB90_185:
	s_mov_b32 s0, exec_lo
	s_waitcnt lgkmcnt(0)
	v_cmpx_eq_f64_e32 0, v[0:1]
	s_xor_b32 s0, exec_lo, s0
; %bb.186:
	v_cmp_ne_u32_e32 vcc_lo, 0, v101
	v_cndmask_b32_e32 v101, 12, v101, vcc_lo
; %bb.187:
	s_andn2_saveexec_b32 s0, s0
	s_cbranch_execz .LBB90_189
; %bb.188:
	v_div_scale_f64 v[99:100], null, v[0:1], v[0:1], 1.0
	v_rcp_f64_e32 v[108:109], v[99:100]
	v_fma_f64 v[110:111], -v[99:100], v[108:109], 1.0
	v_fma_f64 v[108:109], v[108:109], v[110:111], v[108:109]
	v_fma_f64 v[110:111], -v[99:100], v[108:109], 1.0
	v_fma_f64 v[108:109], v[108:109], v[110:111], v[108:109]
	v_div_scale_f64 v[110:111], vcc_lo, 1.0, v[0:1], 1.0
	v_mul_f64 v[112:113], v[110:111], v[108:109]
	v_fma_f64 v[99:100], -v[99:100], v[112:113], v[110:111]
	v_div_fmas_f64 v[99:100], v[99:100], v[108:109], v[112:113]
	v_div_fixup_f64 v[0:1], v[99:100], v[0:1], 1.0
.LBB90_189:
	s_or_b32 exec_lo, exec_lo, s0
	s_mov_b32 s0, exec_lo
	v_cmpx_ne_u32_e64 v107, v98
	s_xor_b32 s0, exec_lo, s0
	s_cbranch_execz .LBB90_195
; %bb.190:
	s_mov_b32 s1, exec_lo
	v_cmpx_eq_u32_e32 11, v107
	s_cbranch_execz .LBB90_194
; %bb.191:
	v_cmp_ne_u32_e32 vcc_lo, 11, v98
	s_xor_b32 s2, s6, -1
	s_and_b32 s3, s2, vcc_lo
	s_and_saveexec_b32 s2, s3
	s_cbranch_execz .LBB90_193
; %bb.192:
	v_ashrrev_i32_e32 v99, 31, v98
	v_lshlrev_b64 v[99:100], 2, v[98:99]
	v_add_co_u32 v99, vcc_lo, v4, v99
	v_add_co_ci_u32_e64 v100, null, v5, v100, vcc_lo
	s_clause 0x1
	global_load_dword v106, v[99:100], off
	global_load_dword v107, v[4:5], off offset:44
	s_waitcnt vmcnt(1)
	global_store_dword v[4:5], v106, off offset:44
	s_waitcnt vmcnt(0)
	global_store_dword v[99:100], v107, off
.LBB90_193:
	s_or_b32 exec_lo, exec_lo, s2
	v_mov_b32_e32 v106, v98
	v_mov_b32_e32 v107, v98
.LBB90_194:
	s_or_b32 exec_lo, exec_lo, s1
.LBB90_195:
	s_andn2_saveexec_b32 s0, s0
	s_cbranch_execz .LBB90_197
; %bb.196:
	v_mov_b32_e32 v98, v70
	v_mov_b32_e32 v99, v71
	;; [unrolled: 1-line block ×12, first 2 shown]
	ds_write2_b64 v104, v[98:99], v[107:108] offset0:12 offset1:13
	ds_write2_b64 v104, v[109:110], v[111:112] offset0:14 offset1:15
	;; [unrolled: 1-line block ×3, first 2 shown]
	v_mov_b32_e32 v98, v60
	v_mov_b32_e32 v99, v61
	;; [unrolled: 1-line block ×20, first 2 shown]
	ds_write2_b64 v104, v[98:99], v[107:108] offset0:18 offset1:19
	ds_write2_b64 v104, v[109:110], v[111:112] offset0:20 offset1:21
	;; [unrolled: 1-line block ×5, first 2 shown]
	v_mov_b32_e32 v98, v40
	v_mov_b32_e32 v99, v41
	v_mov_b32_e32 v107, v34
	v_mov_b32_e32 v108, v35
	v_mov_b32_e32 v109, v36
	v_mov_b32_e32 v110, v37
	v_mov_b32_e32 v111, v32
	v_mov_b32_e32 v112, v33
	v_mov_b32_e32 v113, v30
	v_mov_b32_e32 v114, v31
	v_mov_b32_e32 v115, v28
	v_mov_b32_e32 v116, v29
	v_mov_b32_e32 v117, v26
	v_mov_b32_e32 v118, v27
	v_mov_b32_e32 v119, v24
	v_mov_b32_e32 v120, v25
	v_mov_b32_e32 v121, v22
	v_mov_b32_e32 v122, v23
	v_mov_b32_e32 v123, v18
	v_mov_b32_e32 v124, v19
	ds_write2_b64 v104, v[98:99], v[107:108] offset0:28 offset1:29
	ds_write2_b64 v104, v[109:110], v[111:112] offset0:30 offset1:31
	;; [unrolled: 1-line block ×5, first 2 shown]
	v_mov_b32_e32 v98, v20
	v_mov_b32_e32 v99, v21
	;; [unrolled: 1-line block ×15, first 2 shown]
	ds_write2_b64 v104, v[98:99], v[108:109] offset0:38 offset1:39
	ds_write2_b64 v104, v[110:111], v[112:113] offset0:40 offset1:41
	;; [unrolled: 1-line block ×4, first 2 shown]
.LBB90_197:
	s_or_b32 exec_lo, exec_lo, s0
	s_mov_b32 s0, exec_lo
	s_waitcnt lgkmcnt(0)
	s_waitcnt_vscnt null, 0x0
	s_barrier
	buffer_gl0_inv
	v_cmpx_lt_i32_e32 11, v107
	s_cbranch_execz .LBB90_199
; %bb.198:
	v_mul_f64 v[72:73], v[0:1], v[72:73]
	ds_read2_b64 v[108:111], v104 offset0:12 offset1:13
	ds_read2_b64 v[112:115], v104 offset0:14 offset1:15
	;; [unrolled: 1-line block ×13, first 2 shown]
	s_waitcnt lgkmcnt(12)
	v_fma_f64 v[70:71], -v[72:73], v[108:109], v[70:71]
	v_fma_f64 v[68:69], -v[72:73], v[110:111], v[68:69]
	s_waitcnt lgkmcnt(11)
	v_fma_f64 v[66:67], -v[72:73], v[112:113], v[66:67]
	v_fma_f64 v[64:65], -v[72:73], v[114:115], v[64:65]
	;; [unrolled: 3-line block ×4, first 2 shown]
	ds_read2_b64 v[108:111], v104 offset0:38 offset1:39
	ds_read2_b64 v[112:115], v104 offset0:40 offset1:41
	;; [unrolled: 1-line block ×4, first 2 shown]
	s_waitcnt lgkmcnt(12)
	v_fma_f64 v[56:57], -v[72:73], v[124:125], v[56:57]
	v_fma_f64 v[52:53], -v[72:73], v[126:127], v[52:53]
	s_waitcnt lgkmcnt(11)
	v_fma_f64 v[50:51], -v[72:73], v[128:129], v[50:51]
	v_fma_f64 v[48:49], -v[72:73], v[130:131], v[48:49]
	;; [unrolled: 3-line block ×13, first 2 shown]
.LBB90_199:
	s_or_b32 exec_lo, exec_lo, s0
	v_lshl_add_u32 v0, v107, 3, v104
	s_barrier
	buffer_gl0_inv
	v_mov_b32_e32 v98, 12
	ds_write_b64 v0, v[70:71]
	s_waitcnt lgkmcnt(0)
	s_barrier
	buffer_gl0_inv
	ds_read_b64 v[0:1], v104 offset:96
	s_cmp_lt_i32 s7, 14
	s_cbranch_scc1 .LBB90_202
; %bb.200:
	v_add3_u32 v99, v105, 0, 0x68
	v_mov_b32_e32 v98, 12
	s_mov_b32 s0, 13
.LBB90_201:                             ; =>This Inner Loop Header: Depth=1
	ds_read_b64 v[108:109], v99
	v_add_nc_u32_e32 v99, 8, v99
	s_waitcnt lgkmcnt(0)
	v_cmp_lt_f64_e64 vcc_lo, |v[0:1]|, |v[108:109]|
	v_cndmask_b32_e32 v1, v1, v109, vcc_lo
	v_cndmask_b32_e32 v0, v0, v108, vcc_lo
	v_cndmask_b32_e64 v98, v98, s0, vcc_lo
	s_add_i32 s0, s0, 1
	s_cmp_lg_u32 s7, s0
	s_cbranch_scc1 .LBB90_201
.LBB90_202:
	s_mov_b32 s0, exec_lo
	s_waitcnt lgkmcnt(0)
	v_cmpx_eq_f64_e32 0, v[0:1]
	s_xor_b32 s0, exec_lo, s0
; %bb.203:
	v_cmp_ne_u32_e32 vcc_lo, 0, v101
	v_cndmask_b32_e32 v101, 13, v101, vcc_lo
; %bb.204:
	s_andn2_saveexec_b32 s0, s0
	s_cbranch_execz .LBB90_206
; %bb.205:
	v_div_scale_f64 v[99:100], null, v[0:1], v[0:1], 1.0
	v_rcp_f64_e32 v[108:109], v[99:100]
	v_fma_f64 v[110:111], -v[99:100], v[108:109], 1.0
	v_fma_f64 v[108:109], v[108:109], v[110:111], v[108:109]
	v_fma_f64 v[110:111], -v[99:100], v[108:109], 1.0
	v_fma_f64 v[108:109], v[108:109], v[110:111], v[108:109]
	v_div_scale_f64 v[110:111], vcc_lo, 1.0, v[0:1], 1.0
	v_mul_f64 v[112:113], v[110:111], v[108:109]
	v_fma_f64 v[99:100], -v[99:100], v[112:113], v[110:111]
	v_div_fmas_f64 v[99:100], v[99:100], v[108:109], v[112:113]
	v_div_fixup_f64 v[0:1], v[99:100], v[0:1], 1.0
.LBB90_206:
	s_or_b32 exec_lo, exec_lo, s0
	s_mov_b32 s0, exec_lo
	v_cmpx_ne_u32_e64 v107, v98
	s_xor_b32 s0, exec_lo, s0
	s_cbranch_execz .LBB90_212
; %bb.207:
	s_mov_b32 s1, exec_lo
	v_cmpx_eq_u32_e32 12, v107
	s_cbranch_execz .LBB90_211
; %bb.208:
	v_cmp_ne_u32_e32 vcc_lo, 12, v98
	s_xor_b32 s2, s6, -1
	s_and_b32 s3, s2, vcc_lo
	s_and_saveexec_b32 s2, s3
	s_cbranch_execz .LBB90_210
; %bb.209:
	v_ashrrev_i32_e32 v99, 31, v98
	v_lshlrev_b64 v[99:100], 2, v[98:99]
	v_add_co_u32 v99, vcc_lo, v4, v99
	v_add_co_ci_u32_e64 v100, null, v5, v100, vcc_lo
	s_clause 0x1
	global_load_dword v106, v[99:100], off
	global_load_dword v107, v[4:5], off offset:48
	s_waitcnt vmcnt(1)
	global_store_dword v[4:5], v106, off offset:48
	s_waitcnt vmcnt(0)
	global_store_dword v[99:100], v107, off
.LBB90_210:
	s_or_b32 exec_lo, exec_lo, s2
	v_mov_b32_e32 v106, v98
	v_mov_b32_e32 v107, v98
.LBB90_211:
	s_or_b32 exec_lo, exec_lo, s1
.LBB90_212:
	s_andn2_saveexec_b32 s0, s0
	s_cbranch_execz .LBB90_214
; %bb.213:
	v_mov_b32_e32 v107, 12
	ds_write2_b64 v104, v[68:69], v[66:67] offset0:13 offset1:14
	ds_write2_b64 v104, v[64:65], v[62:63] offset0:15 offset1:16
	;; [unrolled: 1-line block ×16, first 2 shown]
	ds_write_b64 v104, v[96:97] offset:360
.LBB90_214:
	s_or_b32 exec_lo, exec_lo, s0
	s_mov_b32 s0, exec_lo
	s_waitcnt lgkmcnt(0)
	s_waitcnt_vscnt null, 0x0
	s_barrier
	buffer_gl0_inv
	v_cmpx_lt_i32_e32 12, v107
	s_cbranch_execz .LBB90_216
; %bb.215:
	v_mul_f64 v[70:71], v[0:1], v[70:71]
	ds_read2_b64 v[108:111], v104 offset0:13 offset1:14
	ds_read2_b64 v[112:115], v104 offset0:15 offset1:16
	;; [unrolled: 1-line block ×13, first 2 shown]
	ds_read_b64 v[0:1], v104 offset:360
	s_waitcnt lgkmcnt(13)
	v_fma_f64 v[68:69], -v[70:71], v[108:109], v[68:69]
	v_fma_f64 v[66:67], -v[70:71], v[110:111], v[66:67]
	s_waitcnt lgkmcnt(12)
	v_fma_f64 v[64:65], -v[70:71], v[112:113], v[64:65]
	v_fma_f64 v[62:63], -v[70:71], v[114:115], v[62:63]
	;; [unrolled: 3-line block ×3, first 2 shown]
	ds_read2_b64 v[108:111], v104 offset0:39 offset1:40
	ds_read2_b64 v[112:115], v104 offset0:41 offset1:42
	;; [unrolled: 1-line block ×3, first 2 shown]
	s_waitcnt lgkmcnt(13)
	v_fma_f64 v[54:55], -v[70:71], v[120:121], v[54:55]
	v_fma_f64 v[56:57], -v[70:71], v[122:123], v[56:57]
	s_waitcnt lgkmcnt(12)
	v_fma_f64 v[52:53], -v[70:71], v[124:125], v[52:53]
	v_fma_f64 v[50:51], -v[70:71], v[126:127], v[50:51]
	s_waitcnt lgkmcnt(11)
	v_fma_f64 v[48:49], -v[70:71], v[128:129], v[48:49]
	v_fma_f64 v[46:47], -v[70:71], v[130:131], v[46:47]
	s_waitcnt lgkmcnt(10)
	v_fma_f64 v[44:45], -v[70:71], v[132:133], v[44:45]
	v_fma_f64 v[42:43], -v[70:71], v[134:135], v[42:43]
	s_waitcnt lgkmcnt(9)
	v_fma_f64 v[38:39], -v[70:71], v[136:137], v[38:39]
	v_fma_f64 v[40:41], -v[70:71], v[138:139], v[40:41]
	s_waitcnt lgkmcnt(8)
	v_fma_f64 v[34:35], -v[70:71], v[140:141], v[34:35]
	v_fma_f64 v[36:37], -v[70:71], v[142:143], v[36:37]
	s_waitcnt lgkmcnt(7)
	v_fma_f64 v[32:33], -v[70:71], v[144:145], v[32:33]
	v_fma_f64 v[30:31], -v[70:71], v[146:147], v[30:31]
	s_waitcnt lgkmcnt(6)
	v_fma_f64 v[28:29], -v[70:71], v[148:149], v[28:29]
	v_fma_f64 v[26:27], -v[70:71], v[150:151], v[26:27]
	s_waitcnt lgkmcnt(5)
	v_fma_f64 v[24:25], -v[70:71], v[152:153], v[24:25]
	v_fma_f64 v[22:23], -v[70:71], v[154:155], v[22:23]
	s_waitcnt lgkmcnt(4)
	v_fma_f64 v[18:19], -v[70:71], v[156:157], v[18:19]
	v_fma_f64 v[20:21], -v[70:71], v[158:159], v[20:21]
	s_waitcnt lgkmcnt(2)
	v_fma_f64 v[16:17], -v[70:71], v[108:109], v[16:17]
	v_fma_f64 v[14:15], -v[70:71], v[110:111], v[14:15]
	s_waitcnt lgkmcnt(1)
	v_fma_f64 v[8:9], -v[70:71], v[112:113], v[8:9]
	v_fma_f64 v[12:13], -v[70:71], v[114:115], v[12:13]
	s_waitcnt lgkmcnt(0)
	v_fma_f64 v[6:7], -v[70:71], v[116:117], v[6:7]
	v_fma_f64 v[10:11], -v[70:71], v[118:119], v[10:11]
	v_fma_f64 v[96:97], -v[70:71], v[0:1], v[96:97]
.LBB90_216:
	s_or_b32 exec_lo, exec_lo, s0
	v_lshl_add_u32 v0, v107, 3, v104
	s_barrier
	buffer_gl0_inv
	v_mov_b32_e32 v98, 13
	ds_write_b64 v0, v[68:69]
	s_waitcnt lgkmcnt(0)
	s_barrier
	buffer_gl0_inv
	ds_read_b64 v[0:1], v104 offset:104
	s_cmp_lt_i32 s7, 15
	s_cbranch_scc1 .LBB90_219
; %bb.217:
	v_add3_u32 v99, v105, 0, 0x70
	v_mov_b32_e32 v98, 13
	s_mov_b32 s0, 14
.LBB90_218:                             ; =>This Inner Loop Header: Depth=1
	ds_read_b64 v[108:109], v99
	v_add_nc_u32_e32 v99, 8, v99
	s_waitcnt lgkmcnt(0)
	v_cmp_lt_f64_e64 vcc_lo, |v[0:1]|, |v[108:109]|
	v_cndmask_b32_e32 v1, v1, v109, vcc_lo
	v_cndmask_b32_e32 v0, v0, v108, vcc_lo
	v_cndmask_b32_e64 v98, v98, s0, vcc_lo
	s_add_i32 s0, s0, 1
	s_cmp_lg_u32 s7, s0
	s_cbranch_scc1 .LBB90_218
.LBB90_219:
	s_mov_b32 s0, exec_lo
	s_waitcnt lgkmcnt(0)
	v_cmpx_eq_f64_e32 0, v[0:1]
	s_xor_b32 s0, exec_lo, s0
; %bb.220:
	v_cmp_ne_u32_e32 vcc_lo, 0, v101
	v_cndmask_b32_e32 v101, 14, v101, vcc_lo
; %bb.221:
	s_andn2_saveexec_b32 s0, s0
	s_cbranch_execz .LBB90_223
; %bb.222:
	v_div_scale_f64 v[99:100], null, v[0:1], v[0:1], 1.0
	v_rcp_f64_e32 v[108:109], v[99:100]
	v_fma_f64 v[110:111], -v[99:100], v[108:109], 1.0
	v_fma_f64 v[108:109], v[108:109], v[110:111], v[108:109]
	v_fma_f64 v[110:111], -v[99:100], v[108:109], 1.0
	v_fma_f64 v[108:109], v[108:109], v[110:111], v[108:109]
	v_div_scale_f64 v[110:111], vcc_lo, 1.0, v[0:1], 1.0
	v_mul_f64 v[112:113], v[110:111], v[108:109]
	v_fma_f64 v[99:100], -v[99:100], v[112:113], v[110:111]
	v_div_fmas_f64 v[99:100], v[99:100], v[108:109], v[112:113]
	v_div_fixup_f64 v[0:1], v[99:100], v[0:1], 1.0
.LBB90_223:
	s_or_b32 exec_lo, exec_lo, s0
	s_mov_b32 s0, exec_lo
	v_cmpx_ne_u32_e64 v107, v98
	s_xor_b32 s0, exec_lo, s0
	s_cbranch_execz .LBB90_229
; %bb.224:
	s_mov_b32 s1, exec_lo
	v_cmpx_eq_u32_e32 13, v107
	s_cbranch_execz .LBB90_228
; %bb.225:
	v_cmp_ne_u32_e32 vcc_lo, 13, v98
	s_xor_b32 s2, s6, -1
	s_and_b32 s3, s2, vcc_lo
	s_and_saveexec_b32 s2, s3
	s_cbranch_execz .LBB90_227
; %bb.226:
	v_ashrrev_i32_e32 v99, 31, v98
	v_lshlrev_b64 v[99:100], 2, v[98:99]
	v_add_co_u32 v99, vcc_lo, v4, v99
	v_add_co_ci_u32_e64 v100, null, v5, v100, vcc_lo
	s_clause 0x1
	global_load_dword v106, v[99:100], off
	global_load_dword v107, v[4:5], off offset:52
	s_waitcnt vmcnt(1)
	global_store_dword v[4:5], v106, off offset:52
	s_waitcnt vmcnt(0)
	global_store_dword v[99:100], v107, off
.LBB90_227:
	s_or_b32 exec_lo, exec_lo, s2
	v_mov_b32_e32 v106, v98
	v_mov_b32_e32 v107, v98
.LBB90_228:
	s_or_b32 exec_lo, exec_lo, s1
.LBB90_229:
	s_andn2_saveexec_b32 s0, s0
	s_cbranch_execz .LBB90_231
; %bb.230:
	v_mov_b32_e32 v98, v66
	v_mov_b32_e32 v99, v67
	;; [unrolled: 1-line block ×8, first 2 shown]
	ds_write2_b64 v104, v[98:99], v[107:108] offset0:14 offset1:15
	ds_write2_b64 v104, v[109:110], v[111:112] offset0:16 offset1:17
	v_mov_b32_e32 v98, v60
	v_mov_b32_e32 v99, v61
	;; [unrolled: 1-line block ×20, first 2 shown]
	ds_write2_b64 v104, v[98:99], v[107:108] offset0:18 offset1:19
	ds_write2_b64 v104, v[109:110], v[111:112] offset0:20 offset1:21
	;; [unrolled: 1-line block ×5, first 2 shown]
	v_mov_b32_e32 v98, v40
	v_mov_b32_e32 v99, v41
	;; [unrolled: 1-line block ×20, first 2 shown]
	ds_write2_b64 v104, v[98:99], v[107:108] offset0:28 offset1:29
	ds_write2_b64 v104, v[109:110], v[111:112] offset0:30 offset1:31
	;; [unrolled: 1-line block ×5, first 2 shown]
	v_mov_b32_e32 v98, v20
	v_mov_b32_e32 v99, v21
	;; [unrolled: 1-line block ×15, first 2 shown]
	ds_write2_b64 v104, v[98:99], v[108:109] offset0:38 offset1:39
	ds_write2_b64 v104, v[110:111], v[112:113] offset0:40 offset1:41
	;; [unrolled: 1-line block ×4, first 2 shown]
.LBB90_231:
	s_or_b32 exec_lo, exec_lo, s0
	s_mov_b32 s0, exec_lo
	s_waitcnt lgkmcnt(0)
	s_waitcnt_vscnt null, 0x0
	s_barrier
	buffer_gl0_inv
	v_cmpx_lt_i32_e32 13, v107
	s_cbranch_execz .LBB90_233
; %bb.232:
	v_mul_f64 v[68:69], v[0:1], v[68:69]
	ds_read2_b64 v[108:111], v104 offset0:14 offset1:15
	ds_read2_b64 v[112:115], v104 offset0:16 offset1:17
	;; [unrolled: 1-line block ×13, first 2 shown]
	s_waitcnt lgkmcnt(12)
	v_fma_f64 v[66:67], -v[68:69], v[108:109], v[66:67]
	v_fma_f64 v[64:65], -v[68:69], v[110:111], v[64:65]
	s_waitcnt lgkmcnt(11)
	v_fma_f64 v[62:63], -v[68:69], v[112:113], v[62:63]
	v_fma_f64 v[58:59], -v[68:69], v[114:115], v[58:59]
	;; [unrolled: 3-line block ×3, first 2 shown]
	ds_read2_b64 v[108:111], v104 offset0:40 offset1:41
	ds_read2_b64 v[112:115], v104 offset0:42 offset1:43
	;; [unrolled: 1-line block ×3, first 2 shown]
	s_waitcnt lgkmcnt(12)
	v_fma_f64 v[56:57], -v[68:69], v[120:121], v[56:57]
	v_fma_f64 v[52:53], -v[68:69], v[122:123], v[52:53]
	s_waitcnt lgkmcnt(11)
	v_fma_f64 v[50:51], -v[68:69], v[124:125], v[50:51]
	v_fma_f64 v[48:49], -v[68:69], v[126:127], v[48:49]
	;; [unrolled: 3-line block ×13, first 2 shown]
.LBB90_233:
	s_or_b32 exec_lo, exec_lo, s0
	v_lshl_add_u32 v0, v107, 3, v104
	s_barrier
	buffer_gl0_inv
	v_mov_b32_e32 v98, 14
	ds_write_b64 v0, v[66:67]
	s_waitcnt lgkmcnt(0)
	s_barrier
	buffer_gl0_inv
	ds_read_b64 v[0:1], v104 offset:112
	s_cmp_lt_i32 s7, 16
	s_cbranch_scc1 .LBB90_236
; %bb.234:
	v_add3_u32 v99, v105, 0, 0x78
	v_mov_b32_e32 v98, 14
	s_mov_b32 s0, 15
.LBB90_235:                             ; =>This Inner Loop Header: Depth=1
	ds_read_b64 v[108:109], v99
	v_add_nc_u32_e32 v99, 8, v99
	s_waitcnt lgkmcnt(0)
	v_cmp_lt_f64_e64 vcc_lo, |v[0:1]|, |v[108:109]|
	v_cndmask_b32_e32 v1, v1, v109, vcc_lo
	v_cndmask_b32_e32 v0, v0, v108, vcc_lo
	v_cndmask_b32_e64 v98, v98, s0, vcc_lo
	s_add_i32 s0, s0, 1
	s_cmp_lg_u32 s7, s0
	s_cbranch_scc1 .LBB90_235
.LBB90_236:
	s_mov_b32 s0, exec_lo
	s_waitcnt lgkmcnt(0)
	v_cmpx_eq_f64_e32 0, v[0:1]
	s_xor_b32 s0, exec_lo, s0
; %bb.237:
	v_cmp_ne_u32_e32 vcc_lo, 0, v101
	v_cndmask_b32_e32 v101, 15, v101, vcc_lo
; %bb.238:
	s_andn2_saveexec_b32 s0, s0
	s_cbranch_execz .LBB90_240
; %bb.239:
	v_div_scale_f64 v[99:100], null, v[0:1], v[0:1], 1.0
	v_rcp_f64_e32 v[108:109], v[99:100]
	v_fma_f64 v[110:111], -v[99:100], v[108:109], 1.0
	v_fma_f64 v[108:109], v[108:109], v[110:111], v[108:109]
	v_fma_f64 v[110:111], -v[99:100], v[108:109], 1.0
	v_fma_f64 v[108:109], v[108:109], v[110:111], v[108:109]
	v_div_scale_f64 v[110:111], vcc_lo, 1.0, v[0:1], 1.0
	v_mul_f64 v[112:113], v[110:111], v[108:109]
	v_fma_f64 v[99:100], -v[99:100], v[112:113], v[110:111]
	v_div_fmas_f64 v[99:100], v[99:100], v[108:109], v[112:113]
	v_div_fixup_f64 v[0:1], v[99:100], v[0:1], 1.0
.LBB90_240:
	s_or_b32 exec_lo, exec_lo, s0
	s_mov_b32 s0, exec_lo
	v_cmpx_ne_u32_e64 v107, v98
	s_xor_b32 s0, exec_lo, s0
	s_cbranch_execz .LBB90_246
; %bb.241:
	s_mov_b32 s1, exec_lo
	v_cmpx_eq_u32_e32 14, v107
	s_cbranch_execz .LBB90_245
; %bb.242:
	v_cmp_ne_u32_e32 vcc_lo, 14, v98
	s_xor_b32 s2, s6, -1
	s_and_b32 s3, s2, vcc_lo
	s_and_saveexec_b32 s2, s3
	s_cbranch_execz .LBB90_244
; %bb.243:
	v_ashrrev_i32_e32 v99, 31, v98
	v_lshlrev_b64 v[99:100], 2, v[98:99]
	v_add_co_u32 v99, vcc_lo, v4, v99
	v_add_co_ci_u32_e64 v100, null, v5, v100, vcc_lo
	s_clause 0x1
	global_load_dword v106, v[99:100], off
	global_load_dword v107, v[4:5], off offset:56
	s_waitcnt vmcnt(1)
	global_store_dword v[4:5], v106, off offset:56
	s_waitcnt vmcnt(0)
	global_store_dword v[99:100], v107, off
.LBB90_244:
	s_or_b32 exec_lo, exec_lo, s2
	v_mov_b32_e32 v106, v98
	v_mov_b32_e32 v107, v98
.LBB90_245:
	s_or_b32 exec_lo, exec_lo, s1
.LBB90_246:
	s_andn2_saveexec_b32 s0, s0
	s_cbranch_execz .LBB90_248
; %bb.247:
	v_mov_b32_e32 v107, 14
	ds_write2_b64 v104, v[64:65], v[62:63] offset0:15 offset1:16
	ds_write2_b64 v104, v[58:59], v[60:61] offset0:17 offset1:18
	;; [unrolled: 1-line block ×15, first 2 shown]
	ds_write_b64 v104, v[96:97] offset:360
.LBB90_248:
	s_or_b32 exec_lo, exec_lo, s0
	s_mov_b32 s0, exec_lo
	s_waitcnt lgkmcnt(0)
	s_waitcnt_vscnt null, 0x0
	s_barrier
	buffer_gl0_inv
	v_cmpx_lt_i32_e32 14, v107
	s_cbranch_execz .LBB90_250
; %bb.249:
	v_mul_f64 v[66:67], v[0:1], v[66:67]
	ds_read2_b64 v[108:111], v104 offset0:15 offset1:16
	ds_read2_b64 v[112:115], v104 offset0:17 offset1:18
	;; [unrolled: 1-line block ×13, first 2 shown]
	ds_read_b64 v[0:1], v104 offset:360
	s_waitcnt lgkmcnt(13)
	v_fma_f64 v[64:65], -v[66:67], v[108:109], v[64:65]
	v_fma_f64 v[62:63], -v[66:67], v[110:111], v[62:63]
	s_waitcnt lgkmcnt(12)
	v_fma_f64 v[58:59], -v[66:67], v[112:113], v[58:59]
	v_fma_f64 v[60:61], -v[66:67], v[114:115], v[60:61]
	ds_read2_b64 v[108:111], v104 offset0:41 offset1:42
	ds_read2_b64 v[112:115], v104 offset0:43 offset1:44
	s_waitcnt lgkmcnt(13)
	v_fma_f64 v[54:55], -v[66:67], v[116:117], v[54:55]
	v_fma_f64 v[56:57], -v[66:67], v[118:119], v[56:57]
	s_waitcnt lgkmcnt(12)
	v_fma_f64 v[52:53], -v[66:67], v[120:121], v[52:53]
	v_fma_f64 v[50:51], -v[66:67], v[122:123], v[50:51]
	;; [unrolled: 3-line block ×13, first 2 shown]
	v_fma_f64 v[96:97], -v[66:67], v[0:1], v[96:97]
.LBB90_250:
	s_or_b32 exec_lo, exec_lo, s0
	v_lshl_add_u32 v0, v107, 3, v104
	s_barrier
	buffer_gl0_inv
	v_mov_b32_e32 v98, 15
	ds_write_b64 v0, v[64:65]
	s_waitcnt lgkmcnt(0)
	s_barrier
	buffer_gl0_inv
	ds_read_b64 v[0:1], v104 offset:120
	s_cmp_lt_i32 s7, 17
	s_cbranch_scc1 .LBB90_253
; %bb.251:
	v_add3_u32 v99, v105, 0, 0x80
	v_mov_b32_e32 v98, 15
	s_mov_b32 s0, 16
.LBB90_252:                             ; =>This Inner Loop Header: Depth=1
	ds_read_b64 v[108:109], v99
	v_add_nc_u32_e32 v99, 8, v99
	s_waitcnt lgkmcnt(0)
	v_cmp_lt_f64_e64 vcc_lo, |v[0:1]|, |v[108:109]|
	v_cndmask_b32_e32 v1, v1, v109, vcc_lo
	v_cndmask_b32_e32 v0, v0, v108, vcc_lo
	v_cndmask_b32_e64 v98, v98, s0, vcc_lo
	s_add_i32 s0, s0, 1
	s_cmp_lg_u32 s7, s0
	s_cbranch_scc1 .LBB90_252
.LBB90_253:
	s_mov_b32 s0, exec_lo
	s_waitcnt lgkmcnt(0)
	v_cmpx_eq_f64_e32 0, v[0:1]
	s_xor_b32 s0, exec_lo, s0
; %bb.254:
	v_cmp_ne_u32_e32 vcc_lo, 0, v101
	v_cndmask_b32_e32 v101, 16, v101, vcc_lo
; %bb.255:
	s_andn2_saveexec_b32 s0, s0
	s_cbranch_execz .LBB90_257
; %bb.256:
	v_div_scale_f64 v[99:100], null, v[0:1], v[0:1], 1.0
	v_rcp_f64_e32 v[108:109], v[99:100]
	v_fma_f64 v[110:111], -v[99:100], v[108:109], 1.0
	v_fma_f64 v[108:109], v[108:109], v[110:111], v[108:109]
	v_fma_f64 v[110:111], -v[99:100], v[108:109], 1.0
	v_fma_f64 v[108:109], v[108:109], v[110:111], v[108:109]
	v_div_scale_f64 v[110:111], vcc_lo, 1.0, v[0:1], 1.0
	v_mul_f64 v[112:113], v[110:111], v[108:109]
	v_fma_f64 v[99:100], -v[99:100], v[112:113], v[110:111]
	v_div_fmas_f64 v[99:100], v[99:100], v[108:109], v[112:113]
	v_div_fixup_f64 v[0:1], v[99:100], v[0:1], 1.0
.LBB90_257:
	s_or_b32 exec_lo, exec_lo, s0
	s_mov_b32 s0, exec_lo
	v_cmpx_ne_u32_e64 v107, v98
	s_xor_b32 s0, exec_lo, s0
	s_cbranch_execz .LBB90_263
; %bb.258:
	s_mov_b32 s1, exec_lo
	v_cmpx_eq_u32_e32 15, v107
	s_cbranch_execz .LBB90_262
; %bb.259:
	v_cmp_ne_u32_e32 vcc_lo, 15, v98
	s_xor_b32 s2, s6, -1
	s_and_b32 s3, s2, vcc_lo
	s_and_saveexec_b32 s2, s3
	s_cbranch_execz .LBB90_261
; %bb.260:
	v_ashrrev_i32_e32 v99, 31, v98
	v_lshlrev_b64 v[99:100], 2, v[98:99]
	v_add_co_u32 v99, vcc_lo, v4, v99
	v_add_co_ci_u32_e64 v100, null, v5, v100, vcc_lo
	s_clause 0x1
	global_load_dword v106, v[99:100], off
	global_load_dword v107, v[4:5], off offset:60
	s_waitcnt vmcnt(1)
	global_store_dword v[4:5], v106, off offset:60
	s_waitcnt vmcnt(0)
	global_store_dword v[99:100], v107, off
.LBB90_261:
	s_or_b32 exec_lo, exec_lo, s2
	v_mov_b32_e32 v106, v98
	v_mov_b32_e32 v107, v98
.LBB90_262:
	s_or_b32 exec_lo, exec_lo, s1
.LBB90_263:
	s_andn2_saveexec_b32 s0, s0
	s_cbranch_execz .LBB90_265
; %bb.264:
	v_mov_b32_e32 v98, v62
	v_mov_b32_e32 v99, v63
	;; [unrolled: 1-line block ×8, first 2 shown]
	ds_write2_b64 v104, v[98:99], v[107:108] offset0:16 offset1:17
	v_mov_b32_e32 v98, v54
	v_mov_b32_e32 v99, v55
	;; [unrolled: 1-line block ×16, first 2 shown]
	ds_write2_b64 v104, v[109:110], v[98:99] offset0:18 offset1:19
	ds_write2_b64 v104, v[107:108], v[111:112] offset0:20 offset1:21
	;; [unrolled: 1-line block ×5, first 2 shown]
	v_mov_b32_e32 v98, v40
	v_mov_b32_e32 v99, v41
	;; [unrolled: 1-line block ×20, first 2 shown]
	ds_write2_b64 v104, v[98:99], v[107:108] offset0:28 offset1:29
	ds_write2_b64 v104, v[109:110], v[111:112] offset0:30 offset1:31
	;; [unrolled: 1-line block ×5, first 2 shown]
	v_mov_b32_e32 v98, v20
	v_mov_b32_e32 v99, v21
	;; [unrolled: 1-line block ×15, first 2 shown]
	ds_write2_b64 v104, v[98:99], v[108:109] offset0:38 offset1:39
	ds_write2_b64 v104, v[110:111], v[112:113] offset0:40 offset1:41
	;; [unrolled: 1-line block ×4, first 2 shown]
.LBB90_265:
	s_or_b32 exec_lo, exec_lo, s0
	s_mov_b32 s0, exec_lo
	s_waitcnt lgkmcnt(0)
	s_waitcnt_vscnt null, 0x0
	s_barrier
	buffer_gl0_inv
	v_cmpx_lt_i32_e32 15, v107
	s_cbranch_execz .LBB90_267
; %bb.266:
	v_mul_f64 v[64:65], v[0:1], v[64:65]
	ds_read2_b64 v[108:111], v104 offset0:16 offset1:17
	ds_read2_b64 v[112:115], v104 offset0:18 offset1:19
	;; [unrolled: 1-line block ×14, first 2 shown]
	s_waitcnt lgkmcnt(13)
	v_fma_f64 v[62:63], -v[64:65], v[108:109], v[62:63]
	v_fma_f64 v[58:59], -v[64:65], v[110:111], v[58:59]
	ds_read2_b64 v[108:111], v104 offset0:44 offset1:45
	s_waitcnt lgkmcnt(13)
	v_fma_f64 v[60:61], -v[64:65], v[112:113], v[60:61]
	v_fma_f64 v[54:55], -v[64:65], v[114:115], v[54:55]
	s_waitcnt lgkmcnt(12)
	v_fma_f64 v[56:57], -v[64:65], v[116:117], v[56:57]
	v_fma_f64 v[52:53], -v[64:65], v[118:119], v[52:53]
	;; [unrolled: 3-line block ×14, first 2 shown]
.LBB90_267:
	s_or_b32 exec_lo, exec_lo, s0
	v_lshl_add_u32 v0, v107, 3, v104
	s_barrier
	buffer_gl0_inv
	v_mov_b32_e32 v98, 16
	ds_write_b64 v0, v[62:63]
	s_waitcnt lgkmcnt(0)
	s_barrier
	buffer_gl0_inv
	ds_read_b64 v[0:1], v104 offset:128
	s_cmp_lt_i32 s7, 18
	s_cbranch_scc1 .LBB90_270
; %bb.268:
	v_add3_u32 v99, v105, 0, 0x88
	v_mov_b32_e32 v98, 16
	s_mov_b32 s0, 17
.LBB90_269:                             ; =>This Inner Loop Header: Depth=1
	ds_read_b64 v[108:109], v99
	v_add_nc_u32_e32 v99, 8, v99
	s_waitcnt lgkmcnt(0)
	v_cmp_lt_f64_e64 vcc_lo, |v[0:1]|, |v[108:109]|
	v_cndmask_b32_e32 v1, v1, v109, vcc_lo
	v_cndmask_b32_e32 v0, v0, v108, vcc_lo
	v_cndmask_b32_e64 v98, v98, s0, vcc_lo
	s_add_i32 s0, s0, 1
	s_cmp_lg_u32 s7, s0
	s_cbranch_scc1 .LBB90_269
.LBB90_270:
	s_mov_b32 s0, exec_lo
	s_waitcnt lgkmcnt(0)
	v_cmpx_eq_f64_e32 0, v[0:1]
	s_xor_b32 s0, exec_lo, s0
; %bb.271:
	v_cmp_ne_u32_e32 vcc_lo, 0, v101
	v_cndmask_b32_e32 v101, 17, v101, vcc_lo
; %bb.272:
	s_andn2_saveexec_b32 s0, s0
	s_cbranch_execz .LBB90_274
; %bb.273:
	v_div_scale_f64 v[99:100], null, v[0:1], v[0:1], 1.0
	v_rcp_f64_e32 v[108:109], v[99:100]
	v_fma_f64 v[110:111], -v[99:100], v[108:109], 1.0
	v_fma_f64 v[108:109], v[108:109], v[110:111], v[108:109]
	v_fma_f64 v[110:111], -v[99:100], v[108:109], 1.0
	v_fma_f64 v[108:109], v[108:109], v[110:111], v[108:109]
	v_div_scale_f64 v[110:111], vcc_lo, 1.0, v[0:1], 1.0
	v_mul_f64 v[112:113], v[110:111], v[108:109]
	v_fma_f64 v[99:100], -v[99:100], v[112:113], v[110:111]
	v_div_fmas_f64 v[99:100], v[99:100], v[108:109], v[112:113]
	v_div_fixup_f64 v[0:1], v[99:100], v[0:1], 1.0
.LBB90_274:
	s_or_b32 exec_lo, exec_lo, s0
	s_mov_b32 s0, exec_lo
	v_cmpx_ne_u32_e64 v107, v98
	s_xor_b32 s0, exec_lo, s0
	s_cbranch_execz .LBB90_280
; %bb.275:
	s_mov_b32 s1, exec_lo
	v_cmpx_eq_u32_e32 16, v107
	s_cbranch_execz .LBB90_279
; %bb.276:
	v_cmp_ne_u32_e32 vcc_lo, 16, v98
	s_xor_b32 s2, s6, -1
	s_and_b32 s3, s2, vcc_lo
	s_and_saveexec_b32 s2, s3
	s_cbranch_execz .LBB90_278
; %bb.277:
	v_ashrrev_i32_e32 v99, 31, v98
	v_lshlrev_b64 v[99:100], 2, v[98:99]
	v_add_co_u32 v99, vcc_lo, v4, v99
	v_add_co_ci_u32_e64 v100, null, v5, v100, vcc_lo
	s_clause 0x1
	global_load_dword v106, v[99:100], off
	global_load_dword v107, v[4:5], off offset:64
	s_waitcnt vmcnt(1)
	global_store_dword v[4:5], v106, off offset:64
	s_waitcnt vmcnt(0)
	global_store_dword v[99:100], v107, off
.LBB90_278:
	s_or_b32 exec_lo, exec_lo, s2
	v_mov_b32_e32 v106, v98
	v_mov_b32_e32 v107, v98
.LBB90_279:
	s_or_b32 exec_lo, exec_lo, s1
.LBB90_280:
	s_andn2_saveexec_b32 s0, s0
	s_cbranch_execz .LBB90_282
; %bb.281:
	v_mov_b32_e32 v107, 16
	ds_write2_b64 v104, v[58:59], v[60:61] offset0:17 offset1:18
	ds_write2_b64 v104, v[54:55], v[56:57] offset0:19 offset1:20
	ds_write2_b64 v104, v[52:53], v[50:51] offset0:21 offset1:22
	ds_write2_b64 v104, v[48:49], v[46:47] offset0:23 offset1:24
	ds_write2_b64 v104, v[44:45], v[42:43] offset0:25 offset1:26
	ds_write2_b64 v104, v[38:39], v[40:41] offset0:27 offset1:28
	ds_write2_b64 v104, v[34:35], v[36:37] offset0:29 offset1:30
	ds_write2_b64 v104, v[32:33], v[30:31] offset0:31 offset1:32
	ds_write2_b64 v104, v[28:29], v[26:27] offset0:33 offset1:34
	ds_write2_b64 v104, v[24:25], v[22:23] offset0:35 offset1:36
	ds_write2_b64 v104, v[18:19], v[20:21] offset0:37 offset1:38
	ds_write2_b64 v104, v[16:17], v[14:15] offset0:39 offset1:40
	ds_write2_b64 v104, v[8:9], v[12:13] offset0:41 offset1:42
	ds_write2_b64 v104, v[6:7], v[10:11] offset0:43 offset1:44
	ds_write_b64 v104, v[96:97] offset:360
.LBB90_282:
	s_or_b32 exec_lo, exec_lo, s0
	s_mov_b32 s0, exec_lo
	s_waitcnt lgkmcnt(0)
	s_waitcnt_vscnt null, 0x0
	s_barrier
	buffer_gl0_inv
	v_cmpx_lt_i32_e32 16, v107
	s_cbranch_execz .LBB90_284
; %bb.283:
	v_mul_f64 v[62:63], v[0:1], v[62:63]
	ds_read2_b64 v[108:111], v104 offset0:17 offset1:18
	ds_read2_b64 v[112:115], v104 offset0:19 offset1:20
	;; [unrolled: 1-line block ×14, first 2 shown]
	ds_read_b64 v[0:1], v104 offset:360
	s_waitcnt lgkmcnt(14)
	v_fma_f64 v[58:59], -v[62:63], v[108:109], v[58:59]
	v_fma_f64 v[60:61], -v[62:63], v[110:111], v[60:61]
	s_waitcnt lgkmcnt(13)
	v_fma_f64 v[54:55], -v[62:63], v[112:113], v[54:55]
	v_fma_f64 v[56:57], -v[62:63], v[114:115], v[56:57]
	;; [unrolled: 3-line block ×14, first 2 shown]
	s_waitcnt lgkmcnt(0)
	v_fma_f64 v[96:97], -v[62:63], v[0:1], v[96:97]
.LBB90_284:
	s_or_b32 exec_lo, exec_lo, s0
	v_lshl_add_u32 v0, v107, 3, v104
	s_barrier
	buffer_gl0_inv
	v_mov_b32_e32 v98, 17
	ds_write_b64 v0, v[58:59]
	s_waitcnt lgkmcnt(0)
	s_barrier
	buffer_gl0_inv
	ds_read_b64 v[0:1], v104 offset:136
	s_cmp_lt_i32 s7, 19
	s_cbranch_scc1 .LBB90_287
; %bb.285:
	v_add3_u32 v99, v105, 0, 0x90
	v_mov_b32_e32 v98, 17
	s_mov_b32 s0, 18
.LBB90_286:                             ; =>This Inner Loop Header: Depth=1
	ds_read_b64 v[108:109], v99
	v_add_nc_u32_e32 v99, 8, v99
	s_waitcnt lgkmcnt(0)
	v_cmp_lt_f64_e64 vcc_lo, |v[0:1]|, |v[108:109]|
	v_cndmask_b32_e32 v1, v1, v109, vcc_lo
	v_cndmask_b32_e32 v0, v0, v108, vcc_lo
	v_cndmask_b32_e64 v98, v98, s0, vcc_lo
	s_add_i32 s0, s0, 1
	s_cmp_lg_u32 s7, s0
	s_cbranch_scc1 .LBB90_286
.LBB90_287:
	s_mov_b32 s0, exec_lo
	s_waitcnt lgkmcnt(0)
	v_cmpx_eq_f64_e32 0, v[0:1]
	s_xor_b32 s0, exec_lo, s0
; %bb.288:
	v_cmp_ne_u32_e32 vcc_lo, 0, v101
	v_cndmask_b32_e32 v101, 18, v101, vcc_lo
; %bb.289:
	s_andn2_saveexec_b32 s0, s0
	s_cbranch_execz .LBB90_291
; %bb.290:
	v_div_scale_f64 v[99:100], null, v[0:1], v[0:1], 1.0
	v_rcp_f64_e32 v[108:109], v[99:100]
	v_fma_f64 v[110:111], -v[99:100], v[108:109], 1.0
	v_fma_f64 v[108:109], v[108:109], v[110:111], v[108:109]
	v_fma_f64 v[110:111], -v[99:100], v[108:109], 1.0
	v_fma_f64 v[108:109], v[108:109], v[110:111], v[108:109]
	v_div_scale_f64 v[110:111], vcc_lo, 1.0, v[0:1], 1.0
	v_mul_f64 v[112:113], v[110:111], v[108:109]
	v_fma_f64 v[99:100], -v[99:100], v[112:113], v[110:111]
	v_div_fmas_f64 v[99:100], v[99:100], v[108:109], v[112:113]
	v_div_fixup_f64 v[0:1], v[99:100], v[0:1], 1.0
.LBB90_291:
	s_or_b32 exec_lo, exec_lo, s0
	s_mov_b32 s0, exec_lo
	v_cmpx_ne_u32_e64 v107, v98
	s_xor_b32 s0, exec_lo, s0
	s_cbranch_execz .LBB90_297
; %bb.292:
	s_mov_b32 s1, exec_lo
	v_cmpx_eq_u32_e32 17, v107
	s_cbranch_execz .LBB90_296
; %bb.293:
	v_cmp_ne_u32_e32 vcc_lo, 17, v98
	s_xor_b32 s2, s6, -1
	s_and_b32 s3, s2, vcc_lo
	s_and_saveexec_b32 s2, s3
	s_cbranch_execz .LBB90_295
; %bb.294:
	v_ashrrev_i32_e32 v99, 31, v98
	v_lshlrev_b64 v[99:100], 2, v[98:99]
	v_add_co_u32 v99, vcc_lo, v4, v99
	v_add_co_ci_u32_e64 v100, null, v5, v100, vcc_lo
	s_clause 0x1
	global_load_dword v106, v[99:100], off
	global_load_dword v107, v[4:5], off offset:68
	s_waitcnt vmcnt(1)
	global_store_dword v[4:5], v106, off offset:68
	s_waitcnt vmcnt(0)
	global_store_dword v[99:100], v107, off
.LBB90_295:
	s_or_b32 exec_lo, exec_lo, s2
	v_mov_b32_e32 v106, v98
	v_mov_b32_e32 v107, v98
.LBB90_296:
	s_or_b32 exec_lo, exec_lo, s1
.LBB90_297:
	s_andn2_saveexec_b32 s0, s0
	s_cbranch_execz .LBB90_299
; %bb.298:
	v_mov_b32_e32 v98, v60
	v_mov_b32_e32 v99, v61
	;; [unrolled: 1-line block ×20, first 2 shown]
	ds_write2_b64 v104, v[98:99], v[107:108] offset0:18 offset1:19
	ds_write2_b64 v104, v[109:110], v[111:112] offset0:20 offset1:21
	;; [unrolled: 1-line block ×5, first 2 shown]
	v_mov_b32_e32 v98, v40
	v_mov_b32_e32 v99, v41
	;; [unrolled: 1-line block ×20, first 2 shown]
	ds_write2_b64 v104, v[98:99], v[107:108] offset0:28 offset1:29
	ds_write2_b64 v104, v[109:110], v[111:112] offset0:30 offset1:31
	;; [unrolled: 1-line block ×5, first 2 shown]
	v_mov_b32_e32 v98, v20
	v_mov_b32_e32 v99, v21
	;; [unrolled: 1-line block ×15, first 2 shown]
	ds_write2_b64 v104, v[98:99], v[108:109] offset0:38 offset1:39
	ds_write2_b64 v104, v[110:111], v[112:113] offset0:40 offset1:41
	;; [unrolled: 1-line block ×4, first 2 shown]
.LBB90_299:
	s_or_b32 exec_lo, exec_lo, s0
	s_mov_b32 s0, exec_lo
	s_waitcnt lgkmcnt(0)
	s_waitcnt_vscnt null, 0x0
	s_barrier
	buffer_gl0_inv
	v_cmpx_lt_i32_e32 17, v107
	s_cbranch_execz .LBB90_301
; %bb.300:
	v_mul_f64 v[58:59], v[0:1], v[58:59]
	ds_read2_b64 v[108:111], v104 offset0:18 offset1:19
	ds_read2_b64 v[112:115], v104 offset0:20 offset1:21
	;; [unrolled: 1-line block ×14, first 2 shown]
	s_waitcnt lgkmcnt(13)
	v_fma_f64 v[60:61], -v[58:59], v[108:109], v[60:61]
	v_fma_f64 v[54:55], -v[58:59], v[110:111], v[54:55]
	s_waitcnt lgkmcnt(12)
	v_fma_f64 v[56:57], -v[58:59], v[112:113], v[56:57]
	v_fma_f64 v[52:53], -v[58:59], v[114:115], v[52:53]
	;; [unrolled: 3-line block ×14, first 2 shown]
.LBB90_301:
	s_or_b32 exec_lo, exec_lo, s0
	v_lshl_add_u32 v0, v107, 3, v104
	s_barrier
	buffer_gl0_inv
	v_mov_b32_e32 v98, 18
	ds_write_b64 v0, v[60:61]
	s_waitcnt lgkmcnt(0)
	s_barrier
	buffer_gl0_inv
	ds_read_b64 v[0:1], v104 offset:144
	s_cmp_lt_i32 s7, 20
	s_cbranch_scc1 .LBB90_304
; %bb.302:
	v_add3_u32 v99, v105, 0, 0x98
	v_mov_b32_e32 v98, 18
	s_mov_b32 s0, 19
.LBB90_303:                             ; =>This Inner Loop Header: Depth=1
	ds_read_b64 v[108:109], v99
	v_add_nc_u32_e32 v99, 8, v99
	s_waitcnt lgkmcnt(0)
	v_cmp_lt_f64_e64 vcc_lo, |v[0:1]|, |v[108:109]|
	v_cndmask_b32_e32 v1, v1, v109, vcc_lo
	v_cndmask_b32_e32 v0, v0, v108, vcc_lo
	v_cndmask_b32_e64 v98, v98, s0, vcc_lo
	s_add_i32 s0, s0, 1
	s_cmp_lg_u32 s7, s0
	s_cbranch_scc1 .LBB90_303
.LBB90_304:
	s_mov_b32 s0, exec_lo
	s_waitcnt lgkmcnt(0)
	v_cmpx_eq_f64_e32 0, v[0:1]
	s_xor_b32 s0, exec_lo, s0
; %bb.305:
	v_cmp_ne_u32_e32 vcc_lo, 0, v101
	v_cndmask_b32_e32 v101, 19, v101, vcc_lo
; %bb.306:
	s_andn2_saveexec_b32 s0, s0
	s_cbranch_execz .LBB90_308
; %bb.307:
	v_div_scale_f64 v[99:100], null, v[0:1], v[0:1], 1.0
	v_rcp_f64_e32 v[108:109], v[99:100]
	v_fma_f64 v[110:111], -v[99:100], v[108:109], 1.0
	v_fma_f64 v[108:109], v[108:109], v[110:111], v[108:109]
	v_fma_f64 v[110:111], -v[99:100], v[108:109], 1.0
	v_fma_f64 v[108:109], v[108:109], v[110:111], v[108:109]
	v_div_scale_f64 v[110:111], vcc_lo, 1.0, v[0:1], 1.0
	v_mul_f64 v[112:113], v[110:111], v[108:109]
	v_fma_f64 v[99:100], -v[99:100], v[112:113], v[110:111]
	v_div_fmas_f64 v[99:100], v[99:100], v[108:109], v[112:113]
	v_div_fixup_f64 v[0:1], v[99:100], v[0:1], 1.0
.LBB90_308:
	s_or_b32 exec_lo, exec_lo, s0
	s_mov_b32 s0, exec_lo
	v_cmpx_ne_u32_e64 v107, v98
	s_xor_b32 s0, exec_lo, s0
	s_cbranch_execz .LBB90_314
; %bb.309:
	s_mov_b32 s1, exec_lo
	v_cmpx_eq_u32_e32 18, v107
	s_cbranch_execz .LBB90_313
; %bb.310:
	v_cmp_ne_u32_e32 vcc_lo, 18, v98
	s_xor_b32 s2, s6, -1
	s_and_b32 s3, s2, vcc_lo
	s_and_saveexec_b32 s2, s3
	s_cbranch_execz .LBB90_312
; %bb.311:
	v_ashrrev_i32_e32 v99, 31, v98
	v_lshlrev_b64 v[99:100], 2, v[98:99]
	v_add_co_u32 v99, vcc_lo, v4, v99
	v_add_co_ci_u32_e64 v100, null, v5, v100, vcc_lo
	s_clause 0x1
	global_load_dword v106, v[99:100], off
	global_load_dword v107, v[4:5], off offset:72
	s_waitcnt vmcnt(1)
	global_store_dword v[4:5], v106, off offset:72
	s_waitcnt vmcnt(0)
	global_store_dword v[99:100], v107, off
.LBB90_312:
	s_or_b32 exec_lo, exec_lo, s2
	v_mov_b32_e32 v106, v98
	v_mov_b32_e32 v107, v98
.LBB90_313:
	s_or_b32 exec_lo, exec_lo, s1
.LBB90_314:
	s_andn2_saveexec_b32 s0, s0
	s_cbranch_execz .LBB90_316
; %bb.315:
	v_mov_b32_e32 v107, 18
	ds_write2_b64 v104, v[54:55], v[56:57] offset0:19 offset1:20
	ds_write2_b64 v104, v[52:53], v[50:51] offset0:21 offset1:22
	;; [unrolled: 1-line block ×13, first 2 shown]
	ds_write_b64 v104, v[96:97] offset:360
.LBB90_316:
	s_or_b32 exec_lo, exec_lo, s0
	s_mov_b32 s0, exec_lo
	s_waitcnt lgkmcnt(0)
	s_waitcnt_vscnt null, 0x0
	s_barrier
	buffer_gl0_inv
	v_cmpx_lt_i32_e32 18, v107
	s_cbranch_execz .LBB90_318
; %bb.317:
	v_mul_f64 v[60:61], v[0:1], v[60:61]
	ds_read2_b64 v[108:111], v104 offset0:19 offset1:20
	ds_read2_b64 v[112:115], v104 offset0:21 offset1:22
	;; [unrolled: 1-line block ×13, first 2 shown]
	ds_read_b64 v[0:1], v104 offset:360
	s_waitcnt lgkmcnt(13)
	v_fma_f64 v[54:55], -v[60:61], v[108:109], v[54:55]
	v_fma_f64 v[56:57], -v[60:61], v[110:111], v[56:57]
	s_waitcnt lgkmcnt(12)
	v_fma_f64 v[52:53], -v[60:61], v[112:113], v[52:53]
	v_fma_f64 v[50:51], -v[60:61], v[114:115], v[50:51]
	s_waitcnt lgkmcnt(11)
	v_fma_f64 v[48:49], -v[60:61], v[116:117], v[48:49]
	v_fma_f64 v[46:47], -v[60:61], v[118:119], v[46:47]
	s_waitcnt lgkmcnt(10)
	v_fma_f64 v[44:45], -v[60:61], v[120:121], v[44:45]
	v_fma_f64 v[42:43], -v[60:61], v[122:123], v[42:43]
	s_waitcnt lgkmcnt(9)
	v_fma_f64 v[38:39], -v[60:61], v[124:125], v[38:39]
	v_fma_f64 v[40:41], -v[60:61], v[126:127], v[40:41]
	s_waitcnt lgkmcnt(8)
	v_fma_f64 v[34:35], -v[60:61], v[128:129], v[34:35]
	v_fma_f64 v[36:37], -v[60:61], v[130:131], v[36:37]
	s_waitcnt lgkmcnt(7)
	v_fma_f64 v[32:33], -v[60:61], v[132:133], v[32:33]
	v_fma_f64 v[30:31], -v[60:61], v[134:135], v[30:31]
	s_waitcnt lgkmcnt(6)
	v_fma_f64 v[28:29], -v[60:61], v[136:137], v[28:29]
	v_fma_f64 v[26:27], -v[60:61], v[138:139], v[26:27]
	s_waitcnt lgkmcnt(5)
	v_fma_f64 v[24:25], -v[60:61], v[140:141], v[24:25]
	v_fma_f64 v[22:23], -v[60:61], v[142:143], v[22:23]
	s_waitcnt lgkmcnt(4)
	v_fma_f64 v[18:19], -v[60:61], v[144:145], v[18:19]
	v_fma_f64 v[20:21], -v[60:61], v[146:147], v[20:21]
	s_waitcnt lgkmcnt(3)
	v_fma_f64 v[16:17], -v[60:61], v[148:149], v[16:17]
	v_fma_f64 v[14:15], -v[60:61], v[150:151], v[14:15]
	s_waitcnt lgkmcnt(2)
	v_fma_f64 v[8:9], -v[60:61], v[152:153], v[8:9]
	v_fma_f64 v[12:13], -v[60:61], v[154:155], v[12:13]
	s_waitcnt lgkmcnt(1)
	v_fma_f64 v[6:7], -v[60:61], v[156:157], v[6:7]
	v_fma_f64 v[10:11], -v[60:61], v[158:159], v[10:11]
	s_waitcnt lgkmcnt(0)
	v_fma_f64 v[96:97], -v[60:61], v[0:1], v[96:97]
.LBB90_318:
	s_or_b32 exec_lo, exec_lo, s0
	v_lshl_add_u32 v0, v107, 3, v104
	s_barrier
	buffer_gl0_inv
	v_mov_b32_e32 v98, 19
	ds_write_b64 v0, v[54:55]
	s_waitcnt lgkmcnt(0)
	s_barrier
	buffer_gl0_inv
	ds_read_b64 v[0:1], v104 offset:152
	s_cmp_lt_i32 s7, 21
	s_cbranch_scc1 .LBB90_321
; %bb.319:
	v_add3_u32 v99, v105, 0, 0xa0
	v_mov_b32_e32 v98, 19
	s_mov_b32 s0, 20
.LBB90_320:                             ; =>This Inner Loop Header: Depth=1
	ds_read_b64 v[108:109], v99
	v_add_nc_u32_e32 v99, 8, v99
	s_waitcnt lgkmcnt(0)
	v_cmp_lt_f64_e64 vcc_lo, |v[0:1]|, |v[108:109]|
	v_cndmask_b32_e32 v1, v1, v109, vcc_lo
	v_cndmask_b32_e32 v0, v0, v108, vcc_lo
	v_cndmask_b32_e64 v98, v98, s0, vcc_lo
	s_add_i32 s0, s0, 1
	s_cmp_lg_u32 s7, s0
	s_cbranch_scc1 .LBB90_320
.LBB90_321:
	s_mov_b32 s0, exec_lo
	s_waitcnt lgkmcnt(0)
	v_cmpx_eq_f64_e32 0, v[0:1]
	s_xor_b32 s0, exec_lo, s0
; %bb.322:
	v_cmp_ne_u32_e32 vcc_lo, 0, v101
	v_cndmask_b32_e32 v101, 20, v101, vcc_lo
; %bb.323:
	s_andn2_saveexec_b32 s0, s0
	s_cbranch_execz .LBB90_325
; %bb.324:
	v_div_scale_f64 v[99:100], null, v[0:1], v[0:1], 1.0
	v_rcp_f64_e32 v[108:109], v[99:100]
	v_fma_f64 v[110:111], -v[99:100], v[108:109], 1.0
	v_fma_f64 v[108:109], v[108:109], v[110:111], v[108:109]
	v_fma_f64 v[110:111], -v[99:100], v[108:109], 1.0
	v_fma_f64 v[108:109], v[108:109], v[110:111], v[108:109]
	v_div_scale_f64 v[110:111], vcc_lo, 1.0, v[0:1], 1.0
	v_mul_f64 v[112:113], v[110:111], v[108:109]
	v_fma_f64 v[99:100], -v[99:100], v[112:113], v[110:111]
	v_div_fmas_f64 v[99:100], v[99:100], v[108:109], v[112:113]
	v_div_fixup_f64 v[0:1], v[99:100], v[0:1], 1.0
.LBB90_325:
	s_or_b32 exec_lo, exec_lo, s0
	s_mov_b32 s0, exec_lo
	v_cmpx_ne_u32_e64 v107, v98
	s_xor_b32 s0, exec_lo, s0
	s_cbranch_execz .LBB90_331
; %bb.326:
	s_mov_b32 s1, exec_lo
	v_cmpx_eq_u32_e32 19, v107
	s_cbranch_execz .LBB90_330
; %bb.327:
	v_cmp_ne_u32_e32 vcc_lo, 19, v98
	s_xor_b32 s2, s6, -1
	s_and_b32 s3, s2, vcc_lo
	s_and_saveexec_b32 s2, s3
	s_cbranch_execz .LBB90_329
; %bb.328:
	v_ashrrev_i32_e32 v99, 31, v98
	v_lshlrev_b64 v[99:100], 2, v[98:99]
	v_add_co_u32 v99, vcc_lo, v4, v99
	v_add_co_ci_u32_e64 v100, null, v5, v100, vcc_lo
	s_clause 0x1
	global_load_dword v106, v[99:100], off
	global_load_dword v107, v[4:5], off offset:76
	s_waitcnt vmcnt(1)
	global_store_dword v[4:5], v106, off offset:76
	s_waitcnt vmcnt(0)
	global_store_dword v[99:100], v107, off
.LBB90_329:
	s_or_b32 exec_lo, exec_lo, s2
	v_mov_b32_e32 v106, v98
	v_mov_b32_e32 v107, v98
.LBB90_330:
	s_or_b32 exec_lo, exec_lo, s1
.LBB90_331:
	s_andn2_saveexec_b32 s0, s0
	s_cbranch_execz .LBB90_333
; %bb.332:
	v_mov_b32_e32 v98, v56
	v_mov_b32_e32 v99, v57
	;; [unrolled: 1-line block ×16, first 2 shown]
	ds_write2_b64 v104, v[98:99], v[107:108] offset0:20 offset1:21
	ds_write2_b64 v104, v[109:110], v[111:112] offset0:22 offset1:23
	;; [unrolled: 1-line block ×4, first 2 shown]
	v_mov_b32_e32 v98, v40
	v_mov_b32_e32 v99, v41
	;; [unrolled: 1-line block ×20, first 2 shown]
	ds_write2_b64 v104, v[98:99], v[107:108] offset0:28 offset1:29
	ds_write2_b64 v104, v[109:110], v[111:112] offset0:30 offset1:31
	;; [unrolled: 1-line block ×5, first 2 shown]
	v_mov_b32_e32 v98, v20
	v_mov_b32_e32 v99, v21
	;; [unrolled: 1-line block ×15, first 2 shown]
	ds_write2_b64 v104, v[98:99], v[108:109] offset0:38 offset1:39
	ds_write2_b64 v104, v[110:111], v[112:113] offset0:40 offset1:41
	;; [unrolled: 1-line block ×4, first 2 shown]
.LBB90_333:
	s_or_b32 exec_lo, exec_lo, s0
	s_mov_b32 s0, exec_lo
	s_waitcnt lgkmcnt(0)
	s_waitcnt_vscnt null, 0x0
	s_barrier
	buffer_gl0_inv
	v_cmpx_lt_i32_e32 19, v107
	s_cbranch_execz .LBB90_335
; %bb.334:
	v_mul_f64 v[54:55], v[0:1], v[54:55]
	ds_read2_b64 v[108:111], v104 offset0:20 offset1:21
	ds_read2_b64 v[112:115], v104 offset0:22 offset1:23
	;; [unrolled: 1-line block ×13, first 2 shown]
	s_waitcnt lgkmcnt(12)
	v_fma_f64 v[56:57], -v[54:55], v[108:109], v[56:57]
	v_fma_f64 v[52:53], -v[54:55], v[110:111], v[52:53]
	s_waitcnt lgkmcnt(11)
	v_fma_f64 v[50:51], -v[54:55], v[112:113], v[50:51]
	v_fma_f64 v[48:49], -v[54:55], v[114:115], v[48:49]
	;; [unrolled: 3-line block ×13, first 2 shown]
.LBB90_335:
	s_or_b32 exec_lo, exec_lo, s0
	v_lshl_add_u32 v0, v107, 3, v104
	s_barrier
	buffer_gl0_inv
	v_mov_b32_e32 v98, 20
	ds_write_b64 v0, v[56:57]
	s_waitcnt lgkmcnt(0)
	s_barrier
	buffer_gl0_inv
	ds_read_b64 v[0:1], v104 offset:160
	s_cmp_lt_i32 s7, 22
	s_cbranch_scc1 .LBB90_338
; %bb.336:
	v_add3_u32 v99, v105, 0, 0xa8
	v_mov_b32_e32 v98, 20
	s_mov_b32 s0, 21
.LBB90_337:                             ; =>This Inner Loop Header: Depth=1
	ds_read_b64 v[108:109], v99
	v_add_nc_u32_e32 v99, 8, v99
	s_waitcnt lgkmcnt(0)
	v_cmp_lt_f64_e64 vcc_lo, |v[0:1]|, |v[108:109]|
	v_cndmask_b32_e32 v1, v1, v109, vcc_lo
	v_cndmask_b32_e32 v0, v0, v108, vcc_lo
	v_cndmask_b32_e64 v98, v98, s0, vcc_lo
	s_add_i32 s0, s0, 1
	s_cmp_lg_u32 s7, s0
	s_cbranch_scc1 .LBB90_337
.LBB90_338:
	s_mov_b32 s0, exec_lo
	s_waitcnt lgkmcnt(0)
	v_cmpx_eq_f64_e32 0, v[0:1]
	s_xor_b32 s0, exec_lo, s0
; %bb.339:
	v_cmp_ne_u32_e32 vcc_lo, 0, v101
	v_cndmask_b32_e32 v101, 21, v101, vcc_lo
; %bb.340:
	s_andn2_saveexec_b32 s0, s0
	s_cbranch_execz .LBB90_342
; %bb.341:
	v_div_scale_f64 v[99:100], null, v[0:1], v[0:1], 1.0
	v_rcp_f64_e32 v[108:109], v[99:100]
	v_fma_f64 v[110:111], -v[99:100], v[108:109], 1.0
	v_fma_f64 v[108:109], v[108:109], v[110:111], v[108:109]
	v_fma_f64 v[110:111], -v[99:100], v[108:109], 1.0
	v_fma_f64 v[108:109], v[108:109], v[110:111], v[108:109]
	v_div_scale_f64 v[110:111], vcc_lo, 1.0, v[0:1], 1.0
	v_mul_f64 v[112:113], v[110:111], v[108:109]
	v_fma_f64 v[99:100], -v[99:100], v[112:113], v[110:111]
	v_div_fmas_f64 v[99:100], v[99:100], v[108:109], v[112:113]
	v_div_fixup_f64 v[0:1], v[99:100], v[0:1], 1.0
.LBB90_342:
	s_or_b32 exec_lo, exec_lo, s0
	s_mov_b32 s0, exec_lo
	v_cmpx_ne_u32_e64 v107, v98
	s_xor_b32 s0, exec_lo, s0
	s_cbranch_execz .LBB90_348
; %bb.343:
	s_mov_b32 s1, exec_lo
	v_cmpx_eq_u32_e32 20, v107
	s_cbranch_execz .LBB90_347
; %bb.344:
	v_cmp_ne_u32_e32 vcc_lo, 20, v98
	s_xor_b32 s2, s6, -1
	s_and_b32 s3, s2, vcc_lo
	s_and_saveexec_b32 s2, s3
	s_cbranch_execz .LBB90_346
; %bb.345:
	v_ashrrev_i32_e32 v99, 31, v98
	v_lshlrev_b64 v[99:100], 2, v[98:99]
	v_add_co_u32 v99, vcc_lo, v4, v99
	v_add_co_ci_u32_e64 v100, null, v5, v100, vcc_lo
	s_clause 0x1
	global_load_dword v106, v[99:100], off
	global_load_dword v107, v[4:5], off offset:80
	s_waitcnt vmcnt(1)
	global_store_dword v[4:5], v106, off offset:80
	s_waitcnt vmcnt(0)
	global_store_dword v[99:100], v107, off
.LBB90_346:
	s_or_b32 exec_lo, exec_lo, s2
	v_mov_b32_e32 v106, v98
	v_mov_b32_e32 v107, v98
.LBB90_347:
	s_or_b32 exec_lo, exec_lo, s1
.LBB90_348:
	s_andn2_saveexec_b32 s0, s0
	s_cbranch_execz .LBB90_350
; %bb.349:
	v_mov_b32_e32 v107, 20
	ds_write2_b64 v104, v[52:53], v[50:51] offset0:21 offset1:22
	ds_write2_b64 v104, v[48:49], v[46:47] offset0:23 offset1:24
	;; [unrolled: 1-line block ×12, first 2 shown]
	ds_write_b64 v104, v[96:97] offset:360
.LBB90_350:
	s_or_b32 exec_lo, exec_lo, s0
	s_mov_b32 s0, exec_lo
	s_waitcnt lgkmcnt(0)
	s_waitcnt_vscnt null, 0x0
	s_barrier
	buffer_gl0_inv
	v_cmpx_lt_i32_e32 20, v107
	s_cbranch_execz .LBB90_352
; %bb.351:
	v_mul_f64 v[56:57], v[0:1], v[56:57]
	ds_read2_b64 v[108:111], v104 offset0:21 offset1:22
	ds_read2_b64 v[112:115], v104 offset0:23 offset1:24
	;; [unrolled: 1-line block ×12, first 2 shown]
	ds_read_b64 v[0:1], v104 offset:360
	s_waitcnt lgkmcnt(12)
	v_fma_f64 v[52:53], -v[56:57], v[108:109], v[52:53]
	v_fma_f64 v[50:51], -v[56:57], v[110:111], v[50:51]
	s_waitcnt lgkmcnt(11)
	v_fma_f64 v[48:49], -v[56:57], v[112:113], v[48:49]
	v_fma_f64 v[46:47], -v[56:57], v[114:115], v[46:47]
	;; [unrolled: 3-line block ×12, first 2 shown]
	s_waitcnt lgkmcnt(0)
	v_fma_f64 v[96:97], -v[56:57], v[0:1], v[96:97]
.LBB90_352:
	s_or_b32 exec_lo, exec_lo, s0
	v_lshl_add_u32 v0, v107, 3, v104
	s_barrier
	buffer_gl0_inv
	v_mov_b32_e32 v98, 21
	ds_write_b64 v0, v[52:53]
	s_waitcnt lgkmcnt(0)
	s_barrier
	buffer_gl0_inv
	ds_read_b64 v[0:1], v104 offset:168
	s_cmp_lt_i32 s7, 23
	s_cbranch_scc1 .LBB90_355
; %bb.353:
	v_add3_u32 v99, v105, 0, 0xb0
	v_mov_b32_e32 v98, 21
	s_mov_b32 s0, 22
.LBB90_354:                             ; =>This Inner Loop Header: Depth=1
	ds_read_b64 v[108:109], v99
	v_add_nc_u32_e32 v99, 8, v99
	s_waitcnt lgkmcnt(0)
	v_cmp_lt_f64_e64 vcc_lo, |v[0:1]|, |v[108:109]|
	v_cndmask_b32_e32 v1, v1, v109, vcc_lo
	v_cndmask_b32_e32 v0, v0, v108, vcc_lo
	v_cndmask_b32_e64 v98, v98, s0, vcc_lo
	s_add_i32 s0, s0, 1
	s_cmp_lg_u32 s7, s0
	s_cbranch_scc1 .LBB90_354
.LBB90_355:
	s_mov_b32 s0, exec_lo
	s_waitcnt lgkmcnt(0)
	v_cmpx_eq_f64_e32 0, v[0:1]
	s_xor_b32 s0, exec_lo, s0
; %bb.356:
	v_cmp_ne_u32_e32 vcc_lo, 0, v101
	v_cndmask_b32_e32 v101, 22, v101, vcc_lo
; %bb.357:
	s_andn2_saveexec_b32 s0, s0
	s_cbranch_execz .LBB90_359
; %bb.358:
	v_div_scale_f64 v[99:100], null, v[0:1], v[0:1], 1.0
	v_rcp_f64_e32 v[108:109], v[99:100]
	v_fma_f64 v[110:111], -v[99:100], v[108:109], 1.0
	v_fma_f64 v[108:109], v[108:109], v[110:111], v[108:109]
	v_fma_f64 v[110:111], -v[99:100], v[108:109], 1.0
	v_fma_f64 v[108:109], v[108:109], v[110:111], v[108:109]
	v_div_scale_f64 v[110:111], vcc_lo, 1.0, v[0:1], 1.0
	v_mul_f64 v[112:113], v[110:111], v[108:109]
	v_fma_f64 v[99:100], -v[99:100], v[112:113], v[110:111]
	v_div_fmas_f64 v[99:100], v[99:100], v[108:109], v[112:113]
	v_div_fixup_f64 v[0:1], v[99:100], v[0:1], 1.0
.LBB90_359:
	s_or_b32 exec_lo, exec_lo, s0
	s_mov_b32 s0, exec_lo
	v_cmpx_ne_u32_e64 v107, v98
	s_xor_b32 s0, exec_lo, s0
	s_cbranch_execz .LBB90_365
; %bb.360:
	s_mov_b32 s1, exec_lo
	v_cmpx_eq_u32_e32 21, v107
	s_cbranch_execz .LBB90_364
; %bb.361:
	v_cmp_ne_u32_e32 vcc_lo, 21, v98
	s_xor_b32 s2, s6, -1
	s_and_b32 s3, s2, vcc_lo
	s_and_saveexec_b32 s2, s3
	s_cbranch_execz .LBB90_363
; %bb.362:
	v_ashrrev_i32_e32 v99, 31, v98
	v_lshlrev_b64 v[99:100], 2, v[98:99]
	v_add_co_u32 v99, vcc_lo, v4, v99
	v_add_co_ci_u32_e64 v100, null, v5, v100, vcc_lo
	s_clause 0x1
	global_load_dword v106, v[99:100], off
	global_load_dword v107, v[4:5], off offset:84
	s_waitcnt vmcnt(1)
	global_store_dword v[4:5], v106, off offset:84
	s_waitcnt vmcnt(0)
	global_store_dword v[99:100], v107, off
.LBB90_363:
	s_or_b32 exec_lo, exec_lo, s2
	v_mov_b32_e32 v106, v98
	v_mov_b32_e32 v107, v98
.LBB90_364:
	s_or_b32 exec_lo, exec_lo, s1
.LBB90_365:
	s_andn2_saveexec_b32 s0, s0
	s_cbranch_execz .LBB90_367
; %bb.366:
	v_mov_b32_e32 v98, v50
	v_mov_b32_e32 v99, v51
	;; [unrolled: 1-line block ×12, first 2 shown]
	ds_write2_b64 v104, v[98:99], v[107:108] offset0:22 offset1:23
	ds_write2_b64 v104, v[109:110], v[111:112] offset0:24 offset1:25
	;; [unrolled: 1-line block ×3, first 2 shown]
	v_mov_b32_e32 v98, v40
	v_mov_b32_e32 v99, v41
	v_mov_b32_e32 v107, v34
	v_mov_b32_e32 v108, v35
	v_mov_b32_e32 v109, v36
	v_mov_b32_e32 v110, v37
	v_mov_b32_e32 v111, v32
	v_mov_b32_e32 v112, v33
	v_mov_b32_e32 v113, v30
	v_mov_b32_e32 v114, v31
	v_mov_b32_e32 v115, v28
	v_mov_b32_e32 v116, v29
	v_mov_b32_e32 v117, v26
	v_mov_b32_e32 v118, v27
	v_mov_b32_e32 v119, v24
	v_mov_b32_e32 v120, v25
	v_mov_b32_e32 v121, v22
	v_mov_b32_e32 v122, v23
	v_mov_b32_e32 v123, v18
	v_mov_b32_e32 v124, v19
	ds_write2_b64 v104, v[98:99], v[107:108] offset0:28 offset1:29
	ds_write2_b64 v104, v[109:110], v[111:112] offset0:30 offset1:31
	;; [unrolled: 1-line block ×5, first 2 shown]
	v_mov_b32_e32 v98, v20
	v_mov_b32_e32 v99, v21
	;; [unrolled: 1-line block ×15, first 2 shown]
	ds_write2_b64 v104, v[98:99], v[108:109] offset0:38 offset1:39
	ds_write2_b64 v104, v[110:111], v[112:113] offset0:40 offset1:41
	;; [unrolled: 1-line block ×4, first 2 shown]
.LBB90_367:
	s_or_b32 exec_lo, exec_lo, s0
	s_mov_b32 s0, exec_lo
	s_waitcnt lgkmcnt(0)
	s_waitcnt_vscnt null, 0x0
	s_barrier
	buffer_gl0_inv
	v_cmpx_lt_i32_e32 21, v107
	s_cbranch_execz .LBB90_369
; %bb.368:
	v_mul_f64 v[52:53], v[0:1], v[52:53]
	ds_read2_b64 v[108:111], v104 offset0:22 offset1:23
	ds_read2_b64 v[112:115], v104 offset0:24 offset1:25
	;; [unrolled: 1-line block ×12, first 2 shown]
	s_waitcnt lgkmcnt(11)
	v_fma_f64 v[50:51], -v[52:53], v[108:109], v[50:51]
	v_fma_f64 v[48:49], -v[52:53], v[110:111], v[48:49]
	s_waitcnt lgkmcnt(10)
	v_fma_f64 v[46:47], -v[52:53], v[112:113], v[46:47]
	v_fma_f64 v[44:45], -v[52:53], v[114:115], v[44:45]
	;; [unrolled: 3-line block ×12, first 2 shown]
.LBB90_369:
	s_or_b32 exec_lo, exec_lo, s0
	v_lshl_add_u32 v0, v107, 3, v104
	s_barrier
	buffer_gl0_inv
	v_mov_b32_e32 v98, 22
	ds_write_b64 v0, v[50:51]
	s_waitcnt lgkmcnt(0)
	s_barrier
	buffer_gl0_inv
	ds_read_b64 v[0:1], v104 offset:176
	s_cmp_lt_i32 s7, 24
	s_cbranch_scc1 .LBB90_372
; %bb.370:
	v_add3_u32 v99, v105, 0, 0xb8
	v_mov_b32_e32 v98, 22
	s_mov_b32 s0, 23
.LBB90_371:                             ; =>This Inner Loop Header: Depth=1
	ds_read_b64 v[108:109], v99
	v_add_nc_u32_e32 v99, 8, v99
	s_waitcnt lgkmcnt(0)
	v_cmp_lt_f64_e64 vcc_lo, |v[0:1]|, |v[108:109]|
	v_cndmask_b32_e32 v1, v1, v109, vcc_lo
	v_cndmask_b32_e32 v0, v0, v108, vcc_lo
	v_cndmask_b32_e64 v98, v98, s0, vcc_lo
	s_add_i32 s0, s0, 1
	s_cmp_lg_u32 s7, s0
	s_cbranch_scc1 .LBB90_371
.LBB90_372:
	s_mov_b32 s0, exec_lo
	s_waitcnt lgkmcnt(0)
	v_cmpx_eq_f64_e32 0, v[0:1]
	s_xor_b32 s0, exec_lo, s0
; %bb.373:
	v_cmp_ne_u32_e32 vcc_lo, 0, v101
	v_cndmask_b32_e32 v101, 23, v101, vcc_lo
; %bb.374:
	s_andn2_saveexec_b32 s0, s0
	s_cbranch_execz .LBB90_376
; %bb.375:
	v_div_scale_f64 v[99:100], null, v[0:1], v[0:1], 1.0
	v_rcp_f64_e32 v[108:109], v[99:100]
	v_fma_f64 v[110:111], -v[99:100], v[108:109], 1.0
	v_fma_f64 v[108:109], v[108:109], v[110:111], v[108:109]
	v_fma_f64 v[110:111], -v[99:100], v[108:109], 1.0
	v_fma_f64 v[108:109], v[108:109], v[110:111], v[108:109]
	v_div_scale_f64 v[110:111], vcc_lo, 1.0, v[0:1], 1.0
	v_mul_f64 v[112:113], v[110:111], v[108:109]
	v_fma_f64 v[99:100], -v[99:100], v[112:113], v[110:111]
	v_div_fmas_f64 v[99:100], v[99:100], v[108:109], v[112:113]
	v_div_fixup_f64 v[0:1], v[99:100], v[0:1], 1.0
.LBB90_376:
	s_or_b32 exec_lo, exec_lo, s0
	s_mov_b32 s0, exec_lo
	v_cmpx_ne_u32_e64 v107, v98
	s_xor_b32 s0, exec_lo, s0
	s_cbranch_execz .LBB90_382
; %bb.377:
	s_mov_b32 s1, exec_lo
	v_cmpx_eq_u32_e32 22, v107
	s_cbranch_execz .LBB90_381
; %bb.378:
	v_cmp_ne_u32_e32 vcc_lo, 22, v98
	s_xor_b32 s2, s6, -1
	s_and_b32 s3, s2, vcc_lo
	s_and_saveexec_b32 s2, s3
	s_cbranch_execz .LBB90_380
; %bb.379:
	v_ashrrev_i32_e32 v99, 31, v98
	v_lshlrev_b64 v[99:100], 2, v[98:99]
	v_add_co_u32 v99, vcc_lo, v4, v99
	v_add_co_ci_u32_e64 v100, null, v5, v100, vcc_lo
	s_clause 0x1
	global_load_dword v106, v[99:100], off
	global_load_dword v107, v[4:5], off offset:88
	s_waitcnt vmcnt(1)
	global_store_dword v[4:5], v106, off offset:88
	s_waitcnt vmcnt(0)
	global_store_dword v[99:100], v107, off
.LBB90_380:
	s_or_b32 exec_lo, exec_lo, s2
	v_mov_b32_e32 v106, v98
	v_mov_b32_e32 v107, v98
.LBB90_381:
	s_or_b32 exec_lo, exec_lo, s1
.LBB90_382:
	s_andn2_saveexec_b32 s0, s0
	s_cbranch_execz .LBB90_384
; %bb.383:
	v_mov_b32_e32 v107, 22
	ds_write2_b64 v104, v[48:49], v[46:47] offset0:23 offset1:24
	ds_write2_b64 v104, v[44:45], v[42:43] offset0:25 offset1:26
	ds_write2_b64 v104, v[38:39], v[40:41] offset0:27 offset1:28
	ds_write2_b64 v104, v[34:35], v[36:37] offset0:29 offset1:30
	ds_write2_b64 v104, v[32:33], v[30:31] offset0:31 offset1:32
	ds_write2_b64 v104, v[28:29], v[26:27] offset0:33 offset1:34
	ds_write2_b64 v104, v[24:25], v[22:23] offset0:35 offset1:36
	ds_write2_b64 v104, v[18:19], v[20:21] offset0:37 offset1:38
	ds_write2_b64 v104, v[16:17], v[14:15] offset0:39 offset1:40
	ds_write2_b64 v104, v[8:9], v[12:13] offset0:41 offset1:42
	ds_write2_b64 v104, v[6:7], v[10:11] offset0:43 offset1:44
	ds_write_b64 v104, v[96:97] offset:360
.LBB90_384:
	s_or_b32 exec_lo, exec_lo, s0
	s_mov_b32 s0, exec_lo
	s_waitcnt lgkmcnt(0)
	s_waitcnt_vscnt null, 0x0
	s_barrier
	buffer_gl0_inv
	v_cmpx_lt_i32_e32 22, v107
	s_cbranch_execz .LBB90_386
; %bb.385:
	v_mul_f64 v[50:51], v[0:1], v[50:51]
	ds_read2_b64 v[108:111], v104 offset0:23 offset1:24
	ds_read2_b64 v[112:115], v104 offset0:25 offset1:26
	;; [unrolled: 1-line block ×11, first 2 shown]
	ds_read_b64 v[0:1], v104 offset:360
	s_waitcnt lgkmcnt(11)
	v_fma_f64 v[48:49], -v[50:51], v[108:109], v[48:49]
	v_fma_f64 v[46:47], -v[50:51], v[110:111], v[46:47]
	s_waitcnt lgkmcnt(10)
	v_fma_f64 v[44:45], -v[50:51], v[112:113], v[44:45]
	v_fma_f64 v[42:43], -v[50:51], v[114:115], v[42:43]
	;; [unrolled: 3-line block ×11, first 2 shown]
	s_waitcnt lgkmcnt(0)
	v_fma_f64 v[96:97], -v[50:51], v[0:1], v[96:97]
.LBB90_386:
	s_or_b32 exec_lo, exec_lo, s0
	v_lshl_add_u32 v0, v107, 3, v104
	s_barrier
	buffer_gl0_inv
	v_mov_b32_e32 v98, 23
	ds_write_b64 v0, v[48:49]
	s_waitcnt lgkmcnt(0)
	s_barrier
	buffer_gl0_inv
	ds_read_b64 v[0:1], v104 offset:184
	s_cmp_lt_i32 s7, 25
	s_cbranch_scc1 .LBB90_389
; %bb.387:
	v_add3_u32 v99, v105, 0, 0xc0
	v_mov_b32_e32 v98, 23
	s_mov_b32 s0, 24
.LBB90_388:                             ; =>This Inner Loop Header: Depth=1
	ds_read_b64 v[108:109], v99
	v_add_nc_u32_e32 v99, 8, v99
	s_waitcnt lgkmcnt(0)
	v_cmp_lt_f64_e64 vcc_lo, |v[0:1]|, |v[108:109]|
	v_cndmask_b32_e32 v1, v1, v109, vcc_lo
	v_cndmask_b32_e32 v0, v0, v108, vcc_lo
	v_cndmask_b32_e64 v98, v98, s0, vcc_lo
	s_add_i32 s0, s0, 1
	s_cmp_lg_u32 s7, s0
	s_cbranch_scc1 .LBB90_388
.LBB90_389:
	s_mov_b32 s0, exec_lo
	s_waitcnt lgkmcnt(0)
	v_cmpx_eq_f64_e32 0, v[0:1]
	s_xor_b32 s0, exec_lo, s0
; %bb.390:
	v_cmp_ne_u32_e32 vcc_lo, 0, v101
	v_cndmask_b32_e32 v101, 24, v101, vcc_lo
; %bb.391:
	s_andn2_saveexec_b32 s0, s0
	s_cbranch_execz .LBB90_393
; %bb.392:
	v_div_scale_f64 v[99:100], null, v[0:1], v[0:1], 1.0
	v_rcp_f64_e32 v[108:109], v[99:100]
	v_fma_f64 v[110:111], -v[99:100], v[108:109], 1.0
	v_fma_f64 v[108:109], v[108:109], v[110:111], v[108:109]
	v_fma_f64 v[110:111], -v[99:100], v[108:109], 1.0
	v_fma_f64 v[108:109], v[108:109], v[110:111], v[108:109]
	v_div_scale_f64 v[110:111], vcc_lo, 1.0, v[0:1], 1.0
	v_mul_f64 v[112:113], v[110:111], v[108:109]
	v_fma_f64 v[99:100], -v[99:100], v[112:113], v[110:111]
	v_div_fmas_f64 v[99:100], v[99:100], v[108:109], v[112:113]
	v_div_fixup_f64 v[0:1], v[99:100], v[0:1], 1.0
.LBB90_393:
	s_or_b32 exec_lo, exec_lo, s0
	s_mov_b32 s0, exec_lo
	v_cmpx_ne_u32_e64 v107, v98
	s_xor_b32 s0, exec_lo, s0
	s_cbranch_execz .LBB90_399
; %bb.394:
	s_mov_b32 s1, exec_lo
	v_cmpx_eq_u32_e32 23, v107
	s_cbranch_execz .LBB90_398
; %bb.395:
	v_cmp_ne_u32_e32 vcc_lo, 23, v98
	s_xor_b32 s2, s6, -1
	s_and_b32 s3, s2, vcc_lo
	s_and_saveexec_b32 s2, s3
	s_cbranch_execz .LBB90_397
; %bb.396:
	v_ashrrev_i32_e32 v99, 31, v98
	v_lshlrev_b64 v[99:100], 2, v[98:99]
	v_add_co_u32 v99, vcc_lo, v4, v99
	v_add_co_ci_u32_e64 v100, null, v5, v100, vcc_lo
	s_clause 0x1
	global_load_dword v106, v[99:100], off
	global_load_dword v107, v[4:5], off offset:92
	s_waitcnt vmcnt(1)
	global_store_dword v[4:5], v106, off offset:92
	s_waitcnt vmcnt(0)
	global_store_dword v[99:100], v107, off
.LBB90_397:
	s_or_b32 exec_lo, exec_lo, s2
	v_mov_b32_e32 v106, v98
	v_mov_b32_e32 v107, v98
.LBB90_398:
	s_or_b32 exec_lo, exec_lo, s1
.LBB90_399:
	s_andn2_saveexec_b32 s0, s0
	s_cbranch_execz .LBB90_401
; %bb.400:
	v_mov_b32_e32 v98, v46
	v_mov_b32_e32 v99, v47
	;; [unrolled: 1-line block ×8, first 2 shown]
	ds_write2_b64 v104, v[98:99], v[107:108] offset0:24 offset1:25
	ds_write2_b64 v104, v[109:110], v[111:112] offset0:26 offset1:27
	v_mov_b32_e32 v98, v40
	v_mov_b32_e32 v99, v41
	;; [unrolled: 1-line block ×20, first 2 shown]
	ds_write2_b64 v104, v[98:99], v[107:108] offset0:28 offset1:29
	ds_write2_b64 v104, v[109:110], v[111:112] offset0:30 offset1:31
	;; [unrolled: 1-line block ×5, first 2 shown]
	v_mov_b32_e32 v98, v20
	v_mov_b32_e32 v99, v21
	;; [unrolled: 1-line block ×15, first 2 shown]
	ds_write2_b64 v104, v[98:99], v[108:109] offset0:38 offset1:39
	ds_write2_b64 v104, v[110:111], v[112:113] offset0:40 offset1:41
	;; [unrolled: 1-line block ×4, first 2 shown]
.LBB90_401:
	s_or_b32 exec_lo, exec_lo, s0
	s_mov_b32 s0, exec_lo
	s_waitcnt lgkmcnt(0)
	s_waitcnt_vscnt null, 0x0
	s_barrier
	buffer_gl0_inv
	v_cmpx_lt_i32_e32 23, v107
	s_cbranch_execz .LBB90_403
; %bb.402:
	v_mul_f64 v[48:49], v[0:1], v[48:49]
	ds_read2_b64 v[108:111], v104 offset0:24 offset1:25
	ds_read2_b64 v[112:115], v104 offset0:26 offset1:27
	;; [unrolled: 1-line block ×11, first 2 shown]
	s_waitcnt lgkmcnt(10)
	v_fma_f64 v[46:47], -v[48:49], v[108:109], v[46:47]
	v_fma_f64 v[44:45], -v[48:49], v[110:111], v[44:45]
	s_waitcnt lgkmcnt(9)
	v_fma_f64 v[42:43], -v[48:49], v[112:113], v[42:43]
	v_fma_f64 v[38:39], -v[48:49], v[114:115], v[38:39]
	;; [unrolled: 3-line block ×11, first 2 shown]
.LBB90_403:
	s_or_b32 exec_lo, exec_lo, s0
	v_lshl_add_u32 v0, v107, 3, v104
	s_barrier
	buffer_gl0_inv
	v_mov_b32_e32 v98, 24
	ds_write_b64 v0, v[46:47]
	s_waitcnt lgkmcnt(0)
	s_barrier
	buffer_gl0_inv
	ds_read_b64 v[0:1], v104 offset:192
	s_cmp_lt_i32 s7, 26
	s_cbranch_scc1 .LBB90_406
; %bb.404:
	v_add3_u32 v99, v105, 0, 0xc8
	v_mov_b32_e32 v98, 24
	s_mov_b32 s0, 25
.LBB90_405:                             ; =>This Inner Loop Header: Depth=1
	ds_read_b64 v[108:109], v99
	v_add_nc_u32_e32 v99, 8, v99
	s_waitcnt lgkmcnt(0)
	v_cmp_lt_f64_e64 vcc_lo, |v[0:1]|, |v[108:109]|
	v_cndmask_b32_e32 v1, v1, v109, vcc_lo
	v_cndmask_b32_e32 v0, v0, v108, vcc_lo
	v_cndmask_b32_e64 v98, v98, s0, vcc_lo
	s_add_i32 s0, s0, 1
	s_cmp_lg_u32 s7, s0
	s_cbranch_scc1 .LBB90_405
.LBB90_406:
	s_mov_b32 s0, exec_lo
	s_waitcnt lgkmcnt(0)
	v_cmpx_eq_f64_e32 0, v[0:1]
	s_xor_b32 s0, exec_lo, s0
; %bb.407:
	v_cmp_ne_u32_e32 vcc_lo, 0, v101
	v_cndmask_b32_e32 v101, 25, v101, vcc_lo
; %bb.408:
	s_andn2_saveexec_b32 s0, s0
	s_cbranch_execz .LBB90_410
; %bb.409:
	v_div_scale_f64 v[99:100], null, v[0:1], v[0:1], 1.0
	v_rcp_f64_e32 v[108:109], v[99:100]
	v_fma_f64 v[110:111], -v[99:100], v[108:109], 1.0
	v_fma_f64 v[108:109], v[108:109], v[110:111], v[108:109]
	v_fma_f64 v[110:111], -v[99:100], v[108:109], 1.0
	v_fma_f64 v[108:109], v[108:109], v[110:111], v[108:109]
	v_div_scale_f64 v[110:111], vcc_lo, 1.0, v[0:1], 1.0
	v_mul_f64 v[112:113], v[110:111], v[108:109]
	v_fma_f64 v[99:100], -v[99:100], v[112:113], v[110:111]
	v_div_fmas_f64 v[99:100], v[99:100], v[108:109], v[112:113]
	v_div_fixup_f64 v[0:1], v[99:100], v[0:1], 1.0
.LBB90_410:
	s_or_b32 exec_lo, exec_lo, s0
	s_mov_b32 s0, exec_lo
	v_cmpx_ne_u32_e64 v107, v98
	s_xor_b32 s0, exec_lo, s0
	s_cbranch_execz .LBB90_416
; %bb.411:
	s_mov_b32 s1, exec_lo
	v_cmpx_eq_u32_e32 24, v107
	s_cbranch_execz .LBB90_415
; %bb.412:
	v_cmp_ne_u32_e32 vcc_lo, 24, v98
	s_xor_b32 s2, s6, -1
	s_and_b32 s3, s2, vcc_lo
	s_and_saveexec_b32 s2, s3
	s_cbranch_execz .LBB90_414
; %bb.413:
	v_ashrrev_i32_e32 v99, 31, v98
	v_lshlrev_b64 v[99:100], 2, v[98:99]
	v_add_co_u32 v99, vcc_lo, v4, v99
	v_add_co_ci_u32_e64 v100, null, v5, v100, vcc_lo
	s_clause 0x1
	global_load_dword v106, v[99:100], off
	global_load_dword v107, v[4:5], off offset:96
	s_waitcnt vmcnt(1)
	global_store_dword v[4:5], v106, off offset:96
	s_waitcnt vmcnt(0)
	global_store_dword v[99:100], v107, off
.LBB90_414:
	s_or_b32 exec_lo, exec_lo, s2
	v_mov_b32_e32 v106, v98
	v_mov_b32_e32 v107, v98
.LBB90_415:
	s_or_b32 exec_lo, exec_lo, s1
.LBB90_416:
	s_andn2_saveexec_b32 s0, s0
	s_cbranch_execz .LBB90_418
; %bb.417:
	v_mov_b32_e32 v107, 24
	ds_write2_b64 v104, v[44:45], v[42:43] offset0:25 offset1:26
	ds_write2_b64 v104, v[38:39], v[40:41] offset0:27 offset1:28
	;; [unrolled: 1-line block ×10, first 2 shown]
	ds_write_b64 v104, v[96:97] offset:360
.LBB90_418:
	s_or_b32 exec_lo, exec_lo, s0
	s_mov_b32 s0, exec_lo
	s_waitcnt lgkmcnt(0)
	s_waitcnt_vscnt null, 0x0
	s_barrier
	buffer_gl0_inv
	v_cmpx_lt_i32_e32 24, v107
	s_cbranch_execz .LBB90_420
; %bb.419:
	v_mul_f64 v[46:47], v[0:1], v[46:47]
	ds_read2_b64 v[108:111], v104 offset0:25 offset1:26
	ds_read2_b64 v[112:115], v104 offset0:27 offset1:28
	;; [unrolled: 1-line block ×10, first 2 shown]
	ds_read_b64 v[0:1], v104 offset:360
	s_waitcnt lgkmcnt(10)
	v_fma_f64 v[44:45], -v[46:47], v[108:109], v[44:45]
	v_fma_f64 v[42:43], -v[46:47], v[110:111], v[42:43]
	s_waitcnt lgkmcnt(9)
	v_fma_f64 v[38:39], -v[46:47], v[112:113], v[38:39]
	v_fma_f64 v[40:41], -v[46:47], v[114:115], v[40:41]
	;; [unrolled: 3-line block ×10, first 2 shown]
	s_waitcnt lgkmcnt(0)
	v_fma_f64 v[96:97], -v[46:47], v[0:1], v[96:97]
.LBB90_420:
	s_or_b32 exec_lo, exec_lo, s0
	v_lshl_add_u32 v0, v107, 3, v104
	s_barrier
	buffer_gl0_inv
	v_mov_b32_e32 v98, 25
	ds_write_b64 v0, v[44:45]
	s_waitcnt lgkmcnt(0)
	s_barrier
	buffer_gl0_inv
	ds_read_b64 v[0:1], v104 offset:200
	s_cmp_lt_i32 s7, 27
	s_cbranch_scc1 .LBB90_423
; %bb.421:
	v_add3_u32 v99, v105, 0, 0xd0
	v_mov_b32_e32 v98, 25
	s_mov_b32 s0, 26
.LBB90_422:                             ; =>This Inner Loop Header: Depth=1
	ds_read_b64 v[108:109], v99
	v_add_nc_u32_e32 v99, 8, v99
	s_waitcnt lgkmcnt(0)
	v_cmp_lt_f64_e64 vcc_lo, |v[0:1]|, |v[108:109]|
	v_cndmask_b32_e32 v1, v1, v109, vcc_lo
	v_cndmask_b32_e32 v0, v0, v108, vcc_lo
	v_cndmask_b32_e64 v98, v98, s0, vcc_lo
	s_add_i32 s0, s0, 1
	s_cmp_lg_u32 s7, s0
	s_cbranch_scc1 .LBB90_422
.LBB90_423:
	s_mov_b32 s0, exec_lo
	s_waitcnt lgkmcnt(0)
	v_cmpx_eq_f64_e32 0, v[0:1]
	s_xor_b32 s0, exec_lo, s0
; %bb.424:
	v_cmp_ne_u32_e32 vcc_lo, 0, v101
	v_cndmask_b32_e32 v101, 26, v101, vcc_lo
; %bb.425:
	s_andn2_saveexec_b32 s0, s0
	s_cbranch_execz .LBB90_427
; %bb.426:
	v_div_scale_f64 v[99:100], null, v[0:1], v[0:1], 1.0
	v_rcp_f64_e32 v[108:109], v[99:100]
	v_fma_f64 v[110:111], -v[99:100], v[108:109], 1.0
	v_fma_f64 v[108:109], v[108:109], v[110:111], v[108:109]
	v_fma_f64 v[110:111], -v[99:100], v[108:109], 1.0
	v_fma_f64 v[108:109], v[108:109], v[110:111], v[108:109]
	v_div_scale_f64 v[110:111], vcc_lo, 1.0, v[0:1], 1.0
	v_mul_f64 v[112:113], v[110:111], v[108:109]
	v_fma_f64 v[99:100], -v[99:100], v[112:113], v[110:111]
	v_div_fmas_f64 v[99:100], v[99:100], v[108:109], v[112:113]
	v_div_fixup_f64 v[0:1], v[99:100], v[0:1], 1.0
.LBB90_427:
	s_or_b32 exec_lo, exec_lo, s0
	s_mov_b32 s0, exec_lo
	v_cmpx_ne_u32_e64 v107, v98
	s_xor_b32 s0, exec_lo, s0
	s_cbranch_execz .LBB90_433
; %bb.428:
	s_mov_b32 s1, exec_lo
	v_cmpx_eq_u32_e32 25, v107
	s_cbranch_execz .LBB90_432
; %bb.429:
	v_cmp_ne_u32_e32 vcc_lo, 25, v98
	s_xor_b32 s2, s6, -1
	s_and_b32 s3, s2, vcc_lo
	s_and_saveexec_b32 s2, s3
	s_cbranch_execz .LBB90_431
; %bb.430:
	v_ashrrev_i32_e32 v99, 31, v98
	v_lshlrev_b64 v[99:100], 2, v[98:99]
	v_add_co_u32 v99, vcc_lo, v4, v99
	v_add_co_ci_u32_e64 v100, null, v5, v100, vcc_lo
	s_clause 0x1
	global_load_dword v106, v[99:100], off
	global_load_dword v107, v[4:5], off offset:100
	s_waitcnt vmcnt(1)
	global_store_dword v[4:5], v106, off offset:100
	s_waitcnt vmcnt(0)
	global_store_dword v[99:100], v107, off
.LBB90_431:
	s_or_b32 exec_lo, exec_lo, s2
	v_mov_b32_e32 v106, v98
	v_mov_b32_e32 v107, v98
.LBB90_432:
	s_or_b32 exec_lo, exec_lo, s1
.LBB90_433:
	s_andn2_saveexec_b32 s0, s0
	s_cbranch_execz .LBB90_435
; %bb.434:
	v_mov_b32_e32 v98, v42
	v_mov_b32_e32 v99, v43
	;; [unrolled: 1-line block ×8, first 2 shown]
	ds_write2_b64 v104, v[98:99], v[107:108] offset0:26 offset1:27
	v_mov_b32_e32 v98, v34
	v_mov_b32_e32 v99, v35
	;; [unrolled: 1-line block ×16, first 2 shown]
	ds_write2_b64 v104, v[109:110], v[98:99] offset0:28 offset1:29
	ds_write2_b64 v104, v[107:108], v[111:112] offset0:30 offset1:31
	;; [unrolled: 1-line block ×5, first 2 shown]
	v_mov_b32_e32 v98, v20
	v_mov_b32_e32 v99, v21
	v_mov_b32_e32 v108, v16
	v_mov_b32_e32 v109, v17
	v_mov_b32_e32 v107, 25
	v_mov_b32_e32 v110, v14
	v_mov_b32_e32 v111, v15
	v_mov_b32_e32 v112, v8
	v_mov_b32_e32 v113, v9
	v_mov_b32_e32 v114, v12
	v_mov_b32_e32 v115, v13
	v_mov_b32_e32 v116, v6
	v_mov_b32_e32 v117, v7
	v_mov_b32_e32 v118, v10
	v_mov_b32_e32 v119, v11
	ds_write2_b64 v104, v[98:99], v[108:109] offset0:38 offset1:39
	ds_write2_b64 v104, v[110:111], v[112:113] offset0:40 offset1:41
	;; [unrolled: 1-line block ×4, first 2 shown]
.LBB90_435:
	s_or_b32 exec_lo, exec_lo, s0
	s_mov_b32 s0, exec_lo
	s_waitcnt lgkmcnt(0)
	s_waitcnt_vscnt null, 0x0
	s_barrier
	buffer_gl0_inv
	v_cmpx_lt_i32_e32 25, v107
	s_cbranch_execz .LBB90_437
; %bb.436:
	v_mul_f64 v[44:45], v[0:1], v[44:45]
	ds_read2_b64 v[108:111], v104 offset0:26 offset1:27
	ds_read2_b64 v[112:115], v104 offset0:28 offset1:29
	;; [unrolled: 1-line block ×10, first 2 shown]
	s_waitcnt lgkmcnt(9)
	v_fma_f64 v[42:43], -v[44:45], v[108:109], v[42:43]
	v_fma_f64 v[38:39], -v[44:45], v[110:111], v[38:39]
	s_waitcnt lgkmcnt(8)
	v_fma_f64 v[40:41], -v[44:45], v[112:113], v[40:41]
	v_fma_f64 v[34:35], -v[44:45], v[114:115], v[34:35]
	;; [unrolled: 3-line block ×10, first 2 shown]
.LBB90_437:
	s_or_b32 exec_lo, exec_lo, s0
	v_lshl_add_u32 v0, v107, 3, v104
	s_barrier
	buffer_gl0_inv
	v_mov_b32_e32 v98, 26
	ds_write_b64 v0, v[42:43]
	s_waitcnt lgkmcnt(0)
	s_barrier
	buffer_gl0_inv
	ds_read_b64 v[0:1], v104 offset:208
	s_cmp_lt_i32 s7, 28
	s_cbranch_scc1 .LBB90_440
; %bb.438:
	v_add3_u32 v99, v105, 0, 0xd8
	v_mov_b32_e32 v98, 26
	s_mov_b32 s0, 27
.LBB90_439:                             ; =>This Inner Loop Header: Depth=1
	ds_read_b64 v[108:109], v99
	v_add_nc_u32_e32 v99, 8, v99
	s_waitcnt lgkmcnt(0)
	v_cmp_lt_f64_e64 vcc_lo, |v[0:1]|, |v[108:109]|
	v_cndmask_b32_e32 v1, v1, v109, vcc_lo
	v_cndmask_b32_e32 v0, v0, v108, vcc_lo
	v_cndmask_b32_e64 v98, v98, s0, vcc_lo
	s_add_i32 s0, s0, 1
	s_cmp_lg_u32 s7, s0
	s_cbranch_scc1 .LBB90_439
.LBB90_440:
	s_mov_b32 s0, exec_lo
	s_waitcnt lgkmcnt(0)
	v_cmpx_eq_f64_e32 0, v[0:1]
	s_xor_b32 s0, exec_lo, s0
; %bb.441:
	v_cmp_ne_u32_e32 vcc_lo, 0, v101
	v_cndmask_b32_e32 v101, 27, v101, vcc_lo
; %bb.442:
	s_andn2_saveexec_b32 s0, s0
	s_cbranch_execz .LBB90_444
; %bb.443:
	v_div_scale_f64 v[99:100], null, v[0:1], v[0:1], 1.0
	v_rcp_f64_e32 v[108:109], v[99:100]
	v_fma_f64 v[110:111], -v[99:100], v[108:109], 1.0
	v_fma_f64 v[108:109], v[108:109], v[110:111], v[108:109]
	v_fma_f64 v[110:111], -v[99:100], v[108:109], 1.0
	v_fma_f64 v[108:109], v[108:109], v[110:111], v[108:109]
	v_div_scale_f64 v[110:111], vcc_lo, 1.0, v[0:1], 1.0
	v_mul_f64 v[112:113], v[110:111], v[108:109]
	v_fma_f64 v[99:100], -v[99:100], v[112:113], v[110:111]
	v_div_fmas_f64 v[99:100], v[99:100], v[108:109], v[112:113]
	v_div_fixup_f64 v[0:1], v[99:100], v[0:1], 1.0
.LBB90_444:
	s_or_b32 exec_lo, exec_lo, s0
	s_mov_b32 s0, exec_lo
	v_cmpx_ne_u32_e64 v107, v98
	s_xor_b32 s0, exec_lo, s0
	s_cbranch_execz .LBB90_450
; %bb.445:
	s_mov_b32 s1, exec_lo
	v_cmpx_eq_u32_e32 26, v107
	s_cbranch_execz .LBB90_449
; %bb.446:
	v_cmp_ne_u32_e32 vcc_lo, 26, v98
	s_xor_b32 s2, s6, -1
	s_and_b32 s3, s2, vcc_lo
	s_and_saveexec_b32 s2, s3
	s_cbranch_execz .LBB90_448
; %bb.447:
	v_ashrrev_i32_e32 v99, 31, v98
	v_lshlrev_b64 v[99:100], 2, v[98:99]
	v_add_co_u32 v99, vcc_lo, v4, v99
	v_add_co_ci_u32_e64 v100, null, v5, v100, vcc_lo
	s_clause 0x1
	global_load_dword v106, v[99:100], off
	global_load_dword v107, v[4:5], off offset:104
	s_waitcnt vmcnt(1)
	global_store_dword v[4:5], v106, off offset:104
	s_waitcnt vmcnt(0)
	global_store_dword v[99:100], v107, off
.LBB90_448:
	s_or_b32 exec_lo, exec_lo, s2
	v_mov_b32_e32 v106, v98
	v_mov_b32_e32 v107, v98
.LBB90_449:
	s_or_b32 exec_lo, exec_lo, s1
.LBB90_450:
	s_andn2_saveexec_b32 s0, s0
	s_cbranch_execz .LBB90_452
; %bb.451:
	v_mov_b32_e32 v107, 26
	ds_write2_b64 v104, v[38:39], v[40:41] offset0:27 offset1:28
	ds_write2_b64 v104, v[34:35], v[36:37] offset0:29 offset1:30
	;; [unrolled: 1-line block ×9, first 2 shown]
	ds_write_b64 v104, v[96:97] offset:360
.LBB90_452:
	s_or_b32 exec_lo, exec_lo, s0
	s_mov_b32 s0, exec_lo
	s_waitcnt lgkmcnt(0)
	s_waitcnt_vscnt null, 0x0
	s_barrier
	buffer_gl0_inv
	v_cmpx_lt_i32_e32 26, v107
	s_cbranch_execz .LBB90_454
; %bb.453:
	v_mul_f64 v[42:43], v[0:1], v[42:43]
	ds_read2_b64 v[108:111], v104 offset0:27 offset1:28
	ds_read2_b64 v[112:115], v104 offset0:29 offset1:30
	;; [unrolled: 1-line block ×9, first 2 shown]
	ds_read_b64 v[0:1], v104 offset:360
	s_waitcnt lgkmcnt(9)
	v_fma_f64 v[38:39], -v[42:43], v[108:109], v[38:39]
	v_fma_f64 v[40:41], -v[42:43], v[110:111], v[40:41]
	s_waitcnt lgkmcnt(8)
	v_fma_f64 v[34:35], -v[42:43], v[112:113], v[34:35]
	v_fma_f64 v[36:37], -v[42:43], v[114:115], v[36:37]
	;; [unrolled: 3-line block ×9, first 2 shown]
	s_waitcnt lgkmcnt(0)
	v_fma_f64 v[96:97], -v[42:43], v[0:1], v[96:97]
.LBB90_454:
	s_or_b32 exec_lo, exec_lo, s0
	v_lshl_add_u32 v0, v107, 3, v104
	s_barrier
	buffer_gl0_inv
	v_mov_b32_e32 v98, 27
	ds_write_b64 v0, v[38:39]
	s_waitcnt lgkmcnt(0)
	s_barrier
	buffer_gl0_inv
	ds_read_b64 v[0:1], v104 offset:216
	s_cmp_lt_i32 s7, 29
	s_cbranch_scc1 .LBB90_457
; %bb.455:
	v_add3_u32 v99, v105, 0, 0xe0
	v_mov_b32_e32 v98, 27
	s_mov_b32 s0, 28
.LBB90_456:                             ; =>This Inner Loop Header: Depth=1
	ds_read_b64 v[108:109], v99
	v_add_nc_u32_e32 v99, 8, v99
	s_waitcnt lgkmcnt(0)
	v_cmp_lt_f64_e64 vcc_lo, |v[0:1]|, |v[108:109]|
	v_cndmask_b32_e32 v1, v1, v109, vcc_lo
	v_cndmask_b32_e32 v0, v0, v108, vcc_lo
	v_cndmask_b32_e64 v98, v98, s0, vcc_lo
	s_add_i32 s0, s0, 1
	s_cmp_lg_u32 s7, s0
	s_cbranch_scc1 .LBB90_456
.LBB90_457:
	s_mov_b32 s0, exec_lo
	s_waitcnt lgkmcnt(0)
	v_cmpx_eq_f64_e32 0, v[0:1]
	s_xor_b32 s0, exec_lo, s0
; %bb.458:
	v_cmp_ne_u32_e32 vcc_lo, 0, v101
	v_cndmask_b32_e32 v101, 28, v101, vcc_lo
; %bb.459:
	s_andn2_saveexec_b32 s0, s0
	s_cbranch_execz .LBB90_461
; %bb.460:
	v_div_scale_f64 v[99:100], null, v[0:1], v[0:1], 1.0
	v_rcp_f64_e32 v[108:109], v[99:100]
	v_fma_f64 v[110:111], -v[99:100], v[108:109], 1.0
	v_fma_f64 v[108:109], v[108:109], v[110:111], v[108:109]
	v_fma_f64 v[110:111], -v[99:100], v[108:109], 1.0
	v_fma_f64 v[108:109], v[108:109], v[110:111], v[108:109]
	v_div_scale_f64 v[110:111], vcc_lo, 1.0, v[0:1], 1.0
	v_mul_f64 v[112:113], v[110:111], v[108:109]
	v_fma_f64 v[99:100], -v[99:100], v[112:113], v[110:111]
	v_div_fmas_f64 v[99:100], v[99:100], v[108:109], v[112:113]
	v_div_fixup_f64 v[0:1], v[99:100], v[0:1], 1.0
.LBB90_461:
	s_or_b32 exec_lo, exec_lo, s0
	s_mov_b32 s0, exec_lo
	v_cmpx_ne_u32_e64 v107, v98
	s_xor_b32 s0, exec_lo, s0
	s_cbranch_execz .LBB90_467
; %bb.462:
	s_mov_b32 s1, exec_lo
	v_cmpx_eq_u32_e32 27, v107
	s_cbranch_execz .LBB90_466
; %bb.463:
	v_cmp_ne_u32_e32 vcc_lo, 27, v98
	s_xor_b32 s2, s6, -1
	s_and_b32 s3, s2, vcc_lo
	s_and_saveexec_b32 s2, s3
	s_cbranch_execz .LBB90_465
; %bb.464:
	v_ashrrev_i32_e32 v99, 31, v98
	v_lshlrev_b64 v[99:100], 2, v[98:99]
	v_add_co_u32 v99, vcc_lo, v4, v99
	v_add_co_ci_u32_e64 v100, null, v5, v100, vcc_lo
	s_clause 0x1
	global_load_dword v106, v[99:100], off
	global_load_dword v107, v[4:5], off offset:108
	s_waitcnt vmcnt(1)
	global_store_dword v[4:5], v106, off offset:108
	s_waitcnt vmcnt(0)
	global_store_dword v[99:100], v107, off
.LBB90_465:
	s_or_b32 exec_lo, exec_lo, s2
	v_mov_b32_e32 v106, v98
	v_mov_b32_e32 v107, v98
.LBB90_466:
	s_or_b32 exec_lo, exec_lo, s1
.LBB90_467:
	s_andn2_saveexec_b32 s0, s0
	s_cbranch_execz .LBB90_469
; %bb.468:
	v_mov_b32_e32 v98, v40
	v_mov_b32_e32 v99, v41
	;; [unrolled: 1-line block ×20, first 2 shown]
	ds_write2_b64 v104, v[98:99], v[107:108] offset0:28 offset1:29
	ds_write2_b64 v104, v[109:110], v[111:112] offset0:30 offset1:31
	;; [unrolled: 1-line block ×5, first 2 shown]
	v_mov_b32_e32 v98, v20
	v_mov_b32_e32 v99, v21
	;; [unrolled: 1-line block ×15, first 2 shown]
	ds_write2_b64 v104, v[98:99], v[108:109] offset0:38 offset1:39
	ds_write2_b64 v104, v[110:111], v[112:113] offset0:40 offset1:41
	;; [unrolled: 1-line block ×4, first 2 shown]
.LBB90_469:
	s_or_b32 exec_lo, exec_lo, s0
	s_mov_b32 s0, exec_lo
	s_waitcnt lgkmcnt(0)
	s_waitcnt_vscnt null, 0x0
	s_barrier
	buffer_gl0_inv
	v_cmpx_lt_i32_e32 27, v107
	s_cbranch_execz .LBB90_471
; %bb.470:
	v_mul_f64 v[38:39], v[0:1], v[38:39]
	ds_read2_b64 v[108:111], v104 offset0:28 offset1:29
	ds_read2_b64 v[112:115], v104 offset0:30 offset1:31
	;; [unrolled: 1-line block ×9, first 2 shown]
	s_waitcnt lgkmcnt(8)
	v_fma_f64 v[40:41], -v[38:39], v[108:109], v[40:41]
	v_fma_f64 v[34:35], -v[38:39], v[110:111], v[34:35]
	s_waitcnt lgkmcnt(7)
	v_fma_f64 v[36:37], -v[38:39], v[112:113], v[36:37]
	v_fma_f64 v[32:33], -v[38:39], v[114:115], v[32:33]
	;; [unrolled: 3-line block ×9, first 2 shown]
.LBB90_471:
	s_or_b32 exec_lo, exec_lo, s0
	v_lshl_add_u32 v0, v107, 3, v104
	s_barrier
	buffer_gl0_inv
	v_mov_b32_e32 v98, 28
	ds_write_b64 v0, v[40:41]
	s_waitcnt lgkmcnt(0)
	s_barrier
	buffer_gl0_inv
	ds_read_b64 v[0:1], v104 offset:224
	s_cmp_lt_i32 s7, 30
	s_cbranch_scc1 .LBB90_474
; %bb.472:
	v_add3_u32 v99, v105, 0, 0xe8
	v_mov_b32_e32 v98, 28
	s_mov_b32 s0, 29
.LBB90_473:                             ; =>This Inner Loop Header: Depth=1
	ds_read_b64 v[108:109], v99
	v_add_nc_u32_e32 v99, 8, v99
	s_waitcnt lgkmcnt(0)
	v_cmp_lt_f64_e64 vcc_lo, |v[0:1]|, |v[108:109]|
	v_cndmask_b32_e32 v1, v1, v109, vcc_lo
	v_cndmask_b32_e32 v0, v0, v108, vcc_lo
	v_cndmask_b32_e64 v98, v98, s0, vcc_lo
	s_add_i32 s0, s0, 1
	s_cmp_lg_u32 s7, s0
	s_cbranch_scc1 .LBB90_473
.LBB90_474:
	s_mov_b32 s0, exec_lo
	s_waitcnt lgkmcnt(0)
	v_cmpx_eq_f64_e32 0, v[0:1]
	s_xor_b32 s0, exec_lo, s0
; %bb.475:
	v_cmp_ne_u32_e32 vcc_lo, 0, v101
	v_cndmask_b32_e32 v101, 29, v101, vcc_lo
; %bb.476:
	s_andn2_saveexec_b32 s0, s0
	s_cbranch_execz .LBB90_478
; %bb.477:
	v_div_scale_f64 v[99:100], null, v[0:1], v[0:1], 1.0
	v_rcp_f64_e32 v[108:109], v[99:100]
	v_fma_f64 v[110:111], -v[99:100], v[108:109], 1.0
	v_fma_f64 v[108:109], v[108:109], v[110:111], v[108:109]
	v_fma_f64 v[110:111], -v[99:100], v[108:109], 1.0
	v_fma_f64 v[108:109], v[108:109], v[110:111], v[108:109]
	v_div_scale_f64 v[110:111], vcc_lo, 1.0, v[0:1], 1.0
	v_mul_f64 v[112:113], v[110:111], v[108:109]
	v_fma_f64 v[99:100], -v[99:100], v[112:113], v[110:111]
	v_div_fmas_f64 v[99:100], v[99:100], v[108:109], v[112:113]
	v_div_fixup_f64 v[0:1], v[99:100], v[0:1], 1.0
.LBB90_478:
	s_or_b32 exec_lo, exec_lo, s0
	s_mov_b32 s0, exec_lo
	v_cmpx_ne_u32_e64 v107, v98
	s_xor_b32 s0, exec_lo, s0
	s_cbranch_execz .LBB90_484
; %bb.479:
	s_mov_b32 s1, exec_lo
	v_cmpx_eq_u32_e32 28, v107
	s_cbranch_execz .LBB90_483
; %bb.480:
	v_cmp_ne_u32_e32 vcc_lo, 28, v98
	s_xor_b32 s2, s6, -1
	s_and_b32 s3, s2, vcc_lo
	s_and_saveexec_b32 s2, s3
	s_cbranch_execz .LBB90_482
; %bb.481:
	v_ashrrev_i32_e32 v99, 31, v98
	v_lshlrev_b64 v[99:100], 2, v[98:99]
	v_add_co_u32 v99, vcc_lo, v4, v99
	v_add_co_ci_u32_e64 v100, null, v5, v100, vcc_lo
	s_clause 0x1
	global_load_dword v106, v[99:100], off
	global_load_dword v107, v[4:5], off offset:112
	s_waitcnt vmcnt(1)
	global_store_dword v[4:5], v106, off offset:112
	s_waitcnt vmcnt(0)
	global_store_dword v[99:100], v107, off
.LBB90_482:
	s_or_b32 exec_lo, exec_lo, s2
	v_mov_b32_e32 v106, v98
	v_mov_b32_e32 v107, v98
.LBB90_483:
	s_or_b32 exec_lo, exec_lo, s1
.LBB90_484:
	s_andn2_saveexec_b32 s0, s0
	s_cbranch_execz .LBB90_486
; %bb.485:
	v_mov_b32_e32 v107, 28
	ds_write2_b64 v104, v[34:35], v[36:37] offset0:29 offset1:30
	ds_write2_b64 v104, v[32:33], v[30:31] offset0:31 offset1:32
	;; [unrolled: 1-line block ×8, first 2 shown]
	ds_write_b64 v104, v[96:97] offset:360
.LBB90_486:
	s_or_b32 exec_lo, exec_lo, s0
	s_mov_b32 s0, exec_lo
	s_waitcnt lgkmcnt(0)
	s_waitcnt_vscnt null, 0x0
	s_barrier
	buffer_gl0_inv
	v_cmpx_lt_i32_e32 28, v107
	s_cbranch_execz .LBB90_488
; %bb.487:
	v_mul_f64 v[40:41], v[0:1], v[40:41]
	ds_read2_b64 v[108:111], v104 offset0:29 offset1:30
	ds_read2_b64 v[112:115], v104 offset0:31 offset1:32
	;; [unrolled: 1-line block ×8, first 2 shown]
	ds_read_b64 v[0:1], v104 offset:360
	s_waitcnt lgkmcnt(8)
	v_fma_f64 v[34:35], -v[40:41], v[108:109], v[34:35]
	v_fma_f64 v[36:37], -v[40:41], v[110:111], v[36:37]
	s_waitcnt lgkmcnt(7)
	v_fma_f64 v[32:33], -v[40:41], v[112:113], v[32:33]
	v_fma_f64 v[30:31], -v[40:41], v[114:115], v[30:31]
	s_waitcnt lgkmcnt(6)
	v_fma_f64 v[28:29], -v[40:41], v[116:117], v[28:29]
	v_fma_f64 v[26:27], -v[40:41], v[118:119], v[26:27]
	s_waitcnt lgkmcnt(5)
	v_fma_f64 v[24:25], -v[40:41], v[120:121], v[24:25]
	v_fma_f64 v[22:23], -v[40:41], v[122:123], v[22:23]
	s_waitcnt lgkmcnt(4)
	v_fma_f64 v[18:19], -v[40:41], v[124:125], v[18:19]
	v_fma_f64 v[20:21], -v[40:41], v[126:127], v[20:21]
	s_waitcnt lgkmcnt(3)
	v_fma_f64 v[16:17], -v[40:41], v[128:129], v[16:17]
	v_fma_f64 v[14:15], -v[40:41], v[130:131], v[14:15]
	s_waitcnt lgkmcnt(2)
	v_fma_f64 v[8:9], -v[40:41], v[132:133], v[8:9]
	v_fma_f64 v[12:13], -v[40:41], v[134:135], v[12:13]
	s_waitcnt lgkmcnt(1)
	v_fma_f64 v[6:7], -v[40:41], v[136:137], v[6:7]
	v_fma_f64 v[10:11], -v[40:41], v[138:139], v[10:11]
	s_waitcnt lgkmcnt(0)
	v_fma_f64 v[96:97], -v[40:41], v[0:1], v[96:97]
.LBB90_488:
	s_or_b32 exec_lo, exec_lo, s0
	v_lshl_add_u32 v0, v107, 3, v104
	s_barrier
	buffer_gl0_inv
	v_mov_b32_e32 v98, 29
	ds_write_b64 v0, v[34:35]
	s_waitcnt lgkmcnt(0)
	s_barrier
	buffer_gl0_inv
	ds_read_b64 v[0:1], v104 offset:232
	s_cmp_lt_i32 s7, 31
	s_cbranch_scc1 .LBB90_491
; %bb.489:
	v_add3_u32 v99, v105, 0, 0xf0
	v_mov_b32_e32 v98, 29
	s_mov_b32 s0, 30
.LBB90_490:                             ; =>This Inner Loop Header: Depth=1
	ds_read_b64 v[108:109], v99
	v_add_nc_u32_e32 v99, 8, v99
	s_waitcnt lgkmcnt(0)
	v_cmp_lt_f64_e64 vcc_lo, |v[0:1]|, |v[108:109]|
	v_cndmask_b32_e32 v1, v1, v109, vcc_lo
	v_cndmask_b32_e32 v0, v0, v108, vcc_lo
	v_cndmask_b32_e64 v98, v98, s0, vcc_lo
	s_add_i32 s0, s0, 1
	s_cmp_lg_u32 s7, s0
	s_cbranch_scc1 .LBB90_490
.LBB90_491:
	s_mov_b32 s0, exec_lo
	s_waitcnt lgkmcnt(0)
	v_cmpx_eq_f64_e32 0, v[0:1]
	s_xor_b32 s0, exec_lo, s0
; %bb.492:
	v_cmp_ne_u32_e32 vcc_lo, 0, v101
	v_cndmask_b32_e32 v101, 30, v101, vcc_lo
; %bb.493:
	s_andn2_saveexec_b32 s0, s0
	s_cbranch_execz .LBB90_495
; %bb.494:
	v_div_scale_f64 v[99:100], null, v[0:1], v[0:1], 1.0
	v_rcp_f64_e32 v[108:109], v[99:100]
	v_fma_f64 v[110:111], -v[99:100], v[108:109], 1.0
	v_fma_f64 v[108:109], v[108:109], v[110:111], v[108:109]
	v_fma_f64 v[110:111], -v[99:100], v[108:109], 1.0
	v_fma_f64 v[108:109], v[108:109], v[110:111], v[108:109]
	v_div_scale_f64 v[110:111], vcc_lo, 1.0, v[0:1], 1.0
	v_mul_f64 v[112:113], v[110:111], v[108:109]
	v_fma_f64 v[99:100], -v[99:100], v[112:113], v[110:111]
	v_div_fmas_f64 v[99:100], v[99:100], v[108:109], v[112:113]
	v_div_fixup_f64 v[0:1], v[99:100], v[0:1], 1.0
.LBB90_495:
	s_or_b32 exec_lo, exec_lo, s0
	s_mov_b32 s0, exec_lo
	v_cmpx_ne_u32_e64 v107, v98
	s_xor_b32 s0, exec_lo, s0
	s_cbranch_execz .LBB90_501
; %bb.496:
	s_mov_b32 s1, exec_lo
	v_cmpx_eq_u32_e32 29, v107
	s_cbranch_execz .LBB90_500
; %bb.497:
	v_cmp_ne_u32_e32 vcc_lo, 29, v98
	s_xor_b32 s2, s6, -1
	s_and_b32 s3, s2, vcc_lo
	s_and_saveexec_b32 s2, s3
	s_cbranch_execz .LBB90_499
; %bb.498:
	v_ashrrev_i32_e32 v99, 31, v98
	v_lshlrev_b64 v[99:100], 2, v[98:99]
	v_add_co_u32 v99, vcc_lo, v4, v99
	v_add_co_ci_u32_e64 v100, null, v5, v100, vcc_lo
	s_clause 0x1
	global_load_dword v106, v[99:100], off
	global_load_dword v107, v[4:5], off offset:116
	s_waitcnt vmcnt(1)
	global_store_dword v[4:5], v106, off offset:116
	s_waitcnt vmcnt(0)
	global_store_dword v[99:100], v107, off
.LBB90_499:
	s_or_b32 exec_lo, exec_lo, s2
	v_mov_b32_e32 v106, v98
	v_mov_b32_e32 v107, v98
.LBB90_500:
	s_or_b32 exec_lo, exec_lo, s1
.LBB90_501:
	s_andn2_saveexec_b32 s0, s0
	s_cbranch_execz .LBB90_503
; %bb.502:
	v_mov_b32_e32 v98, v36
	v_mov_b32_e32 v99, v37
	;; [unrolled: 1-line block ×16, first 2 shown]
	ds_write2_b64 v104, v[98:99], v[107:108] offset0:30 offset1:31
	ds_write2_b64 v104, v[109:110], v[111:112] offset0:32 offset1:33
	;; [unrolled: 1-line block ×4, first 2 shown]
	v_mov_b32_e32 v98, v20
	v_mov_b32_e32 v99, v21
	;; [unrolled: 1-line block ×15, first 2 shown]
	ds_write2_b64 v104, v[98:99], v[108:109] offset0:38 offset1:39
	ds_write2_b64 v104, v[110:111], v[112:113] offset0:40 offset1:41
	ds_write2_b64 v104, v[114:115], v[116:117] offset0:42 offset1:43
	ds_write2_b64 v104, v[118:119], v[96:97] offset0:44 offset1:45
.LBB90_503:
	s_or_b32 exec_lo, exec_lo, s0
	s_mov_b32 s0, exec_lo
	s_waitcnt lgkmcnt(0)
	s_waitcnt_vscnt null, 0x0
	s_barrier
	buffer_gl0_inv
	v_cmpx_lt_i32_e32 29, v107
	s_cbranch_execz .LBB90_505
; %bb.504:
	v_mul_f64 v[34:35], v[0:1], v[34:35]
	ds_read2_b64 v[108:111], v104 offset0:30 offset1:31
	ds_read2_b64 v[112:115], v104 offset0:32 offset1:33
	;; [unrolled: 1-line block ×8, first 2 shown]
	s_waitcnt lgkmcnt(7)
	v_fma_f64 v[36:37], -v[34:35], v[108:109], v[36:37]
	v_fma_f64 v[32:33], -v[34:35], v[110:111], v[32:33]
	s_waitcnt lgkmcnt(6)
	v_fma_f64 v[30:31], -v[34:35], v[112:113], v[30:31]
	v_fma_f64 v[28:29], -v[34:35], v[114:115], v[28:29]
	;; [unrolled: 3-line block ×8, first 2 shown]
.LBB90_505:
	s_or_b32 exec_lo, exec_lo, s0
	v_lshl_add_u32 v0, v107, 3, v104
	s_barrier
	buffer_gl0_inv
	v_mov_b32_e32 v98, 30
	ds_write_b64 v0, v[36:37]
	s_waitcnt lgkmcnt(0)
	s_barrier
	buffer_gl0_inv
	ds_read_b64 v[0:1], v104 offset:240
	s_cmp_lt_i32 s7, 32
	s_cbranch_scc1 .LBB90_508
; %bb.506:
	v_add3_u32 v99, v105, 0, 0xf8
	v_mov_b32_e32 v98, 30
	s_mov_b32 s0, 31
.LBB90_507:                             ; =>This Inner Loop Header: Depth=1
	ds_read_b64 v[108:109], v99
	v_add_nc_u32_e32 v99, 8, v99
	s_waitcnt lgkmcnt(0)
	v_cmp_lt_f64_e64 vcc_lo, |v[0:1]|, |v[108:109]|
	v_cndmask_b32_e32 v1, v1, v109, vcc_lo
	v_cndmask_b32_e32 v0, v0, v108, vcc_lo
	v_cndmask_b32_e64 v98, v98, s0, vcc_lo
	s_add_i32 s0, s0, 1
	s_cmp_lg_u32 s7, s0
	s_cbranch_scc1 .LBB90_507
.LBB90_508:
	s_mov_b32 s0, exec_lo
	s_waitcnt lgkmcnt(0)
	v_cmpx_eq_f64_e32 0, v[0:1]
	s_xor_b32 s0, exec_lo, s0
; %bb.509:
	v_cmp_ne_u32_e32 vcc_lo, 0, v101
	v_cndmask_b32_e32 v101, 31, v101, vcc_lo
; %bb.510:
	s_andn2_saveexec_b32 s0, s0
	s_cbranch_execz .LBB90_512
; %bb.511:
	v_div_scale_f64 v[99:100], null, v[0:1], v[0:1], 1.0
	v_rcp_f64_e32 v[108:109], v[99:100]
	v_fma_f64 v[110:111], -v[99:100], v[108:109], 1.0
	v_fma_f64 v[108:109], v[108:109], v[110:111], v[108:109]
	v_fma_f64 v[110:111], -v[99:100], v[108:109], 1.0
	v_fma_f64 v[108:109], v[108:109], v[110:111], v[108:109]
	v_div_scale_f64 v[110:111], vcc_lo, 1.0, v[0:1], 1.0
	v_mul_f64 v[112:113], v[110:111], v[108:109]
	v_fma_f64 v[99:100], -v[99:100], v[112:113], v[110:111]
	v_div_fmas_f64 v[99:100], v[99:100], v[108:109], v[112:113]
	v_div_fixup_f64 v[0:1], v[99:100], v[0:1], 1.0
.LBB90_512:
	s_or_b32 exec_lo, exec_lo, s0
	s_mov_b32 s0, exec_lo
	v_cmpx_ne_u32_e64 v107, v98
	s_xor_b32 s0, exec_lo, s0
	s_cbranch_execz .LBB90_518
; %bb.513:
	s_mov_b32 s1, exec_lo
	v_cmpx_eq_u32_e32 30, v107
	s_cbranch_execz .LBB90_517
; %bb.514:
	v_cmp_ne_u32_e32 vcc_lo, 30, v98
	s_xor_b32 s2, s6, -1
	s_and_b32 s3, s2, vcc_lo
	s_and_saveexec_b32 s2, s3
	s_cbranch_execz .LBB90_516
; %bb.515:
	v_ashrrev_i32_e32 v99, 31, v98
	v_lshlrev_b64 v[99:100], 2, v[98:99]
	v_add_co_u32 v99, vcc_lo, v4, v99
	v_add_co_ci_u32_e64 v100, null, v5, v100, vcc_lo
	s_clause 0x1
	global_load_dword v106, v[99:100], off
	global_load_dword v107, v[4:5], off offset:120
	s_waitcnt vmcnt(1)
	global_store_dword v[4:5], v106, off offset:120
	s_waitcnt vmcnt(0)
	global_store_dword v[99:100], v107, off
.LBB90_516:
	s_or_b32 exec_lo, exec_lo, s2
	v_mov_b32_e32 v106, v98
	v_mov_b32_e32 v107, v98
.LBB90_517:
	s_or_b32 exec_lo, exec_lo, s1
.LBB90_518:
	s_andn2_saveexec_b32 s0, s0
	s_cbranch_execz .LBB90_520
; %bb.519:
	v_mov_b32_e32 v107, 30
	ds_write2_b64 v104, v[32:33], v[30:31] offset0:31 offset1:32
	ds_write2_b64 v104, v[28:29], v[26:27] offset0:33 offset1:34
	;; [unrolled: 1-line block ×7, first 2 shown]
	ds_write_b64 v104, v[96:97] offset:360
.LBB90_520:
	s_or_b32 exec_lo, exec_lo, s0
	s_mov_b32 s0, exec_lo
	s_waitcnt lgkmcnt(0)
	s_waitcnt_vscnt null, 0x0
	s_barrier
	buffer_gl0_inv
	v_cmpx_lt_i32_e32 30, v107
	s_cbranch_execz .LBB90_522
; %bb.521:
	v_mul_f64 v[36:37], v[0:1], v[36:37]
	ds_read2_b64 v[108:111], v104 offset0:31 offset1:32
	ds_read2_b64 v[112:115], v104 offset0:33 offset1:34
	;; [unrolled: 1-line block ×7, first 2 shown]
	ds_read_b64 v[0:1], v104 offset:360
	s_waitcnt lgkmcnt(7)
	v_fma_f64 v[32:33], -v[36:37], v[108:109], v[32:33]
	v_fma_f64 v[30:31], -v[36:37], v[110:111], v[30:31]
	s_waitcnt lgkmcnt(6)
	v_fma_f64 v[28:29], -v[36:37], v[112:113], v[28:29]
	v_fma_f64 v[26:27], -v[36:37], v[114:115], v[26:27]
	;; [unrolled: 3-line block ×7, first 2 shown]
	s_waitcnt lgkmcnt(0)
	v_fma_f64 v[96:97], -v[36:37], v[0:1], v[96:97]
.LBB90_522:
	s_or_b32 exec_lo, exec_lo, s0
	v_lshl_add_u32 v0, v107, 3, v104
	s_barrier
	buffer_gl0_inv
	v_mov_b32_e32 v98, 31
	ds_write_b64 v0, v[32:33]
	s_waitcnt lgkmcnt(0)
	s_barrier
	buffer_gl0_inv
	ds_read_b64 v[0:1], v104 offset:248
	s_cmp_lt_i32 s7, 33
	s_cbranch_scc1 .LBB90_525
; %bb.523:
	v_add3_u32 v99, v105, 0, 0x100
	v_mov_b32_e32 v98, 31
	s_mov_b32 s0, 32
.LBB90_524:                             ; =>This Inner Loop Header: Depth=1
	ds_read_b64 v[108:109], v99
	v_add_nc_u32_e32 v99, 8, v99
	s_waitcnt lgkmcnt(0)
	v_cmp_lt_f64_e64 vcc_lo, |v[0:1]|, |v[108:109]|
	v_cndmask_b32_e32 v1, v1, v109, vcc_lo
	v_cndmask_b32_e32 v0, v0, v108, vcc_lo
	v_cndmask_b32_e64 v98, v98, s0, vcc_lo
	s_add_i32 s0, s0, 1
	s_cmp_lg_u32 s7, s0
	s_cbranch_scc1 .LBB90_524
.LBB90_525:
	s_mov_b32 s0, exec_lo
	s_waitcnt lgkmcnt(0)
	v_cmpx_eq_f64_e32 0, v[0:1]
	s_xor_b32 s0, exec_lo, s0
; %bb.526:
	v_cmp_ne_u32_e32 vcc_lo, 0, v101
	v_cndmask_b32_e32 v101, 32, v101, vcc_lo
; %bb.527:
	s_andn2_saveexec_b32 s0, s0
	s_cbranch_execz .LBB90_529
; %bb.528:
	v_div_scale_f64 v[99:100], null, v[0:1], v[0:1], 1.0
	v_rcp_f64_e32 v[108:109], v[99:100]
	v_fma_f64 v[110:111], -v[99:100], v[108:109], 1.0
	v_fma_f64 v[108:109], v[108:109], v[110:111], v[108:109]
	v_fma_f64 v[110:111], -v[99:100], v[108:109], 1.0
	v_fma_f64 v[108:109], v[108:109], v[110:111], v[108:109]
	v_div_scale_f64 v[110:111], vcc_lo, 1.0, v[0:1], 1.0
	v_mul_f64 v[112:113], v[110:111], v[108:109]
	v_fma_f64 v[99:100], -v[99:100], v[112:113], v[110:111]
	v_div_fmas_f64 v[99:100], v[99:100], v[108:109], v[112:113]
	v_div_fixup_f64 v[0:1], v[99:100], v[0:1], 1.0
.LBB90_529:
	s_or_b32 exec_lo, exec_lo, s0
	s_mov_b32 s0, exec_lo
	v_cmpx_ne_u32_e64 v107, v98
	s_xor_b32 s0, exec_lo, s0
	s_cbranch_execz .LBB90_535
; %bb.530:
	s_mov_b32 s1, exec_lo
	v_cmpx_eq_u32_e32 31, v107
	s_cbranch_execz .LBB90_534
; %bb.531:
	v_cmp_ne_u32_e32 vcc_lo, 31, v98
	s_xor_b32 s2, s6, -1
	s_and_b32 s3, s2, vcc_lo
	s_and_saveexec_b32 s2, s3
	s_cbranch_execz .LBB90_533
; %bb.532:
	v_ashrrev_i32_e32 v99, 31, v98
	v_lshlrev_b64 v[99:100], 2, v[98:99]
	v_add_co_u32 v99, vcc_lo, v4, v99
	v_add_co_ci_u32_e64 v100, null, v5, v100, vcc_lo
	s_clause 0x1
	global_load_dword v106, v[99:100], off
	global_load_dword v107, v[4:5], off offset:124
	s_waitcnt vmcnt(1)
	global_store_dword v[4:5], v106, off offset:124
	s_waitcnt vmcnt(0)
	global_store_dword v[99:100], v107, off
.LBB90_533:
	s_or_b32 exec_lo, exec_lo, s2
	v_mov_b32_e32 v106, v98
	v_mov_b32_e32 v107, v98
.LBB90_534:
	s_or_b32 exec_lo, exec_lo, s1
.LBB90_535:
	s_andn2_saveexec_b32 s0, s0
	s_cbranch_execz .LBB90_537
; %bb.536:
	v_mov_b32_e32 v98, v30
	v_mov_b32_e32 v99, v31
	;; [unrolled: 1-line block ×12, first 2 shown]
	ds_write2_b64 v104, v[98:99], v[107:108] offset0:32 offset1:33
	ds_write2_b64 v104, v[109:110], v[111:112] offset0:34 offset1:35
	;; [unrolled: 1-line block ×3, first 2 shown]
	v_mov_b32_e32 v98, v20
	v_mov_b32_e32 v99, v21
	;; [unrolled: 1-line block ×15, first 2 shown]
	ds_write2_b64 v104, v[98:99], v[108:109] offset0:38 offset1:39
	ds_write2_b64 v104, v[110:111], v[112:113] offset0:40 offset1:41
	;; [unrolled: 1-line block ×4, first 2 shown]
.LBB90_537:
	s_or_b32 exec_lo, exec_lo, s0
	s_mov_b32 s0, exec_lo
	s_waitcnt lgkmcnt(0)
	s_waitcnt_vscnt null, 0x0
	s_barrier
	buffer_gl0_inv
	v_cmpx_lt_i32_e32 31, v107
	s_cbranch_execz .LBB90_539
; %bb.538:
	v_mul_f64 v[32:33], v[0:1], v[32:33]
	ds_read2_b64 v[108:111], v104 offset0:32 offset1:33
	ds_read2_b64 v[112:115], v104 offset0:34 offset1:35
	;; [unrolled: 1-line block ×7, first 2 shown]
	s_waitcnt lgkmcnt(6)
	v_fma_f64 v[30:31], -v[32:33], v[108:109], v[30:31]
	v_fma_f64 v[28:29], -v[32:33], v[110:111], v[28:29]
	s_waitcnt lgkmcnt(5)
	v_fma_f64 v[26:27], -v[32:33], v[112:113], v[26:27]
	v_fma_f64 v[24:25], -v[32:33], v[114:115], v[24:25]
	;; [unrolled: 3-line block ×7, first 2 shown]
.LBB90_539:
	s_or_b32 exec_lo, exec_lo, s0
	v_lshl_add_u32 v0, v107, 3, v104
	s_barrier
	buffer_gl0_inv
	v_mov_b32_e32 v98, 32
	ds_write_b64 v0, v[30:31]
	s_waitcnt lgkmcnt(0)
	s_barrier
	buffer_gl0_inv
	ds_read_b64 v[0:1], v104 offset:256
	s_cmp_lt_i32 s7, 34
	s_cbranch_scc1 .LBB90_542
; %bb.540:
	v_add3_u32 v99, v105, 0, 0x108
	v_mov_b32_e32 v98, 32
	s_mov_b32 s0, 33
.LBB90_541:                             ; =>This Inner Loop Header: Depth=1
	ds_read_b64 v[108:109], v99
	v_add_nc_u32_e32 v99, 8, v99
	s_waitcnt lgkmcnt(0)
	v_cmp_lt_f64_e64 vcc_lo, |v[0:1]|, |v[108:109]|
	v_cndmask_b32_e32 v1, v1, v109, vcc_lo
	v_cndmask_b32_e32 v0, v0, v108, vcc_lo
	v_cndmask_b32_e64 v98, v98, s0, vcc_lo
	s_add_i32 s0, s0, 1
	s_cmp_lg_u32 s7, s0
	s_cbranch_scc1 .LBB90_541
.LBB90_542:
	s_mov_b32 s0, exec_lo
	s_waitcnt lgkmcnt(0)
	v_cmpx_eq_f64_e32 0, v[0:1]
	s_xor_b32 s0, exec_lo, s0
; %bb.543:
	v_cmp_ne_u32_e32 vcc_lo, 0, v101
	v_cndmask_b32_e32 v101, 33, v101, vcc_lo
; %bb.544:
	s_andn2_saveexec_b32 s0, s0
	s_cbranch_execz .LBB90_546
; %bb.545:
	v_div_scale_f64 v[99:100], null, v[0:1], v[0:1], 1.0
	v_rcp_f64_e32 v[108:109], v[99:100]
	v_fma_f64 v[110:111], -v[99:100], v[108:109], 1.0
	v_fma_f64 v[108:109], v[108:109], v[110:111], v[108:109]
	v_fma_f64 v[110:111], -v[99:100], v[108:109], 1.0
	v_fma_f64 v[108:109], v[108:109], v[110:111], v[108:109]
	v_div_scale_f64 v[110:111], vcc_lo, 1.0, v[0:1], 1.0
	v_mul_f64 v[112:113], v[110:111], v[108:109]
	v_fma_f64 v[99:100], -v[99:100], v[112:113], v[110:111]
	v_div_fmas_f64 v[99:100], v[99:100], v[108:109], v[112:113]
	v_div_fixup_f64 v[0:1], v[99:100], v[0:1], 1.0
.LBB90_546:
	s_or_b32 exec_lo, exec_lo, s0
	s_mov_b32 s0, exec_lo
	v_cmpx_ne_u32_e64 v107, v98
	s_xor_b32 s0, exec_lo, s0
	s_cbranch_execz .LBB90_552
; %bb.547:
	s_mov_b32 s1, exec_lo
	v_cmpx_eq_u32_e32 32, v107
	s_cbranch_execz .LBB90_551
; %bb.548:
	v_cmp_ne_u32_e32 vcc_lo, 32, v98
	s_xor_b32 s2, s6, -1
	s_and_b32 s3, s2, vcc_lo
	s_and_saveexec_b32 s2, s3
	s_cbranch_execz .LBB90_550
; %bb.549:
	v_ashrrev_i32_e32 v99, 31, v98
	v_lshlrev_b64 v[99:100], 2, v[98:99]
	v_add_co_u32 v99, vcc_lo, v4, v99
	v_add_co_ci_u32_e64 v100, null, v5, v100, vcc_lo
	s_clause 0x1
	global_load_dword v106, v[99:100], off
	global_load_dword v107, v[4:5], off offset:128
	s_waitcnt vmcnt(1)
	global_store_dword v[4:5], v106, off offset:128
	s_waitcnt vmcnt(0)
	global_store_dword v[99:100], v107, off
.LBB90_550:
	s_or_b32 exec_lo, exec_lo, s2
	v_mov_b32_e32 v106, v98
	v_mov_b32_e32 v107, v98
.LBB90_551:
	s_or_b32 exec_lo, exec_lo, s1
.LBB90_552:
	s_andn2_saveexec_b32 s0, s0
	s_cbranch_execz .LBB90_554
; %bb.553:
	v_mov_b32_e32 v107, 32
	ds_write2_b64 v104, v[28:29], v[26:27] offset0:33 offset1:34
	ds_write2_b64 v104, v[24:25], v[22:23] offset0:35 offset1:36
	;; [unrolled: 1-line block ×6, first 2 shown]
	ds_write_b64 v104, v[96:97] offset:360
.LBB90_554:
	s_or_b32 exec_lo, exec_lo, s0
	s_mov_b32 s0, exec_lo
	s_waitcnt lgkmcnt(0)
	s_waitcnt_vscnt null, 0x0
	s_barrier
	buffer_gl0_inv
	v_cmpx_lt_i32_e32 32, v107
	s_cbranch_execz .LBB90_556
; %bb.555:
	v_mul_f64 v[30:31], v[0:1], v[30:31]
	ds_read2_b64 v[108:111], v104 offset0:33 offset1:34
	ds_read2_b64 v[112:115], v104 offset0:35 offset1:36
	;; [unrolled: 1-line block ×6, first 2 shown]
	ds_read_b64 v[0:1], v104 offset:360
	s_waitcnt lgkmcnt(6)
	v_fma_f64 v[28:29], -v[30:31], v[108:109], v[28:29]
	v_fma_f64 v[26:27], -v[30:31], v[110:111], v[26:27]
	s_waitcnt lgkmcnt(5)
	v_fma_f64 v[24:25], -v[30:31], v[112:113], v[24:25]
	v_fma_f64 v[22:23], -v[30:31], v[114:115], v[22:23]
	;; [unrolled: 3-line block ×6, first 2 shown]
	s_waitcnt lgkmcnt(0)
	v_fma_f64 v[96:97], -v[30:31], v[0:1], v[96:97]
.LBB90_556:
	s_or_b32 exec_lo, exec_lo, s0
	v_lshl_add_u32 v0, v107, 3, v104
	s_barrier
	buffer_gl0_inv
	v_mov_b32_e32 v98, 33
	ds_write_b64 v0, v[28:29]
	s_waitcnt lgkmcnt(0)
	s_barrier
	buffer_gl0_inv
	ds_read_b64 v[0:1], v104 offset:264
	s_cmp_lt_i32 s7, 35
	s_cbranch_scc1 .LBB90_559
; %bb.557:
	v_add3_u32 v99, v105, 0, 0x110
	v_mov_b32_e32 v98, 33
	s_mov_b32 s0, 34
.LBB90_558:                             ; =>This Inner Loop Header: Depth=1
	ds_read_b64 v[108:109], v99
	v_add_nc_u32_e32 v99, 8, v99
	s_waitcnt lgkmcnt(0)
	v_cmp_lt_f64_e64 vcc_lo, |v[0:1]|, |v[108:109]|
	v_cndmask_b32_e32 v1, v1, v109, vcc_lo
	v_cndmask_b32_e32 v0, v0, v108, vcc_lo
	v_cndmask_b32_e64 v98, v98, s0, vcc_lo
	s_add_i32 s0, s0, 1
	s_cmp_lg_u32 s7, s0
	s_cbranch_scc1 .LBB90_558
.LBB90_559:
	s_mov_b32 s0, exec_lo
	s_waitcnt lgkmcnt(0)
	v_cmpx_eq_f64_e32 0, v[0:1]
	s_xor_b32 s0, exec_lo, s0
; %bb.560:
	v_cmp_ne_u32_e32 vcc_lo, 0, v101
	v_cndmask_b32_e32 v101, 34, v101, vcc_lo
; %bb.561:
	s_andn2_saveexec_b32 s0, s0
	s_cbranch_execz .LBB90_563
; %bb.562:
	v_div_scale_f64 v[99:100], null, v[0:1], v[0:1], 1.0
	v_rcp_f64_e32 v[108:109], v[99:100]
	v_fma_f64 v[110:111], -v[99:100], v[108:109], 1.0
	v_fma_f64 v[108:109], v[108:109], v[110:111], v[108:109]
	v_fma_f64 v[110:111], -v[99:100], v[108:109], 1.0
	v_fma_f64 v[108:109], v[108:109], v[110:111], v[108:109]
	v_div_scale_f64 v[110:111], vcc_lo, 1.0, v[0:1], 1.0
	v_mul_f64 v[112:113], v[110:111], v[108:109]
	v_fma_f64 v[99:100], -v[99:100], v[112:113], v[110:111]
	v_div_fmas_f64 v[99:100], v[99:100], v[108:109], v[112:113]
	v_div_fixup_f64 v[0:1], v[99:100], v[0:1], 1.0
.LBB90_563:
	s_or_b32 exec_lo, exec_lo, s0
	s_mov_b32 s0, exec_lo
	v_cmpx_ne_u32_e64 v107, v98
	s_xor_b32 s0, exec_lo, s0
	s_cbranch_execz .LBB90_569
; %bb.564:
	s_mov_b32 s1, exec_lo
	v_cmpx_eq_u32_e32 33, v107
	s_cbranch_execz .LBB90_568
; %bb.565:
	v_cmp_ne_u32_e32 vcc_lo, 33, v98
	s_xor_b32 s2, s6, -1
	s_and_b32 s3, s2, vcc_lo
	s_and_saveexec_b32 s2, s3
	s_cbranch_execz .LBB90_567
; %bb.566:
	v_ashrrev_i32_e32 v99, 31, v98
	v_lshlrev_b64 v[99:100], 2, v[98:99]
	v_add_co_u32 v99, vcc_lo, v4, v99
	v_add_co_ci_u32_e64 v100, null, v5, v100, vcc_lo
	s_clause 0x1
	global_load_dword v106, v[99:100], off
	global_load_dword v107, v[4:5], off offset:132
	s_waitcnt vmcnt(1)
	global_store_dword v[4:5], v106, off offset:132
	s_waitcnt vmcnt(0)
	global_store_dword v[99:100], v107, off
.LBB90_567:
	s_or_b32 exec_lo, exec_lo, s2
	v_mov_b32_e32 v106, v98
	v_mov_b32_e32 v107, v98
.LBB90_568:
	s_or_b32 exec_lo, exec_lo, s1
.LBB90_569:
	s_andn2_saveexec_b32 s0, s0
	s_cbranch_execz .LBB90_571
; %bb.570:
	v_mov_b32_e32 v98, v26
	v_mov_b32_e32 v99, v27
	;; [unrolled: 1-line block ×8, first 2 shown]
	ds_write2_b64 v104, v[98:99], v[107:108] offset0:34 offset1:35
	ds_write2_b64 v104, v[109:110], v[111:112] offset0:36 offset1:37
	v_mov_b32_e32 v98, v20
	v_mov_b32_e32 v99, v21
	;; [unrolled: 1-line block ×15, first 2 shown]
	ds_write2_b64 v104, v[98:99], v[108:109] offset0:38 offset1:39
	ds_write2_b64 v104, v[110:111], v[112:113] offset0:40 offset1:41
	;; [unrolled: 1-line block ×4, first 2 shown]
.LBB90_571:
	s_or_b32 exec_lo, exec_lo, s0
	s_mov_b32 s0, exec_lo
	s_waitcnt lgkmcnt(0)
	s_waitcnt_vscnt null, 0x0
	s_barrier
	buffer_gl0_inv
	v_cmpx_lt_i32_e32 33, v107
	s_cbranch_execz .LBB90_573
; %bb.572:
	v_mul_f64 v[28:29], v[0:1], v[28:29]
	ds_read2_b64 v[108:111], v104 offset0:34 offset1:35
	ds_read2_b64 v[112:115], v104 offset0:36 offset1:37
	;; [unrolled: 1-line block ×6, first 2 shown]
	s_waitcnt lgkmcnt(5)
	v_fma_f64 v[26:27], -v[28:29], v[108:109], v[26:27]
	v_fma_f64 v[24:25], -v[28:29], v[110:111], v[24:25]
	s_waitcnt lgkmcnt(4)
	v_fma_f64 v[22:23], -v[28:29], v[112:113], v[22:23]
	v_fma_f64 v[18:19], -v[28:29], v[114:115], v[18:19]
	;; [unrolled: 3-line block ×6, first 2 shown]
.LBB90_573:
	s_or_b32 exec_lo, exec_lo, s0
	v_lshl_add_u32 v0, v107, 3, v104
	s_barrier
	buffer_gl0_inv
	v_mov_b32_e32 v98, 34
	ds_write_b64 v0, v[26:27]
	s_waitcnt lgkmcnt(0)
	s_barrier
	buffer_gl0_inv
	ds_read_b64 v[0:1], v104 offset:272
	s_cmp_lt_i32 s7, 36
	s_cbranch_scc1 .LBB90_576
; %bb.574:
	v_add3_u32 v99, v105, 0, 0x118
	v_mov_b32_e32 v98, 34
	s_mov_b32 s0, 35
.LBB90_575:                             ; =>This Inner Loop Header: Depth=1
	ds_read_b64 v[108:109], v99
	v_add_nc_u32_e32 v99, 8, v99
	s_waitcnt lgkmcnt(0)
	v_cmp_lt_f64_e64 vcc_lo, |v[0:1]|, |v[108:109]|
	v_cndmask_b32_e32 v1, v1, v109, vcc_lo
	v_cndmask_b32_e32 v0, v0, v108, vcc_lo
	v_cndmask_b32_e64 v98, v98, s0, vcc_lo
	s_add_i32 s0, s0, 1
	s_cmp_lg_u32 s7, s0
	s_cbranch_scc1 .LBB90_575
.LBB90_576:
	s_mov_b32 s0, exec_lo
	s_waitcnt lgkmcnt(0)
	v_cmpx_eq_f64_e32 0, v[0:1]
	s_xor_b32 s0, exec_lo, s0
; %bb.577:
	v_cmp_ne_u32_e32 vcc_lo, 0, v101
	v_cndmask_b32_e32 v101, 35, v101, vcc_lo
; %bb.578:
	s_andn2_saveexec_b32 s0, s0
	s_cbranch_execz .LBB90_580
; %bb.579:
	v_div_scale_f64 v[99:100], null, v[0:1], v[0:1], 1.0
	v_rcp_f64_e32 v[108:109], v[99:100]
	v_fma_f64 v[110:111], -v[99:100], v[108:109], 1.0
	v_fma_f64 v[108:109], v[108:109], v[110:111], v[108:109]
	v_fma_f64 v[110:111], -v[99:100], v[108:109], 1.0
	v_fma_f64 v[108:109], v[108:109], v[110:111], v[108:109]
	v_div_scale_f64 v[110:111], vcc_lo, 1.0, v[0:1], 1.0
	v_mul_f64 v[112:113], v[110:111], v[108:109]
	v_fma_f64 v[99:100], -v[99:100], v[112:113], v[110:111]
	v_div_fmas_f64 v[99:100], v[99:100], v[108:109], v[112:113]
	v_div_fixup_f64 v[0:1], v[99:100], v[0:1], 1.0
.LBB90_580:
	s_or_b32 exec_lo, exec_lo, s0
	s_mov_b32 s0, exec_lo
	v_cmpx_ne_u32_e64 v107, v98
	s_xor_b32 s0, exec_lo, s0
	s_cbranch_execz .LBB90_586
; %bb.581:
	s_mov_b32 s1, exec_lo
	v_cmpx_eq_u32_e32 34, v107
	s_cbranch_execz .LBB90_585
; %bb.582:
	v_cmp_ne_u32_e32 vcc_lo, 34, v98
	s_xor_b32 s2, s6, -1
	s_and_b32 s3, s2, vcc_lo
	s_and_saveexec_b32 s2, s3
	s_cbranch_execz .LBB90_584
; %bb.583:
	v_ashrrev_i32_e32 v99, 31, v98
	v_lshlrev_b64 v[99:100], 2, v[98:99]
	v_add_co_u32 v99, vcc_lo, v4, v99
	v_add_co_ci_u32_e64 v100, null, v5, v100, vcc_lo
	s_clause 0x1
	global_load_dword v106, v[99:100], off
	global_load_dword v107, v[4:5], off offset:136
	s_waitcnt vmcnt(1)
	global_store_dword v[4:5], v106, off offset:136
	s_waitcnt vmcnt(0)
	global_store_dword v[99:100], v107, off
.LBB90_584:
	s_or_b32 exec_lo, exec_lo, s2
	v_mov_b32_e32 v106, v98
	v_mov_b32_e32 v107, v98
.LBB90_585:
	s_or_b32 exec_lo, exec_lo, s1
.LBB90_586:
	s_andn2_saveexec_b32 s0, s0
	s_cbranch_execz .LBB90_588
; %bb.587:
	v_mov_b32_e32 v107, 34
	ds_write2_b64 v104, v[24:25], v[22:23] offset0:35 offset1:36
	ds_write2_b64 v104, v[18:19], v[20:21] offset0:37 offset1:38
	;; [unrolled: 1-line block ×5, first 2 shown]
	ds_write_b64 v104, v[96:97] offset:360
.LBB90_588:
	s_or_b32 exec_lo, exec_lo, s0
	s_mov_b32 s0, exec_lo
	s_waitcnt lgkmcnt(0)
	s_waitcnt_vscnt null, 0x0
	s_barrier
	buffer_gl0_inv
	v_cmpx_lt_i32_e32 34, v107
	s_cbranch_execz .LBB90_590
; %bb.589:
	v_mul_f64 v[26:27], v[0:1], v[26:27]
	ds_read2_b64 v[108:111], v104 offset0:35 offset1:36
	ds_read2_b64 v[112:115], v104 offset0:37 offset1:38
	;; [unrolled: 1-line block ×5, first 2 shown]
	ds_read_b64 v[0:1], v104 offset:360
	s_waitcnt lgkmcnt(5)
	v_fma_f64 v[24:25], -v[26:27], v[108:109], v[24:25]
	v_fma_f64 v[22:23], -v[26:27], v[110:111], v[22:23]
	s_waitcnt lgkmcnt(4)
	v_fma_f64 v[18:19], -v[26:27], v[112:113], v[18:19]
	v_fma_f64 v[20:21], -v[26:27], v[114:115], v[20:21]
	s_waitcnt lgkmcnt(3)
	v_fma_f64 v[16:17], -v[26:27], v[116:117], v[16:17]
	v_fma_f64 v[14:15], -v[26:27], v[118:119], v[14:15]
	s_waitcnt lgkmcnt(2)
	v_fma_f64 v[8:9], -v[26:27], v[120:121], v[8:9]
	v_fma_f64 v[12:13], -v[26:27], v[122:123], v[12:13]
	s_waitcnt lgkmcnt(1)
	v_fma_f64 v[6:7], -v[26:27], v[124:125], v[6:7]
	v_fma_f64 v[10:11], -v[26:27], v[126:127], v[10:11]
	s_waitcnt lgkmcnt(0)
	v_fma_f64 v[96:97], -v[26:27], v[0:1], v[96:97]
.LBB90_590:
	s_or_b32 exec_lo, exec_lo, s0
	v_lshl_add_u32 v0, v107, 3, v104
	s_barrier
	buffer_gl0_inv
	v_mov_b32_e32 v98, 35
	ds_write_b64 v0, v[24:25]
	s_waitcnt lgkmcnt(0)
	s_barrier
	buffer_gl0_inv
	ds_read_b64 v[0:1], v104 offset:280
	s_cmp_lt_i32 s7, 37
	s_cbranch_scc1 .LBB90_593
; %bb.591:
	v_add3_u32 v99, v105, 0, 0x120
	v_mov_b32_e32 v98, 35
	s_mov_b32 s0, 36
.LBB90_592:                             ; =>This Inner Loop Header: Depth=1
	ds_read_b64 v[108:109], v99
	v_add_nc_u32_e32 v99, 8, v99
	s_waitcnt lgkmcnt(0)
	v_cmp_lt_f64_e64 vcc_lo, |v[0:1]|, |v[108:109]|
	v_cndmask_b32_e32 v1, v1, v109, vcc_lo
	v_cndmask_b32_e32 v0, v0, v108, vcc_lo
	v_cndmask_b32_e64 v98, v98, s0, vcc_lo
	s_add_i32 s0, s0, 1
	s_cmp_lg_u32 s7, s0
	s_cbranch_scc1 .LBB90_592
.LBB90_593:
	s_mov_b32 s0, exec_lo
	s_waitcnt lgkmcnt(0)
	v_cmpx_eq_f64_e32 0, v[0:1]
	s_xor_b32 s0, exec_lo, s0
; %bb.594:
	v_cmp_ne_u32_e32 vcc_lo, 0, v101
	v_cndmask_b32_e32 v101, 36, v101, vcc_lo
; %bb.595:
	s_andn2_saveexec_b32 s0, s0
	s_cbranch_execz .LBB90_597
; %bb.596:
	v_div_scale_f64 v[99:100], null, v[0:1], v[0:1], 1.0
	v_rcp_f64_e32 v[108:109], v[99:100]
	v_fma_f64 v[110:111], -v[99:100], v[108:109], 1.0
	v_fma_f64 v[108:109], v[108:109], v[110:111], v[108:109]
	v_fma_f64 v[110:111], -v[99:100], v[108:109], 1.0
	v_fma_f64 v[108:109], v[108:109], v[110:111], v[108:109]
	v_div_scale_f64 v[110:111], vcc_lo, 1.0, v[0:1], 1.0
	v_mul_f64 v[112:113], v[110:111], v[108:109]
	v_fma_f64 v[99:100], -v[99:100], v[112:113], v[110:111]
	v_div_fmas_f64 v[99:100], v[99:100], v[108:109], v[112:113]
	v_div_fixup_f64 v[0:1], v[99:100], v[0:1], 1.0
.LBB90_597:
	s_or_b32 exec_lo, exec_lo, s0
	s_mov_b32 s0, exec_lo
	v_cmpx_ne_u32_e64 v107, v98
	s_xor_b32 s0, exec_lo, s0
	s_cbranch_execz .LBB90_603
; %bb.598:
	s_mov_b32 s1, exec_lo
	v_cmpx_eq_u32_e32 35, v107
	s_cbranch_execz .LBB90_602
; %bb.599:
	v_cmp_ne_u32_e32 vcc_lo, 35, v98
	s_xor_b32 s2, s6, -1
	s_and_b32 s3, s2, vcc_lo
	s_and_saveexec_b32 s2, s3
	s_cbranch_execz .LBB90_601
; %bb.600:
	v_ashrrev_i32_e32 v99, 31, v98
	v_lshlrev_b64 v[99:100], 2, v[98:99]
	v_add_co_u32 v99, vcc_lo, v4, v99
	v_add_co_ci_u32_e64 v100, null, v5, v100, vcc_lo
	s_clause 0x1
	global_load_dword v106, v[99:100], off
	global_load_dword v107, v[4:5], off offset:140
	s_waitcnt vmcnt(1)
	global_store_dword v[4:5], v106, off offset:140
	s_waitcnt vmcnt(0)
	global_store_dword v[99:100], v107, off
.LBB90_601:
	s_or_b32 exec_lo, exec_lo, s2
	v_mov_b32_e32 v106, v98
	v_mov_b32_e32 v107, v98
.LBB90_602:
	s_or_b32 exec_lo, exec_lo, s1
.LBB90_603:
	s_andn2_saveexec_b32 s0, s0
	s_cbranch_execz .LBB90_605
; %bb.604:
	v_mov_b32_e32 v98, v22
	v_mov_b32_e32 v99, v23
	;; [unrolled: 1-line block ×8, first 2 shown]
	ds_write2_b64 v104, v[98:99], v[107:108] offset0:36 offset1:37
	v_mov_b32_e32 v98, v16
	v_mov_b32_e32 v99, v17
	;; [unrolled: 1-line block ×11, first 2 shown]
	ds_write2_b64 v104, v[109:110], v[98:99] offset0:38 offset1:39
	ds_write2_b64 v104, v[111:112], v[113:114] offset0:40 offset1:41
	;; [unrolled: 1-line block ×4, first 2 shown]
.LBB90_605:
	s_or_b32 exec_lo, exec_lo, s0
	s_mov_b32 s0, exec_lo
	s_waitcnt lgkmcnt(0)
	s_waitcnt_vscnt null, 0x0
	s_barrier
	buffer_gl0_inv
	v_cmpx_lt_i32_e32 35, v107
	s_cbranch_execz .LBB90_607
; %bb.606:
	v_mul_f64 v[24:25], v[0:1], v[24:25]
	ds_read2_b64 v[108:111], v104 offset0:36 offset1:37
	ds_read2_b64 v[112:115], v104 offset0:38 offset1:39
	;; [unrolled: 1-line block ×5, first 2 shown]
	s_waitcnt lgkmcnt(4)
	v_fma_f64 v[22:23], -v[24:25], v[108:109], v[22:23]
	v_fma_f64 v[18:19], -v[24:25], v[110:111], v[18:19]
	s_waitcnt lgkmcnt(3)
	v_fma_f64 v[20:21], -v[24:25], v[112:113], v[20:21]
	v_fma_f64 v[16:17], -v[24:25], v[114:115], v[16:17]
	;; [unrolled: 3-line block ×5, first 2 shown]
.LBB90_607:
	s_or_b32 exec_lo, exec_lo, s0
	v_lshl_add_u32 v0, v107, 3, v104
	s_barrier
	buffer_gl0_inv
	v_mov_b32_e32 v98, 36
	ds_write_b64 v0, v[22:23]
	s_waitcnt lgkmcnt(0)
	s_barrier
	buffer_gl0_inv
	ds_read_b64 v[0:1], v104 offset:288
	s_cmp_lt_i32 s7, 38
	s_cbranch_scc1 .LBB90_610
; %bb.608:
	v_add3_u32 v99, v105, 0, 0x128
	v_mov_b32_e32 v98, 36
	s_mov_b32 s0, 37
.LBB90_609:                             ; =>This Inner Loop Header: Depth=1
	ds_read_b64 v[108:109], v99
	v_add_nc_u32_e32 v99, 8, v99
	s_waitcnt lgkmcnt(0)
	v_cmp_lt_f64_e64 vcc_lo, |v[0:1]|, |v[108:109]|
	v_cndmask_b32_e32 v1, v1, v109, vcc_lo
	v_cndmask_b32_e32 v0, v0, v108, vcc_lo
	v_cndmask_b32_e64 v98, v98, s0, vcc_lo
	s_add_i32 s0, s0, 1
	s_cmp_lg_u32 s7, s0
	s_cbranch_scc1 .LBB90_609
.LBB90_610:
	s_mov_b32 s0, exec_lo
	s_waitcnt lgkmcnt(0)
	v_cmpx_eq_f64_e32 0, v[0:1]
	s_xor_b32 s0, exec_lo, s0
; %bb.611:
	v_cmp_ne_u32_e32 vcc_lo, 0, v101
	v_cndmask_b32_e32 v101, 37, v101, vcc_lo
; %bb.612:
	s_andn2_saveexec_b32 s0, s0
	s_cbranch_execz .LBB90_614
; %bb.613:
	v_div_scale_f64 v[99:100], null, v[0:1], v[0:1], 1.0
	v_rcp_f64_e32 v[108:109], v[99:100]
	v_fma_f64 v[110:111], -v[99:100], v[108:109], 1.0
	v_fma_f64 v[108:109], v[108:109], v[110:111], v[108:109]
	v_fma_f64 v[110:111], -v[99:100], v[108:109], 1.0
	v_fma_f64 v[108:109], v[108:109], v[110:111], v[108:109]
	v_div_scale_f64 v[110:111], vcc_lo, 1.0, v[0:1], 1.0
	v_mul_f64 v[112:113], v[110:111], v[108:109]
	v_fma_f64 v[99:100], -v[99:100], v[112:113], v[110:111]
	v_div_fmas_f64 v[99:100], v[99:100], v[108:109], v[112:113]
	v_div_fixup_f64 v[0:1], v[99:100], v[0:1], 1.0
.LBB90_614:
	s_or_b32 exec_lo, exec_lo, s0
	s_mov_b32 s0, exec_lo
	v_cmpx_ne_u32_e64 v107, v98
	s_xor_b32 s0, exec_lo, s0
	s_cbranch_execz .LBB90_620
; %bb.615:
	s_mov_b32 s1, exec_lo
	v_cmpx_eq_u32_e32 36, v107
	s_cbranch_execz .LBB90_619
; %bb.616:
	v_cmp_ne_u32_e32 vcc_lo, 36, v98
	s_xor_b32 s2, s6, -1
	s_and_b32 s3, s2, vcc_lo
	s_and_saveexec_b32 s2, s3
	s_cbranch_execz .LBB90_618
; %bb.617:
	v_ashrrev_i32_e32 v99, 31, v98
	v_lshlrev_b64 v[99:100], 2, v[98:99]
	v_add_co_u32 v99, vcc_lo, v4, v99
	v_add_co_ci_u32_e64 v100, null, v5, v100, vcc_lo
	s_clause 0x1
	global_load_dword v106, v[99:100], off
	global_load_dword v107, v[4:5], off offset:144
	s_waitcnt vmcnt(1)
	global_store_dword v[4:5], v106, off offset:144
	s_waitcnt vmcnt(0)
	global_store_dword v[99:100], v107, off
.LBB90_618:
	s_or_b32 exec_lo, exec_lo, s2
	v_mov_b32_e32 v106, v98
	v_mov_b32_e32 v107, v98
.LBB90_619:
	s_or_b32 exec_lo, exec_lo, s1
.LBB90_620:
	s_andn2_saveexec_b32 s0, s0
	s_cbranch_execz .LBB90_622
; %bb.621:
	v_mov_b32_e32 v107, 36
	ds_write2_b64 v104, v[18:19], v[20:21] offset0:37 offset1:38
	ds_write2_b64 v104, v[16:17], v[14:15] offset0:39 offset1:40
	;; [unrolled: 1-line block ×4, first 2 shown]
	ds_write_b64 v104, v[96:97] offset:360
.LBB90_622:
	s_or_b32 exec_lo, exec_lo, s0
	s_mov_b32 s0, exec_lo
	s_waitcnt lgkmcnt(0)
	s_waitcnt_vscnt null, 0x0
	s_barrier
	buffer_gl0_inv
	v_cmpx_lt_i32_e32 36, v107
	s_cbranch_execz .LBB90_624
; %bb.623:
	v_mul_f64 v[22:23], v[0:1], v[22:23]
	ds_read2_b64 v[108:111], v104 offset0:37 offset1:38
	ds_read2_b64 v[112:115], v104 offset0:39 offset1:40
	;; [unrolled: 1-line block ×4, first 2 shown]
	ds_read_b64 v[0:1], v104 offset:360
	s_waitcnt lgkmcnt(4)
	v_fma_f64 v[18:19], -v[22:23], v[108:109], v[18:19]
	v_fma_f64 v[20:21], -v[22:23], v[110:111], v[20:21]
	s_waitcnt lgkmcnt(3)
	v_fma_f64 v[16:17], -v[22:23], v[112:113], v[16:17]
	v_fma_f64 v[14:15], -v[22:23], v[114:115], v[14:15]
	;; [unrolled: 3-line block ×4, first 2 shown]
	s_waitcnt lgkmcnt(0)
	v_fma_f64 v[96:97], -v[22:23], v[0:1], v[96:97]
.LBB90_624:
	s_or_b32 exec_lo, exec_lo, s0
	v_lshl_add_u32 v0, v107, 3, v104
	s_barrier
	buffer_gl0_inv
	v_mov_b32_e32 v98, 37
	ds_write_b64 v0, v[18:19]
	s_waitcnt lgkmcnt(0)
	s_barrier
	buffer_gl0_inv
	ds_read_b64 v[0:1], v104 offset:296
	s_cmp_lt_i32 s7, 39
	s_cbranch_scc1 .LBB90_627
; %bb.625:
	v_add3_u32 v99, v105, 0, 0x130
	v_mov_b32_e32 v98, 37
	s_mov_b32 s0, 38
.LBB90_626:                             ; =>This Inner Loop Header: Depth=1
	ds_read_b64 v[108:109], v99
	v_add_nc_u32_e32 v99, 8, v99
	s_waitcnt lgkmcnt(0)
	v_cmp_lt_f64_e64 vcc_lo, |v[0:1]|, |v[108:109]|
	v_cndmask_b32_e32 v1, v1, v109, vcc_lo
	v_cndmask_b32_e32 v0, v0, v108, vcc_lo
	v_cndmask_b32_e64 v98, v98, s0, vcc_lo
	s_add_i32 s0, s0, 1
	s_cmp_lg_u32 s7, s0
	s_cbranch_scc1 .LBB90_626
.LBB90_627:
	s_mov_b32 s0, exec_lo
	s_waitcnt lgkmcnt(0)
	v_cmpx_eq_f64_e32 0, v[0:1]
	s_xor_b32 s0, exec_lo, s0
; %bb.628:
	v_cmp_ne_u32_e32 vcc_lo, 0, v101
	v_cndmask_b32_e32 v101, 38, v101, vcc_lo
; %bb.629:
	s_andn2_saveexec_b32 s0, s0
	s_cbranch_execz .LBB90_631
; %bb.630:
	v_div_scale_f64 v[99:100], null, v[0:1], v[0:1], 1.0
	v_rcp_f64_e32 v[108:109], v[99:100]
	v_fma_f64 v[110:111], -v[99:100], v[108:109], 1.0
	v_fma_f64 v[108:109], v[108:109], v[110:111], v[108:109]
	v_fma_f64 v[110:111], -v[99:100], v[108:109], 1.0
	v_fma_f64 v[108:109], v[108:109], v[110:111], v[108:109]
	v_div_scale_f64 v[110:111], vcc_lo, 1.0, v[0:1], 1.0
	v_mul_f64 v[112:113], v[110:111], v[108:109]
	v_fma_f64 v[99:100], -v[99:100], v[112:113], v[110:111]
	v_div_fmas_f64 v[99:100], v[99:100], v[108:109], v[112:113]
	v_div_fixup_f64 v[0:1], v[99:100], v[0:1], 1.0
.LBB90_631:
	s_or_b32 exec_lo, exec_lo, s0
	s_mov_b32 s0, exec_lo
	v_cmpx_ne_u32_e64 v107, v98
	s_xor_b32 s0, exec_lo, s0
	s_cbranch_execz .LBB90_637
; %bb.632:
	s_mov_b32 s1, exec_lo
	v_cmpx_eq_u32_e32 37, v107
	s_cbranch_execz .LBB90_636
; %bb.633:
	v_cmp_ne_u32_e32 vcc_lo, 37, v98
	s_xor_b32 s2, s6, -1
	s_and_b32 s3, s2, vcc_lo
	s_and_saveexec_b32 s2, s3
	s_cbranch_execz .LBB90_635
; %bb.634:
	v_ashrrev_i32_e32 v99, 31, v98
	v_lshlrev_b64 v[99:100], 2, v[98:99]
	v_add_co_u32 v99, vcc_lo, v4, v99
	v_add_co_ci_u32_e64 v100, null, v5, v100, vcc_lo
	s_clause 0x1
	global_load_dword v106, v[99:100], off
	global_load_dword v107, v[4:5], off offset:148
	s_waitcnt vmcnt(1)
	global_store_dword v[4:5], v106, off offset:148
	s_waitcnt vmcnt(0)
	global_store_dword v[99:100], v107, off
.LBB90_635:
	s_or_b32 exec_lo, exec_lo, s2
	v_mov_b32_e32 v106, v98
	v_mov_b32_e32 v107, v98
.LBB90_636:
	s_or_b32 exec_lo, exec_lo, s1
.LBB90_637:
	s_andn2_saveexec_b32 s0, s0
	s_cbranch_execz .LBB90_639
; %bb.638:
	v_mov_b32_e32 v98, v20
	v_mov_b32_e32 v99, v21
	;; [unrolled: 1-line block ×15, first 2 shown]
	ds_write2_b64 v104, v[98:99], v[108:109] offset0:38 offset1:39
	ds_write2_b64 v104, v[110:111], v[112:113] offset0:40 offset1:41
	;; [unrolled: 1-line block ×4, first 2 shown]
.LBB90_639:
	s_or_b32 exec_lo, exec_lo, s0
	s_mov_b32 s0, exec_lo
	s_waitcnt lgkmcnt(0)
	s_waitcnt_vscnt null, 0x0
	s_barrier
	buffer_gl0_inv
	v_cmpx_lt_i32_e32 37, v107
	s_cbranch_execz .LBB90_641
; %bb.640:
	v_mul_f64 v[18:19], v[0:1], v[18:19]
	ds_read2_b64 v[108:111], v104 offset0:38 offset1:39
	ds_read2_b64 v[112:115], v104 offset0:40 offset1:41
	;; [unrolled: 1-line block ×4, first 2 shown]
	s_waitcnt lgkmcnt(3)
	v_fma_f64 v[20:21], -v[18:19], v[108:109], v[20:21]
	v_fma_f64 v[16:17], -v[18:19], v[110:111], v[16:17]
	s_waitcnt lgkmcnt(2)
	v_fma_f64 v[14:15], -v[18:19], v[112:113], v[14:15]
	v_fma_f64 v[8:9], -v[18:19], v[114:115], v[8:9]
	;; [unrolled: 3-line block ×4, first 2 shown]
.LBB90_641:
	s_or_b32 exec_lo, exec_lo, s0
	v_lshl_add_u32 v0, v107, 3, v104
	s_barrier
	buffer_gl0_inv
	v_mov_b32_e32 v98, 38
	ds_write_b64 v0, v[20:21]
	s_waitcnt lgkmcnt(0)
	s_barrier
	buffer_gl0_inv
	ds_read_b64 v[0:1], v104 offset:304
	s_cmp_lt_i32 s7, 40
	s_cbranch_scc1 .LBB90_644
; %bb.642:
	v_add3_u32 v99, v105, 0, 0x138
	v_mov_b32_e32 v98, 38
	s_mov_b32 s0, 39
.LBB90_643:                             ; =>This Inner Loop Header: Depth=1
	ds_read_b64 v[108:109], v99
	v_add_nc_u32_e32 v99, 8, v99
	s_waitcnt lgkmcnt(0)
	v_cmp_lt_f64_e64 vcc_lo, |v[0:1]|, |v[108:109]|
	v_cndmask_b32_e32 v1, v1, v109, vcc_lo
	v_cndmask_b32_e32 v0, v0, v108, vcc_lo
	v_cndmask_b32_e64 v98, v98, s0, vcc_lo
	s_add_i32 s0, s0, 1
	s_cmp_lg_u32 s7, s0
	s_cbranch_scc1 .LBB90_643
.LBB90_644:
	s_mov_b32 s0, exec_lo
	s_waitcnt lgkmcnt(0)
	v_cmpx_eq_f64_e32 0, v[0:1]
	s_xor_b32 s0, exec_lo, s0
; %bb.645:
	v_cmp_ne_u32_e32 vcc_lo, 0, v101
	v_cndmask_b32_e32 v101, 39, v101, vcc_lo
; %bb.646:
	s_andn2_saveexec_b32 s0, s0
	s_cbranch_execz .LBB90_648
; %bb.647:
	v_div_scale_f64 v[99:100], null, v[0:1], v[0:1], 1.0
	v_rcp_f64_e32 v[108:109], v[99:100]
	v_fma_f64 v[110:111], -v[99:100], v[108:109], 1.0
	v_fma_f64 v[108:109], v[108:109], v[110:111], v[108:109]
	v_fma_f64 v[110:111], -v[99:100], v[108:109], 1.0
	v_fma_f64 v[108:109], v[108:109], v[110:111], v[108:109]
	v_div_scale_f64 v[110:111], vcc_lo, 1.0, v[0:1], 1.0
	v_mul_f64 v[112:113], v[110:111], v[108:109]
	v_fma_f64 v[99:100], -v[99:100], v[112:113], v[110:111]
	v_div_fmas_f64 v[99:100], v[99:100], v[108:109], v[112:113]
	v_div_fixup_f64 v[0:1], v[99:100], v[0:1], 1.0
.LBB90_648:
	s_or_b32 exec_lo, exec_lo, s0
	s_mov_b32 s0, exec_lo
	v_cmpx_ne_u32_e64 v107, v98
	s_xor_b32 s0, exec_lo, s0
	s_cbranch_execz .LBB90_654
; %bb.649:
	s_mov_b32 s1, exec_lo
	v_cmpx_eq_u32_e32 38, v107
	s_cbranch_execz .LBB90_653
; %bb.650:
	v_cmp_ne_u32_e32 vcc_lo, 38, v98
	s_xor_b32 s2, s6, -1
	s_and_b32 s3, s2, vcc_lo
	s_and_saveexec_b32 s2, s3
	s_cbranch_execz .LBB90_652
; %bb.651:
	v_ashrrev_i32_e32 v99, 31, v98
	v_lshlrev_b64 v[99:100], 2, v[98:99]
	v_add_co_u32 v99, vcc_lo, v4, v99
	v_add_co_ci_u32_e64 v100, null, v5, v100, vcc_lo
	s_clause 0x1
	global_load_dword v106, v[99:100], off
	global_load_dword v107, v[4:5], off offset:152
	s_waitcnt vmcnt(1)
	global_store_dword v[4:5], v106, off offset:152
	s_waitcnt vmcnt(0)
	global_store_dword v[99:100], v107, off
.LBB90_652:
	s_or_b32 exec_lo, exec_lo, s2
	v_mov_b32_e32 v106, v98
	v_mov_b32_e32 v107, v98
.LBB90_653:
	s_or_b32 exec_lo, exec_lo, s1
.LBB90_654:
	s_andn2_saveexec_b32 s0, s0
	s_cbranch_execz .LBB90_656
; %bb.655:
	v_mov_b32_e32 v107, 38
	ds_write2_b64 v104, v[16:17], v[14:15] offset0:39 offset1:40
	ds_write2_b64 v104, v[8:9], v[12:13] offset0:41 offset1:42
	;; [unrolled: 1-line block ×3, first 2 shown]
	ds_write_b64 v104, v[96:97] offset:360
.LBB90_656:
	s_or_b32 exec_lo, exec_lo, s0
	s_mov_b32 s0, exec_lo
	s_waitcnt lgkmcnt(0)
	s_waitcnt_vscnt null, 0x0
	s_barrier
	buffer_gl0_inv
	v_cmpx_lt_i32_e32 38, v107
	s_cbranch_execz .LBB90_658
; %bb.657:
	v_mul_f64 v[20:21], v[0:1], v[20:21]
	ds_read2_b64 v[108:111], v104 offset0:39 offset1:40
	ds_read2_b64 v[112:115], v104 offset0:41 offset1:42
	;; [unrolled: 1-line block ×3, first 2 shown]
	ds_read_b64 v[0:1], v104 offset:360
	s_waitcnt lgkmcnt(3)
	v_fma_f64 v[16:17], -v[20:21], v[108:109], v[16:17]
	v_fma_f64 v[14:15], -v[20:21], v[110:111], v[14:15]
	s_waitcnt lgkmcnt(2)
	v_fma_f64 v[8:9], -v[20:21], v[112:113], v[8:9]
	v_fma_f64 v[12:13], -v[20:21], v[114:115], v[12:13]
	;; [unrolled: 3-line block ×3, first 2 shown]
	s_waitcnt lgkmcnt(0)
	v_fma_f64 v[96:97], -v[20:21], v[0:1], v[96:97]
.LBB90_658:
	s_or_b32 exec_lo, exec_lo, s0
	v_lshl_add_u32 v0, v107, 3, v104
	s_barrier
	buffer_gl0_inv
	v_mov_b32_e32 v98, 39
	ds_write_b64 v0, v[16:17]
	s_waitcnt lgkmcnt(0)
	s_barrier
	buffer_gl0_inv
	ds_read_b64 v[0:1], v104 offset:312
	s_cmp_lt_i32 s7, 41
	s_cbranch_scc1 .LBB90_661
; %bb.659:
	v_add3_u32 v99, v105, 0, 0x140
	v_mov_b32_e32 v98, 39
	s_mov_b32 s0, 40
.LBB90_660:                             ; =>This Inner Loop Header: Depth=1
	ds_read_b64 v[108:109], v99
	v_add_nc_u32_e32 v99, 8, v99
	s_waitcnt lgkmcnt(0)
	v_cmp_lt_f64_e64 vcc_lo, |v[0:1]|, |v[108:109]|
	v_cndmask_b32_e32 v1, v1, v109, vcc_lo
	v_cndmask_b32_e32 v0, v0, v108, vcc_lo
	v_cndmask_b32_e64 v98, v98, s0, vcc_lo
	s_add_i32 s0, s0, 1
	s_cmp_lg_u32 s7, s0
	s_cbranch_scc1 .LBB90_660
.LBB90_661:
	s_mov_b32 s0, exec_lo
	s_waitcnt lgkmcnt(0)
	v_cmpx_eq_f64_e32 0, v[0:1]
	s_xor_b32 s0, exec_lo, s0
; %bb.662:
	v_cmp_ne_u32_e32 vcc_lo, 0, v101
	v_cndmask_b32_e32 v101, 40, v101, vcc_lo
; %bb.663:
	s_andn2_saveexec_b32 s0, s0
	s_cbranch_execz .LBB90_665
; %bb.664:
	v_div_scale_f64 v[99:100], null, v[0:1], v[0:1], 1.0
	v_rcp_f64_e32 v[108:109], v[99:100]
	v_fma_f64 v[110:111], -v[99:100], v[108:109], 1.0
	v_fma_f64 v[108:109], v[108:109], v[110:111], v[108:109]
	v_fma_f64 v[110:111], -v[99:100], v[108:109], 1.0
	v_fma_f64 v[108:109], v[108:109], v[110:111], v[108:109]
	v_div_scale_f64 v[110:111], vcc_lo, 1.0, v[0:1], 1.0
	v_mul_f64 v[112:113], v[110:111], v[108:109]
	v_fma_f64 v[99:100], -v[99:100], v[112:113], v[110:111]
	v_div_fmas_f64 v[99:100], v[99:100], v[108:109], v[112:113]
	v_div_fixup_f64 v[0:1], v[99:100], v[0:1], 1.0
.LBB90_665:
	s_or_b32 exec_lo, exec_lo, s0
	s_mov_b32 s0, exec_lo
	v_cmpx_ne_u32_e64 v107, v98
	s_xor_b32 s0, exec_lo, s0
	s_cbranch_execz .LBB90_671
; %bb.666:
	s_mov_b32 s1, exec_lo
	v_cmpx_eq_u32_e32 39, v107
	s_cbranch_execz .LBB90_670
; %bb.667:
	v_cmp_ne_u32_e32 vcc_lo, 39, v98
	s_xor_b32 s2, s6, -1
	s_and_b32 s3, s2, vcc_lo
	s_and_saveexec_b32 s2, s3
	s_cbranch_execz .LBB90_669
; %bb.668:
	v_ashrrev_i32_e32 v99, 31, v98
	v_lshlrev_b64 v[99:100], 2, v[98:99]
	v_add_co_u32 v99, vcc_lo, v4, v99
	v_add_co_ci_u32_e64 v100, null, v5, v100, vcc_lo
	s_clause 0x1
	global_load_dword v106, v[99:100], off
	global_load_dword v107, v[4:5], off offset:156
	s_waitcnt vmcnt(1)
	global_store_dword v[4:5], v106, off offset:156
	s_waitcnt vmcnt(0)
	global_store_dword v[99:100], v107, off
.LBB90_669:
	s_or_b32 exec_lo, exec_lo, s2
	v_mov_b32_e32 v106, v98
	v_mov_b32_e32 v107, v98
.LBB90_670:
	s_or_b32 exec_lo, exec_lo, s1
.LBB90_671:
	s_andn2_saveexec_b32 s0, s0
	s_cbranch_execz .LBB90_673
; %bb.672:
	v_mov_b32_e32 v98, v14
	v_mov_b32_e32 v99, v15
	;; [unrolled: 1-line block ×11, first 2 shown]
	ds_write2_b64 v104, v[98:99], v[108:109] offset0:40 offset1:41
	ds_write2_b64 v104, v[110:111], v[112:113] offset0:42 offset1:43
	;; [unrolled: 1-line block ×3, first 2 shown]
.LBB90_673:
	s_or_b32 exec_lo, exec_lo, s0
	s_mov_b32 s0, exec_lo
	s_waitcnt lgkmcnt(0)
	s_waitcnt_vscnt null, 0x0
	s_barrier
	buffer_gl0_inv
	v_cmpx_lt_i32_e32 39, v107
	s_cbranch_execz .LBB90_675
; %bb.674:
	v_mul_f64 v[16:17], v[0:1], v[16:17]
	ds_read2_b64 v[108:111], v104 offset0:40 offset1:41
	ds_read2_b64 v[112:115], v104 offset0:42 offset1:43
	ds_read2_b64 v[116:119], v104 offset0:44 offset1:45
	s_waitcnt lgkmcnt(2)
	v_fma_f64 v[14:15], -v[16:17], v[108:109], v[14:15]
	v_fma_f64 v[8:9], -v[16:17], v[110:111], v[8:9]
	s_waitcnt lgkmcnt(1)
	v_fma_f64 v[12:13], -v[16:17], v[112:113], v[12:13]
	v_fma_f64 v[6:7], -v[16:17], v[114:115], v[6:7]
	;; [unrolled: 3-line block ×3, first 2 shown]
.LBB90_675:
	s_or_b32 exec_lo, exec_lo, s0
	v_lshl_add_u32 v0, v107, 3, v104
	s_barrier
	buffer_gl0_inv
	v_mov_b32_e32 v98, 40
	ds_write_b64 v0, v[14:15]
	s_waitcnt lgkmcnt(0)
	s_barrier
	buffer_gl0_inv
	ds_read_b64 v[0:1], v104 offset:320
	s_cmp_lt_i32 s7, 42
	s_cbranch_scc1 .LBB90_678
; %bb.676:
	v_add3_u32 v99, v105, 0, 0x148
	v_mov_b32_e32 v98, 40
	s_mov_b32 s0, 41
.LBB90_677:                             ; =>This Inner Loop Header: Depth=1
	ds_read_b64 v[108:109], v99
	v_add_nc_u32_e32 v99, 8, v99
	s_waitcnt lgkmcnt(0)
	v_cmp_lt_f64_e64 vcc_lo, |v[0:1]|, |v[108:109]|
	v_cndmask_b32_e32 v1, v1, v109, vcc_lo
	v_cndmask_b32_e32 v0, v0, v108, vcc_lo
	v_cndmask_b32_e64 v98, v98, s0, vcc_lo
	s_add_i32 s0, s0, 1
	s_cmp_lg_u32 s7, s0
	s_cbranch_scc1 .LBB90_677
.LBB90_678:
	s_mov_b32 s0, exec_lo
	s_waitcnt lgkmcnt(0)
	v_cmpx_eq_f64_e32 0, v[0:1]
	s_xor_b32 s0, exec_lo, s0
; %bb.679:
	v_cmp_ne_u32_e32 vcc_lo, 0, v101
	v_cndmask_b32_e32 v101, 41, v101, vcc_lo
; %bb.680:
	s_andn2_saveexec_b32 s0, s0
	s_cbranch_execz .LBB90_682
; %bb.681:
	v_div_scale_f64 v[99:100], null, v[0:1], v[0:1], 1.0
	v_rcp_f64_e32 v[108:109], v[99:100]
	v_fma_f64 v[110:111], -v[99:100], v[108:109], 1.0
	v_fma_f64 v[108:109], v[108:109], v[110:111], v[108:109]
	v_fma_f64 v[110:111], -v[99:100], v[108:109], 1.0
	v_fma_f64 v[108:109], v[108:109], v[110:111], v[108:109]
	v_div_scale_f64 v[110:111], vcc_lo, 1.0, v[0:1], 1.0
	v_mul_f64 v[112:113], v[110:111], v[108:109]
	v_fma_f64 v[99:100], -v[99:100], v[112:113], v[110:111]
	v_div_fmas_f64 v[99:100], v[99:100], v[108:109], v[112:113]
	v_div_fixup_f64 v[0:1], v[99:100], v[0:1], 1.0
.LBB90_682:
	s_or_b32 exec_lo, exec_lo, s0
	s_mov_b32 s0, exec_lo
	v_cmpx_ne_u32_e64 v107, v98
	s_xor_b32 s0, exec_lo, s0
	s_cbranch_execz .LBB90_688
; %bb.683:
	s_mov_b32 s1, exec_lo
	v_cmpx_eq_u32_e32 40, v107
	s_cbranch_execz .LBB90_687
; %bb.684:
	v_cmp_ne_u32_e32 vcc_lo, 40, v98
	s_xor_b32 s2, s6, -1
	s_and_b32 s3, s2, vcc_lo
	s_and_saveexec_b32 s2, s3
	s_cbranch_execz .LBB90_686
; %bb.685:
	v_ashrrev_i32_e32 v99, 31, v98
	v_lshlrev_b64 v[99:100], 2, v[98:99]
	v_add_co_u32 v99, vcc_lo, v4, v99
	v_add_co_ci_u32_e64 v100, null, v5, v100, vcc_lo
	s_clause 0x1
	global_load_dword v106, v[99:100], off
	global_load_dword v107, v[4:5], off offset:160
	s_waitcnt vmcnt(1)
	global_store_dword v[4:5], v106, off offset:160
	s_waitcnt vmcnt(0)
	global_store_dword v[99:100], v107, off
.LBB90_686:
	s_or_b32 exec_lo, exec_lo, s2
	v_mov_b32_e32 v106, v98
	v_mov_b32_e32 v107, v98
.LBB90_687:
	s_or_b32 exec_lo, exec_lo, s1
.LBB90_688:
	s_andn2_saveexec_b32 s0, s0
	s_cbranch_execz .LBB90_690
; %bb.689:
	v_mov_b32_e32 v107, 40
	ds_write2_b64 v104, v[8:9], v[12:13] offset0:41 offset1:42
	ds_write2_b64 v104, v[6:7], v[10:11] offset0:43 offset1:44
	ds_write_b64 v104, v[96:97] offset:360
.LBB90_690:
	s_or_b32 exec_lo, exec_lo, s0
	s_mov_b32 s0, exec_lo
	s_waitcnt lgkmcnt(0)
	s_waitcnt_vscnt null, 0x0
	s_barrier
	buffer_gl0_inv
	v_cmpx_lt_i32_e32 40, v107
	s_cbranch_execz .LBB90_692
; %bb.691:
	v_mul_f64 v[14:15], v[0:1], v[14:15]
	ds_read2_b64 v[108:111], v104 offset0:41 offset1:42
	ds_read2_b64 v[112:115], v104 offset0:43 offset1:44
	ds_read_b64 v[0:1], v104 offset:360
	s_waitcnt lgkmcnt(2)
	v_fma_f64 v[8:9], -v[14:15], v[108:109], v[8:9]
	v_fma_f64 v[12:13], -v[14:15], v[110:111], v[12:13]
	s_waitcnt lgkmcnt(1)
	v_fma_f64 v[6:7], -v[14:15], v[112:113], v[6:7]
	v_fma_f64 v[10:11], -v[14:15], v[114:115], v[10:11]
	s_waitcnt lgkmcnt(0)
	v_fma_f64 v[96:97], -v[14:15], v[0:1], v[96:97]
.LBB90_692:
	s_or_b32 exec_lo, exec_lo, s0
	v_lshl_add_u32 v0, v107, 3, v104
	s_barrier
	buffer_gl0_inv
	v_mov_b32_e32 v98, 41
	ds_write_b64 v0, v[8:9]
	s_waitcnt lgkmcnt(0)
	s_barrier
	buffer_gl0_inv
	ds_read_b64 v[0:1], v104 offset:328
	s_cmp_lt_i32 s7, 43
	s_cbranch_scc1 .LBB90_695
; %bb.693:
	v_add3_u32 v99, v105, 0, 0x150
	v_mov_b32_e32 v98, 41
	s_mov_b32 s0, 42
.LBB90_694:                             ; =>This Inner Loop Header: Depth=1
	ds_read_b64 v[108:109], v99
	v_add_nc_u32_e32 v99, 8, v99
	s_waitcnt lgkmcnt(0)
	v_cmp_lt_f64_e64 vcc_lo, |v[0:1]|, |v[108:109]|
	v_cndmask_b32_e32 v1, v1, v109, vcc_lo
	v_cndmask_b32_e32 v0, v0, v108, vcc_lo
	v_cndmask_b32_e64 v98, v98, s0, vcc_lo
	s_add_i32 s0, s0, 1
	s_cmp_lg_u32 s7, s0
	s_cbranch_scc1 .LBB90_694
.LBB90_695:
	s_mov_b32 s0, exec_lo
	s_waitcnt lgkmcnt(0)
	v_cmpx_eq_f64_e32 0, v[0:1]
	s_xor_b32 s0, exec_lo, s0
; %bb.696:
	v_cmp_ne_u32_e32 vcc_lo, 0, v101
	v_cndmask_b32_e32 v101, 42, v101, vcc_lo
; %bb.697:
	s_andn2_saveexec_b32 s0, s0
	s_cbranch_execz .LBB90_699
; %bb.698:
	v_div_scale_f64 v[99:100], null, v[0:1], v[0:1], 1.0
	v_rcp_f64_e32 v[108:109], v[99:100]
	v_fma_f64 v[110:111], -v[99:100], v[108:109], 1.0
	v_fma_f64 v[108:109], v[108:109], v[110:111], v[108:109]
	v_fma_f64 v[110:111], -v[99:100], v[108:109], 1.0
	v_fma_f64 v[108:109], v[108:109], v[110:111], v[108:109]
	v_div_scale_f64 v[110:111], vcc_lo, 1.0, v[0:1], 1.0
	v_mul_f64 v[112:113], v[110:111], v[108:109]
	v_fma_f64 v[99:100], -v[99:100], v[112:113], v[110:111]
	v_div_fmas_f64 v[99:100], v[99:100], v[108:109], v[112:113]
	v_div_fixup_f64 v[0:1], v[99:100], v[0:1], 1.0
.LBB90_699:
	s_or_b32 exec_lo, exec_lo, s0
	s_mov_b32 s0, exec_lo
	v_cmpx_ne_u32_e64 v107, v98
	s_xor_b32 s0, exec_lo, s0
	s_cbranch_execz .LBB90_705
; %bb.700:
	s_mov_b32 s1, exec_lo
	v_cmpx_eq_u32_e32 41, v107
	s_cbranch_execz .LBB90_704
; %bb.701:
	v_cmp_ne_u32_e32 vcc_lo, 41, v98
	s_xor_b32 s2, s6, -1
	s_and_b32 s3, s2, vcc_lo
	s_and_saveexec_b32 s2, s3
	s_cbranch_execz .LBB90_703
; %bb.702:
	v_ashrrev_i32_e32 v99, 31, v98
	v_lshlrev_b64 v[99:100], 2, v[98:99]
	v_add_co_u32 v99, vcc_lo, v4, v99
	v_add_co_ci_u32_e64 v100, null, v5, v100, vcc_lo
	s_clause 0x1
	global_load_dword v106, v[99:100], off
	global_load_dword v107, v[4:5], off offset:164
	s_waitcnt vmcnt(1)
	global_store_dword v[4:5], v106, off offset:164
	s_waitcnt vmcnt(0)
	global_store_dword v[99:100], v107, off
.LBB90_703:
	s_or_b32 exec_lo, exec_lo, s2
	v_mov_b32_e32 v106, v98
	v_mov_b32_e32 v107, v98
.LBB90_704:
	s_or_b32 exec_lo, exec_lo, s1
.LBB90_705:
	s_andn2_saveexec_b32 s0, s0
	s_cbranch_execz .LBB90_707
; %bb.706:
	v_mov_b32_e32 v98, v12
	v_mov_b32_e32 v99, v13
	;; [unrolled: 1-line block ×7, first 2 shown]
	ds_write2_b64 v104, v[98:99], v[108:109] offset0:42 offset1:43
	ds_write2_b64 v104, v[110:111], v[96:97] offset0:44 offset1:45
.LBB90_707:
	s_or_b32 exec_lo, exec_lo, s0
	s_mov_b32 s0, exec_lo
	s_waitcnt lgkmcnt(0)
	s_waitcnt_vscnt null, 0x0
	s_barrier
	buffer_gl0_inv
	v_cmpx_lt_i32_e32 41, v107
	s_cbranch_execz .LBB90_709
; %bb.708:
	v_mul_f64 v[8:9], v[0:1], v[8:9]
	ds_read2_b64 v[108:111], v104 offset0:42 offset1:43
	ds_read2_b64 v[112:115], v104 offset0:44 offset1:45
	s_waitcnt lgkmcnt(1)
	v_fma_f64 v[12:13], -v[8:9], v[108:109], v[12:13]
	v_fma_f64 v[6:7], -v[8:9], v[110:111], v[6:7]
	s_waitcnt lgkmcnt(0)
	v_fma_f64 v[10:11], -v[8:9], v[112:113], v[10:11]
	v_fma_f64 v[96:97], -v[8:9], v[114:115], v[96:97]
.LBB90_709:
	s_or_b32 exec_lo, exec_lo, s0
	v_lshl_add_u32 v0, v107, 3, v104
	s_barrier
	buffer_gl0_inv
	v_mov_b32_e32 v98, 42
	ds_write_b64 v0, v[12:13]
	s_waitcnt lgkmcnt(0)
	s_barrier
	buffer_gl0_inv
	ds_read_b64 v[0:1], v104 offset:336
	s_cmp_lt_i32 s7, 44
	s_cbranch_scc1 .LBB90_712
; %bb.710:
	v_add3_u32 v99, v105, 0, 0x158
	v_mov_b32_e32 v98, 42
	s_mov_b32 s0, 43
.LBB90_711:                             ; =>This Inner Loop Header: Depth=1
	ds_read_b64 v[108:109], v99
	v_add_nc_u32_e32 v99, 8, v99
	s_waitcnt lgkmcnt(0)
	v_cmp_lt_f64_e64 vcc_lo, |v[0:1]|, |v[108:109]|
	v_cndmask_b32_e32 v1, v1, v109, vcc_lo
	v_cndmask_b32_e32 v0, v0, v108, vcc_lo
	v_cndmask_b32_e64 v98, v98, s0, vcc_lo
	s_add_i32 s0, s0, 1
	s_cmp_lg_u32 s7, s0
	s_cbranch_scc1 .LBB90_711
.LBB90_712:
	s_mov_b32 s0, exec_lo
	s_waitcnt lgkmcnt(0)
	v_cmpx_eq_f64_e32 0, v[0:1]
	s_xor_b32 s0, exec_lo, s0
; %bb.713:
	v_cmp_ne_u32_e32 vcc_lo, 0, v101
	v_cndmask_b32_e32 v101, 43, v101, vcc_lo
; %bb.714:
	s_andn2_saveexec_b32 s0, s0
	s_cbranch_execz .LBB90_716
; %bb.715:
	v_div_scale_f64 v[99:100], null, v[0:1], v[0:1], 1.0
	v_rcp_f64_e32 v[108:109], v[99:100]
	v_fma_f64 v[110:111], -v[99:100], v[108:109], 1.0
	v_fma_f64 v[108:109], v[108:109], v[110:111], v[108:109]
	v_fma_f64 v[110:111], -v[99:100], v[108:109], 1.0
	v_fma_f64 v[108:109], v[108:109], v[110:111], v[108:109]
	v_div_scale_f64 v[110:111], vcc_lo, 1.0, v[0:1], 1.0
	v_mul_f64 v[112:113], v[110:111], v[108:109]
	v_fma_f64 v[99:100], -v[99:100], v[112:113], v[110:111]
	v_div_fmas_f64 v[99:100], v[99:100], v[108:109], v[112:113]
	v_div_fixup_f64 v[0:1], v[99:100], v[0:1], 1.0
.LBB90_716:
	s_or_b32 exec_lo, exec_lo, s0
	s_mov_b32 s0, exec_lo
	v_cmpx_ne_u32_e64 v107, v98
	s_xor_b32 s0, exec_lo, s0
	s_cbranch_execz .LBB90_722
; %bb.717:
	s_mov_b32 s1, exec_lo
	v_cmpx_eq_u32_e32 42, v107
	s_cbranch_execz .LBB90_721
; %bb.718:
	v_cmp_ne_u32_e32 vcc_lo, 42, v98
	s_xor_b32 s2, s6, -1
	s_and_b32 s3, s2, vcc_lo
	s_and_saveexec_b32 s2, s3
	s_cbranch_execz .LBB90_720
; %bb.719:
	v_ashrrev_i32_e32 v99, 31, v98
	v_lshlrev_b64 v[99:100], 2, v[98:99]
	v_add_co_u32 v99, vcc_lo, v4, v99
	v_add_co_ci_u32_e64 v100, null, v5, v100, vcc_lo
	s_clause 0x1
	global_load_dword v106, v[99:100], off
	global_load_dword v107, v[4:5], off offset:168
	s_waitcnt vmcnt(1)
	global_store_dword v[4:5], v106, off offset:168
	s_waitcnt vmcnt(0)
	global_store_dword v[99:100], v107, off
.LBB90_720:
	s_or_b32 exec_lo, exec_lo, s2
	v_mov_b32_e32 v106, v98
	v_mov_b32_e32 v107, v98
.LBB90_721:
	s_or_b32 exec_lo, exec_lo, s1
.LBB90_722:
	s_andn2_saveexec_b32 s0, s0
	s_cbranch_execz .LBB90_724
; %bb.723:
	v_mov_b32_e32 v107, 42
	ds_write2_b64 v104, v[6:7], v[10:11] offset0:43 offset1:44
	ds_write_b64 v104, v[96:97] offset:360
.LBB90_724:
	s_or_b32 exec_lo, exec_lo, s0
	s_mov_b32 s0, exec_lo
	s_waitcnt lgkmcnt(0)
	s_waitcnt_vscnt null, 0x0
	s_barrier
	buffer_gl0_inv
	v_cmpx_lt_i32_e32 42, v107
	s_cbranch_execz .LBB90_726
; %bb.725:
	v_mul_f64 v[12:13], v[0:1], v[12:13]
	ds_read2_b64 v[108:111], v104 offset0:43 offset1:44
	ds_read_b64 v[0:1], v104 offset:360
	s_waitcnt lgkmcnt(1)
	v_fma_f64 v[6:7], -v[12:13], v[108:109], v[6:7]
	v_fma_f64 v[10:11], -v[12:13], v[110:111], v[10:11]
	s_waitcnt lgkmcnt(0)
	v_fma_f64 v[96:97], -v[12:13], v[0:1], v[96:97]
.LBB90_726:
	s_or_b32 exec_lo, exec_lo, s0
	v_lshl_add_u32 v0, v107, 3, v104
	s_barrier
	buffer_gl0_inv
	v_mov_b32_e32 v98, 43
	ds_write_b64 v0, v[6:7]
	s_waitcnt lgkmcnt(0)
	s_barrier
	buffer_gl0_inv
	ds_read_b64 v[0:1], v104 offset:344
	s_cmp_lt_i32 s7, 45
	s_cbranch_scc1 .LBB90_729
; %bb.727:
	v_add3_u32 v99, v105, 0, 0x160
	v_mov_b32_e32 v98, 43
	s_mov_b32 s0, 44
.LBB90_728:                             ; =>This Inner Loop Header: Depth=1
	ds_read_b64 v[108:109], v99
	v_add_nc_u32_e32 v99, 8, v99
	s_waitcnt lgkmcnt(0)
	v_cmp_lt_f64_e64 vcc_lo, |v[0:1]|, |v[108:109]|
	v_cndmask_b32_e32 v1, v1, v109, vcc_lo
	v_cndmask_b32_e32 v0, v0, v108, vcc_lo
	v_cndmask_b32_e64 v98, v98, s0, vcc_lo
	s_add_i32 s0, s0, 1
	s_cmp_lg_u32 s7, s0
	s_cbranch_scc1 .LBB90_728
.LBB90_729:
	s_mov_b32 s0, exec_lo
	s_waitcnt lgkmcnt(0)
	v_cmpx_eq_f64_e32 0, v[0:1]
	s_xor_b32 s0, exec_lo, s0
; %bb.730:
	v_cmp_ne_u32_e32 vcc_lo, 0, v101
	v_cndmask_b32_e32 v101, 44, v101, vcc_lo
; %bb.731:
	s_andn2_saveexec_b32 s0, s0
	s_cbranch_execz .LBB90_733
; %bb.732:
	v_div_scale_f64 v[99:100], null, v[0:1], v[0:1], 1.0
	v_rcp_f64_e32 v[108:109], v[99:100]
	v_fma_f64 v[110:111], -v[99:100], v[108:109], 1.0
	v_fma_f64 v[108:109], v[108:109], v[110:111], v[108:109]
	v_fma_f64 v[110:111], -v[99:100], v[108:109], 1.0
	v_fma_f64 v[108:109], v[108:109], v[110:111], v[108:109]
	v_div_scale_f64 v[110:111], vcc_lo, 1.0, v[0:1], 1.0
	v_mul_f64 v[112:113], v[110:111], v[108:109]
	v_fma_f64 v[99:100], -v[99:100], v[112:113], v[110:111]
	v_div_fmas_f64 v[99:100], v[99:100], v[108:109], v[112:113]
	v_div_fixup_f64 v[0:1], v[99:100], v[0:1], 1.0
.LBB90_733:
	s_or_b32 exec_lo, exec_lo, s0
	s_mov_b32 s0, exec_lo
	v_cmpx_ne_u32_e64 v107, v98
	s_xor_b32 s0, exec_lo, s0
	s_cbranch_execz .LBB90_739
; %bb.734:
	s_mov_b32 s1, exec_lo
	v_cmpx_eq_u32_e32 43, v107
	s_cbranch_execz .LBB90_738
; %bb.735:
	v_cmp_ne_u32_e32 vcc_lo, 43, v98
	s_xor_b32 s2, s6, -1
	s_and_b32 s3, s2, vcc_lo
	s_and_saveexec_b32 s2, s3
	s_cbranch_execz .LBB90_737
; %bb.736:
	v_ashrrev_i32_e32 v99, 31, v98
	v_lshlrev_b64 v[99:100], 2, v[98:99]
	v_add_co_u32 v99, vcc_lo, v4, v99
	v_add_co_ci_u32_e64 v100, null, v5, v100, vcc_lo
	s_clause 0x1
	global_load_dword v106, v[99:100], off
	global_load_dword v107, v[4:5], off offset:172
	s_waitcnt vmcnt(1)
	global_store_dword v[4:5], v106, off offset:172
	s_waitcnt vmcnt(0)
	global_store_dword v[99:100], v107, off
.LBB90_737:
	s_or_b32 exec_lo, exec_lo, s2
	v_mov_b32_e32 v106, v98
	v_mov_b32_e32 v107, v98
.LBB90_738:
	s_or_b32 exec_lo, exec_lo, s1
.LBB90_739:
	s_andn2_saveexec_b32 s0, s0
	s_cbranch_execz .LBB90_741
; %bb.740:
	v_mov_b32_e32 v98, v10
	v_mov_b32_e32 v99, v11
	;; [unrolled: 1-line block ×3, first 2 shown]
	ds_write2_b64 v104, v[98:99], v[96:97] offset0:44 offset1:45
.LBB90_741:
	s_or_b32 exec_lo, exec_lo, s0
	s_mov_b32 s0, exec_lo
	s_waitcnt lgkmcnt(0)
	s_waitcnt_vscnt null, 0x0
	s_barrier
	buffer_gl0_inv
	v_cmpx_lt_i32_e32 43, v107
	s_cbranch_execz .LBB90_743
; %bb.742:
	v_mul_f64 v[6:7], v[0:1], v[6:7]
	ds_read2_b64 v[108:111], v104 offset0:44 offset1:45
	s_waitcnt lgkmcnt(0)
	v_fma_f64 v[10:11], -v[6:7], v[108:109], v[10:11]
	v_fma_f64 v[96:97], -v[6:7], v[110:111], v[96:97]
.LBB90_743:
	s_or_b32 exec_lo, exec_lo, s0
	v_lshl_add_u32 v0, v107, 3, v104
	s_barrier
	buffer_gl0_inv
	v_mov_b32_e32 v98, 44
	ds_write_b64 v0, v[10:11]
	s_waitcnt lgkmcnt(0)
	s_barrier
	buffer_gl0_inv
	ds_read_b64 v[0:1], v104 offset:352
	s_cmp_lt_i32 s7, 46
	s_cbranch_scc1 .LBB90_746
; %bb.744:
	v_add3_u32 v99, v105, 0, 0x168
	v_mov_b32_e32 v98, 44
	s_mov_b32 s0, 45
.LBB90_745:                             ; =>This Inner Loop Header: Depth=1
	ds_read_b64 v[108:109], v99
	v_add_nc_u32_e32 v99, 8, v99
	s_waitcnt lgkmcnt(0)
	v_cmp_lt_f64_e64 vcc_lo, |v[0:1]|, |v[108:109]|
	v_cndmask_b32_e32 v1, v1, v109, vcc_lo
	v_cndmask_b32_e32 v0, v0, v108, vcc_lo
	v_cndmask_b32_e64 v98, v98, s0, vcc_lo
	s_add_i32 s0, s0, 1
	s_cmp_lg_u32 s7, s0
	s_cbranch_scc1 .LBB90_745
.LBB90_746:
	s_mov_b32 s0, exec_lo
	s_waitcnt lgkmcnt(0)
	v_cmpx_eq_f64_e32 0, v[0:1]
	s_xor_b32 s0, exec_lo, s0
; %bb.747:
	v_cmp_ne_u32_e32 vcc_lo, 0, v101
	v_cndmask_b32_e32 v101, 45, v101, vcc_lo
; %bb.748:
	s_andn2_saveexec_b32 s0, s0
	s_cbranch_execz .LBB90_750
; %bb.749:
	v_div_scale_f64 v[99:100], null, v[0:1], v[0:1], 1.0
	v_rcp_f64_e32 v[108:109], v[99:100]
	v_fma_f64 v[110:111], -v[99:100], v[108:109], 1.0
	v_fma_f64 v[108:109], v[108:109], v[110:111], v[108:109]
	v_fma_f64 v[110:111], -v[99:100], v[108:109], 1.0
	v_fma_f64 v[108:109], v[108:109], v[110:111], v[108:109]
	v_div_scale_f64 v[110:111], vcc_lo, 1.0, v[0:1], 1.0
	v_mul_f64 v[112:113], v[110:111], v[108:109]
	v_fma_f64 v[99:100], -v[99:100], v[112:113], v[110:111]
	v_div_fmas_f64 v[99:100], v[99:100], v[108:109], v[112:113]
	v_div_fixup_f64 v[0:1], v[99:100], v[0:1], 1.0
.LBB90_750:
	s_or_b32 exec_lo, exec_lo, s0
	s_mov_b32 s0, exec_lo
	v_cmpx_ne_u32_e64 v107, v98
	s_xor_b32 s0, exec_lo, s0
	s_cbranch_execz .LBB90_756
; %bb.751:
	s_mov_b32 s1, exec_lo
	v_cmpx_eq_u32_e32 44, v107
	s_cbranch_execz .LBB90_755
; %bb.752:
	v_cmp_ne_u32_e32 vcc_lo, 44, v98
	s_xor_b32 s2, s6, -1
	s_and_b32 s3, s2, vcc_lo
	s_and_saveexec_b32 s2, s3
	s_cbranch_execz .LBB90_754
; %bb.753:
	v_ashrrev_i32_e32 v99, 31, v98
	v_lshlrev_b64 v[99:100], 2, v[98:99]
	v_add_co_u32 v99, vcc_lo, v4, v99
	v_add_co_ci_u32_e64 v100, null, v5, v100, vcc_lo
	s_clause 0x1
	global_load_dword v106, v[99:100], off
	global_load_dword v107, v[4:5], off offset:176
	s_waitcnt vmcnt(1)
	global_store_dword v[4:5], v106, off offset:176
	s_waitcnt vmcnt(0)
	global_store_dword v[99:100], v107, off
.LBB90_754:
	s_or_b32 exec_lo, exec_lo, s2
	v_mov_b32_e32 v106, v98
	v_mov_b32_e32 v107, v98
.LBB90_755:
	s_or_b32 exec_lo, exec_lo, s1
.LBB90_756:
	s_andn2_saveexec_b32 s0, s0
; %bb.757:
	v_mov_b32_e32 v107, 44
	ds_write_b64 v104, v[96:97] offset:360
; %bb.758:
	s_or_b32 exec_lo, exec_lo, s0
	s_mov_b32 s0, exec_lo
	s_waitcnt lgkmcnt(0)
	s_waitcnt_vscnt null, 0x0
	s_barrier
	buffer_gl0_inv
	v_cmpx_lt_i32_e32 44, v107
	s_cbranch_execz .LBB90_760
; %bb.759:
	v_mul_f64 v[10:11], v[0:1], v[10:11]
	ds_read_b64 v[0:1], v104 offset:360
	s_waitcnt lgkmcnt(0)
	v_fma_f64 v[96:97], -v[10:11], v[0:1], v[96:97]
.LBB90_760:
	s_or_b32 exec_lo, exec_lo, s0
	v_lshl_add_u32 v0, v107, 3, v104
	s_barrier
	buffer_gl0_inv
	v_mov_b32_e32 v98, 45
	ds_write_b64 v0, v[96:97]
	s_waitcnt lgkmcnt(0)
	s_barrier
	buffer_gl0_inv
	ds_read_b64 v[0:1], v104 offset:360
	s_cmp_lt_i32 s7, 47
	s_cbranch_scc1 .LBB90_763
; %bb.761:
	v_add3_u32 v99, v105, 0, 0x170
	v_mov_b32_e32 v98, 45
	s_mov_b32 s0, 46
.LBB90_762:                             ; =>This Inner Loop Header: Depth=1
	ds_read_b64 v[104:105], v99
	v_add_nc_u32_e32 v99, 8, v99
	s_waitcnt lgkmcnt(0)
	v_cmp_lt_f64_e64 vcc_lo, |v[0:1]|, |v[104:105]|
	v_cndmask_b32_e32 v1, v1, v105, vcc_lo
	v_cndmask_b32_e32 v0, v0, v104, vcc_lo
	v_cndmask_b32_e64 v98, v98, s0, vcc_lo
	s_add_i32 s0, s0, 1
	s_cmp_lg_u32 s7, s0
	s_cbranch_scc1 .LBB90_762
.LBB90_763:
	s_mov_b32 s0, exec_lo
	s_waitcnt lgkmcnt(0)
	v_cmpx_eq_f64_e32 0, v[0:1]
	s_xor_b32 s0, exec_lo, s0
; %bb.764:
	v_cmp_ne_u32_e32 vcc_lo, 0, v101
	v_cndmask_b32_e32 v101, 46, v101, vcc_lo
; %bb.765:
	s_andn2_saveexec_b32 s0, s0
	s_cbranch_execz .LBB90_767
; %bb.766:
	v_div_scale_f64 v[99:100], null, v[0:1], v[0:1], 1.0
	v_rcp_f64_e32 v[104:105], v[99:100]
	v_fma_f64 v[108:109], -v[99:100], v[104:105], 1.0
	v_fma_f64 v[104:105], v[104:105], v[108:109], v[104:105]
	v_fma_f64 v[108:109], -v[99:100], v[104:105], 1.0
	v_fma_f64 v[104:105], v[104:105], v[108:109], v[104:105]
	v_div_scale_f64 v[108:109], vcc_lo, 1.0, v[0:1], 1.0
	v_mul_f64 v[110:111], v[108:109], v[104:105]
	v_fma_f64 v[99:100], -v[99:100], v[110:111], v[108:109]
	v_div_fmas_f64 v[99:100], v[99:100], v[104:105], v[110:111]
	v_div_fixup_f64 v[0:1], v[99:100], v[0:1], 1.0
.LBB90_767:
	s_or_b32 exec_lo, exec_lo, s0
	v_mov_b32_e32 v99, 45
	s_mov_b32 s0, exec_lo
	v_cmpx_ne_u32_e64 v107, v98
	s_cbranch_execz .LBB90_773
; %bb.768:
	s_mov_b32 s1, exec_lo
	v_cmpx_eq_u32_e32 45, v107
	s_cbranch_execz .LBB90_772
; %bb.769:
	v_cmp_ne_u32_e32 vcc_lo, 45, v98
	s_xor_b32 s2, s6, -1
	s_and_b32 s3, s2, vcc_lo
	s_and_saveexec_b32 s2, s3
	s_cbranch_execz .LBB90_771
; %bb.770:
	v_ashrrev_i32_e32 v99, 31, v98
	v_lshlrev_b64 v[99:100], 2, v[98:99]
	v_add_co_u32 v99, vcc_lo, v4, v99
	v_add_co_ci_u32_e64 v100, null, v5, v100, vcc_lo
	s_clause 0x1
	global_load_dword v104, v[99:100], off
	global_load_dword v105, v[4:5], off offset:180
	s_waitcnt vmcnt(1)
	global_store_dword v[4:5], v104, off offset:180
	s_waitcnt vmcnt(0)
	global_store_dword v[99:100], v105, off
.LBB90_771:
	s_or_b32 exec_lo, exec_lo, s2
	v_mov_b32_e32 v106, v98
	v_mov_b32_e32 v107, v98
.LBB90_772:
	s_or_b32 exec_lo, exec_lo, s1
	v_mov_b32_e32 v99, v107
.LBB90_773:
	s_or_b32 exec_lo, exec_lo, s0
	s_load_dwordx8 s[0:7], s[4:5], 0x28
	v_ashrrev_i32_e32 v100, 31, v99
	s_mov_b32 s9, exec_lo
	s_waitcnt lgkmcnt(0)
	s_waitcnt_vscnt null, 0x0
	s_barrier
	buffer_gl0_inv
	s_barrier
	buffer_gl0_inv
	v_cmpx_gt_i32_e32 46, v99
	s_cbranch_execz .LBB90_775
; %bb.774:
	v_mul_lo_u32 v98, s5, v2
	v_mul_lo_u32 v104, s4, v3
	v_mad_u64_u32 v[4:5], null, s4, v2, 0
	s_lshl_b64 s[2:3], s[2:3], 2
	v_add3_u32 v5, v5, v104, v98
	v_lshlrev_b64 v[4:5], 2, v[4:5]
	v_add_co_u32 v98, vcc_lo, s0, v4
	v_add_co_ci_u32_e64 v104, null, s1, v5, vcc_lo
	v_lshlrev_b64 v[4:5], 2, v[99:100]
	v_add_co_u32 v98, vcc_lo, v98, s2
	v_add_co_ci_u32_e64 v104, null, s3, v104, vcc_lo
	v_add_co_u32 v4, vcc_lo, v98, v4
	v_add_co_ci_u32_e64 v5, null, v104, v5, vcc_lo
	v_add3_u32 v98, v106, s13, 1
	global_store_dword v[4:5], v98, off
.LBB90_775:
	s_or_b32 exec_lo, exec_lo, s9
	s_mov_b32 s1, exec_lo
	v_cmpx_eq_u32_e32 0, v99
	s_cbranch_execz .LBB90_778
; %bb.776:
	v_lshlrev_b64 v[2:3], 2, v[2:3]
	v_cmp_ne_u32_e64 s0, 0, v101
	v_add_co_u32 v2, vcc_lo, s6, v2
	v_add_co_ci_u32_e64 v3, null, s7, v3, vcc_lo
	global_load_dword v4, v[2:3], off
	s_waitcnt vmcnt(0)
	v_cmp_eq_u32_e32 vcc_lo, 0, v4
	s_and_b32 s0, vcc_lo, s0
	s_and_b32 exec_lo, exec_lo, s0
	s_cbranch_execz .LBB90_778
; %bb.777:
	v_add_nc_u32_e32 v4, s13, v101
	global_store_dword v[2:3], v4, off
.LBB90_778:
	s_or_b32 exec_lo, exec_lo, s1
	v_mul_f64 v[0:1], v[0:1], v[96:97]
	v_add3_u32 v2, s8, s8, v99
	v_lshlrev_b64 v[4:5], 3, v[99:100]
	v_add_nc_u32_e32 v98, s8, v2
	v_ashrrev_i32_e32 v3, 31, v2
	v_add_co_u32 v4, vcc_lo, v102, v4
	v_add_co_ci_u32_e64 v5, null, v103, v5, vcc_lo
	v_cmp_lt_i32_e32 vcc_lo, 45, v99
	v_ashrrev_i32_e32 v99, 31, v98
	v_lshlrev_b64 v[2:3], 3, v[2:3]
	flat_store_dwordx2 v[4:5], v[94:95]
	v_add_nc_u32_e32 v100, s8, v98
	v_add_co_u32 v4, s0, v4, s10
	v_lshlrev_b64 v[94:95], 3, v[98:99]
	v_add_co_ci_u32_e64 v5, null, s11, v5, s0
	v_cndmask_b32_e32 v1, v97, v1, vcc_lo
	v_cndmask_b32_e32 v0, v96, v0, vcc_lo
	v_add_co_u32 v2, vcc_lo, v102, v2
	v_add_co_ci_u32_e64 v3, null, v103, v3, vcc_lo
	v_add_co_u32 v94, vcc_lo, v102, v94
	v_add_nc_u32_e32 v96, s8, v100
	v_add_co_ci_u32_e64 v95, null, v103, v95, vcc_lo
	v_ashrrev_i32_e32 v101, 31, v100
	flat_store_dwordx2 v[4:5], v[92:93]
	flat_store_dwordx2 v[2:3], v[90:91]
	flat_store_dwordx2 v[94:95], v[88:89]
	v_add_nc_u32_e32 v88, s8, v96
	v_ashrrev_i32_e32 v97, 31, v96
	v_lshlrev_b64 v[4:5], 3, v[100:101]
	v_add_nc_u32_e32 v90, s8, v88
	v_lshlrev_b64 v[2:3], 3, v[96:97]
	v_ashrrev_i32_e32 v89, 31, v88
	v_add_co_u32 v4, vcc_lo, v102, v4
	v_add_nc_u32_e32 v92, s8, v90
	v_add_co_ci_u32_e64 v5, null, v103, v5, vcc_lo
	v_add_co_u32 v2, vcc_lo, v102, v2
	v_ashrrev_i32_e32 v91, 31, v90
	v_add_co_ci_u32_e64 v3, null, v103, v3, vcc_lo
	v_ashrrev_i32_e32 v93, 31, v92
	v_lshlrev_b64 v[88:89], 3, v[88:89]
	flat_store_dwordx2 v[4:5], v[86:87]
	flat_store_dwordx2 v[2:3], v[84:85]
	v_lshlrev_b64 v[2:3], 3, v[90:91]
	v_add_nc_u32_e32 v86, s8, v92
	v_lshlrev_b64 v[84:85], 3, v[92:93]
	v_add_co_u32 v4, vcc_lo, v102, v88
	v_add_co_ci_u32_e64 v5, null, v103, v89, vcc_lo
	v_add_co_u32 v2, vcc_lo, v102, v2
	v_add_co_ci_u32_e64 v3, null, v103, v3, vcc_lo
	v_add_co_u32 v84, vcc_lo, v102, v84
	v_add_nc_u32_e32 v88, s8, v86
	v_add_co_ci_u32_e64 v85, null, v103, v85, vcc_lo
	v_ashrrev_i32_e32 v87, 31, v86
	flat_store_dwordx2 v[4:5], v[82:83]
	flat_store_dwordx2 v[2:3], v[78:79]
	flat_store_dwordx2 v[84:85], v[80:81]
	v_add_nc_u32_e32 v78, s8, v88
	v_ashrrev_i32_e32 v89, 31, v88
	v_lshlrev_b64 v[4:5], 3, v[86:87]
	v_add_nc_u32_e32 v80, s8, v78
	v_lshlrev_b64 v[2:3], 3, v[88:89]
	v_ashrrev_i32_e32 v79, 31, v78
	v_add_co_u32 v4, vcc_lo, v102, v4
	v_add_nc_u32_e32 v82, s8, v80
	v_add_co_ci_u32_e64 v5, null, v103, v5, vcc_lo
	v_add_co_u32 v2, vcc_lo, v102, v2
	v_ashrrev_i32_e32 v81, 31, v80
	v_add_co_ci_u32_e64 v3, null, v103, v3, vcc_lo
	v_ashrrev_i32_e32 v83, 31, v82
	v_lshlrev_b64 v[78:79], 3, v[78:79]
	flat_store_dwordx2 v[4:5], v[74:75]
	flat_store_dwordx2 v[2:3], v[76:77]
	v_lshlrev_b64 v[2:3], 3, v[80:81]
	v_add_nc_u32_e32 v76, s8, v82
	v_lshlrev_b64 v[74:75], 3, v[82:83]
	v_add_co_u32 v4, vcc_lo, v102, v78
	v_add_co_ci_u32_e64 v5, null, v103, v79, vcc_lo
	;; [unrolled: 30-line block ×7, first 2 shown]
	v_add_co_u32 v2, vcc_lo, v102, v2
	v_add_nc_u32_e32 v28, s8, v26
	v_add_co_ci_u32_e64 v3, null, v103, v3, vcc_lo
	v_add_co_u32 v24, vcc_lo, v102, v24
	v_ashrrev_i32_e32 v27, 31, v26
	v_add_co_ci_u32_e64 v25, null, v103, v25, vcc_lo
	v_ashrrev_i32_e32 v29, 31, v28
	flat_store_dwordx2 v[4:5], v[22:23]
	v_lshlrev_b64 v[4:5], 3, v[26:27]
	flat_store_dwordx2 v[2:3], v[18:19]
	flat_store_dwordx2 v[24:25], v[20:21]
	v_add_nc_u32_e32 v18, s8, v28
	v_lshlrev_b64 v[2:3], 3, v[28:29]
	v_add_co_u32 v4, vcc_lo, v102, v4
	v_add_nc_u32_e32 v20, s8, v18
	v_add_co_ci_u32_e64 v5, null, v103, v5, vcc_lo
	v_add_co_u32 v2, vcc_lo, v102, v2
	v_add_co_ci_u32_e64 v3, null, v103, v3, vcc_lo
	v_add_nc_u32_e32 v22, s8, v20
	v_ashrrev_i32_e32 v19, 31, v18
	flat_store_dwordx2 v[4:5], v[16:17]
	flat_store_dwordx2 v[2:3], v[14:15]
	v_ashrrev_i32_e32 v21, 31, v20
	v_add_nc_u32_e32 v14, s8, v22
	v_lshlrev_b64 v[4:5], 3, v[18:19]
	v_ashrrev_i32_e32 v23, 31, v22
	v_lshlrev_b64 v[2:3], 3, v[20:21]
	v_add_nc_u32_e32 v18, s8, v14
	v_ashrrev_i32_e32 v15, 31, v14
	v_lshlrev_b64 v[16:17], 3, v[22:23]
	v_add_co_u32 v4, vcc_lo, v102, v4
	v_ashrrev_i32_e32 v19, 31, v18
	v_lshlrev_b64 v[14:15], 3, v[14:15]
	v_add_co_ci_u32_e64 v5, null, v103, v5, vcc_lo
	v_add_co_u32 v2, vcc_lo, v102, v2
	v_lshlrev_b64 v[18:19], 3, v[18:19]
	v_add_co_ci_u32_e64 v3, null, v103, v3, vcc_lo
	v_add_co_u32 v16, vcc_lo, v102, v16
	v_add_co_ci_u32_e64 v17, null, v103, v17, vcc_lo
	v_add_co_u32 v14, vcc_lo, v102, v14
	;; [unrolled: 2-line block ×3, first 2 shown]
	v_add_co_ci_u32_e64 v19, null, v103, v19, vcc_lo
	flat_store_dwordx2 v[4:5], v[8:9]
	flat_store_dwordx2 v[2:3], v[12:13]
	;; [unrolled: 1-line block ×5, first 2 shown]
.LBB90_779:
	s_endpgm
	.section	.rodata,"a",@progbits
	.p2align	6, 0x0
	.amdhsa_kernel _ZN9rocsolver6v33100L18getf2_small_kernelILi46EdiiPKPdEEvT1_T3_lS5_lPS5_llPT2_S5_S5_S7_l
		.amdhsa_group_segment_fixed_size 0
		.amdhsa_private_segment_fixed_size 0
		.amdhsa_kernarg_size 352
		.amdhsa_user_sgpr_count 6
		.amdhsa_user_sgpr_private_segment_buffer 1
		.amdhsa_user_sgpr_dispatch_ptr 0
		.amdhsa_user_sgpr_queue_ptr 0
		.amdhsa_user_sgpr_kernarg_segment_ptr 1
		.amdhsa_user_sgpr_dispatch_id 0
		.amdhsa_user_sgpr_flat_scratch_init 0
		.amdhsa_user_sgpr_private_segment_size 0
		.amdhsa_wavefront_size32 1
		.amdhsa_uses_dynamic_stack 0
		.amdhsa_system_sgpr_private_segment_wavefront_offset 0
		.amdhsa_system_sgpr_workgroup_id_x 1
		.amdhsa_system_sgpr_workgroup_id_y 1
		.amdhsa_system_sgpr_workgroup_id_z 0
		.amdhsa_system_sgpr_workgroup_info 0
		.amdhsa_system_vgpr_workitem_id 1
		.amdhsa_next_free_vgpr 192
		.amdhsa_next_free_sgpr 14
		.amdhsa_reserve_vcc 1
		.amdhsa_reserve_flat_scratch 1
		.amdhsa_float_round_mode_32 0
		.amdhsa_float_round_mode_16_64 0
		.amdhsa_float_denorm_mode_32 3
		.amdhsa_float_denorm_mode_16_64 3
		.amdhsa_dx10_clamp 1
		.amdhsa_ieee_mode 1
		.amdhsa_fp16_overflow 0
		.amdhsa_workgroup_processor_mode 1
		.amdhsa_memory_ordered 1
		.amdhsa_forward_progress 1
		.amdhsa_shared_vgpr_count 0
		.amdhsa_exception_fp_ieee_invalid_op 0
		.amdhsa_exception_fp_denorm_src 0
		.amdhsa_exception_fp_ieee_div_zero 0
		.amdhsa_exception_fp_ieee_overflow 0
		.amdhsa_exception_fp_ieee_underflow 0
		.amdhsa_exception_fp_ieee_inexact 0
		.amdhsa_exception_int_div_zero 0
	.end_amdhsa_kernel
	.section	.text._ZN9rocsolver6v33100L18getf2_small_kernelILi46EdiiPKPdEEvT1_T3_lS5_lPS5_llPT2_S5_S5_S7_l,"axG",@progbits,_ZN9rocsolver6v33100L18getf2_small_kernelILi46EdiiPKPdEEvT1_T3_lS5_lPS5_llPT2_S5_S5_S7_l,comdat
.Lfunc_end90:
	.size	_ZN9rocsolver6v33100L18getf2_small_kernelILi46EdiiPKPdEEvT1_T3_lS5_lPS5_llPT2_S5_S5_S7_l, .Lfunc_end90-_ZN9rocsolver6v33100L18getf2_small_kernelILi46EdiiPKPdEEvT1_T3_lS5_lPS5_llPT2_S5_S5_S7_l
                                        ; -- End function
	.set _ZN9rocsolver6v33100L18getf2_small_kernelILi46EdiiPKPdEEvT1_T3_lS5_lPS5_llPT2_S5_S5_S7_l.num_vgpr, 192
	.set _ZN9rocsolver6v33100L18getf2_small_kernelILi46EdiiPKPdEEvT1_T3_lS5_lPS5_llPT2_S5_S5_S7_l.num_agpr, 0
	.set _ZN9rocsolver6v33100L18getf2_small_kernelILi46EdiiPKPdEEvT1_T3_lS5_lPS5_llPT2_S5_S5_S7_l.numbered_sgpr, 14
	.set _ZN9rocsolver6v33100L18getf2_small_kernelILi46EdiiPKPdEEvT1_T3_lS5_lPS5_llPT2_S5_S5_S7_l.num_named_barrier, 0
	.set _ZN9rocsolver6v33100L18getf2_small_kernelILi46EdiiPKPdEEvT1_T3_lS5_lPS5_llPT2_S5_S5_S7_l.private_seg_size, 0
	.set _ZN9rocsolver6v33100L18getf2_small_kernelILi46EdiiPKPdEEvT1_T3_lS5_lPS5_llPT2_S5_S5_S7_l.uses_vcc, 1
	.set _ZN9rocsolver6v33100L18getf2_small_kernelILi46EdiiPKPdEEvT1_T3_lS5_lPS5_llPT2_S5_S5_S7_l.uses_flat_scratch, 1
	.set _ZN9rocsolver6v33100L18getf2_small_kernelILi46EdiiPKPdEEvT1_T3_lS5_lPS5_llPT2_S5_S5_S7_l.has_dyn_sized_stack, 0
	.set _ZN9rocsolver6v33100L18getf2_small_kernelILi46EdiiPKPdEEvT1_T3_lS5_lPS5_llPT2_S5_S5_S7_l.has_recursion, 0
	.set _ZN9rocsolver6v33100L18getf2_small_kernelILi46EdiiPKPdEEvT1_T3_lS5_lPS5_llPT2_S5_S5_S7_l.has_indirect_call, 0
	.section	.AMDGPU.csdata,"",@progbits
; Kernel info:
; codeLenInByte = 47808
; TotalNumSgprs: 16
; NumVgprs: 192
; ScratchSize: 0
; MemoryBound: 0
; FloatMode: 240
; IeeeMode: 1
; LDSByteSize: 0 bytes/workgroup (compile time only)
; SGPRBlocks: 0
; VGPRBlocks: 23
; NumSGPRsForWavesPerEU: 16
; NumVGPRsForWavesPerEU: 192
; Occupancy: 5
; WaveLimiterHint : 1
; COMPUTE_PGM_RSRC2:SCRATCH_EN: 0
; COMPUTE_PGM_RSRC2:USER_SGPR: 6
; COMPUTE_PGM_RSRC2:TRAP_HANDLER: 0
; COMPUTE_PGM_RSRC2:TGID_X_EN: 1
; COMPUTE_PGM_RSRC2:TGID_Y_EN: 1
; COMPUTE_PGM_RSRC2:TGID_Z_EN: 0
; COMPUTE_PGM_RSRC2:TIDIG_COMP_CNT: 1
	.section	.text._ZN9rocsolver6v33100L23getf2_npvt_small_kernelILi46EdiiPKPdEEvT1_T3_lS5_lPT2_S5_S5_,"axG",@progbits,_ZN9rocsolver6v33100L23getf2_npvt_small_kernelILi46EdiiPKPdEEvT1_T3_lS5_lPT2_S5_S5_,comdat
	.globl	_ZN9rocsolver6v33100L23getf2_npvt_small_kernelILi46EdiiPKPdEEvT1_T3_lS5_lPT2_S5_S5_ ; -- Begin function _ZN9rocsolver6v33100L23getf2_npvt_small_kernelILi46EdiiPKPdEEvT1_T3_lS5_lPT2_S5_S5_
	.p2align	8
	.type	_ZN9rocsolver6v33100L23getf2_npvt_small_kernelILi46EdiiPKPdEEvT1_T3_lS5_lPT2_S5_S5_,@function
_ZN9rocsolver6v33100L23getf2_npvt_small_kernelILi46EdiiPKPdEEvT1_T3_lS5_lPT2_S5_S5_: ; @_ZN9rocsolver6v33100L23getf2_npvt_small_kernelILi46EdiiPKPdEEvT1_T3_lS5_lPT2_S5_S5_
; %bb.0:
	s_mov_b64 s[14:15], s[2:3]
	s_mov_b64 s[12:13], s[0:1]
	s_add_u32 s12, s12, s8
	s_clause 0x1
	s_load_dword s0, s[4:5], 0x44
	s_load_dwordx2 s[8:9], s[4:5], 0x30
	s_addc_u32 s13, s13, 0
	s_waitcnt lgkmcnt(0)
	s_lshr_b32 s10, s0, 16
	s_mov_b32 s0, exec_lo
	v_mad_u64_u32 v[2:3], null, s7, s10, v[1:2]
	v_cmpx_gt_i32_e64 s8, v2
	s_cbranch_execz .LBB91_233
; %bb.1:
	s_clause 0x1
	s_load_dwordx4 s[0:3], s[4:5], 0x8
	s_load_dword s6, s[4:5], 0x18
	v_ashrrev_i32_e32 v3, 31, v2
	v_lshlrev_b32_e32 v96, 3, v0
	v_lshlrev_b32_e32 v188, 3, v1
	s_mulk_i32 s10, 0x170
	v_mad_u32_u24 v212, 0x170, v1, 0
	v_lshlrev_b64 v[4:5], 3, v[2:3]
	v_add3_u32 v1, 0, s10, v188
	s_waitcnt lgkmcnt(0)
	v_add_co_u32 v4, vcc_lo, s0, v4
	v_add_co_ci_u32_e64 v5, null, s1, v5, vcc_lo
	v_add3_u32 v6, s6, s6, v0
	s_lshl_b64 s[2:3], s[2:3], 3
	s_ashr_i32 s7, s6, 31
	global_load_dwordx2 v[4:5], v[4:5], off
	s_lshl_b64 s[0:1], s[6:7], 3
	v_add_nc_u32_e32 v8, s6, v6
	v_ashrrev_i32_e32 v7, 31, v6
	v_add_nc_u32_e32 v10, s6, v8
	v_ashrrev_i32_e32 v9, 31, v8
	v_lshlrev_b64 v[6:7], 3, v[6:7]
	v_ashrrev_i32_e32 v11, 31, v10
	v_lshlrev_b64 v[8:9], 3, v[8:9]
	v_add_nc_u32_e32 v12, s6, v10
	v_lshlrev_b64 v[10:11], 3, v[10:11]
	v_ashrrev_i32_e32 v13, 31, v12
	v_add_nc_u32_e32 v14, s6, v12
	v_lshlrev_b64 v[12:13], 3, v[12:13]
	v_ashrrev_i32_e32 v15, 31, v14
	v_add_nc_u32_e32 v16, s6, v14
	v_lshlrev_b64 v[14:15], 3, v[14:15]
	v_add_nc_u32_e32 v18, s6, v16
	v_ashrrev_i32_e32 v17, 31, v16
	v_add_nc_u32_e32 v20, s6, v18
	v_ashrrev_i32_e32 v19, 31, v18
	v_lshlrev_b64 v[16:17], 3, v[16:17]
	v_add_nc_u32_e32 v22, s6, v20
	v_ashrrev_i32_e32 v21, 31, v20
	v_lshlrev_b64 v[18:19], 3, v[18:19]
	;; [unrolled: 3-line block ×36, first 2 shown]
	v_ashrrev_i32_e32 v91, 31, v90
	v_add_nc_u32_e32 v92, s6, v90
	v_lshlrev_b64 v[88:89], 3, v[88:89]
	v_lshlrev_b64 v[90:91], 3, v[90:91]
	v_ashrrev_i32_e32 v93, 31, v92
	v_lshlrev_b64 v[94:95], 3, v[92:93]
	s_waitcnt vmcnt(0)
	v_add_co_u32 v97, vcc_lo, v4, s2
	v_add_co_ci_u32_e64 v98, null, s3, v5, vcc_lo
	v_add_co_u32 v4, vcc_lo, v97, v6
	v_add_co_ci_u32_e64 v5, null, v98, v7, vcc_lo
	;; [unrolled: 2-line block ×4, first 2 shown]
	buffer_store_dword v8, off, s[12:15], 0 offset:112 ; 4-byte Folded Spill
	buffer_store_dword v9, off, s[12:15], 0 offset:116 ; 4-byte Folded Spill
	v_add_co_u32 v10, vcc_lo, v97, v12
	v_add_co_ci_u32_e64 v11, null, v98, v13, vcc_lo
	v_add_co_u32 v12, vcc_lo, v97, v14
	v_add_co_ci_u32_e64 v13, null, v98, v15, vcc_lo
	;; [unrolled: 2-line block ×43, first 2 shown]
	v_cmp_ne_u32_e64 s1, 0, v0
	v_cmp_eq_u32_e64 s0, 0, v0
	flat_load_dwordx2 v[124:125], v[8:9]
	buffer_store_dword v10, off, s[12:15], 0 offset:120 ; 4-byte Folded Spill
	buffer_store_dword v11, off, s[12:15], 0 offset:124 ; 4-byte Folded Spill
	flat_load_dwordx2 v[108:109], v[10:11]
	buffer_store_dword v12, off, s[12:15], 0 offset:128 ; 4-byte Folded Spill
	buffer_store_dword v13, off, s[12:15], 0 offset:132 ; 4-byte Folded Spill
	s_clause 0x17
	flat_load_dwordx2 v[122:123], v[12:13]
	flat_load_dwordx2 v[106:107], v[14:15]
	;; [unrolled: 1-line block ×24, first 2 shown]
	buffer_store_dword v4, off, s[12:15], 0 offset:96 ; 4-byte Folded Spill
	buffer_store_dword v5, off, s[12:15], 0 offset:100 ; 4-byte Folded Spill
	flat_load_dwordx2 v[184:185], v[4:5]
	buffer_store_dword v6, off, s[12:15], 0 offset:104 ; 4-byte Folded Spill
	buffer_store_dword v7, off, s[12:15], 0 offset:108 ; 4-byte Folded Spill
	s_clause 0x12
	flat_load_dwordx2 v[180:181], v[6:7]
	flat_load_dwordx2 v[176:177], v[56:57]
	flat_load_dwordx2 v[158:159], v[58:59]
	flat_load_dwordx2 v[174:175], v[60:61]
	flat_load_dwordx2 v[156:157], v[62:63]
	flat_load_dwordx2 v[172:173], v[64:65]
	flat_load_dwordx2 v[154:155], v[66:67]
	flat_load_dwordx2 v[170:171], v[68:69]
	flat_load_dwordx2 v[152:153], v[70:71]
	flat_load_dwordx2 v[168:169], v[72:73]
	flat_load_dwordx2 v[150:151], v[74:75]
	flat_load_dwordx2 v[166:167], v[76:77]
	flat_load_dwordx2 v[148:149], v[78:79]
	flat_load_dwordx2 v[164:165], v[80:81]
	flat_load_dwordx2 v[146:147], v[82:83]
	flat_load_dwordx2 v[162:163], v[84:85]
	flat_load_dwordx2 v[144:145], v[86:87]
	flat_load_dwordx2 v[160:161], v[88:89]
	flat_load_dwordx2 v[186:187], v[90:91]
	s_and_saveexec_b32 s2, s0
	s_cbranch_execz .LBB91_4
; %bb.2:
	s_waitcnt vmcnt(21) lgkmcnt(21)
	ds_write_b64 v1, v[178:179]
	s_waitcnt vmcnt(19) lgkmcnt(20)
	ds_write2_b64 v212, v[182:183], v[184:185] offset0:1 offset1:2
	s_waitcnt vmcnt(18) lgkmcnt(20)
	ds_write2_b64 v212, v[180:181], v[124:125] offset0:3 offset1:4
	ds_write2_b64 v212, v[108:109], v[122:123] offset0:5 offset1:6
	;; [unrolled: 1-line block ×12, first 2 shown]
	s_waitcnt vmcnt(17) lgkmcnt(31)
	ds_write2_b64 v212, v[128:129], v[176:177] offset0:27 offset1:28
	s_waitcnt vmcnt(15) lgkmcnt(30)
	ds_write2_b64 v212, v[158:159], v[174:175] offset0:29 offset1:30
	;; [unrolled: 2-line block ×9, first 2 shown]
	s_waitcnt vmcnt(0) lgkmcnt(23)
	ds_write_b64 v212, v[186:187] offset:360
	ds_read_b64 v[188:189], v1
	s_waitcnt lgkmcnt(0)
	v_cmp_neq_f64_e32 vcc_lo, 0, v[188:189]
	s_and_b32 exec_lo, exec_lo, vcc_lo
	s_cbranch_execz .LBB91_4
; %bb.3:
	v_div_scale_f64 v[190:191], null, v[188:189], v[188:189], 1.0
	v_rcp_f64_e32 v[192:193], v[190:191]
	v_fma_f64 v[194:195], -v[190:191], v[192:193], 1.0
	v_fma_f64 v[192:193], v[192:193], v[194:195], v[192:193]
	v_fma_f64 v[194:195], -v[190:191], v[192:193], 1.0
	v_fma_f64 v[192:193], v[192:193], v[194:195], v[192:193]
	v_div_scale_f64 v[194:195], vcc_lo, 1.0, v[188:189], 1.0
	v_mul_f64 v[196:197], v[194:195], v[192:193]
	v_fma_f64 v[190:191], -v[190:191], v[196:197], v[194:195]
	v_div_fmas_f64 v[190:191], v[190:191], v[192:193], v[196:197]
	v_div_fixup_f64 v[188:189], v[190:191], v[188:189], 1.0
	ds_write_b64 v1, v[188:189]
.LBB91_4:
	s_or_b32 exec_lo, exec_lo, s2
	s_waitcnt vmcnt(0) lgkmcnt(0)
	s_waitcnt_vscnt null, 0x0
	s_barrier
	buffer_gl0_inv
	ds_read_b64 v[188:189], v1
	s_waitcnt lgkmcnt(0)
	buffer_store_dword v188, off, s[12:15], 0 ; 4-byte Folded Spill
	buffer_store_dword v189, off, s[12:15], 0 offset:4 ; 4-byte Folded Spill
	s_and_saveexec_b32 s2, s1
	s_cbranch_execz .LBB91_6
; %bb.5:
	s_clause 0x1
	buffer_load_dword v188, off, s[12:15], 0
	buffer_load_dword v189, off, s[12:15], 0 offset:4
	s_waitcnt vmcnt(0)
	v_mul_f64 v[178:179], v[188:189], v[178:179]
	ds_read2_b64 v[188:191], v212 offset0:1 offset1:2
	ds_read2_b64 v[192:195], v212 offset0:3 offset1:4
	;; [unrolled: 1-line block ×11, first 2 shown]
	s_waitcnt lgkmcnt(10)
	v_fma_f64 v[182:183], -v[178:179], v[188:189], v[182:183]
	v_fma_f64 v[184:185], -v[178:179], v[190:191], v[184:185]
	s_waitcnt lgkmcnt(9)
	v_fma_f64 v[180:181], -v[178:179], v[192:193], v[180:181]
	v_fma_f64 v[124:125], -v[178:179], v[194:195], v[124:125]
	ds_read2_b64 v[188:191], v212 offset0:23 offset1:24
	ds_read2_b64 v[192:195], v212 offset0:25 offset1:26
	s_waitcnt lgkmcnt(10)
	v_fma_f64 v[108:109], -v[178:179], v[196:197], v[108:109]
	v_fma_f64 v[122:123], -v[178:179], v[198:199], v[122:123]
	s_waitcnt lgkmcnt(9)
	v_fma_f64 v[106:107], -v[178:179], v[200:201], v[106:107]
	v_fma_f64 v[120:121], -v[178:179], v[202:203], v[120:121]
	;; [unrolled: 3-line block ×6, first 2 shown]
	ds_read2_b64 v[196:199], v212 offset0:27 offset1:28
	ds_read2_b64 v[200:203], v212 offset0:29 offset1:30
	s_waitcnt lgkmcnt(6)
	v_fma_f64 v[96:97], -v[178:179], v[221:222], v[96:97]
	v_fma_f64 v[110:111], -v[178:179], v[223:224], v[110:111]
	ds_read2_b64 v[204:207], v212 offset0:31 offset1:32
	ds_read2_b64 v[208:211], v212 offset0:33 offset1:34
	s_waitcnt lgkmcnt(7)
	v_fma_f64 v[94:95], -v[178:179], v[225:226], v[94:95]
	v_fma_f64 v[142:143], -v[178:179], v[227:228], v[142:143]
	ds_read2_b64 v[213:216], v212 offset0:35 offset1:36
	ds_read2_b64 v[217:220], v212 offset0:37 offset1:38
	;; [unrolled: 1-line block ×4, first 2 shown]
	s_waitcnt lgkmcnt(9)
	v_fma_f64 v[132:133], -v[178:179], v[188:189], v[132:133]
	v_fma_f64 v[138:139], -v[178:179], v[190:191], v[138:139]
	ds_read2_b64 v[188:191], v212 offset0:43 offset1:44
	s_waitcnt lgkmcnt(9)
	v_fma_f64 v[130:131], -v[178:179], v[192:193], v[130:131]
	ds_read_b64 v[192:193], v212 offset:360
	v_fma_f64 v[134:135], -v[178:179], v[229:230], v[134:135]
	v_fma_f64 v[140:141], -v[178:179], v[231:232], v[140:141]
	;; [unrolled: 1-line block ×3, first 2 shown]
	s_waitcnt lgkmcnt(9)
	v_fma_f64 v[128:129], -v[178:179], v[196:197], v[128:129]
	v_fma_f64 v[176:177], -v[178:179], v[198:199], v[176:177]
	s_waitcnt lgkmcnt(8)
	v_fma_f64 v[158:159], -v[178:179], v[200:201], v[158:159]
	v_fma_f64 v[174:175], -v[178:179], v[202:203], v[174:175]
	;; [unrolled: 3-line block ×9, first 2 shown]
	s_waitcnt lgkmcnt(0)
	v_fma_f64 v[186:187], -v[178:179], v[192:193], v[186:187]
.LBB91_6:
	s_or_b32 exec_lo, exec_lo, s2
	s_mov_b32 s1, exec_lo
	s_waitcnt_vscnt null, 0x0
	s_barrier
	buffer_gl0_inv
	v_cmpx_eq_u32_e32 1, v0
	s_cbranch_execz .LBB91_9
; %bb.7:
	v_mov_b32_e32 v188, v184
	v_mov_b32_e32 v189, v185
	;; [unrolled: 1-line block ×8, first 2 shown]
	ds_write_b64 v1, v[182:183]
	ds_write2_b64 v212, v[188:189], v[190:191] offset0:2 offset1:3
	ds_write2_b64 v212, v[192:193], v[194:195] offset0:4 offset1:5
	v_mov_b32_e32 v188, v122
	v_mov_b32_e32 v189, v123
	v_mov_b32_e32 v190, v106
	v_mov_b32_e32 v191, v107
	v_mov_b32_e32 v192, v120
	v_mov_b32_e32 v193, v121
	v_mov_b32_e32 v194, v104
	v_mov_b32_e32 v195, v105
	v_mov_b32_e32 v196, v118
	v_mov_b32_e32 v197, v119
	v_mov_b32_e32 v198, v102
	v_mov_b32_e32 v199, v103
	v_mov_b32_e32 v200, v116
	v_mov_b32_e32 v201, v117
	v_mov_b32_e32 v202, v100
	v_mov_b32_e32 v203, v101
	v_mov_b32_e32 v204, v114
	v_mov_b32_e32 v205, v115
	v_mov_b32_e32 v206, v98
	v_mov_b32_e32 v207, v99
	ds_write2_b64 v212, v[188:189], v[190:191] offset0:6 offset1:7
	ds_write2_b64 v212, v[192:193], v[194:195] offset0:8 offset1:9
	ds_write2_b64 v212, v[196:197], v[198:199] offset0:10 offset1:11
	ds_write2_b64 v212, v[200:201], v[202:203] offset0:12 offset1:13
	ds_write2_b64 v212, v[204:205], v[206:207] offset0:14 offset1:15
	v_mov_b32_e32 v188, v112
	v_mov_b32_e32 v189, v113
	v_mov_b32_e32 v190, v96
	v_mov_b32_e32 v191, v97
	v_mov_b32_e32 v192, v110
	v_mov_b32_e32 v193, v111
	v_mov_b32_e32 v194, v94
	v_mov_b32_e32 v195, v95
	v_mov_b32_e32 v196, v142
	v_mov_b32_e32 v197, v143
	v_mov_b32_e32 v198, v134
	v_mov_b32_e32 v199, v135
	v_mov_b32_e32 v200, v140
	v_mov_b32_e32 v201, v141
	v_mov_b32_e32 v202, v132
	v_mov_b32_e32 v203, v133
	v_mov_b32_e32 v204, v138
	v_mov_b32_e32 v205, v139
	v_mov_b32_e32 v206, v130
	v_mov_b32_e32 v207, v131
	ds_write2_b64 v212, v[188:189], v[190:191] offset0:16 offset1:17
	ds_write2_b64 v212, v[192:193], v[194:195] offset0:18 offset1:19
	ds_write2_b64 v212, v[196:197], v[198:199] offset0:20 offset1:21
	;; [unrolled: 25-line block ×3, first 2 shown]
	ds_write2_b64 v212, v[200:201], v[202:203] offset0:32 offset1:33
	ds_write2_b64 v212, v[204:205], v[206:207] offset0:34 offset1:35
	v_mov_b32_e32 v188, v168
	v_mov_b32_e32 v189, v169
	v_mov_b32_e32 v190, v150
	v_mov_b32_e32 v191, v151
	v_mov_b32_e32 v192, v166
	v_mov_b32_e32 v193, v167
	v_mov_b32_e32 v194, v148
	v_mov_b32_e32 v195, v149
	v_mov_b32_e32 v196, v164
	v_mov_b32_e32 v197, v165
	v_mov_b32_e32 v198, v146
	v_mov_b32_e32 v199, v147
	v_mov_b32_e32 v200, v162
	v_mov_b32_e32 v201, v163
	v_mov_b32_e32 v202, v144
	v_mov_b32_e32 v203, v145
	v_mov_b32_e32 v204, v160
	v_mov_b32_e32 v205, v161
	ds_write2_b64 v212, v[188:189], v[190:191] offset0:36 offset1:37
	ds_write2_b64 v212, v[192:193], v[194:195] offset0:38 offset1:39
	;; [unrolled: 1-line block ×5, first 2 shown]
	ds_read_b64 v[188:189], v1
	s_waitcnt lgkmcnt(0)
	v_cmp_neq_f64_e32 vcc_lo, 0, v[188:189]
	s_and_b32 exec_lo, exec_lo, vcc_lo
	s_cbranch_execz .LBB91_9
; %bb.8:
	v_div_scale_f64 v[190:191], null, v[188:189], v[188:189], 1.0
	v_rcp_f64_e32 v[192:193], v[190:191]
	v_fma_f64 v[194:195], -v[190:191], v[192:193], 1.0
	v_fma_f64 v[192:193], v[192:193], v[194:195], v[192:193]
	v_fma_f64 v[194:195], -v[190:191], v[192:193], 1.0
	v_fma_f64 v[192:193], v[192:193], v[194:195], v[192:193]
	v_div_scale_f64 v[194:195], vcc_lo, 1.0, v[188:189], 1.0
	v_mul_f64 v[196:197], v[194:195], v[192:193]
	v_fma_f64 v[190:191], -v[190:191], v[196:197], v[194:195]
	v_div_fmas_f64 v[190:191], v[190:191], v[192:193], v[196:197]
	v_div_fixup_f64 v[188:189], v[190:191], v[188:189], 1.0
	ds_write_b64 v1, v[188:189]
.LBB91_9:
	s_or_b32 exec_lo, exec_lo, s1
	s_waitcnt lgkmcnt(0)
	s_barrier
	buffer_gl0_inv
	ds_read_b64 v[188:189], v1
	s_mov_b32 s1, exec_lo
	s_waitcnt lgkmcnt(0)
	buffer_store_dword v188, off, s[12:15], 0 offset:8 ; 4-byte Folded Spill
	buffer_store_dword v189, off, s[12:15], 0 offset:12 ; 4-byte Folded Spill
	v_cmpx_lt_u32_e32 1, v0
	s_cbranch_execz .LBB91_11
; %bb.10:
	s_clause 0x1
	buffer_load_dword v188, off, s[12:15], 0 offset:8
	buffer_load_dword v189, off, s[12:15], 0 offset:12
	s_waitcnt vmcnt(0)
	v_mul_f64 v[182:183], v[188:189], v[182:183]
	ds_read2_b64 v[188:191], v212 offset0:2 offset1:3
	ds_read2_b64 v[192:195], v212 offset0:4 offset1:5
	;; [unrolled: 1-line block ×11, first 2 shown]
	s_waitcnt lgkmcnt(10)
	v_fma_f64 v[184:185], -v[182:183], v[188:189], v[184:185]
	v_fma_f64 v[180:181], -v[182:183], v[190:191], v[180:181]
	s_waitcnt lgkmcnt(9)
	v_fma_f64 v[124:125], -v[182:183], v[192:193], v[124:125]
	v_fma_f64 v[108:109], -v[182:183], v[194:195], v[108:109]
	;; [unrolled: 3-line block ×6, first 2 shown]
	ds_read2_b64 v[188:191], v212 offset0:24 offset1:25
	ds_read2_b64 v[192:195], v212 offset0:26 offset1:27
	s_waitcnt lgkmcnt(6)
	v_fma_f64 v[114:115], -v[182:183], v[213:214], v[114:115]
	v_fma_f64 v[98:99], -v[182:183], v[215:216], v[98:99]
	s_waitcnt lgkmcnt(5)
	v_fma_f64 v[112:113], -v[182:183], v[217:218], v[112:113]
	ds_read2_b64 v[196:199], v212 offset0:28 offset1:29
	ds_read2_b64 v[200:203], v212 offset0:30 offset1:31
	v_fma_f64 v[96:97], -v[182:183], v[219:220], v[96:97]
	s_waitcnt lgkmcnt(6)
	v_fma_f64 v[110:111], -v[182:183], v[221:222], v[110:111]
	ds_read2_b64 v[204:207], v212 offset0:32 offset1:33
	ds_read2_b64 v[208:211], v212 offset0:34 offset1:35
	;; [unrolled: 5-line block ×4, first 2 shown]
	v_fma_f64 v[132:133], -v[182:183], v[231:232], v[132:133]
	ds_read2_b64 v[229:232], v212 offset0:44 offset1:45
	s_waitcnt lgkmcnt(10)
	v_fma_f64 v[138:139], -v[182:183], v[188:189], v[138:139]
	v_fma_f64 v[130:131], -v[182:183], v[190:191], v[130:131]
	s_waitcnt lgkmcnt(9)
	v_fma_f64 v[136:137], -v[182:183], v[192:193], v[136:137]
	v_fma_f64 v[128:129], -v[182:183], v[194:195], v[128:129]
	;; [unrolled: 3-line block ×11, first 2 shown]
.LBB91_11:
	s_or_b32 exec_lo, exec_lo, s1
	s_mov_b32 s1, exec_lo
	s_waitcnt_vscnt null, 0x0
	s_barrier
	buffer_gl0_inv
	v_cmpx_eq_u32_e32 2, v0
	s_cbranch_execz .LBB91_14
; %bb.12:
	ds_write_b64 v1, v[184:185]
	ds_write2_b64 v212, v[180:181], v[124:125] offset0:3 offset1:4
	ds_write2_b64 v212, v[108:109], v[122:123] offset0:5 offset1:6
	;; [unrolled: 1-line block ×21, first 2 shown]
	ds_write_b64 v212, v[186:187] offset:360
	ds_read_b64 v[188:189], v1
	s_waitcnt lgkmcnt(0)
	v_cmp_neq_f64_e32 vcc_lo, 0, v[188:189]
	s_and_b32 exec_lo, exec_lo, vcc_lo
	s_cbranch_execz .LBB91_14
; %bb.13:
	v_div_scale_f64 v[190:191], null, v[188:189], v[188:189], 1.0
	v_rcp_f64_e32 v[192:193], v[190:191]
	v_fma_f64 v[194:195], -v[190:191], v[192:193], 1.0
	v_fma_f64 v[192:193], v[192:193], v[194:195], v[192:193]
	v_fma_f64 v[194:195], -v[190:191], v[192:193], 1.0
	v_fma_f64 v[192:193], v[192:193], v[194:195], v[192:193]
	v_div_scale_f64 v[194:195], vcc_lo, 1.0, v[188:189], 1.0
	v_mul_f64 v[196:197], v[194:195], v[192:193]
	v_fma_f64 v[190:191], -v[190:191], v[196:197], v[194:195]
	v_div_fmas_f64 v[190:191], v[190:191], v[192:193], v[196:197]
	v_div_fixup_f64 v[188:189], v[190:191], v[188:189], 1.0
	ds_write_b64 v1, v[188:189]
.LBB91_14:
	s_or_b32 exec_lo, exec_lo, s1
	s_waitcnt lgkmcnt(0)
	s_barrier
	buffer_gl0_inv
	ds_read_b64 v[188:189], v1
	s_mov_b32 s1, exec_lo
	s_waitcnt lgkmcnt(0)
	buffer_store_dword v188, off, s[12:15], 0 offset:16 ; 4-byte Folded Spill
	buffer_store_dword v189, off, s[12:15], 0 offset:20 ; 4-byte Folded Spill
	v_cmpx_lt_u32_e32 2, v0
	s_cbranch_execz .LBB91_16
; %bb.15:
	s_clause 0x1
	buffer_load_dword v188, off, s[12:15], 0 offset:16
	buffer_load_dword v189, off, s[12:15], 0 offset:20
	s_waitcnt vmcnt(0)
	v_mul_f64 v[184:185], v[188:189], v[184:185]
	ds_read2_b64 v[188:191], v212 offset0:3 offset1:4
	ds_read2_b64 v[192:195], v212 offset0:5 offset1:6
	;; [unrolled: 1-line block ×11, first 2 shown]
	s_waitcnt lgkmcnt(10)
	v_fma_f64 v[180:181], -v[184:185], v[188:189], v[180:181]
	v_fma_f64 v[124:125], -v[184:185], v[190:191], v[124:125]
	ds_read2_b64 v[188:191], v212 offset0:25 offset1:26
	s_waitcnt lgkmcnt(10)
	v_fma_f64 v[108:109], -v[184:185], v[192:193], v[108:109]
	v_fma_f64 v[122:123], -v[184:185], v[194:195], v[122:123]
	s_waitcnt lgkmcnt(9)
	v_fma_f64 v[106:107], -v[184:185], v[196:197], v[106:107]
	v_fma_f64 v[120:121], -v[184:185], v[198:199], v[120:121]
	;; [unrolled: 3-line block ×6, first 2 shown]
	ds_read2_b64 v[192:195], v212 offset0:27 offset1:28
	s_waitcnt lgkmcnt(5)
	v_fma_f64 v[96:97], -v[184:185], v[217:218], v[96:97]
	ds_read2_b64 v[196:199], v212 offset0:29 offset1:30
	ds_read2_b64 v[200:203], v212 offset0:31 offset1:32
	v_fma_f64 v[110:111], -v[184:185], v[219:220], v[110:111]
	s_waitcnt lgkmcnt(6)
	v_fma_f64 v[94:95], -v[184:185], v[221:222], v[94:95]
	ds_read2_b64 v[204:207], v212 offset0:33 offset1:34
	ds_read2_b64 v[208:211], v212 offset0:35 offset1:36
	v_fma_f64 v[142:143], -v[184:185], v[223:224], v[142:143]
	;; [unrolled: 5-line block ×3, first 2 shown]
	ds_read2_b64 v[221:224], v212 offset0:41 offset1:42
	ds_read2_b64 v[225:228], v212 offset0:43 offset1:44
	s_waitcnt lgkmcnt(9)
	v_fma_f64 v[130:131], -v[184:185], v[188:189], v[130:131]
	ds_read_b64 v[188:189], v212 offset:360
	v_fma_f64 v[132:133], -v[184:185], v[229:230], v[132:133]
	v_fma_f64 v[138:139], -v[184:185], v[231:232], v[138:139]
	;; [unrolled: 1-line block ×3, first 2 shown]
	s_waitcnt lgkmcnt(9)
	v_fma_f64 v[128:129], -v[184:185], v[192:193], v[128:129]
	v_fma_f64 v[176:177], -v[184:185], v[194:195], v[176:177]
	s_waitcnt lgkmcnt(8)
	v_fma_f64 v[158:159], -v[184:185], v[196:197], v[158:159]
	v_fma_f64 v[174:175], -v[184:185], v[198:199], v[174:175]
	;; [unrolled: 3-line block ×9, first 2 shown]
	s_waitcnt lgkmcnt(0)
	v_fma_f64 v[186:187], -v[184:185], v[188:189], v[186:187]
.LBB91_16:
	s_or_b32 exec_lo, exec_lo, s1
	s_mov_b32 s1, exec_lo
	s_waitcnt_vscnt null, 0x0
	s_barrier
	buffer_gl0_inv
	v_cmpx_eq_u32_e32 3, v0
	s_cbranch_execz .LBB91_19
; %bb.17:
	v_mov_b32_e32 v188, v124
	v_mov_b32_e32 v189, v125
	;; [unrolled: 1-line block ×4, first 2 shown]
	ds_write_b64 v1, v[180:181]
	ds_write2_b64 v212, v[188:189], v[190:191] offset0:4 offset1:5
	v_mov_b32_e32 v188, v122
	v_mov_b32_e32 v189, v123
	v_mov_b32_e32 v190, v106
	v_mov_b32_e32 v191, v107
	v_mov_b32_e32 v192, v120
	v_mov_b32_e32 v193, v121
	v_mov_b32_e32 v194, v104
	v_mov_b32_e32 v195, v105
	v_mov_b32_e32 v196, v118
	v_mov_b32_e32 v197, v119
	v_mov_b32_e32 v198, v102
	v_mov_b32_e32 v199, v103
	v_mov_b32_e32 v200, v116
	v_mov_b32_e32 v201, v117
	v_mov_b32_e32 v202, v100
	v_mov_b32_e32 v203, v101
	v_mov_b32_e32 v204, v114
	v_mov_b32_e32 v205, v115
	v_mov_b32_e32 v206, v98
	v_mov_b32_e32 v207, v99
	ds_write2_b64 v212, v[188:189], v[190:191] offset0:6 offset1:7
	ds_write2_b64 v212, v[192:193], v[194:195] offset0:8 offset1:9
	ds_write2_b64 v212, v[196:197], v[198:199] offset0:10 offset1:11
	ds_write2_b64 v212, v[200:201], v[202:203] offset0:12 offset1:13
	ds_write2_b64 v212, v[204:205], v[206:207] offset0:14 offset1:15
	v_mov_b32_e32 v188, v112
	v_mov_b32_e32 v189, v113
	v_mov_b32_e32 v190, v96
	v_mov_b32_e32 v191, v97
	v_mov_b32_e32 v192, v110
	v_mov_b32_e32 v193, v111
	v_mov_b32_e32 v194, v94
	v_mov_b32_e32 v195, v95
	v_mov_b32_e32 v196, v142
	v_mov_b32_e32 v197, v143
	v_mov_b32_e32 v198, v134
	v_mov_b32_e32 v199, v135
	v_mov_b32_e32 v200, v140
	v_mov_b32_e32 v201, v141
	v_mov_b32_e32 v202, v132
	v_mov_b32_e32 v203, v133
	v_mov_b32_e32 v204, v138
	v_mov_b32_e32 v205, v139
	v_mov_b32_e32 v206, v130
	v_mov_b32_e32 v207, v131
	ds_write2_b64 v212, v[188:189], v[190:191] offset0:16 offset1:17
	ds_write2_b64 v212, v[192:193], v[194:195] offset0:18 offset1:19
	ds_write2_b64 v212, v[196:197], v[198:199] offset0:20 offset1:21
	ds_write2_b64 v212, v[200:201], v[202:203] offset0:22 offset1:23
	;; [unrolled: 25-line block ×3, first 2 shown]
	ds_write2_b64 v212, v[204:205], v[206:207] offset0:34 offset1:35
	v_mov_b32_e32 v188, v168
	v_mov_b32_e32 v189, v169
	;; [unrolled: 1-line block ×18, first 2 shown]
	ds_write2_b64 v212, v[188:189], v[190:191] offset0:36 offset1:37
	ds_write2_b64 v212, v[192:193], v[194:195] offset0:38 offset1:39
	;; [unrolled: 1-line block ×5, first 2 shown]
	ds_read_b64 v[188:189], v1
	s_waitcnt lgkmcnt(0)
	v_cmp_neq_f64_e32 vcc_lo, 0, v[188:189]
	s_and_b32 exec_lo, exec_lo, vcc_lo
	s_cbranch_execz .LBB91_19
; %bb.18:
	v_div_scale_f64 v[190:191], null, v[188:189], v[188:189], 1.0
	v_rcp_f64_e32 v[192:193], v[190:191]
	v_fma_f64 v[194:195], -v[190:191], v[192:193], 1.0
	v_fma_f64 v[192:193], v[192:193], v[194:195], v[192:193]
	v_fma_f64 v[194:195], -v[190:191], v[192:193], 1.0
	v_fma_f64 v[192:193], v[192:193], v[194:195], v[192:193]
	v_div_scale_f64 v[194:195], vcc_lo, 1.0, v[188:189], 1.0
	v_mul_f64 v[196:197], v[194:195], v[192:193]
	v_fma_f64 v[190:191], -v[190:191], v[196:197], v[194:195]
	v_div_fmas_f64 v[190:191], v[190:191], v[192:193], v[196:197]
	v_div_fixup_f64 v[188:189], v[190:191], v[188:189], 1.0
	ds_write_b64 v1, v[188:189]
.LBB91_19:
	s_or_b32 exec_lo, exec_lo, s1
	s_waitcnt lgkmcnt(0)
	s_barrier
	buffer_gl0_inv
	ds_read_b64 v[188:189], v1
	s_mov_b32 s1, exec_lo
	s_waitcnt lgkmcnt(0)
	buffer_store_dword v188, off, s[12:15], 0 offset:24 ; 4-byte Folded Spill
	buffer_store_dword v189, off, s[12:15], 0 offset:28 ; 4-byte Folded Spill
	v_cmpx_lt_u32_e32 3, v0
	s_cbranch_execz .LBB91_21
; %bb.20:
	s_clause 0x1
	buffer_load_dword v188, off, s[12:15], 0 offset:24
	buffer_load_dword v189, off, s[12:15], 0 offset:28
	s_waitcnt vmcnt(0)
	v_mul_f64 v[180:181], v[188:189], v[180:181]
	ds_read2_b64 v[188:191], v212 offset0:4 offset1:5
	ds_read2_b64 v[192:195], v212 offset0:6 offset1:7
	;; [unrolled: 1-line block ×11, first 2 shown]
	s_waitcnt lgkmcnt(10)
	v_fma_f64 v[124:125], -v[180:181], v[188:189], v[124:125]
	v_fma_f64 v[108:109], -v[180:181], v[190:191], v[108:109]
	s_waitcnt lgkmcnt(9)
	v_fma_f64 v[122:123], -v[180:181], v[192:193], v[122:123]
	v_fma_f64 v[106:107], -v[180:181], v[194:195], v[106:107]
	;; [unrolled: 3-line block ×6, first 2 shown]
	ds_read2_b64 v[188:191], v212 offset0:26 offset1:27
	ds_read2_b64 v[192:195], v212 offset0:28 offset1:29
	s_waitcnt lgkmcnt(6)
	v_fma_f64 v[112:113], -v[180:181], v[213:214], v[112:113]
	v_fma_f64 v[96:97], -v[180:181], v[215:216], v[96:97]
	ds_read2_b64 v[196:199], v212 offset0:30 offset1:31
	ds_read2_b64 v[200:203], v212 offset0:32 offset1:33
	s_waitcnt lgkmcnt(7)
	v_fma_f64 v[110:111], -v[180:181], v[217:218], v[110:111]
	v_fma_f64 v[94:95], -v[180:181], v[219:220], v[94:95]
	;; [unrolled: 5-line block ×5, first 2 shown]
	s_waitcnt lgkmcnt(9)
	v_fma_f64 v[136:137], -v[180:181], v[188:189], v[136:137]
	v_fma_f64 v[128:129], -v[180:181], v[190:191], v[128:129]
	s_waitcnt lgkmcnt(8)
	v_fma_f64 v[176:177], -v[180:181], v[192:193], v[176:177]
	v_fma_f64 v[158:159], -v[180:181], v[194:195], v[158:159]
	;; [unrolled: 3-line block ×10, first 2 shown]
.LBB91_21:
	s_or_b32 exec_lo, exec_lo, s1
	s_mov_b32 s1, exec_lo
	s_waitcnt_vscnt null, 0x0
	s_barrier
	buffer_gl0_inv
	v_cmpx_eq_u32_e32 4, v0
	s_cbranch_execz .LBB91_24
; %bb.22:
	ds_write_b64 v1, v[124:125]
	ds_write2_b64 v212, v[108:109], v[122:123] offset0:5 offset1:6
	ds_write2_b64 v212, v[106:107], v[120:121] offset0:7 offset1:8
	;; [unrolled: 1-line block ×20, first 2 shown]
	ds_write_b64 v212, v[186:187] offset:360
	ds_read_b64 v[188:189], v1
	s_waitcnt lgkmcnt(0)
	v_cmp_neq_f64_e32 vcc_lo, 0, v[188:189]
	s_and_b32 exec_lo, exec_lo, vcc_lo
	s_cbranch_execz .LBB91_24
; %bb.23:
	v_div_scale_f64 v[190:191], null, v[188:189], v[188:189], 1.0
	v_rcp_f64_e32 v[192:193], v[190:191]
	v_fma_f64 v[194:195], -v[190:191], v[192:193], 1.0
	v_fma_f64 v[192:193], v[192:193], v[194:195], v[192:193]
	v_fma_f64 v[194:195], -v[190:191], v[192:193], 1.0
	v_fma_f64 v[192:193], v[192:193], v[194:195], v[192:193]
	v_div_scale_f64 v[194:195], vcc_lo, 1.0, v[188:189], 1.0
	v_mul_f64 v[196:197], v[194:195], v[192:193]
	v_fma_f64 v[190:191], -v[190:191], v[196:197], v[194:195]
	v_div_fmas_f64 v[190:191], v[190:191], v[192:193], v[196:197]
	v_div_fixup_f64 v[188:189], v[190:191], v[188:189], 1.0
	ds_write_b64 v1, v[188:189]
.LBB91_24:
	s_or_b32 exec_lo, exec_lo, s1
	s_waitcnt lgkmcnt(0)
	s_barrier
	buffer_gl0_inv
	ds_read_b64 v[188:189], v1
	s_mov_b32 s1, exec_lo
	s_waitcnt lgkmcnt(0)
	buffer_store_dword v188, off, s[12:15], 0 offset:32 ; 4-byte Folded Spill
	buffer_store_dword v189, off, s[12:15], 0 offset:36 ; 4-byte Folded Spill
	v_cmpx_lt_u32_e32 4, v0
	s_cbranch_execz .LBB91_26
; %bb.25:
	s_clause 0x1
	buffer_load_dword v188, off, s[12:15], 0 offset:32
	buffer_load_dword v189, off, s[12:15], 0 offset:36
	s_waitcnt vmcnt(0)
	v_mul_f64 v[124:125], v[188:189], v[124:125]
	ds_read2_b64 v[188:191], v212 offset0:5 offset1:6
	ds_read2_b64 v[192:195], v212 offset0:7 offset1:8
	;; [unrolled: 1-line block ×11, first 2 shown]
	s_waitcnt lgkmcnt(10)
	v_fma_f64 v[108:109], -v[124:125], v[188:189], v[108:109]
	v_fma_f64 v[122:123], -v[124:125], v[190:191], v[122:123]
	s_waitcnt lgkmcnt(9)
	v_fma_f64 v[106:107], -v[124:125], v[192:193], v[106:107]
	v_fma_f64 v[120:121], -v[124:125], v[194:195], v[120:121]
	;; [unrolled: 3-line block ×6, first 2 shown]
	ds_read2_b64 v[188:191], v212 offset0:27 offset1:28
	ds_read2_b64 v[192:195], v212 offset0:29 offset1:30
	s_waitcnt lgkmcnt(6)
	v_fma_f64 v[96:97], -v[124:125], v[213:214], v[96:97]
	v_fma_f64 v[110:111], -v[124:125], v[215:216], v[110:111]
	ds_read2_b64 v[196:199], v212 offset0:31 offset1:32
	ds_read2_b64 v[200:203], v212 offset0:33 offset1:34
	s_waitcnt lgkmcnt(7)
	v_fma_f64 v[94:95], -v[124:125], v[217:218], v[94:95]
	v_fma_f64 v[142:143], -v[124:125], v[219:220], v[142:143]
	;; [unrolled: 5-line block ×3, first 2 shown]
	ds_read2_b64 v[213:216], v212 offset0:39 offset1:40
	ds_read2_b64 v[217:220], v212 offset0:41 offset1:42
	s_waitcnt lgkmcnt(9)
	v_fma_f64 v[132:133], -v[124:125], v[225:226], v[132:133]
	ds_read2_b64 v[221:224], v212 offset0:43 offset1:44
	ds_read_b64 v[225:226], v212 offset:360
	v_fma_f64 v[138:139], -v[124:125], v[227:228], v[138:139]
	s_waitcnt lgkmcnt(10)
	v_fma_f64 v[130:131], -v[124:125], v[229:230], v[130:131]
	v_fma_f64 v[136:137], -v[124:125], v[231:232], v[136:137]
	s_waitcnt lgkmcnt(9)
	v_fma_f64 v[128:129], -v[124:125], v[188:189], v[128:129]
	;; [unrolled: 3-line block ×11, first 2 shown]
.LBB91_26:
	s_or_b32 exec_lo, exec_lo, s1
	s_mov_b32 s1, exec_lo
	s_waitcnt_vscnt null, 0x0
	s_barrier
	buffer_gl0_inv
	v_cmpx_eq_u32_e32 5, v0
	s_cbranch_execz .LBB91_29
; %bb.27:
	v_mov_b32_e32 v188, v122
	v_mov_b32_e32 v189, v123
	;; [unrolled: 1-line block ×20, first 2 shown]
	ds_write_b64 v1, v[108:109]
	ds_write2_b64 v212, v[188:189], v[190:191] offset0:6 offset1:7
	ds_write2_b64 v212, v[192:193], v[194:195] offset0:8 offset1:9
	ds_write2_b64 v212, v[196:197], v[198:199] offset0:10 offset1:11
	ds_write2_b64 v212, v[200:201], v[202:203] offset0:12 offset1:13
	ds_write2_b64 v212, v[204:205], v[206:207] offset0:14 offset1:15
	v_mov_b32_e32 v188, v112
	v_mov_b32_e32 v189, v113
	v_mov_b32_e32 v190, v96
	v_mov_b32_e32 v191, v97
	v_mov_b32_e32 v192, v110
	v_mov_b32_e32 v193, v111
	v_mov_b32_e32 v194, v94
	v_mov_b32_e32 v195, v95
	v_mov_b32_e32 v196, v142
	v_mov_b32_e32 v197, v143
	v_mov_b32_e32 v198, v134
	v_mov_b32_e32 v199, v135
	v_mov_b32_e32 v200, v140
	v_mov_b32_e32 v201, v141
	v_mov_b32_e32 v202, v132
	v_mov_b32_e32 v203, v133
	v_mov_b32_e32 v204, v138
	v_mov_b32_e32 v205, v139
	v_mov_b32_e32 v206, v130
	v_mov_b32_e32 v207, v131
	ds_write2_b64 v212, v[188:189], v[190:191] offset0:16 offset1:17
	ds_write2_b64 v212, v[192:193], v[194:195] offset0:18 offset1:19
	;; [unrolled: 1-line block ×5, first 2 shown]
	v_mov_b32_e32 v188, v136
	v_mov_b32_e32 v189, v137
	;; [unrolled: 1-line block ×20, first 2 shown]
	ds_write2_b64 v212, v[188:189], v[190:191] offset0:26 offset1:27
	ds_write2_b64 v212, v[192:193], v[194:195] offset0:28 offset1:29
	;; [unrolled: 1-line block ×5, first 2 shown]
	v_mov_b32_e32 v188, v168
	v_mov_b32_e32 v189, v169
	;; [unrolled: 1-line block ×18, first 2 shown]
	ds_write2_b64 v212, v[188:189], v[190:191] offset0:36 offset1:37
	ds_write2_b64 v212, v[192:193], v[194:195] offset0:38 offset1:39
	;; [unrolled: 1-line block ×5, first 2 shown]
	ds_read_b64 v[188:189], v1
	s_waitcnt lgkmcnt(0)
	v_cmp_neq_f64_e32 vcc_lo, 0, v[188:189]
	s_and_b32 exec_lo, exec_lo, vcc_lo
	s_cbranch_execz .LBB91_29
; %bb.28:
	v_div_scale_f64 v[190:191], null, v[188:189], v[188:189], 1.0
	v_rcp_f64_e32 v[192:193], v[190:191]
	v_fma_f64 v[194:195], -v[190:191], v[192:193], 1.0
	v_fma_f64 v[192:193], v[192:193], v[194:195], v[192:193]
	v_fma_f64 v[194:195], -v[190:191], v[192:193], 1.0
	v_fma_f64 v[192:193], v[192:193], v[194:195], v[192:193]
	v_div_scale_f64 v[194:195], vcc_lo, 1.0, v[188:189], 1.0
	v_mul_f64 v[196:197], v[194:195], v[192:193]
	v_fma_f64 v[190:191], -v[190:191], v[196:197], v[194:195]
	v_div_fmas_f64 v[190:191], v[190:191], v[192:193], v[196:197]
	v_div_fixup_f64 v[188:189], v[190:191], v[188:189], 1.0
	ds_write_b64 v1, v[188:189]
.LBB91_29:
	s_or_b32 exec_lo, exec_lo, s1
	s_waitcnt lgkmcnt(0)
	s_barrier
	buffer_gl0_inv
	ds_read_b64 v[188:189], v1
	s_mov_b32 s1, exec_lo
	s_waitcnt lgkmcnt(0)
	buffer_store_dword v188, off, s[12:15], 0 offset:40 ; 4-byte Folded Spill
	buffer_store_dword v189, off, s[12:15], 0 offset:44 ; 4-byte Folded Spill
	v_cmpx_lt_u32_e32 5, v0
	s_cbranch_execz .LBB91_31
; %bb.30:
	s_clause 0x1
	buffer_load_dword v188, off, s[12:15], 0 offset:40
	buffer_load_dword v189, off, s[12:15], 0 offset:44
	s_waitcnt vmcnt(0)
	v_mul_f64 v[108:109], v[188:189], v[108:109]
	ds_read2_b64 v[188:191], v212 offset0:6 offset1:7
	ds_read2_b64 v[192:195], v212 offset0:8 offset1:9
	ds_read2_b64 v[196:199], v212 offset0:10 offset1:11
	ds_read2_b64 v[200:203], v212 offset0:12 offset1:13
	ds_read2_b64 v[204:207], v212 offset0:14 offset1:15
	ds_read2_b64 v[208:211], v212 offset0:16 offset1:17
	ds_read2_b64 v[213:216], v212 offset0:18 offset1:19
	ds_read2_b64 v[217:220], v212 offset0:20 offset1:21
	ds_read2_b64 v[221:224], v212 offset0:22 offset1:23
	ds_read2_b64 v[225:228], v212 offset0:24 offset1:25
	ds_read2_b64 v[229:232], v212 offset0:26 offset1:27
	s_waitcnt lgkmcnt(10)
	v_fma_f64 v[122:123], -v[108:109], v[188:189], v[122:123]
	v_fma_f64 v[106:107], -v[108:109], v[190:191], v[106:107]
	s_waitcnt lgkmcnt(9)
	v_fma_f64 v[120:121], -v[108:109], v[192:193], v[120:121]
	v_fma_f64 v[104:105], -v[108:109], v[194:195], v[104:105]
	;; [unrolled: 3-line block ×5, first 2 shown]
	s_waitcnt lgkmcnt(5)
	v_fma_f64 v[112:113], -v[108:109], v[208:209], v[112:113]
	ds_read2_b64 v[188:191], v212 offset0:28 offset1:29
	ds_read2_b64 v[192:195], v212 offset0:30 offset1:31
	v_fma_f64 v[96:97], -v[108:109], v[210:211], v[96:97]
	s_waitcnt lgkmcnt(6)
	v_fma_f64 v[110:111], -v[108:109], v[213:214], v[110:111]
	ds_read2_b64 v[196:199], v212 offset0:32 offset1:33
	ds_read2_b64 v[200:203], v212 offset0:34 offset1:35
	v_fma_f64 v[94:95], -v[108:109], v[215:216], v[94:95]
	;; [unrolled: 5-line block ×4, first 2 shown]
	ds_read2_b64 v[221:224], v212 offset0:44 offset1:45
	s_waitcnt lgkmcnt(10)
	v_fma_f64 v[138:139], -v[108:109], v[225:226], v[138:139]
	v_fma_f64 v[130:131], -v[108:109], v[227:228], v[130:131]
	s_waitcnt lgkmcnt(9)
	v_fma_f64 v[136:137], -v[108:109], v[229:230], v[136:137]
	v_fma_f64 v[128:129], -v[108:109], v[231:232], v[128:129]
	s_waitcnt lgkmcnt(8)
	v_fma_f64 v[176:177], -v[108:109], v[188:189], v[176:177]
	v_fma_f64 v[158:159], -v[108:109], v[190:191], v[158:159]
	s_waitcnt lgkmcnt(7)
	v_fma_f64 v[174:175], -v[108:109], v[192:193], v[174:175]
	v_fma_f64 v[156:157], -v[108:109], v[194:195], v[156:157]
	s_waitcnt lgkmcnt(6)
	v_fma_f64 v[172:173], -v[108:109], v[196:197], v[172:173]
	v_fma_f64 v[154:155], -v[108:109], v[198:199], v[154:155]
	s_waitcnt lgkmcnt(5)
	v_fma_f64 v[170:171], -v[108:109], v[200:201], v[170:171]
	v_fma_f64 v[152:153], -v[108:109], v[202:203], v[152:153]
	s_waitcnt lgkmcnt(4)
	v_fma_f64 v[168:169], -v[108:109], v[204:205], v[168:169]
	v_fma_f64 v[150:151], -v[108:109], v[206:207], v[150:151]
	s_waitcnt lgkmcnt(3)
	v_fma_f64 v[166:167], -v[108:109], v[208:209], v[166:167]
	v_fma_f64 v[148:149], -v[108:109], v[210:211], v[148:149]
	s_waitcnt lgkmcnt(2)
	v_fma_f64 v[164:165], -v[108:109], v[213:214], v[164:165]
	v_fma_f64 v[146:147], -v[108:109], v[215:216], v[146:147]
	s_waitcnt lgkmcnt(1)
	v_fma_f64 v[162:163], -v[108:109], v[217:218], v[162:163]
	v_fma_f64 v[144:145], -v[108:109], v[219:220], v[144:145]
	s_waitcnt lgkmcnt(0)
	v_fma_f64 v[160:161], -v[108:109], v[221:222], v[160:161]
	v_fma_f64 v[186:187], -v[108:109], v[223:224], v[186:187]
.LBB91_31:
	s_or_b32 exec_lo, exec_lo, s1
	s_mov_b32 s1, exec_lo
	s_waitcnt_vscnt null, 0x0
	s_barrier
	buffer_gl0_inv
	v_cmpx_eq_u32_e32 6, v0
	s_cbranch_execz .LBB91_34
; %bb.32:
	ds_write_b64 v1, v[122:123]
	ds_write2_b64 v212, v[106:107], v[120:121] offset0:7 offset1:8
	ds_write2_b64 v212, v[104:105], v[118:119] offset0:9 offset1:10
	ds_write2_b64 v212, v[102:103], v[116:117] offset0:11 offset1:12
	ds_write2_b64 v212, v[100:101], v[114:115] offset0:13 offset1:14
	ds_write2_b64 v212, v[98:99], v[112:113] offset0:15 offset1:16
	ds_write2_b64 v212, v[96:97], v[110:111] offset0:17 offset1:18
	ds_write2_b64 v212, v[94:95], v[142:143] offset0:19 offset1:20
	ds_write2_b64 v212, v[134:135], v[140:141] offset0:21 offset1:22
	ds_write2_b64 v212, v[132:133], v[138:139] offset0:23 offset1:24
	ds_write2_b64 v212, v[130:131], v[136:137] offset0:25 offset1:26
	ds_write2_b64 v212, v[128:129], v[176:177] offset0:27 offset1:28
	ds_write2_b64 v212, v[158:159], v[174:175] offset0:29 offset1:30
	ds_write2_b64 v212, v[156:157], v[172:173] offset0:31 offset1:32
	ds_write2_b64 v212, v[154:155], v[170:171] offset0:33 offset1:34
	ds_write2_b64 v212, v[152:153], v[168:169] offset0:35 offset1:36
	ds_write2_b64 v212, v[150:151], v[166:167] offset0:37 offset1:38
	ds_write2_b64 v212, v[148:149], v[164:165] offset0:39 offset1:40
	ds_write2_b64 v212, v[146:147], v[162:163] offset0:41 offset1:42
	ds_write2_b64 v212, v[144:145], v[160:161] offset0:43 offset1:44
	ds_write_b64 v212, v[186:187] offset:360
	ds_read_b64 v[188:189], v1
	s_waitcnt lgkmcnt(0)
	v_cmp_neq_f64_e32 vcc_lo, 0, v[188:189]
	s_and_b32 exec_lo, exec_lo, vcc_lo
	s_cbranch_execz .LBB91_34
; %bb.33:
	v_div_scale_f64 v[190:191], null, v[188:189], v[188:189], 1.0
	v_rcp_f64_e32 v[192:193], v[190:191]
	v_fma_f64 v[194:195], -v[190:191], v[192:193], 1.0
	v_fma_f64 v[192:193], v[192:193], v[194:195], v[192:193]
	v_fma_f64 v[194:195], -v[190:191], v[192:193], 1.0
	v_fma_f64 v[192:193], v[192:193], v[194:195], v[192:193]
	v_div_scale_f64 v[194:195], vcc_lo, 1.0, v[188:189], 1.0
	v_mul_f64 v[196:197], v[194:195], v[192:193]
	v_fma_f64 v[190:191], -v[190:191], v[196:197], v[194:195]
	v_div_fmas_f64 v[190:191], v[190:191], v[192:193], v[196:197]
	v_div_fixup_f64 v[188:189], v[190:191], v[188:189], 1.0
	ds_write_b64 v1, v[188:189]
.LBB91_34:
	s_or_b32 exec_lo, exec_lo, s1
	s_waitcnt lgkmcnt(0)
	s_barrier
	buffer_gl0_inv
	ds_read_b64 v[188:189], v1
	s_mov_b32 s1, exec_lo
	s_waitcnt lgkmcnt(0)
	buffer_store_dword v188, off, s[12:15], 0 offset:48 ; 4-byte Folded Spill
	buffer_store_dword v189, off, s[12:15], 0 offset:52 ; 4-byte Folded Spill
	v_cmpx_lt_u32_e32 6, v0
	s_cbranch_execz .LBB91_36
; %bb.35:
	s_clause 0x1
	buffer_load_dword v188, off, s[12:15], 0 offset:48
	buffer_load_dword v189, off, s[12:15], 0 offset:52
	s_waitcnt vmcnt(0)
	v_mul_f64 v[122:123], v[188:189], v[122:123]
	ds_read2_b64 v[188:191], v212 offset0:7 offset1:8
	ds_read2_b64 v[192:195], v212 offset0:9 offset1:10
	;; [unrolled: 1-line block ×11, first 2 shown]
	s_waitcnt lgkmcnt(10)
	v_fma_f64 v[106:107], -v[122:123], v[188:189], v[106:107]
	v_fma_f64 v[120:121], -v[122:123], v[190:191], v[120:121]
	s_waitcnt lgkmcnt(9)
	v_fma_f64 v[104:105], -v[122:123], v[192:193], v[104:105]
	v_fma_f64 v[118:119], -v[122:123], v[194:195], v[118:119]
	s_waitcnt lgkmcnt(8)
	v_fma_f64 v[102:103], -v[122:123], v[196:197], v[102:103]
	v_fma_f64 v[116:117], -v[122:123], v[198:199], v[116:117]
	s_waitcnt lgkmcnt(7)
	v_fma_f64 v[100:101], -v[122:123], v[200:201], v[100:101]
	v_fma_f64 v[114:115], -v[122:123], v[202:203], v[114:115]
	s_waitcnt lgkmcnt(6)
	v_fma_f64 v[98:99], -v[122:123], v[204:205], v[98:99]
	v_fma_f64 v[112:113], -v[122:123], v[206:207], v[112:113]
	s_waitcnt lgkmcnt(5)
	v_fma_f64 v[96:97], -v[122:123], v[208:209], v[96:97]
	ds_read2_b64 v[188:191], v212 offset0:29 offset1:30
	ds_read2_b64 v[192:195], v212 offset0:31 offset1:32
	v_fma_f64 v[110:111], -v[122:123], v[210:211], v[110:111]
	s_waitcnt lgkmcnt(6)
	v_fma_f64 v[94:95], -v[122:123], v[213:214], v[94:95]
	ds_read2_b64 v[196:199], v212 offset0:33 offset1:34
	ds_read2_b64 v[200:203], v212 offset0:35 offset1:36
	v_fma_f64 v[142:143], -v[122:123], v[215:216], v[142:143]
	;; [unrolled: 5-line block ×3, first 2 shown]
	s_waitcnt lgkmcnt(8)
	v_fma_f64 v[132:133], -v[122:123], v[221:222], v[132:133]
	ds_read2_b64 v[213:216], v212 offset0:41 offset1:42
	ds_read2_b64 v[217:220], v212 offset0:43 offset1:44
	ds_read_b64 v[221:222], v212 offset:360
	v_fma_f64 v[138:139], -v[122:123], v[223:224], v[138:139]
	s_waitcnt lgkmcnt(10)
	v_fma_f64 v[130:131], -v[122:123], v[225:226], v[130:131]
	v_fma_f64 v[136:137], -v[122:123], v[227:228], v[136:137]
	s_waitcnt lgkmcnt(9)
	v_fma_f64 v[128:129], -v[122:123], v[229:230], v[128:129]
	;; [unrolled: 3-line block ×11, first 2 shown]
.LBB91_36:
	s_or_b32 exec_lo, exec_lo, s1
	s_mov_b32 s1, exec_lo
	s_waitcnt_vscnt null, 0x0
	s_barrier
	buffer_gl0_inv
	v_cmpx_eq_u32_e32 7, v0
	s_cbranch_execz .LBB91_39
; %bb.37:
	v_mov_b32_e32 v188, v120
	v_mov_b32_e32 v189, v121
	;; [unrolled: 1-line block ×16, first 2 shown]
	ds_write_b64 v1, v[106:107]
	ds_write2_b64 v212, v[188:189], v[190:191] offset0:8 offset1:9
	ds_write2_b64 v212, v[192:193], v[194:195] offset0:10 offset1:11
	;; [unrolled: 1-line block ×4, first 2 shown]
	v_mov_b32_e32 v188, v112
	v_mov_b32_e32 v189, v113
	;; [unrolled: 1-line block ×20, first 2 shown]
	ds_write2_b64 v212, v[188:189], v[190:191] offset0:16 offset1:17
	ds_write2_b64 v212, v[192:193], v[194:195] offset0:18 offset1:19
	;; [unrolled: 1-line block ×5, first 2 shown]
	v_mov_b32_e32 v188, v136
	v_mov_b32_e32 v189, v137
	v_mov_b32_e32 v190, v128
	v_mov_b32_e32 v191, v129
	v_mov_b32_e32 v192, v176
	v_mov_b32_e32 v193, v177
	v_mov_b32_e32 v194, v158
	v_mov_b32_e32 v195, v159
	v_mov_b32_e32 v196, v174
	v_mov_b32_e32 v197, v175
	v_mov_b32_e32 v198, v156
	v_mov_b32_e32 v199, v157
	v_mov_b32_e32 v200, v172
	v_mov_b32_e32 v201, v173
	v_mov_b32_e32 v202, v154
	v_mov_b32_e32 v203, v155
	v_mov_b32_e32 v204, v170
	v_mov_b32_e32 v205, v171
	v_mov_b32_e32 v206, v152
	v_mov_b32_e32 v207, v153
	ds_write2_b64 v212, v[188:189], v[190:191] offset0:26 offset1:27
	ds_write2_b64 v212, v[192:193], v[194:195] offset0:28 offset1:29
	;; [unrolled: 1-line block ×5, first 2 shown]
	v_mov_b32_e32 v188, v168
	v_mov_b32_e32 v189, v169
	;; [unrolled: 1-line block ×18, first 2 shown]
	ds_write2_b64 v212, v[188:189], v[190:191] offset0:36 offset1:37
	ds_write2_b64 v212, v[192:193], v[194:195] offset0:38 offset1:39
	;; [unrolled: 1-line block ×5, first 2 shown]
	ds_read_b64 v[188:189], v1
	s_waitcnt lgkmcnt(0)
	v_cmp_neq_f64_e32 vcc_lo, 0, v[188:189]
	s_and_b32 exec_lo, exec_lo, vcc_lo
	s_cbranch_execz .LBB91_39
; %bb.38:
	v_div_scale_f64 v[190:191], null, v[188:189], v[188:189], 1.0
	v_rcp_f64_e32 v[192:193], v[190:191]
	v_fma_f64 v[194:195], -v[190:191], v[192:193], 1.0
	v_fma_f64 v[192:193], v[192:193], v[194:195], v[192:193]
	v_fma_f64 v[194:195], -v[190:191], v[192:193], 1.0
	v_fma_f64 v[192:193], v[192:193], v[194:195], v[192:193]
	v_div_scale_f64 v[194:195], vcc_lo, 1.0, v[188:189], 1.0
	v_mul_f64 v[196:197], v[194:195], v[192:193]
	v_fma_f64 v[190:191], -v[190:191], v[196:197], v[194:195]
	v_div_fmas_f64 v[190:191], v[190:191], v[192:193], v[196:197]
	v_div_fixup_f64 v[188:189], v[190:191], v[188:189], 1.0
	ds_write_b64 v1, v[188:189]
.LBB91_39:
	s_or_b32 exec_lo, exec_lo, s1
	s_waitcnt lgkmcnt(0)
	s_barrier
	buffer_gl0_inv
	ds_read_b64 v[188:189], v1
	s_mov_b32 s1, exec_lo
	s_waitcnt lgkmcnt(0)
	buffer_store_dword v188, off, s[12:15], 0 offset:56 ; 4-byte Folded Spill
	buffer_store_dword v189, off, s[12:15], 0 offset:60 ; 4-byte Folded Spill
	v_cmpx_lt_u32_e32 7, v0
	s_cbranch_execz .LBB91_41
; %bb.40:
	s_clause 0x1
	buffer_load_dword v188, off, s[12:15], 0 offset:56
	buffer_load_dword v189, off, s[12:15], 0 offset:60
	s_waitcnt vmcnt(0)
	v_mul_f64 v[106:107], v[188:189], v[106:107]
	ds_read2_b64 v[188:191], v212 offset0:8 offset1:9
	ds_read2_b64 v[192:195], v212 offset0:10 offset1:11
	;; [unrolled: 1-line block ×12, first 2 shown]
	s_waitcnt lgkmcnt(11)
	v_fma_f64 v[120:121], -v[106:107], v[188:189], v[120:121]
	v_fma_f64 v[104:105], -v[106:107], v[190:191], v[104:105]
	s_waitcnt lgkmcnt(10)
	v_fma_f64 v[118:119], -v[106:107], v[192:193], v[118:119]
	v_fma_f64 v[102:103], -v[106:107], v[194:195], v[102:103]
	;; [unrolled: 3-line block ×5, first 2 shown]
	s_waitcnt lgkmcnt(6)
	v_fma_f64 v[110:111], -v[106:107], v[208:209], v[110:111]
	ds_read2_b64 v[188:191], v212 offset0:32 offset1:33
	ds_read2_b64 v[192:195], v212 offset0:34 offset1:35
	v_fma_f64 v[94:95], -v[106:107], v[210:211], v[94:95]
	s_waitcnt lgkmcnt(7)
	v_fma_f64 v[142:143], -v[106:107], v[213:214], v[142:143]
	ds_read2_b64 v[196:199], v212 offset0:36 offset1:37
	ds_read2_b64 v[200:203], v212 offset0:38 offset1:39
	v_fma_f64 v[134:135], -v[106:107], v[215:216], v[134:135]
	ds_read2_b64 v[204:207], v212 offset0:40 offset1:41
	ds_read2_b64 v[208:211], v212 offset0:42 offset1:43
	;; [unrolled: 1-line block ×3, first 2 shown]
	s_waitcnt lgkmcnt(11)
	v_fma_f64 v[140:141], -v[106:107], v[217:218], v[140:141]
	v_fma_f64 v[132:133], -v[106:107], v[219:220], v[132:133]
	s_waitcnt lgkmcnt(10)
	v_fma_f64 v[138:139], -v[106:107], v[221:222], v[138:139]
	v_fma_f64 v[130:131], -v[106:107], v[223:224], v[130:131]
	;; [unrolled: 3-line block ×12, first 2 shown]
.LBB91_41:
	s_or_b32 exec_lo, exec_lo, s1
	s_mov_b32 s1, exec_lo
	s_waitcnt_vscnt null, 0x0
	s_barrier
	buffer_gl0_inv
	v_cmpx_eq_u32_e32 8, v0
	s_cbranch_execz .LBB91_44
; %bb.42:
	ds_write_b64 v1, v[120:121]
	ds_write2_b64 v212, v[104:105], v[118:119] offset0:9 offset1:10
	ds_write2_b64 v212, v[102:103], v[116:117] offset0:11 offset1:12
	;; [unrolled: 1-line block ×18, first 2 shown]
	ds_write_b64 v212, v[186:187] offset:360
	ds_read_b64 v[188:189], v1
	s_waitcnt lgkmcnt(0)
	v_cmp_neq_f64_e32 vcc_lo, 0, v[188:189]
	s_and_b32 exec_lo, exec_lo, vcc_lo
	s_cbranch_execz .LBB91_44
; %bb.43:
	v_div_scale_f64 v[190:191], null, v[188:189], v[188:189], 1.0
	v_rcp_f64_e32 v[192:193], v[190:191]
	v_fma_f64 v[194:195], -v[190:191], v[192:193], 1.0
	v_fma_f64 v[192:193], v[192:193], v[194:195], v[192:193]
	v_fma_f64 v[194:195], -v[190:191], v[192:193], 1.0
	v_fma_f64 v[192:193], v[192:193], v[194:195], v[192:193]
	v_div_scale_f64 v[194:195], vcc_lo, 1.0, v[188:189], 1.0
	v_mul_f64 v[196:197], v[194:195], v[192:193]
	v_fma_f64 v[190:191], -v[190:191], v[196:197], v[194:195]
	v_div_fmas_f64 v[190:191], v[190:191], v[192:193], v[196:197]
	v_div_fixup_f64 v[188:189], v[190:191], v[188:189], 1.0
	ds_write_b64 v1, v[188:189]
.LBB91_44:
	s_or_b32 exec_lo, exec_lo, s1
	s_waitcnt lgkmcnt(0)
	s_barrier
	buffer_gl0_inv
	ds_read_b64 v[218:219], v1
	s_mov_b32 s1, exec_lo
	v_cmpx_lt_u32_e32 8, v0
	s_cbranch_execz .LBB91_46
; %bb.45:
	s_waitcnt lgkmcnt(0)
	v_mul_f64 v[120:121], v[218:219], v[120:121]
	ds_read2_b64 v[188:191], v212 offset0:9 offset1:10
	ds_read2_b64 v[192:195], v212 offset0:11 offset1:12
	;; [unrolled: 1-line block ×7, first 2 shown]
	v_mov_b32_e32 v238, v219
	v_mov_b32_e32 v237, v218
	ds_read2_b64 v[217:220], v212 offset0:23 offset1:24
	ds_read2_b64 v[221:224], v212 offset0:25 offset1:26
	;; [unrolled: 1-line block ×5, first 2 shown]
	s_waitcnt lgkmcnt(11)
	v_fma_f64 v[104:105], -v[120:121], v[188:189], v[104:105]
	v_fma_f64 v[118:119], -v[120:121], v[190:191], v[118:119]
	s_waitcnt lgkmcnt(10)
	v_fma_f64 v[102:103], -v[120:121], v[192:193], v[102:103]
	v_fma_f64 v[116:117], -v[120:121], v[194:195], v[116:117]
	;; [unrolled: 3-line block ×5, first 2 shown]
	s_waitcnt lgkmcnt(6)
	v_fma_f64 v[94:95], -v[120:121], v[208:209], v[94:95]
	ds_read2_b64 v[188:191], v212 offset0:33 offset1:34
	ds_read2_b64 v[192:195], v212 offset0:35 offset1:36
	v_fma_f64 v[142:143], -v[120:121], v[210:211], v[142:143]
	s_waitcnt lgkmcnt(7)
	v_fma_f64 v[134:135], -v[120:121], v[213:214], v[134:135]
	ds_read2_b64 v[196:199], v212 offset0:37 offset1:38
	ds_read2_b64 v[200:203], v212 offset0:39 offset1:40
	;; [unrolled: 1-line block ×4, first 2 shown]
	ds_read_b64 v[213:214], v212 offset:360
	v_fma_f64 v[140:141], -v[120:121], v[215:216], v[140:141]
	s_waitcnt lgkmcnt(11)
	v_fma_f64 v[132:133], -v[120:121], v[217:218], v[132:133]
	v_fma_f64 v[138:139], -v[120:121], v[219:220], v[138:139]
	s_waitcnt lgkmcnt(10)
	v_fma_f64 v[130:131], -v[120:121], v[221:222], v[130:131]
	;; [unrolled: 3-line block ×12, first 2 shown]
	v_mov_b32_e32 v218, v237
	v_mov_b32_e32 v219, v238
.LBB91_46:
	s_or_b32 exec_lo, exec_lo, s1
	s_mov_b32 s1, exec_lo
	s_waitcnt lgkmcnt(0)
	s_barrier
	buffer_gl0_inv
	v_cmpx_eq_u32_e32 9, v0
	s_cbranch_execz .LBB91_49
; %bb.47:
	v_mov_b32_e32 v188, v118
	v_mov_b32_e32 v189, v119
	;; [unrolled: 1-line block ×12, first 2 shown]
	ds_write_b64 v1, v[104:105]
	ds_write2_b64 v212, v[188:189], v[190:191] offset0:10 offset1:11
	ds_write2_b64 v212, v[192:193], v[194:195] offset0:12 offset1:13
	;; [unrolled: 1-line block ×3, first 2 shown]
	v_mov_b32_e32 v188, v112
	v_mov_b32_e32 v189, v113
	;; [unrolled: 1-line block ×20, first 2 shown]
	ds_write2_b64 v212, v[188:189], v[190:191] offset0:16 offset1:17
	ds_write2_b64 v212, v[192:193], v[194:195] offset0:18 offset1:19
	ds_write2_b64 v212, v[196:197], v[198:199] offset0:20 offset1:21
	ds_write2_b64 v212, v[200:201], v[202:203] offset0:22 offset1:23
	ds_write2_b64 v212, v[204:205], v[206:207] offset0:24 offset1:25
	v_mov_b32_e32 v188, v136
	v_mov_b32_e32 v189, v137
	;; [unrolled: 1-line block ×20, first 2 shown]
	ds_write2_b64 v212, v[188:189], v[190:191] offset0:26 offset1:27
	ds_write2_b64 v212, v[192:193], v[194:195] offset0:28 offset1:29
	ds_write2_b64 v212, v[196:197], v[198:199] offset0:30 offset1:31
	ds_write2_b64 v212, v[200:201], v[202:203] offset0:32 offset1:33
	ds_write2_b64 v212, v[204:205], v[206:207] offset0:34 offset1:35
	v_mov_b32_e32 v188, v168
	v_mov_b32_e32 v189, v169
	;; [unrolled: 1-line block ×18, first 2 shown]
	ds_write2_b64 v212, v[188:189], v[190:191] offset0:36 offset1:37
	ds_write2_b64 v212, v[192:193], v[194:195] offset0:38 offset1:39
	;; [unrolled: 1-line block ×5, first 2 shown]
	ds_read_b64 v[188:189], v1
	s_waitcnt lgkmcnt(0)
	v_cmp_neq_f64_e32 vcc_lo, 0, v[188:189]
	s_and_b32 exec_lo, exec_lo, vcc_lo
	s_cbranch_execz .LBB91_49
; %bb.48:
	v_div_scale_f64 v[190:191], null, v[188:189], v[188:189], 1.0
	v_rcp_f64_e32 v[192:193], v[190:191]
	v_fma_f64 v[194:195], -v[190:191], v[192:193], 1.0
	v_fma_f64 v[192:193], v[192:193], v[194:195], v[192:193]
	v_fma_f64 v[194:195], -v[190:191], v[192:193], 1.0
	v_fma_f64 v[192:193], v[192:193], v[194:195], v[192:193]
	v_div_scale_f64 v[194:195], vcc_lo, 1.0, v[188:189], 1.0
	v_mul_f64 v[196:197], v[194:195], v[192:193]
	v_fma_f64 v[190:191], -v[190:191], v[196:197], v[194:195]
	v_div_fmas_f64 v[190:191], v[190:191], v[192:193], v[196:197]
	v_div_fixup_f64 v[188:189], v[190:191], v[188:189], 1.0
	ds_write_b64 v1, v[188:189]
.LBB91_49:
	s_or_b32 exec_lo, exec_lo, s1
	s_waitcnt lgkmcnt(0)
	s_barrier
	buffer_gl0_inv
	ds_read_b64 v[188:189], v1
	s_mov_b32 s1, exec_lo
	s_waitcnt lgkmcnt(0)
	buffer_store_dword v188, off, s[12:15], 0 offset:64 ; 4-byte Folded Spill
	buffer_store_dword v189, off, s[12:15], 0 offset:68 ; 4-byte Folded Spill
	v_cmpx_lt_u32_e32 9, v0
	s_cbranch_execz .LBB91_51
; %bb.50:
	s_clause 0x1
	buffer_load_dword v188, off, s[12:15], 0 offset:64
	buffer_load_dword v189, off, s[12:15], 0 offset:68
	s_waitcnt vmcnt(0)
	v_mul_f64 v[104:105], v[188:189], v[104:105]
	ds_read2_b64 v[188:191], v212 offset0:10 offset1:11
	s_waitcnt lgkmcnt(0)
	v_fma_f64 v[118:119], -v[104:105], v[188:189], v[118:119]
	v_fma_f64 v[102:103], -v[104:105], v[190:191], v[102:103]
	ds_read2_b64 v[188:191], v212 offset0:12 offset1:13
	s_waitcnt lgkmcnt(0)
	v_fma_f64 v[116:117], -v[104:105], v[188:189], v[116:117]
	v_fma_f64 v[100:101], -v[104:105], v[190:191], v[100:101]
	;; [unrolled: 4-line block ×18, first 2 shown]
.LBB91_51:
	s_or_b32 exec_lo, exec_lo, s1
	s_mov_b32 s1, exec_lo
	s_waitcnt_vscnt null, 0x0
	s_barrier
	buffer_gl0_inv
	v_cmpx_eq_u32_e32 10, v0
	s_cbranch_execz .LBB91_54
; %bb.52:
	ds_write_b64 v1, v[118:119]
	ds_write2_b64 v212, v[102:103], v[116:117] offset0:11 offset1:12
	ds_write2_b64 v212, v[100:101], v[114:115] offset0:13 offset1:14
	;; [unrolled: 1-line block ×17, first 2 shown]
	ds_write_b64 v212, v[186:187] offset:360
	ds_read_b64 v[188:189], v1
	s_waitcnt lgkmcnt(0)
	v_cmp_neq_f64_e32 vcc_lo, 0, v[188:189]
	s_and_b32 exec_lo, exec_lo, vcc_lo
	s_cbranch_execz .LBB91_54
; %bb.53:
	v_div_scale_f64 v[190:191], null, v[188:189], v[188:189], 1.0
	v_rcp_f64_e32 v[192:193], v[190:191]
	v_fma_f64 v[194:195], -v[190:191], v[192:193], 1.0
	v_fma_f64 v[192:193], v[192:193], v[194:195], v[192:193]
	v_fma_f64 v[194:195], -v[190:191], v[192:193], 1.0
	v_fma_f64 v[192:193], v[192:193], v[194:195], v[192:193]
	v_div_scale_f64 v[194:195], vcc_lo, 1.0, v[188:189], 1.0
	v_mul_f64 v[196:197], v[194:195], v[192:193]
	v_fma_f64 v[190:191], -v[190:191], v[196:197], v[194:195]
	v_div_fmas_f64 v[190:191], v[190:191], v[192:193], v[196:197]
	v_div_fixup_f64 v[188:189], v[190:191], v[188:189], 1.0
	ds_write_b64 v1, v[188:189]
.LBB91_54:
	s_or_b32 exec_lo, exec_lo, s1
	s_waitcnt lgkmcnt(0)
	s_barrier
	buffer_gl0_inv
	ds_read_b64 v[188:189], v1
	s_mov_b32 s1, exec_lo
	s_waitcnt lgkmcnt(0)
	buffer_store_dword v188, off, s[12:15], 0 offset:72 ; 4-byte Folded Spill
	buffer_store_dword v189, off, s[12:15], 0 offset:76 ; 4-byte Folded Spill
	v_cmpx_lt_u32_e32 10, v0
	s_cbranch_execz .LBB91_56
; %bb.55:
	s_clause 0x1
	buffer_load_dword v188, off, s[12:15], 0 offset:72
	buffer_load_dword v189, off, s[12:15], 0 offset:76
	s_waitcnt vmcnt(0)
	v_mul_f64 v[118:119], v[188:189], v[118:119]
	ds_read2_b64 v[188:191], v212 offset0:11 offset1:12
	s_waitcnt lgkmcnt(0)
	v_fma_f64 v[102:103], -v[118:119], v[188:189], v[102:103]
	v_fma_f64 v[116:117], -v[118:119], v[190:191], v[116:117]
	ds_read2_b64 v[188:191], v212 offset0:13 offset1:14
	s_waitcnt lgkmcnt(0)
	v_fma_f64 v[100:101], -v[118:119], v[188:189], v[100:101]
	v_fma_f64 v[114:115], -v[118:119], v[190:191], v[114:115]
	;; [unrolled: 4-line block ×16, first 2 shown]
	ds_read2_b64 v[188:191], v212 offset0:43 offset1:44
	s_waitcnt lgkmcnt(0)
	v_fma_f64 v[144:145], -v[118:119], v[188:189], v[144:145]
	ds_read_b64 v[188:189], v212 offset:360
	v_fma_f64 v[160:161], -v[118:119], v[190:191], v[160:161]
	s_waitcnt lgkmcnt(0)
	v_fma_f64 v[186:187], -v[118:119], v[188:189], v[186:187]
.LBB91_56:
	s_or_b32 exec_lo, exec_lo, s1
	s_mov_b32 s1, exec_lo
	s_waitcnt_vscnt null, 0x0
	s_barrier
	buffer_gl0_inv
	v_cmpx_eq_u32_e32 11, v0
	s_cbranch_execz .LBB91_59
; %bb.57:
	v_mov_b32_e32 v188, v116
	v_mov_b32_e32 v189, v117
	;; [unrolled: 1-line block ×8, first 2 shown]
	ds_write_b64 v1, v[102:103]
	ds_write2_b64 v212, v[188:189], v[190:191] offset0:12 offset1:13
	ds_write2_b64 v212, v[192:193], v[194:195] offset0:14 offset1:15
	v_mov_b32_e32 v188, v112
	v_mov_b32_e32 v189, v113
	;; [unrolled: 1-line block ×20, first 2 shown]
	ds_write2_b64 v212, v[188:189], v[190:191] offset0:16 offset1:17
	ds_write2_b64 v212, v[192:193], v[194:195] offset0:18 offset1:19
	ds_write2_b64 v212, v[196:197], v[198:199] offset0:20 offset1:21
	ds_write2_b64 v212, v[200:201], v[202:203] offset0:22 offset1:23
	ds_write2_b64 v212, v[204:205], v[206:207] offset0:24 offset1:25
	v_mov_b32_e32 v188, v136
	v_mov_b32_e32 v189, v137
	;; [unrolled: 1-line block ×20, first 2 shown]
	ds_write2_b64 v212, v[188:189], v[190:191] offset0:26 offset1:27
	ds_write2_b64 v212, v[192:193], v[194:195] offset0:28 offset1:29
	;; [unrolled: 1-line block ×5, first 2 shown]
	v_mov_b32_e32 v188, v168
	v_mov_b32_e32 v189, v169
	;; [unrolled: 1-line block ×18, first 2 shown]
	ds_write2_b64 v212, v[188:189], v[190:191] offset0:36 offset1:37
	ds_write2_b64 v212, v[192:193], v[194:195] offset0:38 offset1:39
	;; [unrolled: 1-line block ×5, first 2 shown]
	ds_read_b64 v[188:189], v1
	s_waitcnt lgkmcnt(0)
	v_cmp_neq_f64_e32 vcc_lo, 0, v[188:189]
	s_and_b32 exec_lo, exec_lo, vcc_lo
	s_cbranch_execz .LBB91_59
; %bb.58:
	v_div_scale_f64 v[190:191], null, v[188:189], v[188:189], 1.0
	v_rcp_f64_e32 v[192:193], v[190:191]
	v_fma_f64 v[194:195], -v[190:191], v[192:193], 1.0
	v_fma_f64 v[192:193], v[192:193], v[194:195], v[192:193]
	v_fma_f64 v[194:195], -v[190:191], v[192:193], 1.0
	v_fma_f64 v[192:193], v[192:193], v[194:195], v[192:193]
	v_div_scale_f64 v[194:195], vcc_lo, 1.0, v[188:189], 1.0
	v_mul_f64 v[196:197], v[194:195], v[192:193]
	v_fma_f64 v[190:191], -v[190:191], v[196:197], v[194:195]
	v_div_fmas_f64 v[190:191], v[190:191], v[192:193], v[196:197]
	v_div_fixup_f64 v[188:189], v[190:191], v[188:189], 1.0
	ds_write_b64 v1, v[188:189]
.LBB91_59:
	s_or_b32 exec_lo, exec_lo, s1
	s_waitcnt lgkmcnt(0)
	s_barrier
	buffer_gl0_inv
	ds_read_b64 v[188:189], v1
	s_mov_b32 s1, exec_lo
	s_waitcnt lgkmcnt(0)
	buffer_store_dword v188, off, s[12:15], 0 offset:80 ; 4-byte Folded Spill
	buffer_store_dword v189, off, s[12:15], 0 offset:84 ; 4-byte Folded Spill
	v_cmpx_lt_u32_e32 11, v0
	s_cbranch_execz .LBB91_61
; %bb.60:
	s_clause 0x1
	buffer_load_dword v188, off, s[12:15], 0 offset:80
	buffer_load_dword v189, off, s[12:15], 0 offset:84
	s_waitcnt vmcnt(0)
	v_mul_f64 v[102:103], v[188:189], v[102:103]
	ds_read2_b64 v[188:191], v212 offset0:12 offset1:13
	s_waitcnt lgkmcnt(0)
	v_fma_f64 v[116:117], -v[102:103], v[188:189], v[116:117]
	v_fma_f64 v[100:101], -v[102:103], v[190:191], v[100:101]
	ds_read2_b64 v[188:191], v212 offset0:14 offset1:15
	s_waitcnt lgkmcnt(0)
	v_fma_f64 v[114:115], -v[102:103], v[188:189], v[114:115]
	v_fma_f64 v[98:99], -v[102:103], v[190:191], v[98:99]
	;; [unrolled: 4-line block ×17, first 2 shown]
.LBB91_61:
	s_or_b32 exec_lo, exec_lo, s1
	s_mov_b32 s1, exec_lo
	s_waitcnt_vscnt null, 0x0
	s_barrier
	buffer_gl0_inv
	v_cmpx_eq_u32_e32 12, v0
	s_cbranch_execz .LBB91_64
; %bb.62:
	ds_write_b64 v1, v[116:117]
	ds_write2_b64 v212, v[100:101], v[114:115] offset0:13 offset1:14
	ds_write2_b64 v212, v[98:99], v[112:113] offset0:15 offset1:16
	;; [unrolled: 1-line block ×16, first 2 shown]
	ds_write_b64 v212, v[186:187] offset:360
	ds_read_b64 v[188:189], v1
	s_waitcnt lgkmcnt(0)
	v_cmp_neq_f64_e32 vcc_lo, 0, v[188:189]
	s_and_b32 exec_lo, exec_lo, vcc_lo
	s_cbranch_execz .LBB91_64
; %bb.63:
	v_div_scale_f64 v[190:191], null, v[188:189], v[188:189], 1.0
	v_rcp_f64_e32 v[192:193], v[190:191]
	v_fma_f64 v[194:195], -v[190:191], v[192:193], 1.0
	v_fma_f64 v[192:193], v[192:193], v[194:195], v[192:193]
	v_fma_f64 v[194:195], -v[190:191], v[192:193], 1.0
	v_fma_f64 v[192:193], v[192:193], v[194:195], v[192:193]
	v_div_scale_f64 v[194:195], vcc_lo, 1.0, v[188:189], 1.0
	v_mul_f64 v[196:197], v[194:195], v[192:193]
	v_fma_f64 v[190:191], -v[190:191], v[196:197], v[194:195]
	v_div_fmas_f64 v[190:191], v[190:191], v[192:193], v[196:197]
	v_div_fixup_f64 v[188:189], v[190:191], v[188:189], 1.0
	ds_write_b64 v1, v[188:189]
.LBB91_64:
	s_or_b32 exec_lo, exec_lo, s1
	s_waitcnt lgkmcnt(0)
	s_barrier
	buffer_gl0_inv
	ds_read_b64 v[188:189], v1
	s_mov_b32 s1, exec_lo
	s_waitcnt lgkmcnt(0)
	buffer_store_dword v188, off, s[12:15], 0 offset:88 ; 4-byte Folded Spill
	buffer_store_dword v189, off, s[12:15], 0 offset:92 ; 4-byte Folded Spill
	v_cmpx_lt_u32_e32 12, v0
	s_cbranch_execz .LBB91_66
; %bb.65:
	s_clause 0x1
	buffer_load_dword v188, off, s[12:15], 0 offset:88
	buffer_load_dword v189, off, s[12:15], 0 offset:92
	s_waitcnt vmcnt(0)
	v_mul_f64 v[116:117], v[188:189], v[116:117]
	ds_read2_b64 v[188:191], v212 offset0:13 offset1:14
	s_waitcnt lgkmcnt(0)
	v_fma_f64 v[100:101], -v[116:117], v[188:189], v[100:101]
	v_fma_f64 v[114:115], -v[116:117], v[190:191], v[114:115]
	ds_read2_b64 v[188:191], v212 offset0:15 offset1:16
	s_waitcnt lgkmcnt(0)
	v_fma_f64 v[98:99], -v[116:117], v[188:189], v[98:99]
	v_fma_f64 v[112:113], -v[116:117], v[190:191], v[112:113]
	;; [unrolled: 4-line block ×15, first 2 shown]
	ds_read2_b64 v[188:191], v212 offset0:43 offset1:44
	s_waitcnt lgkmcnt(0)
	v_fma_f64 v[144:145], -v[116:117], v[188:189], v[144:145]
	ds_read_b64 v[188:189], v212 offset:360
	v_fma_f64 v[160:161], -v[116:117], v[190:191], v[160:161]
	s_waitcnt lgkmcnt(0)
	v_fma_f64 v[186:187], -v[116:117], v[188:189], v[186:187]
.LBB91_66:
	s_or_b32 exec_lo, exec_lo, s1
	s_mov_b32 s1, exec_lo
	s_waitcnt_vscnt null, 0x0
	s_barrier
	buffer_gl0_inv
	v_cmpx_eq_u32_e32 13, v0
	s_cbranch_execz .LBB91_69
; %bb.67:
	v_mov_b32_e32 v188, v114
	v_mov_b32_e32 v189, v115
	;; [unrolled: 1-line block ×4, first 2 shown]
	ds_write_b64 v1, v[100:101]
	ds_write2_b64 v212, v[188:189], v[190:191] offset0:14 offset1:15
	v_mov_b32_e32 v188, v112
	v_mov_b32_e32 v189, v113
	;; [unrolled: 1-line block ×20, first 2 shown]
	ds_write2_b64 v212, v[188:189], v[190:191] offset0:16 offset1:17
	ds_write2_b64 v212, v[192:193], v[194:195] offset0:18 offset1:19
	;; [unrolled: 1-line block ×5, first 2 shown]
	v_mov_b32_e32 v188, v136
	v_mov_b32_e32 v189, v137
	;; [unrolled: 1-line block ×20, first 2 shown]
	ds_write2_b64 v212, v[188:189], v[190:191] offset0:26 offset1:27
	ds_write2_b64 v212, v[192:193], v[194:195] offset0:28 offset1:29
	;; [unrolled: 1-line block ×5, first 2 shown]
	v_mov_b32_e32 v188, v168
	v_mov_b32_e32 v189, v169
	;; [unrolled: 1-line block ×18, first 2 shown]
	ds_write2_b64 v212, v[188:189], v[190:191] offset0:36 offset1:37
	ds_write2_b64 v212, v[192:193], v[194:195] offset0:38 offset1:39
	;; [unrolled: 1-line block ×5, first 2 shown]
	ds_read_b64 v[188:189], v1
	s_waitcnt lgkmcnt(0)
	v_cmp_neq_f64_e32 vcc_lo, 0, v[188:189]
	s_and_b32 exec_lo, exec_lo, vcc_lo
	s_cbranch_execz .LBB91_69
; %bb.68:
	v_div_scale_f64 v[190:191], null, v[188:189], v[188:189], 1.0
	v_rcp_f64_e32 v[192:193], v[190:191]
	v_fma_f64 v[194:195], -v[190:191], v[192:193], 1.0
	v_fma_f64 v[192:193], v[192:193], v[194:195], v[192:193]
	v_fma_f64 v[194:195], -v[190:191], v[192:193], 1.0
	v_fma_f64 v[192:193], v[192:193], v[194:195], v[192:193]
	v_div_scale_f64 v[194:195], vcc_lo, 1.0, v[188:189], 1.0
	v_mul_f64 v[196:197], v[194:195], v[192:193]
	v_fma_f64 v[190:191], -v[190:191], v[196:197], v[194:195]
	v_div_fmas_f64 v[190:191], v[190:191], v[192:193], v[196:197]
	v_div_fixup_f64 v[188:189], v[190:191], v[188:189], 1.0
	ds_write_b64 v1, v[188:189]
.LBB91_69:
	s_or_b32 exec_lo, exec_lo, s1
	s_waitcnt lgkmcnt(0)
	s_barrier
	buffer_gl0_inv
	ds_read_b64 v[227:228], v1
	s_mov_b32 s1, exec_lo
	v_cmpx_lt_u32_e32 13, v0
	s_cbranch_execz .LBB91_71
; %bb.70:
	s_waitcnt lgkmcnt(0)
	v_mul_f64 v[100:101], v[227:228], v[100:101]
	ds_read2_b64 v[188:191], v212 offset0:14 offset1:15
	s_waitcnt lgkmcnt(0)
	v_fma_f64 v[114:115], -v[100:101], v[188:189], v[114:115]
	v_fma_f64 v[98:99], -v[100:101], v[190:191], v[98:99]
	ds_read2_b64 v[188:191], v212 offset0:16 offset1:17
	s_waitcnt lgkmcnt(0)
	v_fma_f64 v[112:113], -v[100:101], v[188:189], v[112:113]
	v_fma_f64 v[96:97], -v[100:101], v[190:191], v[96:97]
	;; [unrolled: 4-line block ×16, first 2 shown]
.LBB91_71:
	s_or_b32 exec_lo, exec_lo, s1
	s_mov_b32 s1, exec_lo
	s_waitcnt lgkmcnt(0)
	s_barrier
	buffer_gl0_inv
	v_cmpx_eq_u32_e32 14, v0
	s_cbranch_execz .LBB91_74
; %bb.72:
	ds_write_b64 v1, v[114:115]
	ds_write2_b64 v212, v[98:99], v[112:113] offset0:15 offset1:16
	ds_write2_b64 v212, v[96:97], v[110:111] offset0:17 offset1:18
	ds_write2_b64 v212, v[94:95], v[142:143] offset0:19 offset1:20
	ds_write2_b64 v212, v[134:135], v[140:141] offset0:21 offset1:22
	ds_write2_b64 v212, v[132:133], v[138:139] offset0:23 offset1:24
	ds_write2_b64 v212, v[130:131], v[136:137] offset0:25 offset1:26
	ds_write2_b64 v212, v[128:129], v[176:177] offset0:27 offset1:28
	ds_write2_b64 v212, v[158:159], v[174:175] offset0:29 offset1:30
	ds_write2_b64 v212, v[156:157], v[172:173] offset0:31 offset1:32
	ds_write2_b64 v212, v[154:155], v[170:171] offset0:33 offset1:34
	ds_write2_b64 v212, v[152:153], v[168:169] offset0:35 offset1:36
	ds_write2_b64 v212, v[150:151], v[166:167] offset0:37 offset1:38
	ds_write2_b64 v212, v[148:149], v[164:165] offset0:39 offset1:40
	ds_write2_b64 v212, v[146:147], v[162:163] offset0:41 offset1:42
	ds_write2_b64 v212, v[144:145], v[160:161] offset0:43 offset1:44
	ds_write_b64 v212, v[186:187] offset:360
	ds_read_b64 v[188:189], v1
	s_waitcnt lgkmcnt(0)
	v_cmp_neq_f64_e32 vcc_lo, 0, v[188:189]
	s_and_b32 exec_lo, exec_lo, vcc_lo
	s_cbranch_execz .LBB91_74
; %bb.73:
	v_div_scale_f64 v[190:191], null, v[188:189], v[188:189], 1.0
	v_rcp_f64_e32 v[192:193], v[190:191]
	v_fma_f64 v[194:195], -v[190:191], v[192:193], 1.0
	v_fma_f64 v[192:193], v[192:193], v[194:195], v[192:193]
	v_fma_f64 v[194:195], -v[190:191], v[192:193], 1.0
	v_fma_f64 v[192:193], v[192:193], v[194:195], v[192:193]
	v_div_scale_f64 v[194:195], vcc_lo, 1.0, v[188:189], 1.0
	v_mul_f64 v[196:197], v[194:195], v[192:193]
	v_fma_f64 v[190:191], -v[190:191], v[196:197], v[194:195]
	v_div_fmas_f64 v[190:191], v[190:191], v[192:193], v[196:197]
	v_div_fixup_f64 v[188:189], v[190:191], v[188:189], 1.0
	ds_write_b64 v1, v[188:189]
.LBB91_74:
	s_or_b32 exec_lo, exec_lo, s1
	s_waitcnt lgkmcnt(0)
	s_barrier
	buffer_gl0_inv
	ds_read_b64 v[220:221], v1
	s_mov_b32 s1, exec_lo
	v_cmpx_lt_u32_e32 14, v0
	s_cbranch_execz .LBB91_76
; %bb.75:
	s_waitcnt lgkmcnt(0)
	v_mul_f64 v[114:115], v[220:221], v[114:115]
	ds_read2_b64 v[188:191], v212 offset0:15 offset1:16
	s_waitcnt lgkmcnt(0)
	v_fma_f64 v[98:99], -v[114:115], v[188:189], v[98:99]
	v_fma_f64 v[112:113], -v[114:115], v[190:191], v[112:113]
	ds_read2_b64 v[188:191], v212 offset0:17 offset1:18
	s_waitcnt lgkmcnt(0)
	v_fma_f64 v[96:97], -v[114:115], v[188:189], v[96:97]
	v_fma_f64 v[110:111], -v[114:115], v[190:191], v[110:111]
	;; [unrolled: 4-line block ×14, first 2 shown]
	ds_read2_b64 v[188:191], v212 offset0:43 offset1:44
	s_waitcnt lgkmcnt(0)
	v_fma_f64 v[144:145], -v[114:115], v[188:189], v[144:145]
	ds_read_b64 v[188:189], v212 offset:360
	v_fma_f64 v[160:161], -v[114:115], v[190:191], v[160:161]
	s_waitcnt lgkmcnt(0)
	v_fma_f64 v[186:187], -v[114:115], v[188:189], v[186:187]
.LBB91_76:
	s_or_b32 exec_lo, exec_lo, s1
	s_mov_b32 s1, exec_lo
	s_waitcnt lgkmcnt(0)
	s_barrier
	buffer_gl0_inv
	v_cmpx_eq_u32_e32 15, v0
	s_cbranch_execz .LBB91_79
; %bb.77:
	v_mov_b32_e32 v188, v112
	v_mov_b32_e32 v189, v113
	;; [unrolled: 1-line block ×20, first 2 shown]
	ds_write_b64 v1, v[98:99]
	ds_write2_b64 v212, v[188:189], v[190:191] offset0:16 offset1:17
	ds_write2_b64 v212, v[192:193], v[194:195] offset0:18 offset1:19
	;; [unrolled: 1-line block ×5, first 2 shown]
	v_mov_b32_e32 v188, v136
	v_mov_b32_e32 v189, v137
	;; [unrolled: 1-line block ×20, first 2 shown]
	ds_write2_b64 v212, v[188:189], v[190:191] offset0:26 offset1:27
	ds_write2_b64 v212, v[192:193], v[194:195] offset0:28 offset1:29
	;; [unrolled: 1-line block ×5, first 2 shown]
	v_mov_b32_e32 v188, v168
	v_mov_b32_e32 v189, v169
	;; [unrolled: 1-line block ×18, first 2 shown]
	ds_write2_b64 v212, v[188:189], v[190:191] offset0:36 offset1:37
	ds_write2_b64 v212, v[192:193], v[194:195] offset0:38 offset1:39
	;; [unrolled: 1-line block ×5, first 2 shown]
	ds_read_b64 v[188:189], v1
	s_waitcnt lgkmcnt(0)
	v_cmp_neq_f64_e32 vcc_lo, 0, v[188:189]
	s_and_b32 exec_lo, exec_lo, vcc_lo
	s_cbranch_execz .LBB91_79
; %bb.78:
	v_div_scale_f64 v[190:191], null, v[188:189], v[188:189], 1.0
	v_rcp_f64_e32 v[192:193], v[190:191]
	v_fma_f64 v[194:195], -v[190:191], v[192:193], 1.0
	v_fma_f64 v[192:193], v[192:193], v[194:195], v[192:193]
	v_fma_f64 v[194:195], -v[190:191], v[192:193], 1.0
	v_fma_f64 v[192:193], v[192:193], v[194:195], v[192:193]
	v_div_scale_f64 v[194:195], vcc_lo, 1.0, v[188:189], 1.0
	v_mul_f64 v[196:197], v[194:195], v[192:193]
	v_fma_f64 v[190:191], -v[190:191], v[196:197], v[194:195]
	v_div_fmas_f64 v[190:191], v[190:191], v[192:193], v[196:197]
	v_div_fixup_f64 v[188:189], v[190:191], v[188:189], 1.0
	ds_write_b64 v1, v[188:189]
.LBB91_79:
	s_or_b32 exec_lo, exec_lo, s1
	s_waitcnt lgkmcnt(0)
	s_barrier
	buffer_gl0_inv
	ds_read_b64 v[222:223], v1
	s_mov_b32 s1, exec_lo
	v_cmpx_lt_u32_e32 15, v0
	s_cbranch_execz .LBB91_81
; %bb.80:
	s_waitcnt lgkmcnt(0)
	v_mul_f64 v[98:99], v[222:223], v[98:99]
	ds_read2_b64 v[188:191], v212 offset0:16 offset1:17
	s_waitcnt lgkmcnt(0)
	v_fma_f64 v[112:113], -v[98:99], v[188:189], v[112:113]
	v_fma_f64 v[96:97], -v[98:99], v[190:191], v[96:97]
	ds_read2_b64 v[188:191], v212 offset0:18 offset1:19
	s_waitcnt lgkmcnt(0)
	v_fma_f64 v[110:111], -v[98:99], v[188:189], v[110:111]
	v_fma_f64 v[94:95], -v[98:99], v[190:191], v[94:95]
	;; [unrolled: 4-line block ×15, first 2 shown]
.LBB91_81:
	s_or_b32 exec_lo, exec_lo, s1
	s_mov_b32 s1, exec_lo
	s_waitcnt lgkmcnt(0)
	s_barrier
	buffer_gl0_inv
	v_cmpx_eq_u32_e32 16, v0
	s_cbranch_execz .LBB91_84
; %bb.82:
	ds_write_b64 v1, v[112:113]
	ds_write2_b64 v212, v[96:97], v[110:111] offset0:17 offset1:18
	ds_write2_b64 v212, v[94:95], v[142:143] offset0:19 offset1:20
	;; [unrolled: 1-line block ×14, first 2 shown]
	ds_write_b64 v212, v[186:187] offset:360
	ds_read_b64 v[188:189], v1
	s_waitcnt lgkmcnt(0)
	v_cmp_neq_f64_e32 vcc_lo, 0, v[188:189]
	s_and_b32 exec_lo, exec_lo, vcc_lo
	s_cbranch_execz .LBB91_84
; %bb.83:
	v_div_scale_f64 v[190:191], null, v[188:189], v[188:189], 1.0
	v_rcp_f64_e32 v[192:193], v[190:191]
	v_fma_f64 v[194:195], -v[190:191], v[192:193], 1.0
	v_fma_f64 v[192:193], v[192:193], v[194:195], v[192:193]
	v_fma_f64 v[194:195], -v[190:191], v[192:193], 1.0
	v_fma_f64 v[192:193], v[192:193], v[194:195], v[192:193]
	v_div_scale_f64 v[194:195], vcc_lo, 1.0, v[188:189], 1.0
	v_mul_f64 v[196:197], v[194:195], v[192:193]
	v_fma_f64 v[190:191], -v[190:191], v[196:197], v[194:195]
	v_div_fmas_f64 v[190:191], v[190:191], v[192:193], v[196:197]
	v_div_fixup_f64 v[188:189], v[190:191], v[188:189], 1.0
	ds_write_b64 v1, v[188:189]
.LBB91_84:
	s_or_b32 exec_lo, exec_lo, s1
	s_waitcnt lgkmcnt(0)
	s_barrier
	buffer_gl0_inv
	ds_read_b64 v[224:225], v1
	s_mov_b32 s1, exec_lo
	v_cmpx_lt_u32_e32 16, v0
	s_cbranch_execz .LBB91_86
; %bb.85:
	s_waitcnt lgkmcnt(0)
	v_mul_f64 v[112:113], v[224:225], v[112:113]
	ds_read2_b64 v[188:191], v212 offset0:17 offset1:18
	s_waitcnt lgkmcnt(0)
	v_fma_f64 v[96:97], -v[112:113], v[188:189], v[96:97]
	v_fma_f64 v[110:111], -v[112:113], v[190:191], v[110:111]
	ds_read2_b64 v[188:191], v212 offset0:19 offset1:20
	s_waitcnt lgkmcnt(0)
	v_fma_f64 v[94:95], -v[112:113], v[188:189], v[94:95]
	v_fma_f64 v[142:143], -v[112:113], v[190:191], v[142:143]
	;; [unrolled: 4-line block ×13, first 2 shown]
	ds_read2_b64 v[188:191], v212 offset0:43 offset1:44
	s_waitcnt lgkmcnt(0)
	v_fma_f64 v[144:145], -v[112:113], v[188:189], v[144:145]
	ds_read_b64 v[188:189], v212 offset:360
	v_fma_f64 v[160:161], -v[112:113], v[190:191], v[160:161]
	s_waitcnt lgkmcnt(0)
	v_fma_f64 v[186:187], -v[112:113], v[188:189], v[186:187]
.LBB91_86:
	s_or_b32 exec_lo, exec_lo, s1
	s_mov_b32 s1, exec_lo
	s_waitcnt lgkmcnt(0)
	s_barrier
	buffer_gl0_inv
	v_cmpx_eq_u32_e32 17, v0
	s_cbranch_execz .LBB91_89
; %bb.87:
	v_mov_b32_e32 v188, v110
	v_mov_b32_e32 v189, v111
	;; [unrolled: 1-line block ×16, first 2 shown]
	ds_write_b64 v1, v[96:97]
	ds_write2_b64 v212, v[188:189], v[190:191] offset0:18 offset1:19
	ds_write2_b64 v212, v[192:193], v[194:195] offset0:20 offset1:21
	;; [unrolled: 1-line block ×4, first 2 shown]
	v_mov_b32_e32 v188, v136
	v_mov_b32_e32 v189, v137
	;; [unrolled: 1-line block ×20, first 2 shown]
	ds_write2_b64 v212, v[188:189], v[190:191] offset0:26 offset1:27
	ds_write2_b64 v212, v[192:193], v[194:195] offset0:28 offset1:29
	ds_write2_b64 v212, v[196:197], v[198:199] offset0:30 offset1:31
	ds_write2_b64 v212, v[200:201], v[202:203] offset0:32 offset1:33
	ds_write2_b64 v212, v[204:205], v[206:207] offset0:34 offset1:35
	v_mov_b32_e32 v188, v168
	v_mov_b32_e32 v189, v169
	;; [unrolled: 1-line block ×18, first 2 shown]
	ds_write2_b64 v212, v[188:189], v[190:191] offset0:36 offset1:37
	ds_write2_b64 v212, v[192:193], v[194:195] offset0:38 offset1:39
	ds_write2_b64 v212, v[196:197], v[198:199] offset0:40 offset1:41
	ds_write2_b64 v212, v[200:201], v[202:203] offset0:42 offset1:43
	ds_write2_b64 v212, v[204:205], v[186:187] offset0:44 offset1:45
	ds_read_b64 v[188:189], v1
	s_waitcnt lgkmcnt(0)
	v_cmp_neq_f64_e32 vcc_lo, 0, v[188:189]
	s_and_b32 exec_lo, exec_lo, vcc_lo
	s_cbranch_execz .LBB91_89
; %bb.88:
	v_div_scale_f64 v[190:191], null, v[188:189], v[188:189], 1.0
	v_rcp_f64_e32 v[192:193], v[190:191]
	v_fma_f64 v[194:195], -v[190:191], v[192:193], 1.0
	v_fma_f64 v[192:193], v[192:193], v[194:195], v[192:193]
	v_fma_f64 v[194:195], -v[190:191], v[192:193], 1.0
	v_fma_f64 v[192:193], v[192:193], v[194:195], v[192:193]
	v_div_scale_f64 v[194:195], vcc_lo, 1.0, v[188:189], 1.0
	v_mul_f64 v[196:197], v[194:195], v[192:193]
	v_fma_f64 v[190:191], -v[190:191], v[196:197], v[194:195]
	v_div_fmas_f64 v[190:191], v[190:191], v[192:193], v[196:197]
	v_div_fixup_f64 v[188:189], v[190:191], v[188:189], 1.0
	ds_write_b64 v1, v[188:189]
.LBB91_89:
	s_or_b32 exec_lo, exec_lo, s1
	s_waitcnt lgkmcnt(0)
	s_barrier
	buffer_gl0_inv
	ds_read_b64 v[229:230], v1
	s_mov_b32 s1, exec_lo
	v_cmpx_lt_u32_e32 17, v0
	s_cbranch_execz .LBB91_91
; %bb.90:
	s_waitcnt lgkmcnt(0)
	v_mul_f64 v[96:97], v[229:230], v[96:97]
	ds_read2_b64 v[188:191], v212 offset0:18 offset1:19
	s_waitcnt lgkmcnt(0)
	v_fma_f64 v[110:111], -v[96:97], v[188:189], v[110:111]
	v_fma_f64 v[94:95], -v[96:97], v[190:191], v[94:95]
	ds_read2_b64 v[188:191], v212 offset0:20 offset1:21
	s_waitcnt lgkmcnt(0)
	v_fma_f64 v[142:143], -v[96:97], v[188:189], v[142:143]
	v_fma_f64 v[134:135], -v[96:97], v[190:191], v[134:135]
	;; [unrolled: 4-line block ×14, first 2 shown]
.LBB91_91:
	s_or_b32 exec_lo, exec_lo, s1
	s_mov_b32 s1, exec_lo
	s_waitcnt lgkmcnt(0)
	s_barrier
	buffer_gl0_inv
	v_cmpx_eq_u32_e32 18, v0
	s_cbranch_execz .LBB91_94
; %bb.92:
	ds_write_b64 v1, v[110:111]
	ds_write2_b64 v212, v[94:95], v[142:143] offset0:19 offset1:20
	ds_write2_b64 v212, v[134:135], v[140:141] offset0:21 offset1:22
	;; [unrolled: 1-line block ×13, first 2 shown]
	ds_write_b64 v212, v[186:187] offset:360
	ds_read_b64 v[188:189], v1
	s_waitcnt lgkmcnt(0)
	v_cmp_neq_f64_e32 vcc_lo, 0, v[188:189]
	s_and_b32 exec_lo, exec_lo, vcc_lo
	s_cbranch_execz .LBB91_94
; %bb.93:
	v_div_scale_f64 v[190:191], null, v[188:189], v[188:189], 1.0
	v_rcp_f64_e32 v[192:193], v[190:191]
	v_fma_f64 v[194:195], -v[190:191], v[192:193], 1.0
	v_fma_f64 v[192:193], v[192:193], v[194:195], v[192:193]
	v_fma_f64 v[194:195], -v[190:191], v[192:193], 1.0
	v_fma_f64 v[192:193], v[192:193], v[194:195], v[192:193]
	v_div_scale_f64 v[194:195], vcc_lo, 1.0, v[188:189], 1.0
	v_mul_f64 v[196:197], v[194:195], v[192:193]
	v_fma_f64 v[190:191], -v[190:191], v[196:197], v[194:195]
	v_div_fmas_f64 v[190:191], v[190:191], v[192:193], v[196:197]
	v_div_fixup_f64 v[188:189], v[190:191], v[188:189], 1.0
	ds_write_b64 v1, v[188:189]
.LBB91_94:
	s_or_b32 exec_lo, exec_lo, s1
	s_waitcnt lgkmcnt(0)
	s_barrier
	buffer_gl0_inv
	ds_read_b64 v[4:5], v1
	s_mov_b32 s1, exec_lo
	v_cmpx_lt_u32_e32 18, v0
	s_cbranch_execz .LBB91_96
; %bb.95:
	s_waitcnt lgkmcnt(0)
	v_mul_f64 v[110:111], v[4:5], v[110:111]
	ds_read2_b64 v[188:191], v212 offset0:19 offset1:20
	s_waitcnt lgkmcnt(0)
	v_fma_f64 v[94:95], -v[110:111], v[188:189], v[94:95]
	v_fma_f64 v[142:143], -v[110:111], v[190:191], v[142:143]
	ds_read2_b64 v[188:191], v212 offset0:21 offset1:22
	s_waitcnt lgkmcnt(0)
	v_fma_f64 v[134:135], -v[110:111], v[188:189], v[134:135]
	v_fma_f64 v[140:141], -v[110:111], v[190:191], v[140:141]
	;; [unrolled: 4-line block ×12, first 2 shown]
	ds_read2_b64 v[188:191], v212 offset0:43 offset1:44
	s_waitcnt lgkmcnt(0)
	v_fma_f64 v[144:145], -v[110:111], v[188:189], v[144:145]
	ds_read_b64 v[188:189], v212 offset:360
	v_fma_f64 v[160:161], -v[110:111], v[190:191], v[160:161]
	s_waitcnt lgkmcnt(0)
	v_fma_f64 v[186:187], -v[110:111], v[188:189], v[186:187]
.LBB91_96:
	s_or_b32 exec_lo, exec_lo, s1
	s_mov_b32 s1, exec_lo
	s_waitcnt lgkmcnt(0)
	s_barrier
	buffer_gl0_inv
	v_cmpx_eq_u32_e32 19, v0
	s_cbranch_execz .LBB91_99
; %bb.97:
	v_mov_b32_e32 v188, v142
	v_mov_b32_e32 v189, v143
	;; [unrolled: 1-line block ×12, first 2 shown]
	ds_write_b64 v1, v[94:95]
	ds_write2_b64 v212, v[188:189], v[190:191] offset0:20 offset1:21
	ds_write2_b64 v212, v[192:193], v[194:195] offset0:22 offset1:23
	;; [unrolled: 1-line block ×3, first 2 shown]
	v_mov_b32_e32 v188, v136
	v_mov_b32_e32 v189, v137
	;; [unrolled: 1-line block ×20, first 2 shown]
	ds_write2_b64 v212, v[188:189], v[190:191] offset0:26 offset1:27
	ds_write2_b64 v212, v[192:193], v[194:195] offset0:28 offset1:29
	ds_write2_b64 v212, v[196:197], v[198:199] offset0:30 offset1:31
	ds_write2_b64 v212, v[200:201], v[202:203] offset0:32 offset1:33
	ds_write2_b64 v212, v[204:205], v[206:207] offset0:34 offset1:35
	v_mov_b32_e32 v188, v168
	v_mov_b32_e32 v189, v169
	;; [unrolled: 1-line block ×18, first 2 shown]
	ds_write2_b64 v212, v[188:189], v[190:191] offset0:36 offset1:37
	ds_write2_b64 v212, v[192:193], v[194:195] offset0:38 offset1:39
	;; [unrolled: 1-line block ×5, first 2 shown]
	ds_read_b64 v[188:189], v1
	s_waitcnt lgkmcnt(0)
	v_cmp_neq_f64_e32 vcc_lo, 0, v[188:189]
	s_and_b32 exec_lo, exec_lo, vcc_lo
	s_cbranch_execz .LBB91_99
; %bb.98:
	v_div_scale_f64 v[190:191], null, v[188:189], v[188:189], 1.0
	v_rcp_f64_e32 v[192:193], v[190:191]
	v_fma_f64 v[194:195], -v[190:191], v[192:193], 1.0
	v_fma_f64 v[192:193], v[192:193], v[194:195], v[192:193]
	v_fma_f64 v[194:195], -v[190:191], v[192:193], 1.0
	v_fma_f64 v[192:193], v[192:193], v[194:195], v[192:193]
	v_div_scale_f64 v[194:195], vcc_lo, 1.0, v[188:189], 1.0
	v_mul_f64 v[196:197], v[194:195], v[192:193]
	v_fma_f64 v[190:191], -v[190:191], v[196:197], v[194:195]
	v_div_fmas_f64 v[190:191], v[190:191], v[192:193], v[196:197]
	v_div_fixup_f64 v[188:189], v[190:191], v[188:189], 1.0
	ds_write_b64 v1, v[188:189]
.LBB91_99:
	s_or_b32 exec_lo, exec_lo, s1
	s_waitcnt lgkmcnt(0)
	s_barrier
	buffer_gl0_inv
	ds_read_b64 v[6:7], v1
	s_mov_b32 s1, exec_lo
	v_cmpx_lt_u32_e32 19, v0
	s_cbranch_execz .LBB91_101
; %bb.100:
	s_waitcnt lgkmcnt(0)
	v_mul_f64 v[94:95], v[6:7], v[94:95]
	ds_read2_b64 v[188:191], v212 offset0:20 offset1:21
	s_waitcnt lgkmcnt(0)
	v_fma_f64 v[142:143], -v[94:95], v[188:189], v[142:143]
	v_fma_f64 v[134:135], -v[94:95], v[190:191], v[134:135]
	ds_read2_b64 v[188:191], v212 offset0:22 offset1:23
	s_waitcnt lgkmcnt(0)
	v_fma_f64 v[140:141], -v[94:95], v[188:189], v[140:141]
	v_fma_f64 v[132:133], -v[94:95], v[190:191], v[132:133]
	;; [unrolled: 4-line block ×13, first 2 shown]
.LBB91_101:
	s_or_b32 exec_lo, exec_lo, s1
	s_mov_b32 s1, exec_lo
	s_waitcnt lgkmcnt(0)
	s_barrier
	buffer_gl0_inv
	v_cmpx_eq_u32_e32 20, v0
	s_cbranch_execz .LBB91_104
; %bb.102:
	ds_write_b64 v1, v[142:143]
	ds_write2_b64 v212, v[134:135], v[140:141] offset0:21 offset1:22
	ds_write2_b64 v212, v[132:133], v[138:139] offset0:23 offset1:24
	;; [unrolled: 1-line block ×12, first 2 shown]
	ds_write_b64 v212, v[186:187] offset:360
	ds_read_b64 v[188:189], v1
	s_waitcnt lgkmcnt(0)
	v_cmp_neq_f64_e32 vcc_lo, 0, v[188:189]
	s_and_b32 exec_lo, exec_lo, vcc_lo
	s_cbranch_execz .LBB91_104
; %bb.103:
	v_div_scale_f64 v[190:191], null, v[188:189], v[188:189], 1.0
	v_rcp_f64_e32 v[192:193], v[190:191]
	v_fma_f64 v[194:195], -v[190:191], v[192:193], 1.0
	v_fma_f64 v[192:193], v[192:193], v[194:195], v[192:193]
	v_fma_f64 v[194:195], -v[190:191], v[192:193], 1.0
	v_fma_f64 v[192:193], v[192:193], v[194:195], v[192:193]
	v_div_scale_f64 v[194:195], vcc_lo, 1.0, v[188:189], 1.0
	v_mul_f64 v[196:197], v[194:195], v[192:193]
	v_fma_f64 v[190:191], -v[190:191], v[196:197], v[194:195]
	v_div_fmas_f64 v[190:191], v[190:191], v[192:193], v[196:197]
	v_div_fixup_f64 v[188:189], v[190:191], v[188:189], 1.0
	ds_write_b64 v1, v[188:189]
.LBB91_104:
	s_or_b32 exec_lo, exec_lo, s1
	s_waitcnt lgkmcnt(0)
	s_barrier
	buffer_gl0_inv
	ds_read_b64 v[8:9], v1
	s_mov_b32 s1, exec_lo
	v_cmpx_lt_u32_e32 20, v0
	s_cbranch_execz .LBB91_106
; %bb.105:
	s_waitcnt lgkmcnt(0)
	v_mul_f64 v[142:143], v[8:9], v[142:143]
	ds_read2_b64 v[188:191], v212 offset0:21 offset1:22
	s_waitcnt lgkmcnt(0)
	v_fma_f64 v[134:135], -v[142:143], v[188:189], v[134:135]
	v_fma_f64 v[140:141], -v[142:143], v[190:191], v[140:141]
	ds_read2_b64 v[188:191], v212 offset0:23 offset1:24
	s_waitcnt lgkmcnt(0)
	v_fma_f64 v[132:133], -v[142:143], v[188:189], v[132:133]
	v_fma_f64 v[138:139], -v[142:143], v[190:191], v[138:139]
	;; [unrolled: 4-line block ×11, first 2 shown]
	ds_read2_b64 v[188:191], v212 offset0:43 offset1:44
	s_waitcnt lgkmcnt(0)
	v_fma_f64 v[144:145], -v[142:143], v[188:189], v[144:145]
	ds_read_b64 v[188:189], v212 offset:360
	v_fma_f64 v[160:161], -v[142:143], v[190:191], v[160:161]
	s_waitcnt lgkmcnt(0)
	v_fma_f64 v[186:187], -v[142:143], v[188:189], v[186:187]
.LBB91_106:
	s_or_b32 exec_lo, exec_lo, s1
	s_mov_b32 s1, exec_lo
	s_waitcnt lgkmcnt(0)
	s_barrier
	buffer_gl0_inv
	v_cmpx_eq_u32_e32 21, v0
	s_cbranch_execz .LBB91_109
; %bb.107:
	v_mov_b32_e32 v188, v140
	v_mov_b32_e32 v189, v141
	;; [unrolled: 1-line block ×8, first 2 shown]
	ds_write_b64 v1, v[134:135]
	ds_write2_b64 v212, v[188:189], v[190:191] offset0:22 offset1:23
	ds_write2_b64 v212, v[192:193], v[194:195] offset0:24 offset1:25
	v_mov_b32_e32 v188, v136
	v_mov_b32_e32 v189, v137
	v_mov_b32_e32 v190, v128
	v_mov_b32_e32 v191, v129
	v_mov_b32_e32 v192, v176
	v_mov_b32_e32 v193, v177
	v_mov_b32_e32 v194, v158
	v_mov_b32_e32 v195, v159
	v_mov_b32_e32 v196, v174
	v_mov_b32_e32 v197, v175
	v_mov_b32_e32 v198, v156
	v_mov_b32_e32 v199, v157
	v_mov_b32_e32 v200, v172
	v_mov_b32_e32 v201, v173
	v_mov_b32_e32 v202, v154
	v_mov_b32_e32 v203, v155
	v_mov_b32_e32 v204, v170
	v_mov_b32_e32 v205, v171
	v_mov_b32_e32 v206, v152
	v_mov_b32_e32 v207, v153
	ds_write2_b64 v212, v[188:189], v[190:191] offset0:26 offset1:27
	ds_write2_b64 v212, v[192:193], v[194:195] offset0:28 offset1:29
	;; [unrolled: 1-line block ×5, first 2 shown]
	v_mov_b32_e32 v188, v168
	v_mov_b32_e32 v189, v169
	;; [unrolled: 1-line block ×18, first 2 shown]
	ds_write2_b64 v212, v[188:189], v[190:191] offset0:36 offset1:37
	ds_write2_b64 v212, v[192:193], v[194:195] offset0:38 offset1:39
	;; [unrolled: 1-line block ×5, first 2 shown]
	ds_read_b64 v[188:189], v1
	s_waitcnt lgkmcnt(0)
	v_cmp_neq_f64_e32 vcc_lo, 0, v[188:189]
	s_and_b32 exec_lo, exec_lo, vcc_lo
	s_cbranch_execz .LBB91_109
; %bb.108:
	v_div_scale_f64 v[190:191], null, v[188:189], v[188:189], 1.0
	v_rcp_f64_e32 v[192:193], v[190:191]
	v_fma_f64 v[194:195], -v[190:191], v[192:193], 1.0
	v_fma_f64 v[192:193], v[192:193], v[194:195], v[192:193]
	v_fma_f64 v[194:195], -v[190:191], v[192:193], 1.0
	v_fma_f64 v[192:193], v[192:193], v[194:195], v[192:193]
	v_div_scale_f64 v[194:195], vcc_lo, 1.0, v[188:189], 1.0
	v_mul_f64 v[196:197], v[194:195], v[192:193]
	v_fma_f64 v[190:191], -v[190:191], v[196:197], v[194:195]
	v_div_fmas_f64 v[190:191], v[190:191], v[192:193], v[196:197]
	v_div_fixup_f64 v[188:189], v[190:191], v[188:189], 1.0
	ds_write_b64 v1, v[188:189]
.LBB91_109:
	s_or_b32 exec_lo, exec_lo, s1
	s_waitcnt lgkmcnt(0)
	s_barrier
	buffer_gl0_inv
	ds_read_b64 v[12:13], v1
	s_mov_b32 s1, exec_lo
	v_cmpx_lt_u32_e32 21, v0
	s_cbranch_execz .LBB91_111
; %bb.110:
	s_waitcnt lgkmcnt(0)
	v_mul_f64 v[134:135], v[12:13], v[134:135]
	ds_read2_b64 v[188:191], v212 offset0:22 offset1:23
	s_waitcnt lgkmcnt(0)
	v_fma_f64 v[140:141], -v[134:135], v[188:189], v[140:141]
	v_fma_f64 v[132:133], -v[134:135], v[190:191], v[132:133]
	ds_read2_b64 v[188:191], v212 offset0:24 offset1:25
	s_waitcnt lgkmcnt(0)
	v_fma_f64 v[138:139], -v[134:135], v[188:189], v[138:139]
	v_fma_f64 v[130:131], -v[134:135], v[190:191], v[130:131]
	;; [unrolled: 4-line block ×12, first 2 shown]
.LBB91_111:
	s_or_b32 exec_lo, exec_lo, s1
	s_mov_b32 s1, exec_lo
	s_waitcnt lgkmcnt(0)
	s_barrier
	buffer_gl0_inv
	v_cmpx_eq_u32_e32 22, v0
	s_cbranch_execz .LBB91_114
; %bb.112:
	ds_write_b64 v1, v[140:141]
	ds_write2_b64 v212, v[132:133], v[138:139] offset0:23 offset1:24
	ds_write2_b64 v212, v[130:131], v[136:137] offset0:25 offset1:26
	;; [unrolled: 1-line block ×11, first 2 shown]
	ds_write_b64 v212, v[186:187] offset:360
	ds_read_b64 v[188:189], v1
	s_waitcnt lgkmcnt(0)
	v_cmp_neq_f64_e32 vcc_lo, 0, v[188:189]
	s_and_b32 exec_lo, exec_lo, vcc_lo
	s_cbranch_execz .LBB91_114
; %bb.113:
	v_div_scale_f64 v[190:191], null, v[188:189], v[188:189], 1.0
	v_rcp_f64_e32 v[192:193], v[190:191]
	v_fma_f64 v[194:195], -v[190:191], v[192:193], 1.0
	v_fma_f64 v[192:193], v[192:193], v[194:195], v[192:193]
	v_fma_f64 v[194:195], -v[190:191], v[192:193], 1.0
	v_fma_f64 v[192:193], v[192:193], v[194:195], v[192:193]
	v_div_scale_f64 v[194:195], vcc_lo, 1.0, v[188:189], 1.0
	v_mul_f64 v[196:197], v[194:195], v[192:193]
	v_fma_f64 v[190:191], -v[190:191], v[196:197], v[194:195]
	v_div_fmas_f64 v[190:191], v[190:191], v[192:193], v[196:197]
	v_div_fixup_f64 v[188:189], v[190:191], v[188:189], 1.0
	ds_write_b64 v1, v[188:189]
.LBB91_114:
	s_or_b32 exec_lo, exec_lo, s1
	s_waitcnt lgkmcnt(0)
	s_barrier
	buffer_gl0_inv
	ds_read_b64 v[232:233], v1
	s_mov_b32 s1, exec_lo
	v_cmpx_lt_u32_e32 22, v0
	s_cbranch_execz .LBB91_116
; %bb.115:
	s_waitcnt lgkmcnt(0)
	v_mul_f64 v[140:141], v[232:233], v[140:141]
	ds_read2_b64 v[188:191], v212 offset0:23 offset1:24
	s_waitcnt lgkmcnt(0)
	v_fma_f64 v[132:133], -v[140:141], v[188:189], v[132:133]
	v_fma_f64 v[138:139], -v[140:141], v[190:191], v[138:139]
	ds_read2_b64 v[188:191], v212 offset0:25 offset1:26
	s_waitcnt lgkmcnt(0)
	v_fma_f64 v[130:131], -v[140:141], v[188:189], v[130:131]
	v_fma_f64 v[136:137], -v[140:141], v[190:191], v[136:137]
	;; [unrolled: 4-line block ×10, first 2 shown]
	ds_read2_b64 v[188:191], v212 offset0:43 offset1:44
	s_waitcnt lgkmcnt(0)
	v_fma_f64 v[144:145], -v[140:141], v[188:189], v[144:145]
	ds_read_b64 v[188:189], v212 offset:360
	v_fma_f64 v[160:161], -v[140:141], v[190:191], v[160:161]
	s_waitcnt lgkmcnt(0)
	v_fma_f64 v[186:187], -v[140:141], v[188:189], v[186:187]
.LBB91_116:
	s_or_b32 exec_lo, exec_lo, s1
	s_mov_b32 s1, exec_lo
	s_waitcnt lgkmcnt(0)
	s_barrier
	buffer_gl0_inv
	v_cmpx_eq_u32_e32 23, v0
	s_cbranch_execz .LBB91_119
; %bb.117:
	v_mov_b32_e32 v188, v138
	v_mov_b32_e32 v189, v139
	;; [unrolled: 1-line block ×4, first 2 shown]
	ds_write_b64 v1, v[132:133]
	ds_write2_b64 v212, v[188:189], v[190:191] offset0:24 offset1:25
	v_mov_b32_e32 v188, v136
	v_mov_b32_e32 v189, v137
	;; [unrolled: 1-line block ×20, first 2 shown]
	ds_write2_b64 v212, v[188:189], v[190:191] offset0:26 offset1:27
	ds_write2_b64 v212, v[192:193], v[194:195] offset0:28 offset1:29
	;; [unrolled: 1-line block ×5, first 2 shown]
	v_mov_b32_e32 v188, v168
	v_mov_b32_e32 v189, v169
	;; [unrolled: 1-line block ×18, first 2 shown]
	ds_write2_b64 v212, v[188:189], v[190:191] offset0:36 offset1:37
	ds_write2_b64 v212, v[192:193], v[194:195] offset0:38 offset1:39
	;; [unrolled: 1-line block ×5, first 2 shown]
	ds_read_b64 v[188:189], v1
	s_waitcnt lgkmcnt(0)
	v_cmp_neq_f64_e32 vcc_lo, 0, v[188:189]
	s_and_b32 exec_lo, exec_lo, vcc_lo
	s_cbranch_execz .LBB91_119
; %bb.118:
	v_div_scale_f64 v[190:191], null, v[188:189], v[188:189], 1.0
	v_rcp_f64_e32 v[192:193], v[190:191]
	v_fma_f64 v[194:195], -v[190:191], v[192:193], 1.0
	v_fma_f64 v[192:193], v[192:193], v[194:195], v[192:193]
	v_fma_f64 v[194:195], -v[190:191], v[192:193], 1.0
	v_fma_f64 v[192:193], v[192:193], v[194:195], v[192:193]
	v_div_scale_f64 v[194:195], vcc_lo, 1.0, v[188:189], 1.0
	v_mul_f64 v[196:197], v[194:195], v[192:193]
	v_fma_f64 v[190:191], -v[190:191], v[196:197], v[194:195]
	v_div_fmas_f64 v[190:191], v[190:191], v[192:193], v[196:197]
	v_div_fixup_f64 v[188:189], v[190:191], v[188:189], 1.0
	ds_write_b64 v1, v[188:189]
.LBB91_119:
	s_or_b32 exec_lo, exec_lo, s1
	s_waitcnt lgkmcnt(0)
	s_barrier
	buffer_gl0_inv
	ds_read_b64 v[234:235], v1
	s_mov_b32 s1, exec_lo
	v_cmpx_lt_u32_e32 23, v0
	s_cbranch_execz .LBB91_121
; %bb.120:
	s_waitcnt lgkmcnt(0)
	v_mul_f64 v[132:133], v[234:235], v[132:133]
	ds_read2_b64 v[188:191], v212 offset0:24 offset1:25
	s_waitcnt lgkmcnt(0)
	v_fma_f64 v[138:139], -v[132:133], v[188:189], v[138:139]
	v_fma_f64 v[130:131], -v[132:133], v[190:191], v[130:131]
	ds_read2_b64 v[188:191], v212 offset0:26 offset1:27
	s_waitcnt lgkmcnt(0)
	v_fma_f64 v[136:137], -v[132:133], v[188:189], v[136:137]
	v_fma_f64 v[128:129], -v[132:133], v[190:191], v[128:129]
	;; [unrolled: 4-line block ×11, first 2 shown]
.LBB91_121:
	s_or_b32 exec_lo, exec_lo, s1
	s_mov_b32 s1, exec_lo
	s_waitcnt lgkmcnt(0)
	s_barrier
	buffer_gl0_inv
	v_cmpx_eq_u32_e32 24, v0
	s_cbranch_execz .LBB91_124
; %bb.122:
	ds_write_b64 v1, v[138:139]
	ds_write2_b64 v212, v[130:131], v[136:137] offset0:25 offset1:26
	ds_write2_b64 v212, v[128:129], v[176:177] offset0:27 offset1:28
	;; [unrolled: 1-line block ×10, first 2 shown]
	ds_write_b64 v212, v[186:187] offset:360
	ds_read_b64 v[188:189], v1
	s_waitcnt lgkmcnt(0)
	v_cmp_neq_f64_e32 vcc_lo, 0, v[188:189]
	s_and_b32 exec_lo, exec_lo, vcc_lo
	s_cbranch_execz .LBB91_124
; %bb.123:
	v_div_scale_f64 v[190:191], null, v[188:189], v[188:189], 1.0
	v_rcp_f64_e32 v[192:193], v[190:191]
	v_fma_f64 v[194:195], -v[190:191], v[192:193], 1.0
	v_fma_f64 v[192:193], v[192:193], v[194:195], v[192:193]
	v_fma_f64 v[194:195], -v[190:191], v[192:193], 1.0
	v_fma_f64 v[192:193], v[192:193], v[194:195], v[192:193]
	v_div_scale_f64 v[194:195], vcc_lo, 1.0, v[188:189], 1.0
	v_mul_f64 v[196:197], v[194:195], v[192:193]
	v_fma_f64 v[190:191], -v[190:191], v[196:197], v[194:195]
	v_div_fmas_f64 v[190:191], v[190:191], v[192:193], v[196:197]
	v_div_fixup_f64 v[188:189], v[190:191], v[188:189], 1.0
	ds_write_b64 v1, v[188:189]
.LBB91_124:
	s_or_b32 exec_lo, exec_lo, s1
	s_waitcnt lgkmcnt(0)
	s_barrier
	buffer_gl0_inv
	ds_read_b64 v[236:237], v1
	s_mov_b32 s1, exec_lo
	v_cmpx_lt_u32_e32 24, v0
	s_cbranch_execz .LBB91_126
; %bb.125:
	s_waitcnt lgkmcnt(0)
	v_mul_f64 v[138:139], v[236:237], v[138:139]
	ds_read2_b64 v[188:191], v212 offset0:25 offset1:26
	s_waitcnt lgkmcnt(0)
	v_fma_f64 v[130:131], -v[138:139], v[188:189], v[130:131]
	v_fma_f64 v[136:137], -v[138:139], v[190:191], v[136:137]
	ds_read2_b64 v[188:191], v212 offset0:27 offset1:28
	s_waitcnt lgkmcnt(0)
	v_fma_f64 v[128:129], -v[138:139], v[188:189], v[128:129]
	v_fma_f64 v[176:177], -v[138:139], v[190:191], v[176:177]
	;; [unrolled: 4-line block ×9, first 2 shown]
	ds_read2_b64 v[188:191], v212 offset0:43 offset1:44
	s_waitcnt lgkmcnt(0)
	v_fma_f64 v[144:145], -v[138:139], v[188:189], v[144:145]
	ds_read_b64 v[188:189], v212 offset:360
	v_fma_f64 v[160:161], -v[138:139], v[190:191], v[160:161]
	s_waitcnt lgkmcnt(0)
	v_fma_f64 v[186:187], -v[138:139], v[188:189], v[186:187]
.LBB91_126:
	s_or_b32 exec_lo, exec_lo, s1
	s_mov_b32 s1, exec_lo
	s_waitcnt lgkmcnt(0)
	s_barrier
	buffer_gl0_inv
	v_cmpx_eq_u32_e32 25, v0
	s_cbranch_execz .LBB91_129
; %bb.127:
	v_mov_b32_e32 v188, v136
	v_mov_b32_e32 v189, v137
	;; [unrolled: 1-line block ×4, first 2 shown]
	ds_write_b64 v1, v[130:131]
	ds_write2_b64 v212, v[188:189], v[190:191] offset0:26 offset1:27
	v_mov_b32_e32 v188, v176
	v_mov_b32_e32 v189, v177
	v_mov_b32_e32 v190, v158
	v_mov_b32_e32 v191, v159
	ds_write2_b64 v212, v[188:189], v[190:191] offset0:28 offset1:29
	v_mov_b32_e32 v188, v174
	v_mov_b32_e32 v189, v175
	v_mov_b32_e32 v190, v156
	v_mov_b32_e32 v191, v157
	;; [unrolled: 5-line block ×8, first 2 shown]
	ds_write2_b64 v212, v[188:189], v[190:191] offset0:42 offset1:43
	v_mov_b32_e32 v188, v160
	v_mov_b32_e32 v189, v161
	ds_write2_b64 v212, v[188:189], v[186:187] offset0:44 offset1:45
	ds_read_b64 v[188:189], v1
	s_waitcnt lgkmcnt(0)
	v_cmp_neq_f64_e32 vcc_lo, 0, v[188:189]
	s_and_b32 exec_lo, exec_lo, vcc_lo
	s_cbranch_execz .LBB91_129
; %bb.128:
	v_div_scale_f64 v[190:191], null, v[188:189], v[188:189], 1.0
	v_rcp_f64_e32 v[192:193], v[190:191]
	v_fma_f64 v[194:195], -v[190:191], v[192:193], 1.0
	v_fma_f64 v[192:193], v[192:193], v[194:195], v[192:193]
	v_fma_f64 v[194:195], -v[190:191], v[192:193], 1.0
	v_fma_f64 v[192:193], v[192:193], v[194:195], v[192:193]
	v_div_scale_f64 v[194:195], vcc_lo, 1.0, v[188:189], 1.0
	v_mul_f64 v[196:197], v[194:195], v[192:193]
	v_fma_f64 v[190:191], -v[190:191], v[196:197], v[194:195]
	v_div_fmas_f64 v[190:191], v[190:191], v[192:193], v[196:197]
	v_div_fixup_f64 v[188:189], v[190:191], v[188:189], 1.0
	ds_write_b64 v1, v[188:189]
.LBB91_129:
	s_or_b32 exec_lo, exec_lo, s1
	s_waitcnt lgkmcnt(0)
	s_barrier
	buffer_gl0_inv
	ds_read_b64 v[238:239], v1
	s_mov_b32 s1, exec_lo
	v_cmpx_lt_u32_e32 25, v0
	s_cbranch_execz .LBB91_131
; %bb.130:
	s_waitcnt lgkmcnt(0)
	v_mul_f64 v[130:131], v[238:239], v[130:131]
	ds_read2_b64 v[188:191], v212 offset0:26 offset1:27
	s_waitcnt lgkmcnt(0)
	v_fma_f64 v[136:137], -v[130:131], v[188:189], v[136:137]
	v_fma_f64 v[128:129], -v[130:131], v[190:191], v[128:129]
	ds_read2_b64 v[188:191], v212 offset0:28 offset1:29
	s_waitcnt lgkmcnt(0)
	v_fma_f64 v[176:177], -v[130:131], v[188:189], v[176:177]
	v_fma_f64 v[158:159], -v[130:131], v[190:191], v[158:159]
	;; [unrolled: 4-line block ×10, first 2 shown]
.LBB91_131:
	s_or_b32 exec_lo, exec_lo, s1
	s_mov_b32 s1, exec_lo
	s_waitcnt lgkmcnt(0)
	s_barrier
	buffer_gl0_inv
	v_cmpx_eq_u32_e32 26, v0
	s_cbranch_execz .LBB91_134
; %bb.132:
	ds_write_b64 v1, v[136:137]
	ds_write2_b64 v212, v[128:129], v[176:177] offset0:27 offset1:28
	ds_write2_b64 v212, v[158:159], v[174:175] offset0:29 offset1:30
	;; [unrolled: 1-line block ×9, first 2 shown]
	ds_write_b64 v212, v[186:187] offset:360
	ds_read_b64 v[188:189], v1
	s_waitcnt lgkmcnt(0)
	v_cmp_neq_f64_e32 vcc_lo, 0, v[188:189]
	s_and_b32 exec_lo, exec_lo, vcc_lo
	s_cbranch_execz .LBB91_134
; %bb.133:
	v_div_scale_f64 v[190:191], null, v[188:189], v[188:189], 1.0
	v_rcp_f64_e32 v[192:193], v[190:191]
	v_fma_f64 v[194:195], -v[190:191], v[192:193], 1.0
	v_fma_f64 v[192:193], v[192:193], v[194:195], v[192:193]
	v_fma_f64 v[194:195], -v[190:191], v[192:193], 1.0
	v_fma_f64 v[192:193], v[192:193], v[194:195], v[192:193]
	v_div_scale_f64 v[194:195], vcc_lo, 1.0, v[188:189], 1.0
	v_mul_f64 v[196:197], v[194:195], v[192:193]
	v_fma_f64 v[190:191], -v[190:191], v[196:197], v[194:195]
	v_div_fmas_f64 v[190:191], v[190:191], v[192:193], v[196:197]
	v_div_fixup_f64 v[188:189], v[190:191], v[188:189], 1.0
	ds_write_b64 v1, v[188:189]
.LBB91_134:
	s_or_b32 exec_lo, exec_lo, s1
	s_waitcnt lgkmcnt(0)
	s_barrier
	buffer_gl0_inv
	ds_read_b64 v[240:241], v1
	s_mov_b32 s1, exec_lo
	v_cmpx_lt_u32_e32 26, v0
	s_cbranch_execz .LBB91_136
; %bb.135:
	s_waitcnt lgkmcnt(0)
	v_mul_f64 v[136:137], v[240:241], v[136:137]
	ds_read2_b64 v[188:191], v212 offset0:27 offset1:28
	s_waitcnt lgkmcnt(0)
	v_fma_f64 v[128:129], -v[136:137], v[188:189], v[128:129]
	v_fma_f64 v[176:177], -v[136:137], v[190:191], v[176:177]
	ds_read2_b64 v[188:191], v212 offset0:29 offset1:30
	s_waitcnt lgkmcnt(0)
	v_fma_f64 v[158:159], -v[136:137], v[188:189], v[158:159]
	v_fma_f64 v[174:175], -v[136:137], v[190:191], v[174:175]
	;; [unrolled: 4-line block ×8, first 2 shown]
	ds_read2_b64 v[188:191], v212 offset0:43 offset1:44
	s_waitcnt lgkmcnt(0)
	v_fma_f64 v[144:145], -v[136:137], v[188:189], v[144:145]
	ds_read_b64 v[188:189], v212 offset:360
	v_fma_f64 v[160:161], -v[136:137], v[190:191], v[160:161]
	s_waitcnt lgkmcnt(0)
	v_fma_f64 v[186:187], -v[136:137], v[188:189], v[186:187]
.LBB91_136:
	s_or_b32 exec_lo, exec_lo, s1
	s_mov_b32 s1, exec_lo
	s_waitcnt lgkmcnt(0)
	s_barrier
	buffer_gl0_inv
	v_cmpx_eq_u32_e32 27, v0
	s_cbranch_execz .LBB91_139
; %bb.137:
	v_mov_b32_e32 v188, v176
	v_mov_b32_e32 v189, v177
	;; [unrolled: 1-line block ×4, first 2 shown]
	ds_write_b64 v1, v[128:129]
	ds_write2_b64 v212, v[188:189], v[190:191] offset0:28 offset1:29
	v_mov_b32_e32 v188, v174
	v_mov_b32_e32 v189, v175
	v_mov_b32_e32 v190, v156
	v_mov_b32_e32 v191, v157
	ds_write2_b64 v212, v[188:189], v[190:191] offset0:30 offset1:31
	v_mov_b32_e32 v188, v172
	v_mov_b32_e32 v189, v173
	v_mov_b32_e32 v190, v154
	v_mov_b32_e32 v191, v155
	;; [unrolled: 5-line block ×7, first 2 shown]
	ds_write2_b64 v212, v[188:189], v[190:191] offset0:42 offset1:43
	v_mov_b32_e32 v188, v160
	v_mov_b32_e32 v189, v161
	ds_write2_b64 v212, v[188:189], v[186:187] offset0:44 offset1:45
	ds_read_b64 v[188:189], v1
	s_waitcnt lgkmcnt(0)
	v_cmp_neq_f64_e32 vcc_lo, 0, v[188:189]
	s_and_b32 exec_lo, exec_lo, vcc_lo
	s_cbranch_execz .LBB91_139
; %bb.138:
	v_div_scale_f64 v[190:191], null, v[188:189], v[188:189], 1.0
	v_rcp_f64_e32 v[192:193], v[190:191]
	v_fma_f64 v[194:195], -v[190:191], v[192:193], 1.0
	v_fma_f64 v[192:193], v[192:193], v[194:195], v[192:193]
	v_fma_f64 v[194:195], -v[190:191], v[192:193], 1.0
	v_fma_f64 v[192:193], v[192:193], v[194:195], v[192:193]
	v_div_scale_f64 v[194:195], vcc_lo, 1.0, v[188:189], 1.0
	v_mul_f64 v[196:197], v[194:195], v[192:193]
	v_fma_f64 v[190:191], -v[190:191], v[196:197], v[194:195]
	v_div_fmas_f64 v[190:191], v[190:191], v[192:193], v[196:197]
	v_div_fixup_f64 v[188:189], v[190:191], v[188:189], 1.0
	ds_write_b64 v1, v[188:189]
.LBB91_139:
	s_or_b32 exec_lo, exec_lo, s1
	s_waitcnt lgkmcnt(0)
	s_barrier
	buffer_gl0_inv
	ds_read_b64 v[242:243], v1
	s_mov_b32 s1, exec_lo
	v_cmpx_lt_u32_e32 27, v0
	s_cbranch_execz .LBB91_141
; %bb.140:
	s_waitcnt lgkmcnt(0)
	v_mul_f64 v[128:129], v[242:243], v[128:129]
	ds_read2_b64 v[188:191], v212 offset0:28 offset1:29
	s_waitcnt lgkmcnt(0)
	v_fma_f64 v[176:177], -v[128:129], v[188:189], v[176:177]
	v_fma_f64 v[158:159], -v[128:129], v[190:191], v[158:159]
	ds_read2_b64 v[188:191], v212 offset0:30 offset1:31
	s_waitcnt lgkmcnt(0)
	v_fma_f64 v[174:175], -v[128:129], v[188:189], v[174:175]
	v_fma_f64 v[156:157], -v[128:129], v[190:191], v[156:157]
	;; [unrolled: 4-line block ×9, first 2 shown]
.LBB91_141:
	s_or_b32 exec_lo, exec_lo, s1
	s_mov_b32 s1, exec_lo
	s_waitcnt lgkmcnt(0)
	s_barrier
	buffer_gl0_inv
	v_cmpx_eq_u32_e32 28, v0
	s_cbranch_execz .LBB91_144
; %bb.142:
	ds_write_b64 v1, v[176:177]
	ds_write2_b64 v212, v[158:159], v[174:175] offset0:29 offset1:30
	ds_write2_b64 v212, v[156:157], v[172:173] offset0:31 offset1:32
	;; [unrolled: 1-line block ×8, first 2 shown]
	ds_write_b64 v212, v[186:187] offset:360
	ds_read_b64 v[188:189], v1
	s_waitcnt lgkmcnt(0)
	v_cmp_neq_f64_e32 vcc_lo, 0, v[188:189]
	s_and_b32 exec_lo, exec_lo, vcc_lo
	s_cbranch_execz .LBB91_144
; %bb.143:
	v_div_scale_f64 v[190:191], null, v[188:189], v[188:189], 1.0
	v_rcp_f64_e32 v[192:193], v[190:191]
	v_fma_f64 v[194:195], -v[190:191], v[192:193], 1.0
	v_fma_f64 v[192:193], v[192:193], v[194:195], v[192:193]
	v_fma_f64 v[194:195], -v[190:191], v[192:193], 1.0
	v_fma_f64 v[192:193], v[192:193], v[194:195], v[192:193]
	v_div_scale_f64 v[194:195], vcc_lo, 1.0, v[188:189], 1.0
	v_mul_f64 v[196:197], v[194:195], v[192:193]
	v_fma_f64 v[190:191], -v[190:191], v[196:197], v[194:195]
	v_div_fmas_f64 v[190:191], v[190:191], v[192:193], v[196:197]
	v_div_fixup_f64 v[188:189], v[190:191], v[188:189], 1.0
	ds_write_b64 v1, v[188:189]
.LBB91_144:
	s_or_b32 exec_lo, exec_lo, s1
	s_waitcnt lgkmcnt(0)
	s_barrier
	buffer_gl0_inv
	ds_read_b64 v[244:245], v1
	s_mov_b32 s1, exec_lo
	v_cmpx_lt_u32_e32 28, v0
	s_cbranch_execz .LBB91_146
; %bb.145:
	s_waitcnt lgkmcnt(0)
	v_mul_f64 v[176:177], v[244:245], v[176:177]
	ds_read2_b64 v[188:191], v212 offset0:29 offset1:30
	s_waitcnt lgkmcnt(0)
	v_fma_f64 v[158:159], -v[176:177], v[188:189], v[158:159]
	v_fma_f64 v[174:175], -v[176:177], v[190:191], v[174:175]
	ds_read2_b64 v[188:191], v212 offset0:31 offset1:32
	s_waitcnt lgkmcnt(0)
	v_fma_f64 v[156:157], -v[176:177], v[188:189], v[156:157]
	v_fma_f64 v[172:173], -v[176:177], v[190:191], v[172:173]
	;; [unrolled: 4-line block ×7, first 2 shown]
	ds_read2_b64 v[188:191], v212 offset0:43 offset1:44
	s_waitcnt lgkmcnt(0)
	v_fma_f64 v[144:145], -v[176:177], v[188:189], v[144:145]
	ds_read_b64 v[188:189], v212 offset:360
	v_fma_f64 v[160:161], -v[176:177], v[190:191], v[160:161]
	s_waitcnt lgkmcnt(0)
	v_fma_f64 v[186:187], -v[176:177], v[188:189], v[186:187]
.LBB91_146:
	s_or_b32 exec_lo, exec_lo, s1
	s_mov_b32 s1, exec_lo
	s_waitcnt lgkmcnt(0)
	s_barrier
	buffer_gl0_inv
	v_cmpx_eq_u32_e32 29, v0
	s_cbranch_execz .LBB91_149
; %bb.147:
	v_mov_b32_e32 v188, v174
	v_mov_b32_e32 v189, v175
	;; [unrolled: 1-line block ×4, first 2 shown]
	ds_write_b64 v1, v[158:159]
	ds_write2_b64 v212, v[188:189], v[190:191] offset0:30 offset1:31
	v_mov_b32_e32 v188, v172
	v_mov_b32_e32 v189, v173
	v_mov_b32_e32 v190, v154
	v_mov_b32_e32 v191, v155
	ds_write2_b64 v212, v[188:189], v[190:191] offset0:32 offset1:33
	v_mov_b32_e32 v188, v170
	v_mov_b32_e32 v189, v171
	v_mov_b32_e32 v190, v152
	v_mov_b32_e32 v191, v153
	;; [unrolled: 5-line block ×6, first 2 shown]
	ds_write2_b64 v212, v[188:189], v[190:191] offset0:42 offset1:43
	v_mov_b32_e32 v188, v160
	v_mov_b32_e32 v189, v161
	ds_write2_b64 v212, v[188:189], v[186:187] offset0:44 offset1:45
	ds_read_b64 v[188:189], v1
	s_waitcnt lgkmcnt(0)
	v_cmp_neq_f64_e32 vcc_lo, 0, v[188:189]
	s_and_b32 exec_lo, exec_lo, vcc_lo
	s_cbranch_execz .LBB91_149
; %bb.148:
	v_div_scale_f64 v[190:191], null, v[188:189], v[188:189], 1.0
	v_rcp_f64_e32 v[192:193], v[190:191]
	v_fma_f64 v[194:195], -v[190:191], v[192:193], 1.0
	v_fma_f64 v[192:193], v[192:193], v[194:195], v[192:193]
	v_fma_f64 v[194:195], -v[190:191], v[192:193], 1.0
	v_fma_f64 v[192:193], v[192:193], v[194:195], v[192:193]
	v_div_scale_f64 v[194:195], vcc_lo, 1.0, v[188:189], 1.0
	v_mul_f64 v[196:197], v[194:195], v[192:193]
	v_fma_f64 v[190:191], -v[190:191], v[196:197], v[194:195]
	v_div_fmas_f64 v[190:191], v[190:191], v[192:193], v[196:197]
	v_div_fixup_f64 v[188:189], v[190:191], v[188:189], 1.0
	ds_write_b64 v1, v[188:189]
.LBB91_149:
	s_or_b32 exec_lo, exec_lo, s1
	s_waitcnt lgkmcnt(0)
	s_barrier
	buffer_gl0_inv
	ds_read_b64 v[246:247], v1
	s_mov_b32 s1, exec_lo
	v_cmpx_lt_u32_e32 29, v0
	s_cbranch_execz .LBB91_151
; %bb.150:
	s_waitcnt lgkmcnt(0)
	v_mul_f64 v[158:159], v[246:247], v[158:159]
	ds_read2_b64 v[188:191], v212 offset0:30 offset1:31
	s_waitcnt lgkmcnt(0)
	v_fma_f64 v[174:175], -v[158:159], v[188:189], v[174:175]
	v_fma_f64 v[156:157], -v[158:159], v[190:191], v[156:157]
	ds_read2_b64 v[188:191], v212 offset0:32 offset1:33
	s_waitcnt lgkmcnt(0)
	v_fma_f64 v[172:173], -v[158:159], v[188:189], v[172:173]
	v_fma_f64 v[154:155], -v[158:159], v[190:191], v[154:155]
	ds_read2_b64 v[188:191], v212 offset0:34 offset1:35
	s_waitcnt lgkmcnt(0)
	v_fma_f64 v[170:171], -v[158:159], v[188:189], v[170:171]
	v_fma_f64 v[152:153], -v[158:159], v[190:191], v[152:153]
	ds_read2_b64 v[188:191], v212 offset0:36 offset1:37
	s_waitcnt lgkmcnt(0)
	v_fma_f64 v[168:169], -v[158:159], v[188:189], v[168:169]
	v_fma_f64 v[150:151], -v[158:159], v[190:191], v[150:151]
	ds_read2_b64 v[188:191], v212 offset0:38 offset1:39
	s_waitcnt lgkmcnt(0)
	v_fma_f64 v[166:167], -v[158:159], v[188:189], v[166:167]
	v_fma_f64 v[148:149], -v[158:159], v[190:191], v[148:149]
	ds_read2_b64 v[188:191], v212 offset0:40 offset1:41
	s_waitcnt lgkmcnt(0)
	v_fma_f64 v[164:165], -v[158:159], v[188:189], v[164:165]
	v_fma_f64 v[146:147], -v[158:159], v[190:191], v[146:147]
	ds_read2_b64 v[188:191], v212 offset0:42 offset1:43
	s_waitcnt lgkmcnt(0)
	v_fma_f64 v[162:163], -v[158:159], v[188:189], v[162:163]
	v_fma_f64 v[144:145], -v[158:159], v[190:191], v[144:145]
	ds_read2_b64 v[188:191], v212 offset0:44 offset1:45
	s_waitcnt lgkmcnt(0)
	v_fma_f64 v[160:161], -v[158:159], v[188:189], v[160:161]
	v_fma_f64 v[186:187], -v[158:159], v[190:191], v[186:187]
.LBB91_151:
	s_or_b32 exec_lo, exec_lo, s1
	s_mov_b32 s1, exec_lo
	s_waitcnt lgkmcnt(0)
	s_barrier
	buffer_gl0_inv
	v_cmpx_eq_u32_e32 30, v0
	s_cbranch_execz .LBB91_154
; %bb.152:
	ds_write_b64 v1, v[174:175]
	ds_write2_b64 v212, v[156:157], v[172:173] offset0:31 offset1:32
	ds_write2_b64 v212, v[154:155], v[170:171] offset0:33 offset1:34
	ds_write2_b64 v212, v[152:153], v[168:169] offset0:35 offset1:36
	ds_write2_b64 v212, v[150:151], v[166:167] offset0:37 offset1:38
	ds_write2_b64 v212, v[148:149], v[164:165] offset0:39 offset1:40
	ds_write2_b64 v212, v[146:147], v[162:163] offset0:41 offset1:42
	ds_write2_b64 v212, v[144:145], v[160:161] offset0:43 offset1:44
	ds_write_b64 v212, v[186:187] offset:360
	ds_read_b64 v[188:189], v1
	s_waitcnt lgkmcnt(0)
	v_cmp_neq_f64_e32 vcc_lo, 0, v[188:189]
	s_and_b32 exec_lo, exec_lo, vcc_lo
	s_cbranch_execz .LBB91_154
; %bb.153:
	v_div_scale_f64 v[190:191], null, v[188:189], v[188:189], 1.0
	v_rcp_f64_e32 v[192:193], v[190:191]
	v_fma_f64 v[194:195], -v[190:191], v[192:193], 1.0
	v_fma_f64 v[192:193], v[192:193], v[194:195], v[192:193]
	v_fma_f64 v[194:195], -v[190:191], v[192:193], 1.0
	v_fma_f64 v[192:193], v[192:193], v[194:195], v[192:193]
	v_div_scale_f64 v[194:195], vcc_lo, 1.0, v[188:189], 1.0
	v_mul_f64 v[196:197], v[194:195], v[192:193]
	v_fma_f64 v[190:191], -v[190:191], v[196:197], v[194:195]
	v_div_fmas_f64 v[190:191], v[190:191], v[192:193], v[196:197]
	v_div_fixup_f64 v[188:189], v[190:191], v[188:189], 1.0
	ds_write_b64 v1, v[188:189]
.LBB91_154:
	s_or_b32 exec_lo, exec_lo, s1
	s_waitcnt lgkmcnt(0)
	s_barrier
	buffer_gl0_inv
	ds_read_b64 v[248:249], v1
	s_mov_b32 s1, exec_lo
	v_cmpx_lt_u32_e32 30, v0
	s_cbranch_execz .LBB91_156
; %bb.155:
	s_waitcnt lgkmcnt(0)
	v_mul_f64 v[174:175], v[248:249], v[174:175]
	ds_read2_b64 v[188:191], v212 offset0:31 offset1:32
	s_waitcnt lgkmcnt(0)
	v_fma_f64 v[156:157], -v[174:175], v[188:189], v[156:157]
	v_fma_f64 v[172:173], -v[174:175], v[190:191], v[172:173]
	ds_read2_b64 v[188:191], v212 offset0:33 offset1:34
	s_waitcnt lgkmcnt(0)
	v_fma_f64 v[154:155], -v[174:175], v[188:189], v[154:155]
	v_fma_f64 v[170:171], -v[174:175], v[190:191], v[170:171]
	;; [unrolled: 4-line block ×6, first 2 shown]
	ds_read2_b64 v[188:191], v212 offset0:43 offset1:44
	s_waitcnt lgkmcnt(0)
	v_fma_f64 v[144:145], -v[174:175], v[188:189], v[144:145]
	ds_read_b64 v[188:189], v212 offset:360
	v_fma_f64 v[160:161], -v[174:175], v[190:191], v[160:161]
	s_waitcnt lgkmcnt(0)
	v_fma_f64 v[186:187], -v[174:175], v[188:189], v[186:187]
.LBB91_156:
	s_or_b32 exec_lo, exec_lo, s1
	s_mov_b32 s1, exec_lo
	s_waitcnt lgkmcnt(0)
	s_barrier
	buffer_gl0_inv
	v_cmpx_eq_u32_e32 31, v0
	s_cbranch_execz .LBB91_159
; %bb.157:
	v_mov_b32_e32 v188, v172
	v_mov_b32_e32 v189, v173
	v_mov_b32_e32 v190, v154
	v_mov_b32_e32 v191, v155
	ds_write_b64 v1, v[156:157]
	ds_write2_b64 v212, v[188:189], v[190:191] offset0:32 offset1:33
	v_mov_b32_e32 v188, v170
	v_mov_b32_e32 v189, v171
	v_mov_b32_e32 v190, v152
	v_mov_b32_e32 v191, v153
	ds_write2_b64 v212, v[188:189], v[190:191] offset0:34 offset1:35
	v_mov_b32_e32 v188, v168
	v_mov_b32_e32 v189, v169
	v_mov_b32_e32 v190, v150
	v_mov_b32_e32 v191, v151
	ds_write2_b64 v212, v[188:189], v[190:191] offset0:36 offset1:37
	v_mov_b32_e32 v188, v166
	v_mov_b32_e32 v189, v167
	v_mov_b32_e32 v190, v148
	v_mov_b32_e32 v191, v149
	ds_write2_b64 v212, v[188:189], v[190:191] offset0:38 offset1:39
	v_mov_b32_e32 v188, v164
	v_mov_b32_e32 v189, v165
	v_mov_b32_e32 v190, v146
	v_mov_b32_e32 v191, v147
	ds_write2_b64 v212, v[188:189], v[190:191] offset0:40 offset1:41
	v_mov_b32_e32 v188, v162
	v_mov_b32_e32 v189, v163
	v_mov_b32_e32 v190, v144
	v_mov_b32_e32 v191, v145
	ds_write2_b64 v212, v[188:189], v[190:191] offset0:42 offset1:43
	v_mov_b32_e32 v188, v160
	v_mov_b32_e32 v189, v161
	ds_write2_b64 v212, v[188:189], v[186:187] offset0:44 offset1:45
	ds_read_b64 v[188:189], v1
	s_waitcnt lgkmcnt(0)
	v_cmp_neq_f64_e32 vcc_lo, 0, v[188:189]
	s_and_b32 exec_lo, exec_lo, vcc_lo
	s_cbranch_execz .LBB91_159
; %bb.158:
	v_div_scale_f64 v[190:191], null, v[188:189], v[188:189], 1.0
	v_rcp_f64_e32 v[192:193], v[190:191]
	v_fma_f64 v[194:195], -v[190:191], v[192:193], 1.0
	v_fma_f64 v[192:193], v[192:193], v[194:195], v[192:193]
	v_fma_f64 v[194:195], -v[190:191], v[192:193], 1.0
	v_fma_f64 v[192:193], v[192:193], v[194:195], v[192:193]
	v_div_scale_f64 v[194:195], vcc_lo, 1.0, v[188:189], 1.0
	v_mul_f64 v[196:197], v[194:195], v[192:193]
	v_fma_f64 v[190:191], -v[190:191], v[196:197], v[194:195]
	v_div_fmas_f64 v[190:191], v[190:191], v[192:193], v[196:197]
	v_div_fixup_f64 v[188:189], v[190:191], v[188:189], 1.0
	ds_write_b64 v1, v[188:189]
.LBB91_159:
	s_or_b32 exec_lo, exec_lo, s1
	s_waitcnt lgkmcnt(0)
	s_barrier
	buffer_gl0_inv
	ds_read_b64 v[250:251], v1
	s_mov_b32 s1, exec_lo
	v_cmpx_lt_u32_e32 31, v0
	s_cbranch_execz .LBB91_161
; %bb.160:
	s_waitcnt lgkmcnt(0)
	v_mul_f64 v[156:157], v[250:251], v[156:157]
	ds_read2_b64 v[188:191], v212 offset0:32 offset1:33
	s_waitcnt lgkmcnt(0)
	v_fma_f64 v[172:173], -v[156:157], v[188:189], v[172:173]
	v_fma_f64 v[154:155], -v[156:157], v[190:191], v[154:155]
	ds_read2_b64 v[188:191], v212 offset0:34 offset1:35
	s_waitcnt lgkmcnt(0)
	v_fma_f64 v[170:171], -v[156:157], v[188:189], v[170:171]
	v_fma_f64 v[152:153], -v[156:157], v[190:191], v[152:153]
	;; [unrolled: 4-line block ×7, first 2 shown]
.LBB91_161:
	s_or_b32 exec_lo, exec_lo, s1
	s_mov_b32 s1, exec_lo
	s_waitcnt lgkmcnt(0)
	s_barrier
	buffer_gl0_inv
	v_cmpx_eq_u32_e32 32, v0
	s_cbranch_execz .LBB91_164
; %bb.162:
	ds_write_b64 v1, v[172:173]
	ds_write2_b64 v212, v[154:155], v[170:171] offset0:33 offset1:34
	ds_write2_b64 v212, v[152:153], v[168:169] offset0:35 offset1:36
	ds_write2_b64 v212, v[150:151], v[166:167] offset0:37 offset1:38
	ds_write2_b64 v212, v[148:149], v[164:165] offset0:39 offset1:40
	ds_write2_b64 v212, v[146:147], v[162:163] offset0:41 offset1:42
	ds_write2_b64 v212, v[144:145], v[160:161] offset0:43 offset1:44
	ds_write_b64 v212, v[186:187] offset:360
	ds_read_b64 v[188:189], v1
	s_waitcnt lgkmcnt(0)
	v_cmp_neq_f64_e32 vcc_lo, 0, v[188:189]
	s_and_b32 exec_lo, exec_lo, vcc_lo
	s_cbranch_execz .LBB91_164
; %bb.163:
	v_div_scale_f64 v[190:191], null, v[188:189], v[188:189], 1.0
	v_rcp_f64_e32 v[192:193], v[190:191]
	v_fma_f64 v[194:195], -v[190:191], v[192:193], 1.0
	v_fma_f64 v[192:193], v[192:193], v[194:195], v[192:193]
	v_fma_f64 v[194:195], -v[190:191], v[192:193], 1.0
	v_fma_f64 v[192:193], v[192:193], v[194:195], v[192:193]
	v_div_scale_f64 v[194:195], vcc_lo, 1.0, v[188:189], 1.0
	v_mul_f64 v[196:197], v[194:195], v[192:193]
	v_fma_f64 v[190:191], -v[190:191], v[196:197], v[194:195]
	v_div_fmas_f64 v[190:191], v[190:191], v[192:193], v[196:197]
	v_div_fixup_f64 v[188:189], v[190:191], v[188:189], 1.0
	ds_write_b64 v1, v[188:189]
.LBB91_164:
	s_or_b32 exec_lo, exec_lo, s1
	s_waitcnt lgkmcnt(0)
	s_barrier
	buffer_gl0_inv
	ds_read_b64 v[252:253], v1
	s_mov_b32 s1, exec_lo
	v_cmpx_lt_u32_e32 32, v0
	s_cbranch_execz .LBB91_166
; %bb.165:
	s_waitcnt lgkmcnt(0)
	v_mul_f64 v[172:173], v[252:253], v[172:173]
	ds_read2_b64 v[188:191], v212 offset0:33 offset1:34
	s_waitcnt lgkmcnt(0)
	v_fma_f64 v[154:155], -v[172:173], v[188:189], v[154:155]
	v_fma_f64 v[170:171], -v[172:173], v[190:191], v[170:171]
	ds_read2_b64 v[188:191], v212 offset0:35 offset1:36
	s_waitcnt lgkmcnt(0)
	v_fma_f64 v[152:153], -v[172:173], v[188:189], v[152:153]
	v_fma_f64 v[168:169], -v[172:173], v[190:191], v[168:169]
	;; [unrolled: 4-line block ×5, first 2 shown]
	ds_read2_b64 v[188:191], v212 offset0:43 offset1:44
	s_waitcnt lgkmcnt(0)
	v_fma_f64 v[144:145], -v[172:173], v[188:189], v[144:145]
	ds_read_b64 v[188:189], v212 offset:360
	v_fma_f64 v[160:161], -v[172:173], v[190:191], v[160:161]
	s_waitcnt lgkmcnt(0)
	v_fma_f64 v[186:187], -v[172:173], v[188:189], v[186:187]
.LBB91_166:
	s_or_b32 exec_lo, exec_lo, s1
	s_mov_b32 s1, exec_lo
	s_waitcnt lgkmcnt(0)
	s_barrier
	buffer_gl0_inv
	v_cmpx_eq_u32_e32 33, v0
	s_cbranch_execz .LBB91_169
; %bb.167:
	v_mov_b32_e32 v188, v170
	v_mov_b32_e32 v189, v171
	;; [unrolled: 1-line block ×4, first 2 shown]
	ds_write_b64 v1, v[154:155]
	ds_write2_b64 v212, v[188:189], v[190:191] offset0:34 offset1:35
	v_mov_b32_e32 v188, v168
	v_mov_b32_e32 v189, v169
	v_mov_b32_e32 v190, v150
	v_mov_b32_e32 v191, v151
	ds_write2_b64 v212, v[188:189], v[190:191] offset0:36 offset1:37
	v_mov_b32_e32 v188, v166
	v_mov_b32_e32 v189, v167
	v_mov_b32_e32 v190, v148
	v_mov_b32_e32 v191, v149
	;; [unrolled: 5-line block ×4, first 2 shown]
	ds_write2_b64 v212, v[188:189], v[190:191] offset0:42 offset1:43
	v_mov_b32_e32 v188, v160
	v_mov_b32_e32 v189, v161
	ds_write2_b64 v212, v[188:189], v[186:187] offset0:44 offset1:45
	ds_read_b64 v[188:189], v1
	s_waitcnt lgkmcnt(0)
	v_cmp_neq_f64_e32 vcc_lo, 0, v[188:189]
	s_and_b32 exec_lo, exec_lo, vcc_lo
	s_cbranch_execz .LBB91_169
; %bb.168:
	v_div_scale_f64 v[190:191], null, v[188:189], v[188:189], 1.0
	v_rcp_f64_e32 v[192:193], v[190:191]
	v_fma_f64 v[194:195], -v[190:191], v[192:193], 1.0
	v_fma_f64 v[192:193], v[192:193], v[194:195], v[192:193]
	v_fma_f64 v[194:195], -v[190:191], v[192:193], 1.0
	v_fma_f64 v[192:193], v[192:193], v[194:195], v[192:193]
	v_div_scale_f64 v[194:195], vcc_lo, 1.0, v[188:189], 1.0
	v_mul_f64 v[196:197], v[194:195], v[192:193]
	v_fma_f64 v[190:191], -v[190:191], v[196:197], v[194:195]
	v_div_fmas_f64 v[190:191], v[190:191], v[192:193], v[196:197]
	v_div_fixup_f64 v[188:189], v[190:191], v[188:189], 1.0
	ds_write_b64 v1, v[188:189]
.LBB91_169:
	s_or_b32 exec_lo, exec_lo, s1
	s_waitcnt lgkmcnt(0)
	s_barrier
	buffer_gl0_inv
	ds_read_b64 v[254:255], v1
	s_mov_b32 s1, exec_lo
	v_cmpx_lt_u32_e32 33, v0
	s_cbranch_execz .LBB91_171
; %bb.170:
	s_waitcnt lgkmcnt(0)
	v_mul_f64 v[154:155], v[254:255], v[154:155]
	ds_read2_b64 v[188:191], v212 offset0:34 offset1:35
	s_waitcnt lgkmcnt(0)
	v_fma_f64 v[170:171], -v[154:155], v[188:189], v[170:171]
	v_fma_f64 v[152:153], -v[154:155], v[190:191], v[152:153]
	ds_read2_b64 v[188:191], v212 offset0:36 offset1:37
	s_waitcnt lgkmcnt(0)
	v_fma_f64 v[168:169], -v[154:155], v[188:189], v[168:169]
	v_fma_f64 v[150:151], -v[154:155], v[190:191], v[150:151]
	;; [unrolled: 4-line block ×6, first 2 shown]
.LBB91_171:
	s_or_b32 exec_lo, exec_lo, s1
	s_mov_b32 s1, exec_lo
	s_waitcnt lgkmcnt(0)
	s_barrier
	buffer_gl0_inv
	v_cmpx_eq_u32_e32 34, v0
	s_cbranch_execz .LBB91_174
; %bb.172:
	ds_write_b64 v1, v[170:171]
	ds_write2_b64 v212, v[152:153], v[168:169] offset0:35 offset1:36
	ds_write2_b64 v212, v[150:151], v[166:167] offset0:37 offset1:38
	;; [unrolled: 1-line block ×5, first 2 shown]
	ds_write_b64 v212, v[186:187] offset:360
	ds_read_b64 v[188:189], v1
	s_waitcnt lgkmcnt(0)
	v_cmp_neq_f64_e32 vcc_lo, 0, v[188:189]
	s_and_b32 exec_lo, exec_lo, vcc_lo
	s_cbranch_execz .LBB91_174
; %bb.173:
	v_div_scale_f64 v[190:191], null, v[188:189], v[188:189], 1.0
	v_rcp_f64_e32 v[192:193], v[190:191]
	v_fma_f64 v[194:195], -v[190:191], v[192:193], 1.0
	v_fma_f64 v[192:193], v[192:193], v[194:195], v[192:193]
	v_fma_f64 v[194:195], -v[190:191], v[192:193], 1.0
	v_fma_f64 v[192:193], v[192:193], v[194:195], v[192:193]
	v_div_scale_f64 v[194:195], vcc_lo, 1.0, v[188:189], 1.0
	v_mul_f64 v[196:197], v[194:195], v[192:193]
	v_fma_f64 v[190:191], -v[190:191], v[196:197], v[194:195]
	v_div_fmas_f64 v[190:191], v[190:191], v[192:193], v[196:197]
	v_div_fixup_f64 v[188:189], v[190:191], v[188:189], 1.0
	ds_write_b64 v1, v[188:189]
.LBB91_174:
	s_or_b32 exec_lo, exec_lo, s1
	s_waitcnt lgkmcnt(0)
	s_barrier
	buffer_gl0_inv
	ds_read_b64 v[188:189], v1
	s_mov_b32 s1, exec_lo
	v_cmpx_lt_u32_e32 34, v0
	s_cbranch_execz .LBB91_176
; %bb.175:
	s_waitcnt lgkmcnt(0)
	v_mul_f64 v[170:171], v[188:189], v[170:171]
	ds_read2_b64 v[190:193], v212 offset0:35 offset1:36
	s_waitcnt lgkmcnt(0)
	v_fma_f64 v[152:153], -v[170:171], v[190:191], v[152:153]
	v_fma_f64 v[168:169], -v[170:171], v[192:193], v[168:169]
	ds_read2_b64 v[190:193], v212 offset0:37 offset1:38
	s_waitcnt lgkmcnt(0)
	v_fma_f64 v[150:151], -v[170:171], v[190:191], v[150:151]
	v_fma_f64 v[166:167], -v[170:171], v[192:193], v[166:167]
	;; [unrolled: 4-line block ×4, first 2 shown]
	ds_read2_b64 v[190:193], v212 offset0:43 offset1:44
	s_waitcnt lgkmcnt(0)
	v_fma_f64 v[144:145], -v[170:171], v[190:191], v[144:145]
	ds_read_b64 v[190:191], v212 offset:360
	v_fma_f64 v[160:161], -v[170:171], v[192:193], v[160:161]
	s_waitcnt lgkmcnt(0)
	v_fma_f64 v[186:187], -v[170:171], v[190:191], v[186:187]
.LBB91_176:
	s_or_b32 exec_lo, exec_lo, s1
	s_mov_b32 s1, exec_lo
	s_waitcnt lgkmcnt(0)
	s_barrier
	buffer_gl0_inv
	v_cmpx_eq_u32_e32 35, v0
	s_cbranch_execz .LBB91_179
; %bb.177:
	v_mov_b32_e32 v190, v168
	v_mov_b32_e32 v191, v169
	;; [unrolled: 1-line block ×4, first 2 shown]
	ds_write_b64 v1, v[152:153]
	ds_write2_b64 v212, v[190:191], v[192:193] offset0:36 offset1:37
	v_mov_b32_e32 v190, v166
	v_mov_b32_e32 v191, v167
	v_mov_b32_e32 v192, v148
	v_mov_b32_e32 v193, v149
	ds_write2_b64 v212, v[190:191], v[192:193] offset0:38 offset1:39
	v_mov_b32_e32 v190, v164
	v_mov_b32_e32 v191, v165
	v_mov_b32_e32 v192, v146
	v_mov_b32_e32 v193, v147
	;; [unrolled: 5-line block ×3, first 2 shown]
	ds_write2_b64 v212, v[190:191], v[192:193] offset0:42 offset1:43
	v_mov_b32_e32 v190, v160
	v_mov_b32_e32 v191, v161
	ds_write2_b64 v212, v[190:191], v[186:187] offset0:44 offset1:45
	ds_read_b64 v[190:191], v1
	s_waitcnt lgkmcnt(0)
	v_cmp_neq_f64_e32 vcc_lo, 0, v[190:191]
	s_and_b32 exec_lo, exec_lo, vcc_lo
	s_cbranch_execz .LBB91_179
; %bb.178:
	v_div_scale_f64 v[192:193], null, v[190:191], v[190:191], 1.0
	v_rcp_f64_e32 v[194:195], v[192:193]
	v_fma_f64 v[196:197], -v[192:193], v[194:195], 1.0
	v_fma_f64 v[194:195], v[194:195], v[196:197], v[194:195]
	v_fma_f64 v[196:197], -v[192:193], v[194:195], 1.0
	v_fma_f64 v[194:195], v[194:195], v[196:197], v[194:195]
	v_div_scale_f64 v[196:197], vcc_lo, 1.0, v[190:191], 1.0
	v_mul_f64 v[198:199], v[196:197], v[194:195]
	v_fma_f64 v[192:193], -v[192:193], v[198:199], v[196:197]
	v_div_fmas_f64 v[192:193], v[192:193], v[194:195], v[198:199]
	v_div_fixup_f64 v[190:191], v[192:193], v[190:191], 1.0
	ds_write_b64 v1, v[190:191]
.LBB91_179:
	s_or_b32 exec_lo, exec_lo, s1
	s_waitcnt lgkmcnt(0)
	s_barrier
	buffer_gl0_inv
	ds_read_b64 v[190:191], v1
	s_mov_b32 s1, exec_lo
	v_cmpx_lt_u32_e32 35, v0
	s_cbranch_execz .LBB91_181
; %bb.180:
	s_waitcnt lgkmcnt(0)
	v_mul_f64 v[152:153], v[190:191], v[152:153]
	ds_read2_b64 v[192:195], v212 offset0:36 offset1:37
	s_waitcnt lgkmcnt(0)
	v_fma_f64 v[168:169], -v[152:153], v[192:193], v[168:169]
	v_fma_f64 v[150:151], -v[152:153], v[194:195], v[150:151]
	ds_read2_b64 v[192:195], v212 offset0:38 offset1:39
	s_waitcnt lgkmcnt(0)
	v_fma_f64 v[166:167], -v[152:153], v[192:193], v[166:167]
	v_fma_f64 v[148:149], -v[152:153], v[194:195], v[148:149]
	ds_read2_b64 v[192:195], v212 offset0:40 offset1:41
	s_waitcnt lgkmcnt(0)
	v_fma_f64 v[164:165], -v[152:153], v[192:193], v[164:165]
	v_fma_f64 v[146:147], -v[152:153], v[194:195], v[146:147]
	ds_read2_b64 v[192:195], v212 offset0:42 offset1:43
	s_waitcnt lgkmcnt(0)
	v_fma_f64 v[162:163], -v[152:153], v[192:193], v[162:163]
	v_fma_f64 v[144:145], -v[152:153], v[194:195], v[144:145]
	ds_read2_b64 v[192:195], v212 offset0:44 offset1:45
	s_waitcnt lgkmcnt(0)
	v_fma_f64 v[160:161], -v[152:153], v[192:193], v[160:161]
	v_fma_f64 v[186:187], -v[152:153], v[194:195], v[186:187]
.LBB91_181:
	s_or_b32 exec_lo, exec_lo, s1
	s_mov_b32 s1, exec_lo
	s_waitcnt lgkmcnt(0)
	s_barrier
	buffer_gl0_inv
	v_cmpx_eq_u32_e32 36, v0
	s_cbranch_execz .LBB91_184
; %bb.182:
	ds_write_b64 v1, v[168:169]
	ds_write2_b64 v212, v[150:151], v[166:167] offset0:37 offset1:38
	ds_write2_b64 v212, v[148:149], v[164:165] offset0:39 offset1:40
	;; [unrolled: 1-line block ×4, first 2 shown]
	ds_write_b64 v212, v[186:187] offset:360
	ds_read_b64 v[192:193], v1
	s_waitcnt lgkmcnt(0)
	v_cmp_neq_f64_e32 vcc_lo, 0, v[192:193]
	s_and_b32 exec_lo, exec_lo, vcc_lo
	s_cbranch_execz .LBB91_184
; %bb.183:
	v_div_scale_f64 v[194:195], null, v[192:193], v[192:193], 1.0
	v_rcp_f64_e32 v[196:197], v[194:195]
	v_fma_f64 v[198:199], -v[194:195], v[196:197], 1.0
	v_fma_f64 v[196:197], v[196:197], v[198:199], v[196:197]
	v_fma_f64 v[198:199], -v[194:195], v[196:197], 1.0
	v_fma_f64 v[196:197], v[196:197], v[198:199], v[196:197]
	v_div_scale_f64 v[198:199], vcc_lo, 1.0, v[192:193], 1.0
	v_mul_f64 v[200:201], v[198:199], v[196:197]
	v_fma_f64 v[194:195], -v[194:195], v[200:201], v[198:199]
	v_div_fmas_f64 v[194:195], v[194:195], v[196:197], v[200:201]
	v_div_fixup_f64 v[192:193], v[194:195], v[192:193], 1.0
	ds_write_b64 v1, v[192:193]
.LBB91_184:
	s_or_b32 exec_lo, exec_lo, s1
	s_waitcnt lgkmcnt(0)
	s_barrier
	buffer_gl0_inv
	ds_read_b64 v[192:193], v1
	s_mov_b32 s1, exec_lo
	v_cmpx_lt_u32_e32 36, v0
	s_cbranch_execz .LBB91_186
; %bb.185:
	s_waitcnt lgkmcnt(0)
	v_mul_f64 v[168:169], v[192:193], v[168:169]
	ds_read2_b64 v[194:197], v212 offset0:37 offset1:38
	s_waitcnt lgkmcnt(0)
	v_fma_f64 v[150:151], -v[168:169], v[194:195], v[150:151]
	v_fma_f64 v[166:167], -v[168:169], v[196:197], v[166:167]
	ds_read2_b64 v[194:197], v212 offset0:39 offset1:40
	s_waitcnt lgkmcnt(0)
	v_fma_f64 v[148:149], -v[168:169], v[194:195], v[148:149]
	v_fma_f64 v[164:165], -v[168:169], v[196:197], v[164:165]
	;; [unrolled: 4-line block ×3, first 2 shown]
	ds_read2_b64 v[194:197], v212 offset0:43 offset1:44
	s_waitcnt lgkmcnt(0)
	v_fma_f64 v[144:145], -v[168:169], v[194:195], v[144:145]
	ds_read_b64 v[194:195], v212 offset:360
	v_fma_f64 v[160:161], -v[168:169], v[196:197], v[160:161]
	s_waitcnt lgkmcnt(0)
	v_fma_f64 v[186:187], -v[168:169], v[194:195], v[186:187]
.LBB91_186:
	s_or_b32 exec_lo, exec_lo, s1
	s_mov_b32 s1, exec_lo
	s_waitcnt lgkmcnt(0)
	s_barrier
	buffer_gl0_inv
	v_cmpx_eq_u32_e32 37, v0
	s_cbranch_execz .LBB91_189
; %bb.187:
	v_mov_b32_e32 v194, v166
	v_mov_b32_e32 v195, v167
	;; [unrolled: 1-line block ×4, first 2 shown]
	ds_write_b64 v1, v[150:151]
	ds_write2_b64 v212, v[194:195], v[196:197] offset0:38 offset1:39
	v_mov_b32_e32 v194, v164
	v_mov_b32_e32 v195, v165
	;; [unrolled: 1-line block ×4, first 2 shown]
	ds_write2_b64 v212, v[194:195], v[196:197] offset0:40 offset1:41
	v_mov_b32_e32 v194, v162
	v_mov_b32_e32 v195, v163
	;; [unrolled: 1-line block ×4, first 2 shown]
	ds_write2_b64 v212, v[194:195], v[196:197] offset0:42 offset1:43
	v_mov_b32_e32 v194, v160
	v_mov_b32_e32 v195, v161
	ds_write2_b64 v212, v[194:195], v[186:187] offset0:44 offset1:45
	ds_read_b64 v[194:195], v1
	s_waitcnt lgkmcnt(0)
	v_cmp_neq_f64_e32 vcc_lo, 0, v[194:195]
	s_and_b32 exec_lo, exec_lo, vcc_lo
	s_cbranch_execz .LBB91_189
; %bb.188:
	v_div_scale_f64 v[196:197], null, v[194:195], v[194:195], 1.0
	v_rcp_f64_e32 v[198:199], v[196:197]
	v_fma_f64 v[200:201], -v[196:197], v[198:199], 1.0
	v_fma_f64 v[198:199], v[198:199], v[200:201], v[198:199]
	v_fma_f64 v[200:201], -v[196:197], v[198:199], 1.0
	v_fma_f64 v[198:199], v[198:199], v[200:201], v[198:199]
	v_div_scale_f64 v[200:201], vcc_lo, 1.0, v[194:195], 1.0
	v_mul_f64 v[202:203], v[200:201], v[198:199]
	v_fma_f64 v[196:197], -v[196:197], v[202:203], v[200:201]
	v_div_fmas_f64 v[196:197], v[196:197], v[198:199], v[202:203]
	v_div_fixup_f64 v[194:195], v[196:197], v[194:195], 1.0
	ds_write_b64 v1, v[194:195]
.LBB91_189:
	s_or_b32 exec_lo, exec_lo, s1
	s_waitcnt lgkmcnt(0)
	s_barrier
	buffer_gl0_inv
	ds_read_b64 v[194:195], v1
	s_mov_b32 s1, exec_lo
	v_cmpx_lt_u32_e32 37, v0
	s_cbranch_execz .LBB91_191
; %bb.190:
	s_waitcnt lgkmcnt(0)
	v_mul_f64 v[150:151], v[194:195], v[150:151]
	ds_read2_b64 v[196:199], v212 offset0:38 offset1:39
	s_waitcnt lgkmcnt(0)
	v_fma_f64 v[166:167], -v[150:151], v[196:197], v[166:167]
	v_fma_f64 v[148:149], -v[150:151], v[198:199], v[148:149]
	ds_read2_b64 v[196:199], v212 offset0:40 offset1:41
	s_waitcnt lgkmcnt(0)
	v_fma_f64 v[164:165], -v[150:151], v[196:197], v[164:165]
	v_fma_f64 v[146:147], -v[150:151], v[198:199], v[146:147]
	;; [unrolled: 4-line block ×4, first 2 shown]
.LBB91_191:
	s_or_b32 exec_lo, exec_lo, s1
	s_mov_b32 s1, exec_lo
	s_waitcnt lgkmcnt(0)
	s_barrier
	buffer_gl0_inv
	v_cmpx_eq_u32_e32 38, v0
	s_cbranch_execz .LBB91_194
; %bb.192:
	ds_write_b64 v1, v[166:167]
	ds_write2_b64 v212, v[148:149], v[164:165] offset0:39 offset1:40
	ds_write2_b64 v212, v[146:147], v[162:163] offset0:41 offset1:42
	ds_write2_b64 v212, v[144:145], v[160:161] offset0:43 offset1:44
	ds_write_b64 v212, v[186:187] offset:360
	ds_read_b64 v[196:197], v1
	s_waitcnt lgkmcnt(0)
	v_cmp_neq_f64_e32 vcc_lo, 0, v[196:197]
	s_and_b32 exec_lo, exec_lo, vcc_lo
	s_cbranch_execz .LBB91_194
; %bb.193:
	v_div_scale_f64 v[198:199], null, v[196:197], v[196:197], 1.0
	v_rcp_f64_e32 v[200:201], v[198:199]
	v_fma_f64 v[202:203], -v[198:199], v[200:201], 1.0
	v_fma_f64 v[200:201], v[200:201], v[202:203], v[200:201]
	v_fma_f64 v[202:203], -v[198:199], v[200:201], 1.0
	v_fma_f64 v[200:201], v[200:201], v[202:203], v[200:201]
	v_div_scale_f64 v[202:203], vcc_lo, 1.0, v[196:197], 1.0
	v_mul_f64 v[204:205], v[202:203], v[200:201]
	v_fma_f64 v[198:199], -v[198:199], v[204:205], v[202:203]
	v_div_fmas_f64 v[198:199], v[198:199], v[200:201], v[204:205]
	v_div_fixup_f64 v[196:197], v[198:199], v[196:197], 1.0
	ds_write_b64 v1, v[196:197]
.LBB91_194:
	s_or_b32 exec_lo, exec_lo, s1
	s_waitcnt lgkmcnt(0)
	s_barrier
	buffer_gl0_inv
	ds_read_b64 v[198:199], v1
	s_mov_b32 s1, exec_lo
	v_cmpx_lt_u32_e32 38, v0
	s_cbranch_execz .LBB91_196
; %bb.195:
	s_waitcnt lgkmcnt(0)
	v_mul_f64 v[166:167], v[198:199], v[166:167]
	ds_read2_b64 v[200:203], v212 offset0:39 offset1:40
	ds_read_b64 v[196:197], v212 offset:360
	s_waitcnt lgkmcnt(1)
	v_fma_f64 v[148:149], -v[166:167], v[200:201], v[148:149]
	v_fma_f64 v[164:165], -v[166:167], v[202:203], v[164:165]
	ds_read2_b64 v[200:203], v212 offset0:41 offset1:42
	s_waitcnt lgkmcnt(1)
	v_fma_f64 v[186:187], -v[166:167], v[196:197], v[186:187]
	s_waitcnt lgkmcnt(0)
	v_fma_f64 v[146:147], -v[166:167], v[200:201], v[146:147]
	v_fma_f64 v[162:163], -v[166:167], v[202:203], v[162:163]
	ds_read2_b64 v[200:203], v212 offset0:43 offset1:44
	s_waitcnt lgkmcnt(0)
	v_fma_f64 v[144:145], -v[166:167], v[200:201], v[144:145]
	v_fma_f64 v[160:161], -v[166:167], v[202:203], v[160:161]
.LBB91_196:
	s_or_b32 exec_lo, exec_lo, s1
	s_mov_b32 s1, exec_lo
	s_waitcnt lgkmcnt(0)
	s_barrier
	buffer_gl0_inv
	v_cmpx_eq_u32_e32 39, v0
	s_cbranch_execz .LBB91_199
; %bb.197:
	v_mov_b32_e32 v196, v164
	v_mov_b32_e32 v197, v165
	;; [unrolled: 1-line block ×4, first 2 shown]
	ds_write_b64 v1, v[148:149]
	ds_write2_b64 v212, v[196:197], v[200:201] offset0:40 offset1:41
	v_mov_b32_e32 v196, v162
	v_mov_b32_e32 v197, v163
	;; [unrolled: 1-line block ×4, first 2 shown]
	ds_write2_b64 v212, v[196:197], v[200:201] offset0:42 offset1:43
	v_mov_b32_e32 v196, v160
	v_mov_b32_e32 v197, v161
	ds_write2_b64 v212, v[196:197], v[186:187] offset0:44 offset1:45
	ds_read_b64 v[196:197], v1
	s_waitcnt lgkmcnt(0)
	v_cmp_neq_f64_e32 vcc_lo, 0, v[196:197]
	s_and_b32 exec_lo, exec_lo, vcc_lo
	s_cbranch_execz .LBB91_199
; %bb.198:
	v_div_scale_f64 v[200:201], null, v[196:197], v[196:197], 1.0
	v_rcp_f64_e32 v[202:203], v[200:201]
	v_fma_f64 v[204:205], -v[200:201], v[202:203], 1.0
	v_fma_f64 v[202:203], v[202:203], v[204:205], v[202:203]
	v_fma_f64 v[204:205], -v[200:201], v[202:203], 1.0
	v_fma_f64 v[202:203], v[202:203], v[204:205], v[202:203]
	v_div_scale_f64 v[204:205], vcc_lo, 1.0, v[196:197], 1.0
	v_mul_f64 v[206:207], v[204:205], v[202:203]
	v_fma_f64 v[200:201], -v[200:201], v[206:207], v[204:205]
	v_div_fmas_f64 v[200:201], v[200:201], v[202:203], v[206:207]
	v_div_fixup_f64 v[196:197], v[200:201], v[196:197], 1.0
	ds_write_b64 v1, v[196:197]
.LBB91_199:
	s_or_b32 exec_lo, exec_lo, s1
	s_waitcnt lgkmcnt(0)
	s_barrier
	buffer_gl0_inv
	ds_read_b64 v[200:201], v1
	s_mov_b32 s1, exec_lo
	v_cmpx_lt_u32_e32 39, v0
	s_cbranch_execz .LBB91_201
; %bb.200:
	s_waitcnt lgkmcnt(0)
	v_mul_f64 v[148:149], v[200:201], v[148:149]
	ds_read2_b64 v[202:205], v212 offset0:40 offset1:41
	s_waitcnt lgkmcnt(0)
	v_fma_f64 v[164:165], -v[148:149], v[202:203], v[164:165]
	v_fma_f64 v[146:147], -v[148:149], v[204:205], v[146:147]
	ds_read2_b64 v[202:205], v212 offset0:42 offset1:43
	s_waitcnt lgkmcnt(0)
	v_fma_f64 v[162:163], -v[148:149], v[202:203], v[162:163]
	v_fma_f64 v[144:145], -v[148:149], v[204:205], v[144:145]
	;; [unrolled: 4-line block ×3, first 2 shown]
.LBB91_201:
	s_or_b32 exec_lo, exec_lo, s1
	s_mov_b32 s1, exec_lo
	s_waitcnt lgkmcnt(0)
	s_barrier
	buffer_gl0_inv
	v_cmpx_eq_u32_e32 40, v0
	s_cbranch_execz .LBB91_204
; %bb.202:
	ds_write_b64 v1, v[164:165]
	ds_write2_b64 v212, v[146:147], v[162:163] offset0:41 offset1:42
	ds_write2_b64 v212, v[144:145], v[160:161] offset0:43 offset1:44
	ds_write_b64 v212, v[186:187] offset:360
	ds_read_b64 v[196:197], v1
	s_waitcnt lgkmcnt(0)
	v_cmp_neq_f64_e32 vcc_lo, 0, v[196:197]
	s_and_b32 exec_lo, exec_lo, vcc_lo
	s_cbranch_execz .LBB91_204
; %bb.203:
	v_div_scale_f64 v[202:203], null, v[196:197], v[196:197], 1.0
	v_rcp_f64_e32 v[204:205], v[202:203]
	v_fma_f64 v[206:207], -v[202:203], v[204:205], 1.0
	v_fma_f64 v[204:205], v[204:205], v[206:207], v[204:205]
	v_fma_f64 v[206:207], -v[202:203], v[204:205], 1.0
	v_fma_f64 v[204:205], v[204:205], v[206:207], v[204:205]
	v_div_scale_f64 v[206:207], vcc_lo, 1.0, v[196:197], 1.0
	v_mul_f64 v[208:209], v[206:207], v[204:205]
	v_fma_f64 v[202:203], -v[202:203], v[208:209], v[206:207]
	v_div_fmas_f64 v[202:203], v[202:203], v[204:205], v[208:209]
	v_div_fixup_f64 v[196:197], v[202:203], v[196:197], 1.0
	ds_write_b64 v1, v[196:197]
.LBB91_204:
	s_or_b32 exec_lo, exec_lo, s1
	s_waitcnt lgkmcnt(0)
	s_barrier
	buffer_gl0_inv
	ds_read_b64 v[202:203], v1
	s_mov_b32 s1, exec_lo
	v_cmpx_lt_u32_e32 40, v0
	s_cbranch_execz .LBB91_206
; %bb.205:
	s_waitcnt lgkmcnt(0)
	v_mul_f64 v[164:165], v[202:203], v[164:165]
	ds_read2_b64 v[204:207], v212 offset0:41 offset1:42
	ds_read_b64 v[196:197], v212 offset:360
	s_waitcnt lgkmcnt(1)
	v_fma_f64 v[146:147], -v[164:165], v[204:205], v[146:147]
	v_fma_f64 v[162:163], -v[164:165], v[206:207], v[162:163]
	ds_read2_b64 v[204:207], v212 offset0:43 offset1:44
	s_waitcnt lgkmcnt(1)
	v_fma_f64 v[186:187], -v[164:165], v[196:197], v[186:187]
	s_waitcnt lgkmcnt(0)
	v_fma_f64 v[144:145], -v[164:165], v[204:205], v[144:145]
	v_fma_f64 v[160:161], -v[164:165], v[206:207], v[160:161]
.LBB91_206:
	s_or_b32 exec_lo, exec_lo, s1
	s_mov_b32 s1, exec_lo
	s_waitcnt lgkmcnt(0)
	s_barrier
	buffer_gl0_inv
	v_cmpx_eq_u32_e32 41, v0
	s_cbranch_execz .LBB91_209
; %bb.207:
	v_mov_b32_e32 v196, v162
	v_mov_b32_e32 v197, v163
	;; [unrolled: 1-line block ×4, first 2 shown]
	ds_write_b64 v1, v[146:147]
	ds_write2_b64 v212, v[196:197], v[204:205] offset0:42 offset1:43
	v_mov_b32_e32 v196, v160
	v_mov_b32_e32 v197, v161
	ds_write2_b64 v212, v[196:197], v[186:187] offset0:44 offset1:45
	ds_read_b64 v[196:197], v1
	s_waitcnt lgkmcnt(0)
	v_cmp_neq_f64_e32 vcc_lo, 0, v[196:197]
	s_and_b32 exec_lo, exec_lo, vcc_lo
	s_cbranch_execz .LBB91_209
; %bb.208:
	v_div_scale_f64 v[204:205], null, v[196:197], v[196:197], 1.0
	v_rcp_f64_e32 v[206:207], v[204:205]
	v_fma_f64 v[208:209], -v[204:205], v[206:207], 1.0
	v_fma_f64 v[206:207], v[206:207], v[208:209], v[206:207]
	v_fma_f64 v[208:209], -v[204:205], v[206:207], 1.0
	v_fma_f64 v[206:207], v[206:207], v[208:209], v[206:207]
	v_div_scale_f64 v[208:209], vcc_lo, 1.0, v[196:197], 1.0
	v_mul_f64 v[210:211], v[208:209], v[206:207]
	v_fma_f64 v[204:205], -v[204:205], v[210:211], v[208:209]
	v_div_fmas_f64 v[204:205], v[204:205], v[206:207], v[210:211]
	v_div_fixup_f64 v[196:197], v[204:205], v[196:197], 1.0
	ds_write_b64 v1, v[196:197]
.LBB91_209:
	s_or_b32 exec_lo, exec_lo, s1
	s_waitcnt lgkmcnt(0)
	s_barrier
	buffer_gl0_inv
	ds_read_b64 v[204:205], v1
	s_mov_b32 s1, exec_lo
	v_cmpx_lt_u32_e32 41, v0
	s_cbranch_execz .LBB91_211
; %bb.210:
	s_waitcnt lgkmcnt(0)
	v_mul_f64 v[146:147], v[204:205], v[146:147]
	ds_read2_b64 v[206:209], v212 offset0:42 offset1:43
	s_waitcnt lgkmcnt(0)
	v_fma_f64 v[162:163], -v[146:147], v[206:207], v[162:163]
	v_fma_f64 v[144:145], -v[146:147], v[208:209], v[144:145]
	ds_read2_b64 v[206:209], v212 offset0:44 offset1:45
	s_waitcnt lgkmcnt(0)
	v_fma_f64 v[160:161], -v[146:147], v[206:207], v[160:161]
	v_fma_f64 v[186:187], -v[146:147], v[208:209], v[186:187]
.LBB91_211:
	s_or_b32 exec_lo, exec_lo, s1
	s_mov_b32 s1, exec_lo
	s_waitcnt lgkmcnt(0)
	s_barrier
	buffer_gl0_inv
	v_cmpx_eq_u32_e32 42, v0
	s_cbranch_execz .LBB91_214
; %bb.212:
	ds_write_b64 v1, v[162:163]
	ds_write2_b64 v212, v[144:145], v[160:161] offset0:43 offset1:44
	ds_write_b64 v212, v[186:187] offset:360
	ds_read_b64 v[196:197], v1
	s_waitcnt lgkmcnt(0)
	v_cmp_neq_f64_e32 vcc_lo, 0, v[196:197]
	s_and_b32 exec_lo, exec_lo, vcc_lo
	s_cbranch_execz .LBB91_214
; %bb.213:
	v_div_scale_f64 v[206:207], null, v[196:197], v[196:197], 1.0
	v_rcp_f64_e32 v[208:209], v[206:207]
	v_fma_f64 v[210:211], -v[206:207], v[208:209], 1.0
	v_fma_f64 v[208:209], v[208:209], v[210:211], v[208:209]
	v_fma_f64 v[210:211], -v[206:207], v[208:209], 1.0
	v_fma_f64 v[208:209], v[208:209], v[210:211], v[208:209]
	v_div_scale_f64 v[210:211], vcc_lo, 1.0, v[196:197], 1.0
	v_mul_f64 v[213:214], v[210:211], v[208:209]
	v_fma_f64 v[206:207], -v[206:207], v[213:214], v[210:211]
	v_div_fmas_f64 v[206:207], v[206:207], v[208:209], v[213:214]
	v_div_fixup_f64 v[196:197], v[206:207], v[196:197], 1.0
	ds_write_b64 v1, v[196:197]
.LBB91_214:
	s_or_b32 exec_lo, exec_lo, s1
	s_waitcnt lgkmcnt(0)
	s_barrier
	buffer_gl0_inv
	ds_read_b64 v[206:207], v1
	s_mov_b32 s1, exec_lo
	v_cmpx_lt_u32_e32 42, v0
	s_cbranch_execz .LBB91_216
; %bb.215:
	s_waitcnt lgkmcnt(0)
	v_mul_f64 v[162:163], v[206:207], v[162:163]
	ds_read2_b64 v[208:211], v212 offset0:43 offset1:44
	ds_read_b64 v[196:197], v212 offset:360
	s_waitcnt lgkmcnt(1)
	v_fma_f64 v[144:145], -v[162:163], v[208:209], v[144:145]
	v_fma_f64 v[160:161], -v[162:163], v[210:211], v[160:161]
	s_waitcnt lgkmcnt(0)
	v_fma_f64 v[186:187], -v[162:163], v[196:197], v[186:187]
.LBB91_216:
	s_or_b32 exec_lo, exec_lo, s1
	s_mov_b32 s1, exec_lo
	s_waitcnt lgkmcnt(0)
	s_barrier
	buffer_gl0_inv
	v_cmpx_eq_u32_e32 43, v0
	s_cbranch_execz .LBB91_219
; %bb.217:
	v_mov_b32_e32 v196, v160
	v_mov_b32_e32 v197, v161
	ds_write_b64 v1, v[144:145]
	ds_write2_b64 v212, v[196:197], v[186:187] offset0:44 offset1:45
	ds_read_b64 v[196:197], v1
	s_waitcnt lgkmcnt(0)
	v_cmp_neq_f64_e32 vcc_lo, 0, v[196:197]
	s_and_b32 exec_lo, exec_lo, vcc_lo
	s_cbranch_execz .LBB91_219
; %bb.218:
	v_div_scale_f64 v[208:209], null, v[196:197], v[196:197], 1.0
	v_rcp_f64_e32 v[210:211], v[208:209]
	v_fma_f64 v[213:214], -v[208:209], v[210:211], 1.0
	v_fma_f64 v[210:211], v[210:211], v[213:214], v[210:211]
	v_fma_f64 v[213:214], -v[208:209], v[210:211], 1.0
	v_fma_f64 v[210:211], v[210:211], v[213:214], v[210:211]
	v_div_scale_f64 v[213:214], vcc_lo, 1.0, v[196:197], 1.0
	v_mul_f64 v[215:216], v[213:214], v[210:211]
	v_fma_f64 v[208:209], -v[208:209], v[215:216], v[213:214]
	v_div_fmas_f64 v[208:209], v[208:209], v[210:211], v[215:216]
	v_div_fixup_f64 v[196:197], v[208:209], v[196:197], 1.0
	ds_write_b64 v1, v[196:197]
.LBB91_219:
	s_or_b32 exec_lo, exec_lo, s1
	s_waitcnt lgkmcnt(0)
	s_barrier
	buffer_gl0_inv
	ds_read_b64 v[208:209], v1
	s_mov_b32 s1, exec_lo
	v_cmpx_lt_u32_e32 43, v0
	s_cbranch_execz .LBB91_221
; %bb.220:
	s_waitcnt lgkmcnt(0)
	v_mul_f64 v[144:145], v[208:209], v[144:145]
	ds_read2_b64 v[213:216], v212 offset0:44 offset1:45
	s_waitcnt lgkmcnt(0)
	v_fma_f64 v[160:161], -v[144:145], v[213:214], v[160:161]
	v_fma_f64 v[186:187], -v[144:145], v[215:216], v[186:187]
.LBB91_221:
	s_or_b32 exec_lo, exec_lo, s1
	s_mov_b32 s1, exec_lo
	s_waitcnt lgkmcnt(0)
	s_barrier
	buffer_gl0_inv
	v_cmpx_eq_u32_e32 44, v0
	s_cbranch_execz .LBB91_224
; %bb.222:
	ds_write_b64 v1, v[160:161]
	ds_write_b64 v212, v[186:187] offset:360
	ds_read_b64 v[196:197], v1
	s_waitcnt lgkmcnt(0)
	v_cmp_neq_f64_e32 vcc_lo, 0, v[196:197]
	s_and_b32 exec_lo, exec_lo, vcc_lo
	s_cbranch_execz .LBB91_224
; %bb.223:
	v_div_scale_f64 v[210:211], null, v[196:197], v[196:197], 1.0
	v_mov_b32_e32 v11, v9
	v_mov_b32_e32 v10, v8
	;; [unrolled: 1-line block ×20, first 2 shown]
	v_rcp_f64_e32 v[213:214], v[210:211]
	v_mov_b32_e32 v91, v89
	v_mov_b32_e32 v90, v88
	;; [unrolled: 1-line block ×23, first 2 shown]
	v_fma_f64 v[215:216], -v[210:211], v[213:214], 1.0
	v_mov_b32_e32 v70, v68
	v_mov_b32_e32 v69, v67
	;; [unrolled: 1-line block ×21, first 2 shown]
	v_fma_f64 v[213:214], v[213:214], v[215:216], v[213:214]
	v_mov_b32_e32 v49, v47
	v_mov_b32_e32 v48, v46
	v_mov_b32_e32 v47, v45
	v_mov_b32_e32 v46, v44
	v_mov_b32_e32 v45, v43
	v_mov_b32_e32 v44, v42
	v_mov_b32_e32 v43, v41
	v_mov_b32_e32 v42, v40
	v_mov_b32_e32 v41, v39
	v_mov_b32_e32 v40, v38
	v_mov_b32_e32 v39, v37
	v_mov_b32_e32 v38, v36
	v_mov_b32_e32 v37, v35
	v_mov_b32_e32 v36, v34
	v_mov_b32_e32 v35, v33
	v_mov_b32_e32 v34, v32
	v_mov_b32_e32 v33, v31
	v_mov_b32_e32 v32, v30
	v_mov_b32_e32 v31, v29
	v_mov_b32_e32 v30, v28
	v_mov_b32_e32 v29, v27
	v_fma_f64 v[215:216], -v[210:211], v[213:214], 1.0
	v_mov_b32_e32 v28, v26
	v_mov_b32_e32 v27, v25
	;; [unrolled: 1-line block ×17, first 2 shown]
	v_fma_f64 v[213:214], v[213:214], v[215:216], v[213:214]
	v_div_scale_f64 v[215:216], vcc_lo, 1.0, v[196:197], 1.0
	v_mov_b32_e32 v26, v28
	v_mov_b32_e32 v27, v29
	;; [unrolled: 1-line block ×20, first 2 shown]
	v_mul_f64 v[217:218], v[215:216], v[213:214]
	v_mov_b32_e32 v46, v48
	v_mov_b32_e32 v47, v49
	;; [unrolled: 1-line block ×21, first 2 shown]
	v_fma_f64 v[210:211], -v[210:211], v[217:218], v[215:216]
	v_mov_b32_e32 v67, v69
	v_mov_b32_e32 v68, v70
	;; [unrolled: 1-line block ×21, first 2 shown]
	v_div_fmas_f64 v[210:211], v[210:211], v[213:214], v[217:218]
	v_mov_b32_e32 v88, v90
	v_mov_b32_e32 v89, v91
	;; [unrolled: 1-line block ×21, first 2 shown]
	v_div_fixup_f64 v[196:197], v[210:211], v[196:197], 1.0
	v_mov_b32_e32 v7, v9
	v_mov_b32_e32 v8, v10
	;; [unrolled: 1-line block ×3, first 2 shown]
	ds_write_b64 v1, v[196:197]
.LBB91_224:
	s_or_b32 exec_lo, exec_lo, s1
	s_waitcnt lgkmcnt(0)
	s_barrier
	buffer_gl0_inv
	ds_read_b64 v[210:211], v1
	s_mov_b32 s1, exec_lo
	v_cmpx_lt_u32_e32 44, v0
	s_cbranch_execz .LBB91_226
; %bb.225:
	s_waitcnt lgkmcnt(0)
	v_mul_f64 v[160:161], v[210:211], v[160:161]
	ds_read_b64 v[196:197], v212 offset:360
	s_waitcnt lgkmcnt(0)
	v_fma_f64 v[186:187], -v[160:161], v[196:197], v[186:187]
.LBB91_226:
	s_or_b32 exec_lo, exec_lo, s1
	s_mov_b32 s1, exec_lo
	s_waitcnt lgkmcnt(0)
	s_barrier
	buffer_gl0_inv
	v_cmpx_eq_u32_e32 45, v0
	s_cbranch_execz .LBB91_229
; %bb.227:
	v_cmp_neq_f64_e32 vcc_lo, 0, v[186:187]
	ds_write_b64 v1, v[186:187]
	s_and_b32 exec_lo, exec_lo, vcc_lo
	s_cbranch_execz .LBB91_229
; %bb.228:
	v_div_scale_f64 v[196:197], null, v[186:187], v[186:187], 1.0
	v_rcp_f64_e32 v[212:213], v[196:197]
	v_fma_f64 v[214:215], -v[196:197], v[212:213], 1.0
	v_fma_f64 v[212:213], v[212:213], v[214:215], v[212:213]
	v_fma_f64 v[214:215], -v[196:197], v[212:213], 1.0
	v_fma_f64 v[212:213], v[212:213], v[214:215], v[212:213]
	v_div_scale_f64 v[214:215], vcc_lo, 1.0, v[186:187], 1.0
	v_mul_f64 v[216:217], v[214:215], v[212:213]
	v_fma_f64 v[196:197], -v[196:197], v[216:217], v[214:215]
	v_div_fmas_f64 v[196:197], v[196:197], v[212:213], v[216:217]
	v_div_fixup_f64 v[196:197], v[196:197], v[186:187], 1.0
	ds_write_b64 v1, v[196:197]
.LBB91_229:
	s_or_b32 exec_lo, exec_lo, s1
	s_waitcnt lgkmcnt(0)
	s_barrier
	buffer_gl0_inv
	ds_read_b64 v[196:197], v1
	s_waitcnt lgkmcnt(0)
	s_barrier
	buffer_gl0_inv
	s_and_saveexec_b32 s1, s0
	s_cbranch_execz .LBB91_232
; %bb.230:
	s_clause 0x1
	buffer_load_dword v212, off, s[12:15], 0
	buffer_load_dword v213, off, s[12:15], 0 offset:4
	s_load_dwordx2 s[2:3], s[4:5], 0x28
	s_waitcnt vmcnt(0)
	v_cmp_eq_f64_e32 vcc_lo, 0, v[212:213]
	s_clause 0x1
	buffer_load_dword v212, off, s[12:15], 0 offset:8
	buffer_load_dword v213, off, s[12:15], 0 offset:12
	v_cndmask_b32_e64 v1, 0, 1, vcc_lo
	s_waitcnt vmcnt(0)
	v_cmp_neq_f64_e64 s0, 0, v[212:213]
	s_clause 0x1
	buffer_load_dword v212, off, s[12:15], 0 offset:16
	buffer_load_dword v213, off, s[12:15], 0 offset:20
	s_or_b32 vcc_lo, s0, vcc_lo
	v_cndmask_b32_e32 v1, 2, v1, vcc_lo
	v_cmp_eq_u32_e64 s0, 0, v1
	s_waitcnt vmcnt(0)
	v_cmp_eq_f64_e32 vcc_lo, 0, v[212:213]
	s_clause 0x1
	buffer_load_dword v212, off, s[12:15], 0 offset:24
	buffer_load_dword v213, off, s[12:15], 0 offset:28
	s_and_b32 s0, vcc_lo, s0
	v_cndmask_b32_e64 v1, v1, 3, s0
	v_cmp_eq_u32_e64 s0, 0, v1
	s_waitcnt vmcnt(0)
	v_cmp_eq_f64_e32 vcc_lo, 0, v[212:213]
	s_clause 0x1
	buffer_load_dword v212, off, s[12:15], 0 offset:32
	buffer_load_dword v213, off, s[12:15], 0 offset:36
	s_and_b32 s0, vcc_lo, s0
	v_cndmask_b32_e64 v1, v1, 4, s0
	;; [unrolled: 8-line block ×5, first 2 shown]
	v_cmp_eq_u32_e64 s0, 0, v1
	s_waitcnt vmcnt(0)
	v_cmp_eq_f64_e32 vcc_lo, 0, v[212:213]
	s_clause 0x1
	buffer_load_dword v212, off, s[12:15], 0 offset:64
	buffer_load_dword v213, off, s[12:15], 0 offset:68
	s_and_b32 s0, vcc_lo, s0
	v_cmp_eq_f64_e32 vcc_lo, 0, v[218:219]
	v_cndmask_b32_e64 v1, v1, 8, s0
	v_cmp_eq_u32_e64 s0, 0, v1
	s_and_b32 s0, vcc_lo, s0
	v_cndmask_b32_e64 v1, v1, 9, s0
	v_cmp_eq_u32_e64 s0, 0, v1
	s_waitcnt vmcnt(0)
	v_cmp_eq_f64_e32 vcc_lo, 0, v[212:213]
	s_clause 0x1
	buffer_load_dword v212, off, s[12:15], 0 offset:72
	buffer_load_dword v213, off, s[12:15], 0 offset:76
	s_and_b32 s0, vcc_lo, s0
	v_cndmask_b32_e64 v1, v1, 10, s0
	v_cmp_eq_u32_e64 s0, 0, v1
	s_waitcnt vmcnt(0)
	v_cmp_eq_f64_e32 vcc_lo, 0, v[212:213]
	s_clause 0x1
	buffer_load_dword v212, off, s[12:15], 0 offset:80
	buffer_load_dword v213, off, s[12:15], 0 offset:84
	;; [unrolled: 8-line block ×3, first 2 shown]
	s_and_b32 s0, vcc_lo, s0
	v_cndmask_b32_e64 v1, v1, 12, s0
	v_cmp_eq_u32_e64 s0, 0, v1
	s_waitcnt vmcnt(0)
	v_cmp_eq_f64_e32 vcc_lo, 0, v[212:213]
	s_and_b32 s0, vcc_lo, s0
	v_cmp_eq_f64_e32 vcc_lo, 0, v[227:228]
	v_cndmask_b32_e64 v1, v1, 13, s0
	v_cmp_eq_u32_e64 s0, 0, v1
	s_and_b32 s0, vcc_lo, s0
	v_cmp_eq_f64_e32 vcc_lo, 0, v[220:221]
	v_cndmask_b32_e64 v1, v1, 14, s0
	v_cmp_eq_u32_e64 s0, 0, v1
	;; [unrolled: 4-line block ×33, first 2 shown]
	s_and_b32 s0, vcc_lo, s0
	v_cndmask_b32_e64 v188, v1, 46, s0
	v_lshlrev_b64 v[1:2], 2, v[2:3]
	v_cmp_ne_u32_e64 s0, 0, v188
	s_waitcnt lgkmcnt(0)
	v_add_co_u32 v1, vcc_lo, s2, v1
	v_add_co_ci_u32_e64 v2, null, s3, v2, vcc_lo
	global_load_dword v3, v[1:2], off
	s_waitcnt vmcnt(0)
	v_cmp_eq_u32_e32 vcc_lo, 0, v3
	s_and_b32 s0, vcc_lo, s0
	s_and_b32 exec_lo, exec_lo, s0
	s_cbranch_execz .LBB91_232
; %bb.231:
	v_add_nc_u32_e32 v3, s9, v188
	global_store_dword v[1:2], v3, off
.LBB91_232:
	s_or_b32 exec_lo, exec_lo, s1
	flat_store_dwordx2 v[92:93], v[178:179]
	flat_store_dwordx2 v[126:127], v[182:183]
	s_clause 0x1
	buffer_load_dword v3, off, s[12:15], 0 offset:96
	buffer_load_dword v4, off, s[12:15], 0 offset:100
	v_mul_f64 v[1:2], v[196:197], v[186:187]
	v_cmp_lt_u32_e32 vcc_lo, 45, v0
	v_cndmask_b32_e32 v2, v187, v2, vcc_lo
	v_cndmask_b32_e32 v1, v186, v1, vcc_lo
	s_waitcnt vmcnt(0)
	flat_store_dwordx2 v[3:4], v[184:185]
	s_clause 0x1
	buffer_load_dword v3, off, s[12:15], 0 offset:104
	buffer_load_dword v4, off, s[12:15], 0 offset:108
	s_waitcnt vmcnt(0)
	flat_store_dwordx2 v[3:4], v[180:181]
	s_clause 0x1
	buffer_load_dword v3, off, s[12:15], 0 offset:112
	buffer_load_dword v4, off, s[12:15], 0 offset:116
	;; [unrolled: 5-line block ×4, first 2 shown]
	s_waitcnt vmcnt(0)
	flat_store_dwordx2 v[3:4], v[122:123]
	flat_store_dwordx2 v[14:15], v[106:107]
	;; [unrolled: 1-line block ×40, first 2 shown]
.LBB91_233:
	s_endpgm
	.section	.rodata,"a",@progbits
	.p2align	6, 0x0
	.amdhsa_kernel _ZN9rocsolver6v33100L23getf2_npvt_small_kernelILi46EdiiPKPdEEvT1_T3_lS5_lPT2_S5_S5_
		.amdhsa_group_segment_fixed_size 0
		.amdhsa_private_segment_fixed_size 140
		.amdhsa_kernarg_size 312
		.amdhsa_user_sgpr_count 6
		.amdhsa_user_sgpr_private_segment_buffer 1
		.amdhsa_user_sgpr_dispatch_ptr 0
		.amdhsa_user_sgpr_queue_ptr 0
		.amdhsa_user_sgpr_kernarg_segment_ptr 1
		.amdhsa_user_sgpr_dispatch_id 0
		.amdhsa_user_sgpr_flat_scratch_init 0
		.amdhsa_user_sgpr_private_segment_size 0
		.amdhsa_wavefront_size32 1
		.amdhsa_uses_dynamic_stack 0
		.amdhsa_system_sgpr_private_segment_wavefront_offset 1
		.amdhsa_system_sgpr_workgroup_id_x 1
		.amdhsa_system_sgpr_workgroup_id_y 1
		.amdhsa_system_sgpr_workgroup_id_z 0
		.amdhsa_system_sgpr_workgroup_info 0
		.amdhsa_system_vgpr_workitem_id 1
		.amdhsa_next_free_vgpr 256
		.amdhsa_next_free_sgpr 16
		.amdhsa_reserve_vcc 1
		.amdhsa_reserve_flat_scratch 1
		.amdhsa_float_round_mode_32 0
		.amdhsa_float_round_mode_16_64 0
		.amdhsa_float_denorm_mode_32 3
		.amdhsa_float_denorm_mode_16_64 3
		.amdhsa_dx10_clamp 1
		.amdhsa_ieee_mode 1
		.amdhsa_fp16_overflow 0
		.amdhsa_workgroup_processor_mode 1
		.amdhsa_memory_ordered 1
		.amdhsa_forward_progress 1
		.amdhsa_shared_vgpr_count 0
		.amdhsa_exception_fp_ieee_invalid_op 0
		.amdhsa_exception_fp_denorm_src 0
		.amdhsa_exception_fp_ieee_div_zero 0
		.amdhsa_exception_fp_ieee_overflow 0
		.amdhsa_exception_fp_ieee_underflow 0
		.amdhsa_exception_fp_ieee_inexact 0
		.amdhsa_exception_int_div_zero 0
	.end_amdhsa_kernel
	.section	.text._ZN9rocsolver6v33100L23getf2_npvt_small_kernelILi46EdiiPKPdEEvT1_T3_lS5_lPT2_S5_S5_,"axG",@progbits,_ZN9rocsolver6v33100L23getf2_npvt_small_kernelILi46EdiiPKPdEEvT1_T3_lS5_lPT2_S5_S5_,comdat
.Lfunc_end91:
	.size	_ZN9rocsolver6v33100L23getf2_npvt_small_kernelILi46EdiiPKPdEEvT1_T3_lS5_lPT2_S5_S5_, .Lfunc_end91-_ZN9rocsolver6v33100L23getf2_npvt_small_kernelILi46EdiiPKPdEEvT1_T3_lS5_lPT2_S5_S5_
                                        ; -- End function
	.set _ZN9rocsolver6v33100L23getf2_npvt_small_kernelILi46EdiiPKPdEEvT1_T3_lS5_lPT2_S5_S5_.num_vgpr, 256
	.set _ZN9rocsolver6v33100L23getf2_npvt_small_kernelILi46EdiiPKPdEEvT1_T3_lS5_lPT2_S5_S5_.num_agpr, 0
	.set _ZN9rocsolver6v33100L23getf2_npvt_small_kernelILi46EdiiPKPdEEvT1_T3_lS5_lPT2_S5_S5_.numbered_sgpr, 16
	.set _ZN9rocsolver6v33100L23getf2_npvt_small_kernelILi46EdiiPKPdEEvT1_T3_lS5_lPT2_S5_S5_.num_named_barrier, 0
	.set _ZN9rocsolver6v33100L23getf2_npvt_small_kernelILi46EdiiPKPdEEvT1_T3_lS5_lPT2_S5_S5_.private_seg_size, 140
	.set _ZN9rocsolver6v33100L23getf2_npvt_small_kernelILi46EdiiPKPdEEvT1_T3_lS5_lPT2_S5_S5_.uses_vcc, 1
	.set _ZN9rocsolver6v33100L23getf2_npvt_small_kernelILi46EdiiPKPdEEvT1_T3_lS5_lPT2_S5_S5_.uses_flat_scratch, 1
	.set _ZN9rocsolver6v33100L23getf2_npvt_small_kernelILi46EdiiPKPdEEvT1_T3_lS5_lPT2_S5_S5_.has_dyn_sized_stack, 0
	.set _ZN9rocsolver6v33100L23getf2_npvt_small_kernelILi46EdiiPKPdEEvT1_T3_lS5_lPT2_S5_S5_.has_recursion, 0
	.set _ZN9rocsolver6v33100L23getf2_npvt_small_kernelILi46EdiiPKPdEEvT1_T3_lS5_lPT2_S5_S5_.has_indirect_call, 0
	.section	.AMDGPU.csdata,"",@progbits
; Kernel info:
; codeLenInByte = 37636
; TotalNumSgprs: 18
; NumVgprs: 256
; ScratchSize: 140
; MemoryBound: 0
; FloatMode: 240
; IeeeMode: 1
; LDSByteSize: 0 bytes/workgroup (compile time only)
; SGPRBlocks: 0
; VGPRBlocks: 31
; NumSGPRsForWavesPerEU: 18
; NumVGPRsForWavesPerEU: 256
; Occupancy: 4
; WaveLimiterHint : 1
; COMPUTE_PGM_RSRC2:SCRATCH_EN: 1
; COMPUTE_PGM_RSRC2:USER_SGPR: 6
; COMPUTE_PGM_RSRC2:TRAP_HANDLER: 0
; COMPUTE_PGM_RSRC2:TGID_X_EN: 1
; COMPUTE_PGM_RSRC2:TGID_Y_EN: 1
; COMPUTE_PGM_RSRC2:TGID_Z_EN: 0
; COMPUTE_PGM_RSRC2:TIDIG_COMP_CNT: 1
	.section	.text._ZN9rocsolver6v33100L18getf2_small_kernelILi47EdiiPKPdEEvT1_T3_lS5_lPS5_llPT2_S5_S5_S7_l,"axG",@progbits,_ZN9rocsolver6v33100L18getf2_small_kernelILi47EdiiPKPdEEvT1_T3_lS5_lPS5_llPT2_S5_S5_S7_l,comdat
	.globl	_ZN9rocsolver6v33100L18getf2_small_kernelILi47EdiiPKPdEEvT1_T3_lS5_lPS5_llPT2_S5_S5_S7_l ; -- Begin function _ZN9rocsolver6v33100L18getf2_small_kernelILi47EdiiPKPdEEvT1_T3_lS5_lPS5_llPT2_S5_S5_S7_l
	.p2align	8
	.type	_ZN9rocsolver6v33100L18getf2_small_kernelILi47EdiiPKPdEEvT1_T3_lS5_lPS5_llPT2_S5_S5_S7_l,@function
_ZN9rocsolver6v33100L18getf2_small_kernelILi47EdiiPKPdEEvT1_T3_lS5_lPS5_llPT2_S5_S5_S7_l: ; @_ZN9rocsolver6v33100L18getf2_small_kernelILi47EdiiPKPdEEvT1_T3_lS5_lPS5_llPT2_S5_S5_S7_l
; %bb.0:
	s_clause 0x1
	s_load_dword s0, s[4:5], 0x6c
	s_load_dwordx2 s[12:13], s[4:5], 0x48
	s_waitcnt lgkmcnt(0)
	s_lshr_b32 s0, s0, 16
	v_mad_u64_u32 v[2:3], null, s7, s0, v[1:2]
	s_mov_b32 s0, exec_lo
	v_cmpx_gt_i32_e64 s12, v2
	s_cbranch_execz .LBB92_796
; %bb.1:
	s_clause 0x1
	s_load_dwordx4 s[0:3], s[4:5], 0x8
	s_load_dwordx4 s[8:11], s[4:5], 0x50
	v_ashrrev_i32_e32 v3, 31, v2
	v_lshlrev_b64 v[4:5], 3, v[2:3]
	s_waitcnt lgkmcnt(0)
	v_add_co_u32 v4, vcc_lo, s0, v4
	v_add_co_ci_u32_e64 v5, null, s1, v5, vcc_lo
	s_cmp_eq_u64 s[8:9], 0
	s_cselect_b32 s6, -1, 0
	global_load_dwordx2 v[6:7], v[4:5], off
	v_mov_b32_e32 v4, 0
	v_mov_b32_e32 v5, 0
	s_and_b32 vcc_lo, exec_lo, s6
	s_cbranch_vccnz .LBB92_3
; %bb.2:
	v_mul_lo_u32 v8, s11, v2
	v_mul_lo_u32 v9, s10, v3
	v_mad_u64_u32 v[4:5], null, s10, v2, 0
	v_add3_u32 v5, v5, v9, v8
	v_lshlrev_b64 v[4:5], 2, v[4:5]
	v_add_co_u32 v4, vcc_lo, s8, v4
	v_add_co_ci_u32_e64 v5, null, s9, v5, vcc_lo
.LBB92_3:
	s_clause 0x1
	s_load_dword s8, s[4:5], 0x18
	s_load_dword s7, s[4:5], 0x0
	s_lshl_b64 s[0:1], s[2:3], 3
	v_lshlrev_b32_e32 v144, 3, v0
	s_waitcnt vmcnt(0)
	v_add_co_u32 v104, vcc_lo, v6, s0
	v_add_co_ci_u32_e64 v105, null, s1, v7, vcc_lo
	s_waitcnt lgkmcnt(0)
	v_add3_u32 v8, s8, s8, v0
	s_ashr_i32 s9, s8, 31
	s_max_i32 s0, s7, 47
	s_lshl_b64 s[10:11], s[8:9], 3
	v_mul_lo_u32 v1, s0, v1
	v_add_nc_u32_e32 v10, s8, v8
	v_ashrrev_i32_e32 v9, 31, v8
	s_cmp_lt_i32 s7, 2
	v_ashrrev_i32_e32 v11, 31, v10
	v_add_nc_u32_e32 v12, s8, v10
	v_lshlrev_b64 v[8:9], 3, v[8:9]
	v_lshlrev_b64 v[6:7], 3, v[10:11]
	v_add_nc_u32_e32 v10, s8, v12
	v_ashrrev_i32_e32 v13, 31, v12
	v_add_co_u32 v8, vcc_lo, v104, v8
	v_add_co_ci_u32_e64 v9, null, v105, v9, vcc_lo
	v_add_nc_u32_e32 v14, s8, v10
	v_ashrrev_i32_e32 v11, 31, v10
	v_lshlrev_b64 v[12:13], 3, v[12:13]
	v_add_co_u32 v6, vcc_lo, v104, v6
	v_add_nc_u32_e32 v16, s8, v14
	v_ashrrev_i32_e32 v15, 31, v14
	v_lshlrev_b64 v[10:11], 3, v[10:11]
	v_add_co_ci_u32_e64 v7, null, v105, v7, vcc_lo
	v_add_nc_u32_e32 v18, s8, v16
	v_ashrrev_i32_e32 v17, 31, v16
	v_lshlrev_b64 v[14:15], 3, v[14:15]
	v_add_co_u32 v12, vcc_lo, v104, v12
	v_add_nc_u32_e32 v20, s8, v18
	v_ashrrev_i32_e32 v19, 31, v18
	v_lshlrev_b64 v[16:17], 3, v[16:17]
	v_add_co_ci_u32_e64 v13, null, v105, v13, vcc_lo
	v_add_nc_u32_e32 v22, s8, v20
	v_ashrrev_i32_e32 v21, 31, v20
	v_add_co_u32 v10, vcc_lo, v104, v10
	v_lshlrev_b64 v[18:19], 3, v[18:19]
	v_add_nc_u32_e32 v24, s8, v22
	v_ashrrev_i32_e32 v23, 31, v22
	v_add_co_ci_u32_e64 v11, null, v105, v11, vcc_lo
	v_add_co_u32 v14, vcc_lo, v104, v14
	v_add_nc_u32_e32 v26, s8, v24
	v_ashrrev_i32_e32 v25, 31, v24
	v_lshlrev_b64 v[20:21], 3, v[20:21]
	v_add_co_ci_u32_e64 v15, null, v105, v15, vcc_lo
	v_add_nc_u32_e32 v28, s8, v26
	v_ashrrev_i32_e32 v27, 31, v26
	v_add_co_u32 v16, vcc_lo, v104, v16
	v_lshlrev_b64 v[22:23], 3, v[22:23]
	v_add_nc_u32_e32 v30, s8, v28
	v_ashrrev_i32_e32 v29, 31, v28
	v_add_co_ci_u32_e64 v17, null, v105, v17, vcc_lo
	v_add_co_u32 v18, vcc_lo, v104, v18
	v_add_nc_u32_e32 v32, s8, v30
	v_lshlrev_b64 v[24:25], 3, v[24:25]
	v_ashrrev_i32_e32 v31, 31, v30
	v_add_co_ci_u32_e64 v19, null, v105, v19, vcc_lo
	v_add_nc_u32_e32 v34, s8, v32
	v_add_co_u32 v20, vcc_lo, v104, v20
	v_lshlrev_b64 v[26:27], 3, v[26:27]
	v_ashrrev_i32_e32 v33, 31, v32
	v_add_nc_u32_e32 v36, s8, v34
	v_add_co_ci_u32_e64 v21, null, v105, v21, vcc_lo
	v_add_co_u32 v22, vcc_lo, v104, v22
	v_add_nc_u32_e32 v38, s8, v36
	v_lshlrev_b64 v[28:29], 3, v[28:29]
	v_ashrrev_i32_e32 v35, 31, v34
	v_add_co_ci_u32_e64 v23, null, v105, v23, vcc_lo
	v_add_nc_u32_e32 v40, s8, v38
	v_add_co_u32 v24, vcc_lo, v104, v24
	v_lshlrev_b64 v[30:31], 3, v[30:31]
	v_ashrrev_i32_e32 v37, 31, v36
	v_add_nc_u32_e32 v42, s8, v40
	;; [unrolled: 11-line block ×3, first 2 shown]
	v_add_co_ci_u32_e64 v29, null, v105, v29, vcc_lo
	v_add_co_u32 v30, vcc_lo, v104, v30
	v_add_nc_u32_e32 v50, s8, v48
	v_lshlrev_b64 v[36:37], 3, v[36:37]
	v_ashrrev_i32_e32 v43, 31, v42
	v_add_co_ci_u32_e64 v31, null, v105, v31, vcc_lo
	v_add_co_u32 v32, vcc_lo, v104, v32
	v_lshlrev_b64 v[38:39], 3, v[38:39]
	v_ashrrev_i32_e32 v45, 31, v44
	v_add_co_ci_u32_e64 v33, null, v105, v33, vcc_lo
	v_add_co_u32 v34, vcc_lo, v104, v34
	v_lshlrev_b64 v[40:41], 3, v[40:41]
	v_add_nc_u32_e32 v52, s8, v50
	v_ashrrev_i32_e32 v47, 31, v46
	v_add_co_ci_u32_e64 v35, null, v105, v35, vcc_lo
	v_add_co_u32 v36, vcc_lo, v104, v36
	v_lshlrev_b64 v[42:43], 3, v[42:43]
	v_ashrrev_i32_e32 v49, 31, v48
	v_add_co_ci_u32_e64 v37, null, v105, v37, vcc_lo
	v_add_co_u32 v38, vcc_lo, v104, v38
	v_lshlrev_b64 v[44:45], 3, v[44:45]
	v_ashrrev_i32_e32 v51, 31, v50
	v_add_nc_u32_e32 v54, s8, v52
	v_add_co_ci_u32_e64 v39, null, v105, v39, vcc_lo
	v_add_co_u32 v40, vcc_lo, v104, v40
	v_lshlrev_b64 v[46:47], 3, v[46:47]
	v_ashrrev_i32_e32 v53, 31, v52
	v_add_co_ci_u32_e64 v41, null, v105, v41, vcc_lo
	v_add_co_u32 v42, vcc_lo, v104, v42
	v_lshlrev_b64 v[48:49], 3, v[48:49]
	v_add_co_ci_u32_e64 v43, null, v105, v43, vcc_lo
	v_add_co_u32 v44, vcc_lo, v104, v44
	v_lshlrev_b64 v[50:51], 3, v[50:51]
	v_add_nc_u32_e32 v56, s8, v54
	v_add_co_ci_u32_e64 v45, null, v105, v45, vcc_lo
	v_add_co_u32 v46, vcc_lo, v104, v46
	v_lshlrev_b64 v[52:53], 3, v[52:53]
	v_ashrrev_i32_e32 v55, 31, v54
	v_add_co_ci_u32_e64 v47, null, v105, v47, vcc_lo
	v_add_co_u32 v48, vcc_lo, v104, v48
	v_ashrrev_i32_e32 v57, 31, v56
	v_add_nc_u32_e32 v58, s8, v56
	v_add_co_ci_u32_e64 v49, null, v105, v49, vcc_lo
	v_add_co_u32 v50, vcc_lo, v104, v50
	v_lshlrev_b64 v[54:55], 3, v[54:55]
	v_add_co_ci_u32_e64 v51, null, v105, v51, vcc_lo
	v_add_co_u32 v98, vcc_lo, v104, v52
	v_add_co_ci_u32_e64 v99, null, v105, v53, vcc_lo
	v_lshlrev_b64 v[52:53], 3, v[56:57]
	v_ashrrev_i32_e32 v59, 31, v58
	v_add_nc_u32_e32 v56, s8, v58
	v_add_co_u32 v100, vcc_lo, v104, v54
	v_add_co_ci_u32_e64 v101, null, v105, v55, vcc_lo
	v_lshlrev_b64 v[54:55], 3, v[58:59]
	v_ashrrev_i32_e32 v57, 31, v56
	v_add_nc_u32_e32 v58, s8, v56
	v_add_co_u32 v102, vcc_lo, v104, v52
	v_add_co_ci_u32_e64 v103, null, v105, v53, vcc_lo
	v_lshlrev_b64 v[52:53], 3, v[56:57]
	v_ashrrev_i32_e32 v59, 31, v58
	v_add_nc_u32_e32 v56, s8, v58
	v_add_co_u32 v106, vcc_lo, v104, v54
	v_add_co_ci_u32_e64 v107, null, v105, v55, vcc_lo
	v_lshlrev_b64 v[54:55], 3, v[58:59]
	v_ashrrev_i32_e32 v57, 31, v56
	v_add_nc_u32_e32 v58, s8, v56
	v_add_co_u32 v108, vcc_lo, v104, v52
	v_add_co_ci_u32_e64 v109, null, v105, v53, vcc_lo
	v_lshlrev_b64 v[52:53], 3, v[56:57]
	v_ashrrev_i32_e32 v59, 31, v58
	v_add_nc_u32_e32 v56, s8, v58
	v_add_co_u32 v110, vcc_lo, v104, v54
	v_add_co_ci_u32_e64 v111, null, v105, v55, vcc_lo
	v_lshlrev_b64 v[54:55], 3, v[58:59]
	v_ashrrev_i32_e32 v57, 31, v56
	v_add_nc_u32_e32 v58, s8, v56
	v_add_co_u32 v112, vcc_lo, v104, v52
	v_add_co_ci_u32_e64 v113, null, v105, v53, vcc_lo
	v_lshlrev_b64 v[52:53], 3, v[56:57]
	v_ashrrev_i32_e32 v59, 31, v58
	v_add_nc_u32_e32 v56, s8, v58
	v_add_co_u32 v114, vcc_lo, v104, v54
	v_add_co_ci_u32_e64 v115, null, v105, v55, vcc_lo
	v_lshlrev_b64 v[54:55], 3, v[58:59]
	v_ashrrev_i32_e32 v57, 31, v56
	v_add_nc_u32_e32 v58, s8, v56
	v_add_co_u32 v116, vcc_lo, v104, v52
	v_add_co_ci_u32_e64 v117, null, v105, v53, vcc_lo
	v_lshlrev_b64 v[52:53], 3, v[56:57]
	v_ashrrev_i32_e32 v59, 31, v58
	v_add_nc_u32_e32 v56, s8, v58
	v_add_co_u32 v118, vcc_lo, v104, v54
	v_add_co_ci_u32_e64 v119, null, v105, v55, vcc_lo
	v_lshlrev_b64 v[54:55], 3, v[58:59]
	v_ashrrev_i32_e32 v57, 31, v56
	v_add_nc_u32_e32 v58, s8, v56
	v_add_co_u32 v120, vcc_lo, v104, v52
	v_add_co_ci_u32_e64 v121, null, v105, v53, vcc_lo
	v_lshlrev_b64 v[52:53], 3, v[56:57]
	v_ashrrev_i32_e32 v59, 31, v58
	v_add_nc_u32_e32 v56, s8, v58
	v_add_co_u32 v122, vcc_lo, v104, v54
	v_add_co_ci_u32_e64 v123, null, v105, v55, vcc_lo
	v_lshlrev_b64 v[54:55], 3, v[58:59]
	v_ashrrev_i32_e32 v57, 31, v56
	v_add_nc_u32_e32 v58, s8, v56
	v_add_co_u32 v124, vcc_lo, v104, v52
	v_add_co_ci_u32_e64 v125, null, v105, v53, vcc_lo
	v_lshlrev_b64 v[52:53], 3, v[56:57]
	v_ashrrev_i32_e32 v59, 31, v58
	v_add_nc_u32_e32 v56, s8, v58
	v_add_co_u32 v126, vcc_lo, v104, v54
	v_add_co_ci_u32_e64 v127, null, v105, v55, vcc_lo
	v_lshlrev_b64 v[54:55], 3, v[58:59]
	v_ashrrev_i32_e32 v57, 31, v56
	v_add_nc_u32_e32 v58, s8, v56
	v_add_co_u32 v128, vcc_lo, v104, v52
	v_add_co_ci_u32_e64 v129, null, v105, v53, vcc_lo
	v_lshlrev_b64 v[52:53], 3, v[56:57]
	v_ashrrev_i32_e32 v59, 31, v58
	v_add_nc_u32_e32 v56, s8, v58
	v_add_co_u32 v130, vcc_lo, v104, v54
	v_add_co_ci_u32_e64 v131, null, v105, v55, vcc_lo
	v_lshlrev_b64 v[54:55], 3, v[58:59]
	v_ashrrev_i32_e32 v57, 31, v56
	v_add_nc_u32_e32 v58, s8, v56
	v_add_co_u32 v132, vcc_lo, v104, v52
	v_add_co_ci_u32_e64 v133, null, v105, v53, vcc_lo
	v_lshlrev_b64 v[52:53], 3, v[56:57]
	v_add_nc_u32_e32 v56, s8, v58
	v_ashrrev_i32_e32 v59, 31, v58
	v_add_co_u32 v134, vcc_lo, v104, v54
	v_add_co_ci_u32_e64 v135, null, v105, v55, vcc_lo
	v_ashrrev_i32_e32 v57, 31, v56
	v_lshlrev_b64 v[54:55], 3, v[58:59]
	v_add_co_u32 v136, vcc_lo, v104, v52
	v_add_co_ci_u32_e64 v137, null, v105, v53, vcc_lo
	v_lshlrev_b64 v[52:53], 3, v[56:57]
	v_add_nc_u32_e32 v56, s8, v56
	v_add_co_u32 v138, vcc_lo, v104, v54
	v_add_co_ci_u32_e64 v139, null, v105, v55, vcc_lo
	v_ashrrev_i32_e32 v57, 31, v56
	v_add_co_u32 v140, vcc_lo, v104, v52
	v_add_co_ci_u32_e64 v141, null, v105, v53, vcc_lo
	v_add_co_u32 v54, vcc_lo, v104, v144
	v_add_co_ci_u32_e64 v55, null, 0, v105, vcc_lo
	v_lshlrev_b64 v[52:53], 3, v[56:57]
	v_add_co_u32 v56, vcc_lo, v54, s10
	v_add_co_ci_u32_e64 v57, null, s11, v55, vcc_lo
	v_add_co_u32 v142, vcc_lo, v104, v52
	v_add_co_ci_u32_e64 v143, null, v105, v53, vcc_lo
	s_clause 0x2e
	flat_load_dwordx2 v[96:97], v[54:55]
	flat_load_dwordx2 v[94:95], v[56:57]
	;; [unrolled: 1-line block ×47, first 2 shown]
	v_lshl_add_u32 v106, v1, 3, 0
	v_lshlrev_b32_e32 v107, 3, v1
	v_mov_b32_e32 v102, 0
	v_add_nc_u32_e32 v100, v106, v144
	s_waitcnt vmcnt(46) lgkmcnt(46)
	ds_write_b64 v100, v[96:97]
	s_waitcnt vmcnt(0) lgkmcnt(0)
	s_barrier
	buffer_gl0_inv
	ds_read_b64 v[100:101], v106
	s_cbranch_scc1 .LBB92_6
; %bb.4:
	v_add3_u32 v1, v107, 0, 8
	v_mov_b32_e32 v102, 0
	s_mov_b32 s0, 1
.LBB92_5:                               ; =>This Inner Loop Header: Depth=1
	ds_read_b64 v[108:109], v1
	v_add_nc_u32_e32 v1, 8, v1
	s_waitcnt lgkmcnt(0)
	v_cmp_lt_f64_e64 vcc_lo, |v[100:101]|, |v[108:109]|
	v_cndmask_b32_e32 v101, v101, v109, vcc_lo
	v_cndmask_b32_e32 v100, v100, v108, vcc_lo
	v_cndmask_b32_e64 v102, v102, s0, vcc_lo
	s_add_i32 s0, s0, 1
	s_cmp_eq_u32 s7, s0
	s_cbranch_scc0 .LBB92_5
.LBB92_6:
	s_mov_b32 s0, exec_lo
                                        ; implicit-def: $vgpr109
	v_cmpx_ne_u32_e64 v0, v102
	s_xor_b32 s0, exec_lo, s0
	s_cbranch_execz .LBB92_12
; %bb.7:
	s_mov_b32 s1, exec_lo
	v_cmpx_eq_u32_e32 0, v0
	s_cbranch_execz .LBB92_11
; %bb.8:
	v_cmp_ne_u32_e32 vcc_lo, 0, v102
	s_xor_b32 s2, s6, -1
	s_and_b32 s3, s2, vcc_lo
	s_and_saveexec_b32 s2, s3
	s_cbranch_execz .LBB92_10
; %bb.9:
	v_ashrrev_i32_e32 v103, 31, v102
	v_lshlrev_b64 v[0:1], 2, v[102:103]
	v_add_co_u32 v0, vcc_lo, v4, v0
	v_add_co_ci_u32_e64 v1, null, v5, v1, vcc_lo
	s_clause 0x1
	global_load_dword v103, v[0:1], off
	global_load_dword v108, v[4:5], off
	s_waitcnt vmcnt(1)
	global_store_dword v[4:5], v103, off
	s_waitcnt vmcnt(0)
	global_store_dword v[0:1], v108, off
.LBB92_10:
	s_or_b32 exec_lo, exec_lo, s2
	v_mov_b32_e32 v0, v102
.LBB92_11:
	s_or_b32 exec_lo, exec_lo, s1
	v_mov_b32_e32 v109, v0
                                        ; implicit-def: $vgpr0
.LBB92_12:
	s_or_saveexec_b32 s0, s0
	v_mov_b32_e32 v108, v109
	s_xor_b32 exec_lo, exec_lo, s0
	s_cbranch_execz .LBB92_14
; %bb.13:
	v_mov_b32_e32 v109, 0
	v_mov_b32_e32 v108, v0
	ds_write2_b64 v106, v[94:95], v[92:93] offset0:1 offset1:2
	ds_write2_b64 v106, v[88:89], v[90:91] offset0:3 offset1:4
	;; [unrolled: 1-line block ×23, first 2 shown]
.LBB92_14:
	s_or_b32 exec_lo, exec_lo, s0
	s_waitcnt lgkmcnt(0)
	v_cmp_eq_f64_e64 s0, 0, v[100:101]
	s_mov_b32 s1, exec_lo
	s_waitcnt_vscnt null, 0x0
	s_barrier
	buffer_gl0_inv
	v_cmpx_lt_i32_e32 0, v109
	s_cbranch_execz .LBB92_16
; %bb.15:
	v_div_scale_f64 v[0:1], null, v[100:101], v[100:101], 1.0
	v_div_scale_f64 v[112:113], vcc_lo, 1.0, v[100:101], 1.0
	v_rcp_f64_e32 v[102:103], v[0:1]
	v_fma_f64 v[110:111], -v[0:1], v[102:103], 1.0
	v_fma_f64 v[102:103], v[102:103], v[110:111], v[102:103]
	v_fma_f64 v[110:111], -v[0:1], v[102:103], 1.0
	v_fma_f64 v[102:103], v[102:103], v[110:111], v[102:103]
	v_mul_f64 v[110:111], v[112:113], v[102:103]
	v_fma_f64 v[0:1], -v[0:1], v[110:111], v[112:113]
	v_div_fmas_f64 v[0:1], v[0:1], v[102:103], v[110:111]
	v_div_fixup_f64 v[0:1], v[0:1], v[100:101], 1.0
	v_cndmask_b32_e64 v1, v1, v101, s0
	v_cndmask_b32_e64 v0, v0, v100, s0
	ds_read2_b64 v[100:103], v106 offset0:1 offset1:2
	ds_read2_b64 v[110:113], v106 offset0:3 offset1:4
	;; [unrolled: 1-line block ×23, first 2 shown]
	v_mul_f64 v[96:97], v[0:1], v[96:97]
	s_waitcnt lgkmcnt(22)
	v_fma_f64 v[94:95], -v[96:97], v[100:101], v[94:95]
	v_fma_f64 v[92:93], -v[96:97], v[102:103], v[92:93]
	s_waitcnt lgkmcnt(21)
	v_fma_f64 v[88:89], -v[96:97], v[110:111], v[88:89]
	v_fma_f64 v[90:91], -v[96:97], v[112:113], v[90:91]
	;; [unrolled: 3-line block ×23, first 2 shown]
.LBB92_16:
	s_or_b32 exec_lo, exec_lo, s1
	v_lshl_add_u32 v0, v109, 3, v106
	s_barrier
	buffer_gl0_inv
	v_mov_b32_e32 v100, 1
	ds_write_b64 v0, v[94:95]
	s_waitcnt lgkmcnt(0)
	s_barrier
	buffer_gl0_inv
	ds_read_b64 v[0:1], v106 offset:8
	s_cmp_lt_i32 s7, 3
	s_cbranch_scc1 .LBB92_19
; %bb.17:
	v_add3_u32 v101, v107, 0, 16
	v_mov_b32_e32 v100, 1
	s_mov_b32 s1, 2
.LBB92_18:                              ; =>This Inner Loop Header: Depth=1
	ds_read_b64 v[102:103], v101
	v_add_nc_u32_e32 v101, 8, v101
	s_waitcnt lgkmcnt(0)
	v_cmp_lt_f64_e64 vcc_lo, |v[0:1]|, |v[102:103]|
	v_cndmask_b32_e32 v1, v1, v103, vcc_lo
	v_cndmask_b32_e32 v0, v0, v102, vcc_lo
	v_cndmask_b32_e64 v100, v100, s1, vcc_lo
	s_add_i32 s1, s1, 1
	s_cmp_lg_u32 s7, s1
	s_cbranch_scc1 .LBB92_18
.LBB92_19:
	s_mov_b32 s1, exec_lo
	v_cmpx_ne_u32_e64 v109, v100
	s_xor_b32 s1, exec_lo, s1
	s_cbranch_execz .LBB92_25
; %bb.20:
	s_mov_b32 s2, exec_lo
	v_cmpx_eq_u32_e32 1, v109
	s_cbranch_execz .LBB92_24
; %bb.21:
	v_cmp_ne_u32_e32 vcc_lo, 1, v100
	s_xor_b32 s3, s6, -1
	s_and_b32 s9, s3, vcc_lo
	s_and_saveexec_b32 s3, s9
	s_cbranch_execz .LBB92_23
; %bb.22:
	v_ashrrev_i32_e32 v101, 31, v100
	v_lshlrev_b64 v[101:102], 2, v[100:101]
	v_add_co_u32 v101, vcc_lo, v4, v101
	v_add_co_ci_u32_e64 v102, null, v5, v102, vcc_lo
	s_clause 0x1
	global_load_dword v103, v[101:102], off
	global_load_dword v108, v[4:5], off offset:4
	s_waitcnt vmcnt(1)
	global_store_dword v[4:5], v103, off offset:4
	s_waitcnt vmcnt(0)
	global_store_dword v[101:102], v108, off
.LBB92_23:
	s_or_b32 exec_lo, exec_lo, s3
	v_mov_b32_e32 v108, v100
	v_mov_b32_e32 v109, v100
.LBB92_24:
	s_or_b32 exec_lo, exec_lo, s2
.LBB92_25:
	s_andn2_saveexec_b32 s1, s1
	s_cbranch_execz .LBB92_27
; %bb.26:
	v_mov_b32_e32 v100, v92
	v_mov_b32_e32 v101, v93
	;; [unrolled: 1-line block ×12, first 2 shown]
	ds_write2_b64 v106, v[100:101], v[102:103] offset0:2 offset1:3
	ds_write2_b64 v106, v[109:110], v[111:112] offset0:4 offset1:5
	ds_write2_b64 v106, v[113:114], v[115:116] offset0:6 offset1:7
	v_mov_b32_e32 v100, v80
	v_mov_b32_e32 v101, v81
	v_mov_b32_e32 v102, v78
	v_mov_b32_e32 v103, v79
	v_mov_b32_e32 v109, v76
	v_mov_b32_e32 v110, v77
	v_mov_b32_e32 v111, v74
	v_mov_b32_e32 v112, v75
	v_mov_b32_e32 v113, v72
	v_mov_b32_e32 v114, v73
	v_mov_b32_e32 v115, v68
	v_mov_b32_e32 v116, v69
	v_mov_b32_e32 v117, v70
	v_mov_b32_e32 v118, v71
	v_mov_b32_e32 v119, v64
	v_mov_b32_e32 v120, v65
	v_mov_b32_e32 v121, v66
	v_mov_b32_e32 v122, v67
	v_mov_b32_e32 v123, v62
	v_mov_b32_e32 v124, v63
	ds_write2_b64 v106, v[100:101], v[102:103] offset0:8 offset1:9
	ds_write2_b64 v106, v[109:110], v[111:112] offset0:10 offset1:11
	ds_write2_b64 v106, v[113:114], v[115:116] offset0:12 offset1:13
	ds_write2_b64 v106, v[117:118], v[119:120] offset0:14 offset1:15
	ds_write2_b64 v106, v[121:122], v[123:124] offset0:16 offset1:17
	v_mov_b32_e32 v100, v60
	v_mov_b32_e32 v101, v61
	v_mov_b32_e32 v102, v58
	v_mov_b32_e32 v103, v59
	v_mov_b32_e32 v109, v56
	v_mov_b32_e32 v110, v57
	v_mov_b32_e32 v111, v54
	v_mov_b32_e32 v112, v55
	v_mov_b32_e32 v113, v52
	v_mov_b32_e32 v114, v53
	v_mov_b32_e32 v115, v48
	v_mov_b32_e32 v116, v49
	v_mov_b32_e32 v117, v50
	v_mov_b32_e32 v118, v51
	v_mov_b32_e32 v119, v44
	v_mov_b32_e32 v120, v45
	v_mov_b32_e32 v121, v46
	v_mov_b32_e32 v122, v47
	v_mov_b32_e32 v123, v42
	v_mov_b32_e32 v124, v43
	ds_write2_b64 v106, v[100:101], v[102:103] offset0:18 offset1:19
	ds_write2_b64 v106, v[109:110], v[111:112] offset0:20 offset1:21
	ds_write2_b64 v106, v[113:114], v[115:116] offset0:22 offset1:23
	ds_write2_b64 v106, v[117:118], v[119:120] offset0:24 offset1:25
	ds_write2_b64 v106, v[121:122], v[123:124] offset0:26 offset1:27
	v_mov_b32_e32 v100, v40
	v_mov_b32_e32 v101, v41
	v_mov_b32_e32 v102, v38
	v_mov_b32_e32 v103, v39
	v_mov_b32_e32 v109, v36
	v_mov_b32_e32 v110, v37
	v_mov_b32_e32 v111, v34
	v_mov_b32_e32 v112, v35
	v_mov_b32_e32 v113, v32
	v_mov_b32_e32 v114, v33
	v_mov_b32_e32 v115, v28
	v_mov_b32_e32 v116, v29
	v_mov_b32_e32 v117, v30
	v_mov_b32_e32 v118, v31
	v_mov_b32_e32 v119, v24
	v_mov_b32_e32 v120, v25
	v_mov_b32_e32 v121, v26
	v_mov_b32_e32 v122, v27
	v_mov_b32_e32 v123, v22
	v_mov_b32_e32 v124, v23
	ds_write2_b64 v106, v[100:101], v[102:103] offset0:28 offset1:29
	ds_write2_b64 v106, v[109:110], v[111:112] offset0:30 offset1:31
	ds_write2_b64 v106, v[113:114], v[115:116] offset0:32 offset1:33
	ds_write2_b64 v106, v[117:118], v[119:120] offset0:34 offset1:35
	ds_write2_b64 v106, v[121:122], v[123:124] offset0:36 offset1:37
	v_mov_b32_e32 v100, v20
	v_mov_b32_e32 v101, v21
	;; [unrolled: 1-line block ×17, first 2 shown]
	ds_write2_b64 v106, v[100:101], v[102:103] offset0:38 offset1:39
	ds_write2_b64 v106, v[110:111], v[112:113] offset0:40 offset1:41
	;; [unrolled: 1-line block ×4, first 2 shown]
	ds_write_b64 v106, v[98:99] offset:368
.LBB92_27:
	s_or_b32 exec_lo, exec_lo, s1
	s_waitcnt lgkmcnt(0)
	v_cmp_neq_f64_e64 s1, 0, v[0:1]
	s_mov_b32 s2, exec_lo
	s_waitcnt_vscnt null, 0x0
	s_barrier
	buffer_gl0_inv
	v_cmpx_lt_i32_e32 1, v109
	s_cbranch_execz .LBB92_29
; %bb.28:
	v_div_scale_f64 v[100:101], null, v[0:1], v[0:1], 1.0
	v_div_scale_f64 v[112:113], vcc_lo, 1.0, v[0:1], 1.0
	v_rcp_f64_e32 v[102:103], v[100:101]
	v_fma_f64 v[110:111], -v[100:101], v[102:103], 1.0
	v_fma_f64 v[102:103], v[102:103], v[110:111], v[102:103]
	v_fma_f64 v[110:111], -v[100:101], v[102:103], 1.0
	v_fma_f64 v[102:103], v[102:103], v[110:111], v[102:103]
	v_mul_f64 v[110:111], v[112:113], v[102:103]
	v_fma_f64 v[100:101], -v[100:101], v[110:111], v[112:113]
	v_div_fmas_f64 v[100:101], v[100:101], v[102:103], v[110:111]
	v_div_fixup_f64 v[100:101], v[100:101], v[0:1], 1.0
	v_cndmask_b32_e64 v1, v1, v101, s1
	v_cndmask_b32_e64 v0, v0, v100, s1
	ds_read2_b64 v[100:103], v106 offset0:2 offset1:3
	ds_read2_b64 v[110:113], v106 offset0:4 offset1:5
	v_mul_f64 v[94:95], v[0:1], v[94:95]
	ds_read2_b64 v[114:117], v106 offset0:6 offset1:7
	ds_read2_b64 v[118:121], v106 offset0:8 offset1:9
	;; [unrolled: 1-line block ×20, first 2 shown]
	ds_read_b64 v[0:1], v106 offset:368
	s_waitcnt lgkmcnt(22)
	v_fma_f64 v[92:93], -v[94:95], v[100:101], v[92:93]
	v_fma_f64 v[88:89], -v[94:95], v[102:103], v[88:89]
	s_waitcnt lgkmcnt(21)
	v_fma_f64 v[90:91], -v[94:95], v[110:111], v[90:91]
	v_fma_f64 v[84:85], -v[94:95], v[112:113], v[84:85]
	;; [unrolled: 3-line block ×22, first 2 shown]
	s_waitcnt lgkmcnt(0)
	v_fma_f64 v[98:99], -v[94:95], v[0:1], v[98:99]
.LBB92_29:
	s_or_b32 exec_lo, exec_lo, s2
	v_lshl_add_u32 v0, v109, 3, v106
	s_barrier
	buffer_gl0_inv
	v_mov_b32_e32 v100, 2
	ds_write_b64 v0, v[92:93]
	s_waitcnt lgkmcnt(0)
	s_barrier
	buffer_gl0_inv
	ds_read_b64 v[0:1], v106 offset:16
	s_cmp_lt_i32 s7, 4
	s_mov_b32 s2, 3
	s_cbranch_scc1 .LBB92_32
; %bb.30:
	v_add3_u32 v101, v107, 0, 24
	v_mov_b32_e32 v100, 2
.LBB92_31:                              ; =>This Inner Loop Header: Depth=1
	ds_read_b64 v[102:103], v101
	v_add_nc_u32_e32 v101, 8, v101
	s_waitcnt lgkmcnt(0)
	v_cmp_lt_f64_e64 vcc_lo, |v[0:1]|, |v[102:103]|
	v_cndmask_b32_e32 v1, v1, v103, vcc_lo
	v_cndmask_b32_e32 v0, v0, v102, vcc_lo
	v_cndmask_b32_e64 v100, v100, s2, vcc_lo
	s_add_i32 s2, s2, 1
	s_cmp_lg_u32 s7, s2
	s_cbranch_scc1 .LBB92_31
.LBB92_32:
	v_cndmask_b32_e64 v101, 2, 1, s0
	v_cndmask_b32_e64 v102, 0, 1, s0
	s_mov_b32 s0, exec_lo
	v_cndmask_b32_e64 v103, v101, v102, s1
	s_waitcnt lgkmcnt(0)
	v_cmpx_eq_f64_e32 0, v[0:1]
	s_xor_b32 s0, exec_lo, s0
; %bb.33:
	v_cmp_ne_u32_e32 vcc_lo, 0, v103
	v_cndmask_b32_e32 v103, 3, v103, vcc_lo
; %bb.34:
	s_andn2_saveexec_b32 s0, s0
	s_cbranch_execz .LBB92_36
; %bb.35:
	v_div_scale_f64 v[101:102], null, v[0:1], v[0:1], 1.0
	v_rcp_f64_e32 v[110:111], v[101:102]
	v_fma_f64 v[112:113], -v[101:102], v[110:111], 1.0
	v_fma_f64 v[110:111], v[110:111], v[112:113], v[110:111]
	v_fma_f64 v[112:113], -v[101:102], v[110:111], 1.0
	v_fma_f64 v[110:111], v[110:111], v[112:113], v[110:111]
	v_div_scale_f64 v[112:113], vcc_lo, 1.0, v[0:1], 1.0
	v_mul_f64 v[114:115], v[112:113], v[110:111]
	v_fma_f64 v[101:102], -v[101:102], v[114:115], v[112:113]
	v_div_fmas_f64 v[101:102], v[101:102], v[110:111], v[114:115]
	v_div_fixup_f64 v[0:1], v[101:102], v[0:1], 1.0
.LBB92_36:
	s_or_b32 exec_lo, exec_lo, s0
	s_mov_b32 s0, exec_lo
	v_cmpx_ne_u32_e64 v109, v100
	s_xor_b32 s0, exec_lo, s0
	s_cbranch_execz .LBB92_42
; %bb.37:
	s_mov_b32 s1, exec_lo
	v_cmpx_eq_u32_e32 2, v109
	s_cbranch_execz .LBB92_41
; %bb.38:
	v_cmp_ne_u32_e32 vcc_lo, 2, v100
	s_xor_b32 s2, s6, -1
	s_and_b32 s3, s2, vcc_lo
	s_and_saveexec_b32 s2, s3
	s_cbranch_execz .LBB92_40
; %bb.39:
	v_ashrrev_i32_e32 v101, 31, v100
	v_lshlrev_b64 v[101:102], 2, v[100:101]
	v_add_co_u32 v101, vcc_lo, v4, v101
	v_add_co_ci_u32_e64 v102, null, v5, v102, vcc_lo
	s_clause 0x1
	global_load_dword v108, v[101:102], off
	global_load_dword v109, v[4:5], off offset:8
	s_waitcnt vmcnt(1)
	global_store_dword v[4:5], v108, off offset:8
	s_waitcnt vmcnt(0)
	global_store_dword v[101:102], v109, off
.LBB92_40:
	s_or_b32 exec_lo, exec_lo, s2
	v_mov_b32_e32 v108, v100
	v_mov_b32_e32 v109, v100
.LBB92_41:
	s_or_b32 exec_lo, exec_lo, s1
.LBB92_42:
	s_andn2_saveexec_b32 s0, s0
	s_cbranch_execz .LBB92_44
; %bb.43:
	v_mov_b32_e32 v109, 2
	ds_write2_b64 v106, v[88:89], v[90:91] offset0:3 offset1:4
	ds_write2_b64 v106, v[84:85], v[86:87] offset0:5 offset1:6
	;; [unrolled: 1-line block ×22, first 2 shown]
.LBB92_44:
	s_or_b32 exec_lo, exec_lo, s0
	s_mov_b32 s0, exec_lo
	s_waitcnt lgkmcnt(0)
	s_waitcnt_vscnt null, 0x0
	s_barrier
	buffer_gl0_inv
	v_cmpx_lt_i32_e32 2, v109
	s_cbranch_execz .LBB92_46
; %bb.45:
	v_mul_f64 v[92:93], v[0:1], v[92:93]
	ds_read2_b64 v[110:113], v106 offset0:3 offset1:4
	ds_read2_b64 v[114:117], v106 offset0:5 offset1:6
	;; [unrolled: 1-line block ×11, first 2 shown]
	s_waitcnt lgkmcnt(10)
	v_fma_f64 v[88:89], -v[92:93], v[110:111], v[88:89]
	v_fma_f64 v[90:91], -v[92:93], v[112:113], v[90:91]
	s_waitcnt lgkmcnt(9)
	v_fma_f64 v[84:85], -v[92:93], v[114:115], v[84:85]
	v_fma_f64 v[86:87], -v[92:93], v[116:117], v[86:87]
	;; [unrolled: 3-line block ×6, first 2 shown]
	ds_read2_b64 v[110:113], v106 offset0:25 offset1:26
	ds_read2_b64 v[114:117], v106 offset0:27 offset1:28
	s_waitcnt lgkmcnt(6)
	v_fma_f64 v[64:65], -v[92:93], v[134:135], v[64:65]
	v_fma_f64 v[66:67], -v[92:93], v[136:137], v[66:67]
	s_waitcnt lgkmcnt(5)
	v_fma_f64 v[62:63], -v[92:93], v[138:139], v[62:63]
	ds_read2_b64 v[118:121], v106 offset0:29 offset1:30
	ds_read2_b64 v[122:125], v106 offset0:31 offset1:32
	v_fma_f64 v[60:61], -v[92:93], v[140:141], v[60:61]
	s_waitcnt lgkmcnt(6)
	v_fma_f64 v[58:59], -v[92:93], v[142:143], v[58:59]
	ds_read2_b64 v[126:129], v106 offset0:33 offset1:34
	ds_read2_b64 v[130:133], v106 offset0:35 offset1:36
	;; [unrolled: 5-line block ×4, first 2 shown]
	v_fma_f64 v[50:51], -v[92:93], v[152:153], v[50:51]
	ds_read2_b64 v[150:153], v106 offset0:45 offset1:46
	s_waitcnt lgkmcnt(10)
	v_fma_f64 v[44:45], -v[92:93], v[110:111], v[44:45]
	v_fma_f64 v[46:47], -v[92:93], v[112:113], v[46:47]
	s_waitcnt lgkmcnt(9)
	v_fma_f64 v[42:43], -v[92:93], v[114:115], v[42:43]
	v_fma_f64 v[40:41], -v[92:93], v[116:117], v[40:41]
	;; [unrolled: 3-line block ×11, first 2 shown]
.LBB92_46:
	s_or_b32 exec_lo, exec_lo, s0
	v_lshl_add_u32 v0, v109, 3, v106
	s_barrier
	buffer_gl0_inv
	v_mov_b32_e32 v100, 3
	ds_write_b64 v0, v[88:89]
	s_waitcnt lgkmcnt(0)
	s_barrier
	buffer_gl0_inv
	ds_read_b64 v[0:1], v106 offset:24
	s_cmp_lt_i32 s7, 5
	s_cbranch_scc1 .LBB92_49
; %bb.47:
	v_mov_b32_e32 v100, 3
	v_add3_u32 v101, v107, 0, 32
	s_mov_b32 s0, 4
.LBB92_48:                              ; =>This Inner Loop Header: Depth=1
	ds_read_b64 v[110:111], v101
	v_add_nc_u32_e32 v101, 8, v101
	s_waitcnt lgkmcnt(0)
	v_cmp_lt_f64_e64 vcc_lo, |v[0:1]|, |v[110:111]|
	v_cndmask_b32_e32 v1, v1, v111, vcc_lo
	v_cndmask_b32_e32 v0, v0, v110, vcc_lo
	v_cndmask_b32_e64 v100, v100, s0, vcc_lo
	s_add_i32 s0, s0, 1
	s_cmp_lg_u32 s7, s0
	s_cbranch_scc1 .LBB92_48
.LBB92_49:
	s_mov_b32 s0, exec_lo
	s_waitcnt lgkmcnt(0)
	v_cmpx_eq_f64_e32 0, v[0:1]
	s_xor_b32 s0, exec_lo, s0
; %bb.50:
	v_cmp_ne_u32_e32 vcc_lo, 0, v103
	v_cndmask_b32_e32 v103, 4, v103, vcc_lo
; %bb.51:
	s_andn2_saveexec_b32 s0, s0
	s_cbranch_execz .LBB92_53
; %bb.52:
	v_div_scale_f64 v[101:102], null, v[0:1], v[0:1], 1.0
	v_rcp_f64_e32 v[110:111], v[101:102]
	v_fma_f64 v[112:113], -v[101:102], v[110:111], 1.0
	v_fma_f64 v[110:111], v[110:111], v[112:113], v[110:111]
	v_fma_f64 v[112:113], -v[101:102], v[110:111], 1.0
	v_fma_f64 v[110:111], v[110:111], v[112:113], v[110:111]
	v_div_scale_f64 v[112:113], vcc_lo, 1.0, v[0:1], 1.0
	v_mul_f64 v[114:115], v[112:113], v[110:111]
	v_fma_f64 v[101:102], -v[101:102], v[114:115], v[112:113]
	v_div_fmas_f64 v[101:102], v[101:102], v[110:111], v[114:115]
	v_div_fixup_f64 v[0:1], v[101:102], v[0:1], 1.0
.LBB92_53:
	s_or_b32 exec_lo, exec_lo, s0
	s_mov_b32 s0, exec_lo
	v_cmpx_ne_u32_e64 v109, v100
	s_xor_b32 s0, exec_lo, s0
	s_cbranch_execz .LBB92_59
; %bb.54:
	s_mov_b32 s1, exec_lo
	v_cmpx_eq_u32_e32 3, v109
	s_cbranch_execz .LBB92_58
; %bb.55:
	v_cmp_ne_u32_e32 vcc_lo, 3, v100
	s_xor_b32 s2, s6, -1
	s_and_b32 s3, s2, vcc_lo
	s_and_saveexec_b32 s2, s3
	s_cbranch_execz .LBB92_57
; %bb.56:
	v_ashrrev_i32_e32 v101, 31, v100
	v_lshlrev_b64 v[101:102], 2, v[100:101]
	v_add_co_u32 v101, vcc_lo, v4, v101
	v_add_co_ci_u32_e64 v102, null, v5, v102, vcc_lo
	s_clause 0x1
	global_load_dword v108, v[101:102], off
	global_load_dword v109, v[4:5], off offset:12
	s_waitcnt vmcnt(1)
	global_store_dword v[4:5], v108, off offset:12
	s_waitcnt vmcnt(0)
	global_store_dword v[101:102], v109, off
.LBB92_57:
	s_or_b32 exec_lo, exec_lo, s2
	v_mov_b32_e32 v108, v100
	v_mov_b32_e32 v109, v100
.LBB92_58:
	s_or_b32 exec_lo, exec_lo, s1
.LBB92_59:
	s_andn2_saveexec_b32 s0, s0
	s_cbranch_execz .LBB92_61
; %bb.60:
	v_mov_b32_e32 v100, v90
	v_mov_b32_e32 v101, v91
	;; [unrolled: 1-line block ×8, first 2 shown]
	ds_write2_b64 v106, v[100:101], v[109:110] offset0:4 offset1:5
	ds_write2_b64 v106, v[111:112], v[113:114] offset0:6 offset1:7
	v_mov_b32_e32 v100, v80
	v_mov_b32_e32 v101, v81
	v_mov_b32_e32 v109, v78
	v_mov_b32_e32 v110, v79
	v_mov_b32_e32 v111, v76
	v_mov_b32_e32 v112, v77
	v_mov_b32_e32 v113, v74
	v_mov_b32_e32 v114, v75
	v_mov_b32_e32 v115, v72
	v_mov_b32_e32 v116, v73
	v_mov_b32_e32 v117, v68
	v_mov_b32_e32 v118, v69
	v_mov_b32_e32 v119, v70
	v_mov_b32_e32 v120, v71
	v_mov_b32_e32 v121, v64
	v_mov_b32_e32 v122, v65
	v_mov_b32_e32 v123, v66
	v_mov_b32_e32 v124, v67
	v_mov_b32_e32 v125, v62
	v_mov_b32_e32 v126, v63
	ds_write2_b64 v106, v[100:101], v[109:110] offset0:8 offset1:9
	ds_write2_b64 v106, v[111:112], v[113:114] offset0:10 offset1:11
	ds_write2_b64 v106, v[115:116], v[117:118] offset0:12 offset1:13
	ds_write2_b64 v106, v[119:120], v[121:122] offset0:14 offset1:15
	ds_write2_b64 v106, v[123:124], v[125:126] offset0:16 offset1:17
	v_mov_b32_e32 v100, v60
	v_mov_b32_e32 v101, v61
	v_mov_b32_e32 v109, v58
	v_mov_b32_e32 v110, v59
	v_mov_b32_e32 v111, v56
	v_mov_b32_e32 v112, v57
	v_mov_b32_e32 v113, v54
	v_mov_b32_e32 v114, v55
	v_mov_b32_e32 v115, v52
	v_mov_b32_e32 v116, v53
	v_mov_b32_e32 v117, v48
	v_mov_b32_e32 v118, v49
	v_mov_b32_e32 v119, v50
	v_mov_b32_e32 v120, v51
	v_mov_b32_e32 v121, v44
	v_mov_b32_e32 v122, v45
	v_mov_b32_e32 v123, v46
	v_mov_b32_e32 v124, v47
	v_mov_b32_e32 v125, v42
	v_mov_b32_e32 v126, v43
	ds_write2_b64 v106, v[100:101], v[109:110] offset0:18 offset1:19
	ds_write2_b64 v106, v[111:112], v[113:114] offset0:20 offset1:21
	ds_write2_b64 v106, v[115:116], v[117:118] offset0:22 offset1:23
	;; [unrolled: 25-line block ×3, first 2 shown]
	ds_write2_b64 v106, v[119:120], v[121:122] offset0:34 offset1:35
	ds_write2_b64 v106, v[123:124], v[125:126] offset0:36 offset1:37
	v_mov_b32_e32 v100, v20
	v_mov_b32_e32 v101, v21
	;; [unrolled: 1-line block ×8, first 2 shown]
	ds_write2_b64 v106, v[100:101], v[109:110] offset0:38 offset1:39
	v_mov_b32_e32 v109, 3
	v_mov_b32_e32 v115, v12
	;; [unrolled: 1-line block ×9, first 2 shown]
	ds_write2_b64 v106, v[111:112], v[113:114] offset0:40 offset1:41
	ds_write2_b64 v106, v[115:116], v[117:118] offset0:42 offset1:43
	;; [unrolled: 1-line block ×3, first 2 shown]
	ds_write_b64 v106, v[98:99] offset:368
.LBB92_61:
	s_or_b32 exec_lo, exec_lo, s0
	s_mov_b32 s0, exec_lo
	s_waitcnt lgkmcnt(0)
	s_waitcnt_vscnt null, 0x0
	s_barrier
	buffer_gl0_inv
	v_cmpx_lt_i32_e32 3, v109
	s_cbranch_execz .LBB92_63
; %bb.62:
	v_mul_f64 v[88:89], v[0:1], v[88:89]
	ds_read2_b64 v[110:113], v106 offset0:4 offset1:5
	ds_read2_b64 v[114:117], v106 offset0:6 offset1:7
	;; [unrolled: 1-line block ×11, first 2 shown]
	ds_read_b64 v[0:1], v106 offset:368
	s_waitcnt lgkmcnt(11)
	v_fma_f64 v[90:91], -v[88:89], v[110:111], v[90:91]
	v_fma_f64 v[84:85], -v[88:89], v[112:113], v[84:85]
	s_waitcnt lgkmcnt(10)
	v_fma_f64 v[86:87], -v[88:89], v[114:115], v[86:87]
	v_fma_f64 v[82:83], -v[88:89], v[116:117], v[82:83]
	;; [unrolled: 3-line block ×6, first 2 shown]
	ds_read2_b64 v[110:113], v106 offset0:26 offset1:27
	ds_read2_b64 v[114:117], v106 offset0:28 offset1:29
	s_waitcnt lgkmcnt(7)
	v_fma_f64 v[66:67], -v[88:89], v[134:135], v[66:67]
	v_fma_f64 v[62:63], -v[88:89], v[136:137], v[62:63]
	s_waitcnt lgkmcnt(6)
	v_fma_f64 v[60:61], -v[88:89], v[138:139], v[60:61]
	ds_read2_b64 v[118:121], v106 offset0:30 offset1:31
	ds_read2_b64 v[122:125], v106 offset0:32 offset1:33
	v_fma_f64 v[58:59], -v[88:89], v[140:141], v[58:59]
	s_waitcnt lgkmcnt(7)
	v_fma_f64 v[56:57], -v[88:89], v[142:143], v[56:57]
	ds_read2_b64 v[126:129], v106 offset0:34 offset1:35
	ds_read2_b64 v[130:133], v106 offset0:36 offset1:37
	;; [unrolled: 5-line block ×3, first 2 shown]
	v_fma_f64 v[48:49], -v[88:89], v[148:149], v[48:49]
	ds_read2_b64 v[142:145], v106 offset0:42 offset1:43
	ds_read2_b64 v[146:149], v106 offset0:44 offset1:45
	s_waitcnt lgkmcnt(11)
	v_fma_f64 v[50:51], -v[88:89], v[150:151], v[50:51]
	v_fma_f64 v[44:45], -v[88:89], v[152:153], v[44:45]
	s_waitcnt lgkmcnt(9)
	v_fma_f64 v[46:47], -v[88:89], v[110:111], v[46:47]
	v_fma_f64 v[42:43], -v[88:89], v[112:113], v[42:43]
	;; [unrolled: 3-line block ×3, first 2 shown]
	v_fma_f64 v[98:99], -v[88:89], v[0:1], v[98:99]
	s_waitcnt lgkmcnt(7)
	v_fma_f64 v[36:37], -v[88:89], v[118:119], v[36:37]
	v_fma_f64 v[34:35], -v[88:89], v[120:121], v[34:35]
	s_waitcnt lgkmcnt(6)
	v_fma_f64 v[32:33], -v[88:89], v[122:123], v[32:33]
	;; [unrolled: 3-line block ×8, first 2 shown]
	v_fma_f64 v[6:7], -v[88:89], v[148:149], v[6:7]
.LBB92_63:
	s_or_b32 exec_lo, exec_lo, s0
	v_lshl_add_u32 v0, v109, 3, v106
	s_barrier
	buffer_gl0_inv
	v_mov_b32_e32 v100, 4
	ds_write_b64 v0, v[90:91]
	s_waitcnt lgkmcnt(0)
	s_barrier
	buffer_gl0_inv
	ds_read_b64 v[0:1], v106 offset:32
	s_cmp_lt_i32 s7, 6
	s_cbranch_scc1 .LBB92_66
; %bb.64:
	v_add3_u32 v101, v107, 0, 40
	v_mov_b32_e32 v100, 4
	s_mov_b32 s0, 5
.LBB92_65:                              ; =>This Inner Loop Header: Depth=1
	ds_read_b64 v[110:111], v101
	v_add_nc_u32_e32 v101, 8, v101
	s_waitcnt lgkmcnt(0)
	v_cmp_lt_f64_e64 vcc_lo, |v[0:1]|, |v[110:111]|
	v_cndmask_b32_e32 v1, v1, v111, vcc_lo
	v_cndmask_b32_e32 v0, v0, v110, vcc_lo
	v_cndmask_b32_e64 v100, v100, s0, vcc_lo
	s_add_i32 s0, s0, 1
	s_cmp_lg_u32 s7, s0
	s_cbranch_scc1 .LBB92_65
.LBB92_66:
	s_mov_b32 s0, exec_lo
	s_waitcnt lgkmcnt(0)
	v_cmpx_eq_f64_e32 0, v[0:1]
	s_xor_b32 s0, exec_lo, s0
; %bb.67:
	v_cmp_ne_u32_e32 vcc_lo, 0, v103
	v_cndmask_b32_e32 v103, 5, v103, vcc_lo
; %bb.68:
	s_andn2_saveexec_b32 s0, s0
	s_cbranch_execz .LBB92_70
; %bb.69:
	v_div_scale_f64 v[101:102], null, v[0:1], v[0:1], 1.0
	v_rcp_f64_e32 v[110:111], v[101:102]
	v_fma_f64 v[112:113], -v[101:102], v[110:111], 1.0
	v_fma_f64 v[110:111], v[110:111], v[112:113], v[110:111]
	v_fma_f64 v[112:113], -v[101:102], v[110:111], 1.0
	v_fma_f64 v[110:111], v[110:111], v[112:113], v[110:111]
	v_div_scale_f64 v[112:113], vcc_lo, 1.0, v[0:1], 1.0
	v_mul_f64 v[114:115], v[112:113], v[110:111]
	v_fma_f64 v[101:102], -v[101:102], v[114:115], v[112:113]
	v_div_fmas_f64 v[101:102], v[101:102], v[110:111], v[114:115]
	v_div_fixup_f64 v[0:1], v[101:102], v[0:1], 1.0
.LBB92_70:
	s_or_b32 exec_lo, exec_lo, s0
	s_mov_b32 s0, exec_lo
	v_cmpx_ne_u32_e64 v109, v100
	s_xor_b32 s0, exec_lo, s0
	s_cbranch_execz .LBB92_76
; %bb.71:
	s_mov_b32 s1, exec_lo
	v_cmpx_eq_u32_e32 4, v109
	s_cbranch_execz .LBB92_75
; %bb.72:
	v_cmp_ne_u32_e32 vcc_lo, 4, v100
	s_xor_b32 s2, s6, -1
	s_and_b32 s3, s2, vcc_lo
	s_and_saveexec_b32 s2, s3
	s_cbranch_execz .LBB92_74
; %bb.73:
	v_ashrrev_i32_e32 v101, 31, v100
	v_lshlrev_b64 v[101:102], 2, v[100:101]
	v_add_co_u32 v101, vcc_lo, v4, v101
	v_add_co_ci_u32_e64 v102, null, v5, v102, vcc_lo
	s_clause 0x1
	global_load_dword v108, v[101:102], off
	global_load_dword v109, v[4:5], off offset:16
	s_waitcnt vmcnt(1)
	global_store_dword v[4:5], v108, off offset:16
	s_waitcnt vmcnt(0)
	global_store_dword v[101:102], v109, off
.LBB92_74:
	s_or_b32 exec_lo, exec_lo, s2
	v_mov_b32_e32 v108, v100
	v_mov_b32_e32 v109, v100
.LBB92_75:
	s_or_b32 exec_lo, exec_lo, s1
.LBB92_76:
	s_andn2_saveexec_b32 s0, s0
	s_cbranch_execz .LBB92_78
; %bb.77:
	v_mov_b32_e32 v109, 4
	ds_write2_b64 v106, v[84:85], v[86:87] offset0:5 offset1:6
	ds_write2_b64 v106, v[82:83], v[80:81] offset0:7 offset1:8
	;; [unrolled: 1-line block ×21, first 2 shown]
.LBB92_78:
	s_or_b32 exec_lo, exec_lo, s0
	s_mov_b32 s0, exec_lo
	s_waitcnt lgkmcnt(0)
	s_waitcnt_vscnt null, 0x0
	s_barrier
	buffer_gl0_inv
	v_cmpx_lt_i32_e32 4, v109
	s_cbranch_execz .LBB92_80
; %bb.79:
	v_mul_f64 v[90:91], v[0:1], v[90:91]
	ds_read2_b64 v[110:113], v106 offset0:5 offset1:6
	ds_read2_b64 v[114:117], v106 offset0:7 offset1:8
	;; [unrolled: 1-line block ×11, first 2 shown]
	s_waitcnt lgkmcnt(10)
	v_fma_f64 v[84:85], -v[90:91], v[110:111], v[84:85]
	v_fma_f64 v[86:87], -v[90:91], v[112:113], v[86:87]
	s_waitcnt lgkmcnt(9)
	v_fma_f64 v[82:83], -v[90:91], v[114:115], v[82:83]
	v_fma_f64 v[80:81], -v[90:91], v[116:117], v[80:81]
	;; [unrolled: 3-line block ×6, first 2 shown]
	ds_read2_b64 v[110:113], v106 offset0:27 offset1:28
	ds_read2_b64 v[114:117], v106 offset0:29 offset1:30
	s_waitcnt lgkmcnt(6)
	v_fma_f64 v[62:63], -v[90:91], v[134:135], v[62:63]
	v_fma_f64 v[60:61], -v[90:91], v[136:137], v[60:61]
	ds_read2_b64 v[118:121], v106 offset0:31 offset1:32
	ds_read2_b64 v[122:125], v106 offset0:33 offset1:34
	s_waitcnt lgkmcnt(7)
	v_fma_f64 v[58:59], -v[90:91], v[138:139], v[58:59]
	v_fma_f64 v[56:57], -v[90:91], v[140:141], v[56:57]
	;; [unrolled: 5-line block ×5, first 2 shown]
	s_waitcnt lgkmcnt(9)
	v_fma_f64 v[42:43], -v[90:91], v[110:111], v[42:43]
	v_fma_f64 v[40:41], -v[90:91], v[112:113], v[40:41]
	s_waitcnt lgkmcnt(8)
	v_fma_f64 v[38:39], -v[90:91], v[114:115], v[38:39]
	v_fma_f64 v[36:37], -v[90:91], v[116:117], v[36:37]
	s_waitcnt lgkmcnt(7)
	v_fma_f64 v[34:35], -v[90:91], v[118:119], v[34:35]
	v_fma_f64 v[32:33], -v[90:91], v[120:121], v[32:33]
	s_waitcnt lgkmcnt(6)
	v_fma_f64 v[28:29], -v[90:91], v[122:123], v[28:29]
	v_fma_f64 v[30:31], -v[90:91], v[124:125], v[30:31]
	s_waitcnt lgkmcnt(5)
	v_fma_f64 v[24:25], -v[90:91], v[126:127], v[24:25]
	v_fma_f64 v[26:27], -v[90:91], v[128:129], v[26:27]
	s_waitcnt lgkmcnt(4)
	v_fma_f64 v[22:23], -v[90:91], v[130:131], v[22:23]
	v_fma_f64 v[20:21], -v[90:91], v[132:133], v[20:21]
	s_waitcnt lgkmcnt(3)
	v_fma_f64 v[18:19], -v[90:91], v[134:135], v[18:19]
	v_fma_f64 v[16:17], -v[90:91], v[136:137], v[16:17]
	s_waitcnt lgkmcnt(2)
	v_fma_f64 v[14:15], -v[90:91], v[138:139], v[14:15]
	v_fma_f64 v[12:13], -v[90:91], v[140:141], v[12:13]
	s_waitcnt lgkmcnt(1)
	v_fma_f64 v[8:9], -v[90:91], v[142:143], v[8:9]
	v_fma_f64 v[10:11], -v[90:91], v[144:145], v[10:11]
	s_waitcnt lgkmcnt(0)
	v_fma_f64 v[6:7], -v[90:91], v[146:147], v[6:7]
	v_fma_f64 v[98:99], -v[90:91], v[148:149], v[98:99]
.LBB92_80:
	s_or_b32 exec_lo, exec_lo, s0
	v_lshl_add_u32 v0, v109, 3, v106
	s_barrier
	buffer_gl0_inv
	v_mov_b32_e32 v100, 5
	ds_write_b64 v0, v[84:85]
	s_waitcnt lgkmcnt(0)
	s_barrier
	buffer_gl0_inv
	ds_read_b64 v[0:1], v106 offset:40
	s_cmp_lt_i32 s7, 7
	s_cbranch_scc1 .LBB92_83
; %bb.81:
	v_add3_u32 v101, v107, 0, 48
	v_mov_b32_e32 v100, 5
	s_mov_b32 s0, 6
.LBB92_82:                              ; =>This Inner Loop Header: Depth=1
	ds_read_b64 v[110:111], v101
	v_add_nc_u32_e32 v101, 8, v101
	s_waitcnt lgkmcnt(0)
	v_cmp_lt_f64_e64 vcc_lo, |v[0:1]|, |v[110:111]|
	v_cndmask_b32_e32 v1, v1, v111, vcc_lo
	v_cndmask_b32_e32 v0, v0, v110, vcc_lo
	v_cndmask_b32_e64 v100, v100, s0, vcc_lo
	s_add_i32 s0, s0, 1
	s_cmp_lg_u32 s7, s0
	s_cbranch_scc1 .LBB92_82
.LBB92_83:
	s_mov_b32 s0, exec_lo
	s_waitcnt lgkmcnt(0)
	v_cmpx_eq_f64_e32 0, v[0:1]
	s_xor_b32 s0, exec_lo, s0
; %bb.84:
	v_cmp_ne_u32_e32 vcc_lo, 0, v103
	v_cndmask_b32_e32 v103, 6, v103, vcc_lo
; %bb.85:
	s_andn2_saveexec_b32 s0, s0
	s_cbranch_execz .LBB92_87
; %bb.86:
	v_div_scale_f64 v[101:102], null, v[0:1], v[0:1], 1.0
	v_rcp_f64_e32 v[110:111], v[101:102]
	v_fma_f64 v[112:113], -v[101:102], v[110:111], 1.0
	v_fma_f64 v[110:111], v[110:111], v[112:113], v[110:111]
	v_fma_f64 v[112:113], -v[101:102], v[110:111], 1.0
	v_fma_f64 v[110:111], v[110:111], v[112:113], v[110:111]
	v_div_scale_f64 v[112:113], vcc_lo, 1.0, v[0:1], 1.0
	v_mul_f64 v[114:115], v[112:113], v[110:111]
	v_fma_f64 v[101:102], -v[101:102], v[114:115], v[112:113]
	v_div_fmas_f64 v[101:102], v[101:102], v[110:111], v[114:115]
	v_div_fixup_f64 v[0:1], v[101:102], v[0:1], 1.0
.LBB92_87:
	s_or_b32 exec_lo, exec_lo, s0
	s_mov_b32 s0, exec_lo
	v_cmpx_ne_u32_e64 v109, v100
	s_xor_b32 s0, exec_lo, s0
	s_cbranch_execz .LBB92_93
; %bb.88:
	s_mov_b32 s1, exec_lo
	v_cmpx_eq_u32_e32 5, v109
	s_cbranch_execz .LBB92_92
; %bb.89:
	v_cmp_ne_u32_e32 vcc_lo, 5, v100
	s_xor_b32 s2, s6, -1
	s_and_b32 s3, s2, vcc_lo
	s_and_saveexec_b32 s2, s3
	s_cbranch_execz .LBB92_91
; %bb.90:
	v_ashrrev_i32_e32 v101, 31, v100
	v_lshlrev_b64 v[101:102], 2, v[100:101]
	v_add_co_u32 v101, vcc_lo, v4, v101
	v_add_co_ci_u32_e64 v102, null, v5, v102, vcc_lo
	s_clause 0x1
	global_load_dword v108, v[101:102], off
	global_load_dword v109, v[4:5], off offset:20
	s_waitcnt vmcnt(1)
	global_store_dword v[4:5], v108, off offset:20
	s_waitcnt vmcnt(0)
	global_store_dword v[101:102], v109, off
.LBB92_91:
	s_or_b32 exec_lo, exec_lo, s2
	v_mov_b32_e32 v108, v100
	v_mov_b32_e32 v109, v100
.LBB92_92:
	s_or_b32 exec_lo, exec_lo, s1
.LBB92_93:
	s_andn2_saveexec_b32 s0, s0
	s_cbranch_execz .LBB92_95
; %bb.94:
	v_mov_b32_e32 v100, v86
	v_mov_b32_e32 v101, v87
	;; [unrolled: 1-line block ×8, first 2 shown]
	ds_write2_b64 v106, v[100:101], v[109:110] offset0:6 offset1:7
	v_mov_b32_e32 v100, v78
	v_mov_b32_e32 v101, v79
	v_mov_b32_e32 v109, v76
	v_mov_b32_e32 v110, v77
	v_mov_b32_e32 v115, v72
	v_mov_b32_e32 v116, v73
	v_mov_b32_e32 v117, v68
	v_mov_b32_e32 v118, v69
	v_mov_b32_e32 v119, v70
	v_mov_b32_e32 v120, v71
	v_mov_b32_e32 v121, v64
	v_mov_b32_e32 v122, v65
	v_mov_b32_e32 v123, v66
	v_mov_b32_e32 v124, v67
	v_mov_b32_e32 v125, v62
	v_mov_b32_e32 v126, v63
	ds_write2_b64 v106, v[111:112], v[100:101] offset0:8 offset1:9
	ds_write2_b64 v106, v[109:110], v[113:114] offset0:10 offset1:11
	ds_write2_b64 v106, v[115:116], v[117:118] offset0:12 offset1:13
	ds_write2_b64 v106, v[119:120], v[121:122] offset0:14 offset1:15
	ds_write2_b64 v106, v[123:124], v[125:126] offset0:16 offset1:17
	v_mov_b32_e32 v100, v60
	v_mov_b32_e32 v101, v61
	v_mov_b32_e32 v109, v58
	v_mov_b32_e32 v110, v59
	v_mov_b32_e32 v111, v56
	v_mov_b32_e32 v112, v57
	v_mov_b32_e32 v113, v54
	v_mov_b32_e32 v114, v55
	v_mov_b32_e32 v115, v52
	v_mov_b32_e32 v116, v53
	v_mov_b32_e32 v117, v48
	v_mov_b32_e32 v118, v49
	v_mov_b32_e32 v119, v50
	v_mov_b32_e32 v120, v51
	v_mov_b32_e32 v121, v44
	v_mov_b32_e32 v122, v45
	v_mov_b32_e32 v123, v46
	v_mov_b32_e32 v124, v47
	v_mov_b32_e32 v125, v42
	v_mov_b32_e32 v126, v43
	ds_write2_b64 v106, v[100:101], v[109:110] offset0:18 offset1:19
	ds_write2_b64 v106, v[111:112], v[113:114] offset0:20 offset1:21
	ds_write2_b64 v106, v[115:116], v[117:118] offset0:22 offset1:23
	ds_write2_b64 v106, v[119:120], v[121:122] offset0:24 offset1:25
	ds_write2_b64 v106, v[123:124], v[125:126] offset0:26 offset1:27
	v_mov_b32_e32 v100, v40
	v_mov_b32_e32 v101, v41
	v_mov_b32_e32 v109, v38
	v_mov_b32_e32 v110, v39
	;; [unrolled: 25-line block ×3, first 2 shown]
	v_mov_b32_e32 v111, v16
	v_mov_b32_e32 v112, v17
	;; [unrolled: 1-line block ×4, first 2 shown]
	ds_write2_b64 v106, v[100:101], v[109:110] offset0:38 offset1:39
	v_mov_b32_e32 v109, 5
	v_mov_b32_e32 v115, v12
	;; [unrolled: 1-line block ×9, first 2 shown]
	ds_write2_b64 v106, v[111:112], v[113:114] offset0:40 offset1:41
	ds_write2_b64 v106, v[115:116], v[117:118] offset0:42 offset1:43
	;; [unrolled: 1-line block ×3, first 2 shown]
	ds_write_b64 v106, v[98:99] offset:368
.LBB92_95:
	s_or_b32 exec_lo, exec_lo, s0
	s_mov_b32 s0, exec_lo
	s_waitcnt lgkmcnt(0)
	s_waitcnt_vscnt null, 0x0
	s_barrier
	buffer_gl0_inv
	v_cmpx_lt_i32_e32 5, v109
	s_cbranch_execz .LBB92_97
; %bb.96:
	v_mul_f64 v[84:85], v[0:1], v[84:85]
	ds_read2_b64 v[110:113], v106 offset0:6 offset1:7
	ds_read2_b64 v[114:117], v106 offset0:8 offset1:9
	;; [unrolled: 1-line block ×11, first 2 shown]
	ds_read_b64 v[0:1], v106 offset:368
	s_waitcnt lgkmcnt(11)
	v_fma_f64 v[86:87], -v[84:85], v[110:111], v[86:87]
	v_fma_f64 v[82:83], -v[84:85], v[112:113], v[82:83]
	s_waitcnt lgkmcnt(10)
	v_fma_f64 v[80:81], -v[84:85], v[114:115], v[80:81]
	v_fma_f64 v[78:79], -v[84:85], v[116:117], v[78:79]
	s_waitcnt lgkmcnt(9)
	v_fma_f64 v[76:77], -v[84:85], v[118:119], v[76:77]
	v_fma_f64 v[74:75], -v[84:85], v[120:121], v[74:75]
	s_waitcnt lgkmcnt(8)
	v_fma_f64 v[72:73], -v[84:85], v[122:123], v[72:73]
	v_fma_f64 v[68:69], -v[84:85], v[124:125], v[68:69]
	s_waitcnt lgkmcnt(7)
	v_fma_f64 v[70:71], -v[84:85], v[126:127], v[70:71]
	v_fma_f64 v[64:65], -v[84:85], v[128:129], v[64:65]
	s_waitcnt lgkmcnt(6)
	v_fma_f64 v[66:67], -v[84:85], v[130:131], v[66:67]
	v_fma_f64 v[62:63], -v[84:85], v[132:133], v[62:63]
	ds_read2_b64 v[110:113], v106 offset0:28 offset1:29
	ds_read2_b64 v[114:117], v106 offset0:30 offset1:31
	s_waitcnt lgkmcnt(7)
	v_fma_f64 v[60:61], -v[84:85], v[134:135], v[60:61]
	v_fma_f64 v[58:59], -v[84:85], v[136:137], v[58:59]
	ds_read2_b64 v[118:121], v106 offset0:32 offset1:33
	ds_read2_b64 v[122:125], v106 offset0:34 offset1:35
	s_waitcnt lgkmcnt(8)
	v_fma_f64 v[56:57], -v[84:85], v[138:139], v[56:57]
	v_fma_f64 v[54:55], -v[84:85], v[140:141], v[54:55]
	ds_read2_b64 v[126:129], v106 offset0:36 offset1:37
	ds_read2_b64 v[130:133], v106 offset0:38 offset1:39
	s_waitcnt lgkmcnt(9)
	v_fma_f64 v[52:53], -v[84:85], v[142:143], v[52:53]
	v_fma_f64 v[48:49], -v[84:85], v[144:145], v[48:49]
	ds_read2_b64 v[134:137], v106 offset0:40 offset1:41
	ds_read2_b64 v[138:141], v106 offset0:42 offset1:43
	;; [unrolled: 1-line block ×3, first 2 shown]
	s_waitcnt lgkmcnt(11)
	v_fma_f64 v[50:51], -v[84:85], v[146:147], v[50:51]
	v_fma_f64 v[44:45], -v[84:85], v[148:149], v[44:45]
	s_waitcnt lgkmcnt(10)
	v_fma_f64 v[46:47], -v[84:85], v[150:151], v[46:47]
	v_fma_f64 v[42:43], -v[84:85], v[152:153], v[42:43]
	s_waitcnt lgkmcnt(9)
	v_fma_f64 v[98:99], -v[84:85], v[0:1], v[98:99]
	s_waitcnt lgkmcnt(8)
	v_fma_f64 v[40:41], -v[84:85], v[110:111], v[40:41]
	v_fma_f64 v[38:39], -v[84:85], v[112:113], v[38:39]
	s_waitcnt lgkmcnt(7)
	v_fma_f64 v[36:37], -v[84:85], v[114:115], v[36:37]
	;; [unrolled: 3-line block ×9, first 2 shown]
	v_fma_f64 v[6:7], -v[84:85], v[144:145], v[6:7]
.LBB92_97:
	s_or_b32 exec_lo, exec_lo, s0
	v_lshl_add_u32 v0, v109, 3, v106
	s_barrier
	buffer_gl0_inv
	v_mov_b32_e32 v100, 6
	ds_write_b64 v0, v[86:87]
	s_waitcnt lgkmcnt(0)
	s_barrier
	buffer_gl0_inv
	ds_read_b64 v[0:1], v106 offset:48
	s_cmp_lt_i32 s7, 8
	s_cbranch_scc1 .LBB92_100
; %bb.98:
	v_add3_u32 v101, v107, 0, 56
	v_mov_b32_e32 v100, 6
	s_mov_b32 s0, 7
.LBB92_99:                              ; =>This Inner Loop Header: Depth=1
	ds_read_b64 v[110:111], v101
	v_add_nc_u32_e32 v101, 8, v101
	s_waitcnt lgkmcnt(0)
	v_cmp_lt_f64_e64 vcc_lo, |v[0:1]|, |v[110:111]|
	v_cndmask_b32_e32 v1, v1, v111, vcc_lo
	v_cndmask_b32_e32 v0, v0, v110, vcc_lo
	v_cndmask_b32_e64 v100, v100, s0, vcc_lo
	s_add_i32 s0, s0, 1
	s_cmp_lg_u32 s7, s0
	s_cbranch_scc1 .LBB92_99
.LBB92_100:
	s_mov_b32 s0, exec_lo
	s_waitcnt lgkmcnt(0)
	v_cmpx_eq_f64_e32 0, v[0:1]
	s_xor_b32 s0, exec_lo, s0
; %bb.101:
	v_cmp_ne_u32_e32 vcc_lo, 0, v103
	v_cndmask_b32_e32 v103, 7, v103, vcc_lo
; %bb.102:
	s_andn2_saveexec_b32 s0, s0
	s_cbranch_execz .LBB92_104
; %bb.103:
	v_div_scale_f64 v[101:102], null, v[0:1], v[0:1], 1.0
	v_rcp_f64_e32 v[110:111], v[101:102]
	v_fma_f64 v[112:113], -v[101:102], v[110:111], 1.0
	v_fma_f64 v[110:111], v[110:111], v[112:113], v[110:111]
	v_fma_f64 v[112:113], -v[101:102], v[110:111], 1.0
	v_fma_f64 v[110:111], v[110:111], v[112:113], v[110:111]
	v_div_scale_f64 v[112:113], vcc_lo, 1.0, v[0:1], 1.0
	v_mul_f64 v[114:115], v[112:113], v[110:111]
	v_fma_f64 v[101:102], -v[101:102], v[114:115], v[112:113]
	v_div_fmas_f64 v[101:102], v[101:102], v[110:111], v[114:115]
	v_div_fixup_f64 v[0:1], v[101:102], v[0:1], 1.0
.LBB92_104:
	s_or_b32 exec_lo, exec_lo, s0
	s_mov_b32 s0, exec_lo
	v_cmpx_ne_u32_e64 v109, v100
	s_xor_b32 s0, exec_lo, s0
	s_cbranch_execz .LBB92_110
; %bb.105:
	s_mov_b32 s1, exec_lo
	v_cmpx_eq_u32_e32 6, v109
	s_cbranch_execz .LBB92_109
; %bb.106:
	v_cmp_ne_u32_e32 vcc_lo, 6, v100
	s_xor_b32 s2, s6, -1
	s_and_b32 s3, s2, vcc_lo
	s_and_saveexec_b32 s2, s3
	s_cbranch_execz .LBB92_108
; %bb.107:
	v_ashrrev_i32_e32 v101, 31, v100
	v_lshlrev_b64 v[101:102], 2, v[100:101]
	v_add_co_u32 v101, vcc_lo, v4, v101
	v_add_co_ci_u32_e64 v102, null, v5, v102, vcc_lo
	s_clause 0x1
	global_load_dword v108, v[101:102], off
	global_load_dword v109, v[4:5], off offset:24
	s_waitcnt vmcnt(1)
	global_store_dword v[4:5], v108, off offset:24
	s_waitcnt vmcnt(0)
	global_store_dword v[101:102], v109, off
.LBB92_108:
	s_or_b32 exec_lo, exec_lo, s2
	v_mov_b32_e32 v108, v100
	v_mov_b32_e32 v109, v100
.LBB92_109:
	s_or_b32 exec_lo, exec_lo, s1
.LBB92_110:
	s_andn2_saveexec_b32 s0, s0
	s_cbranch_execz .LBB92_112
; %bb.111:
	v_mov_b32_e32 v109, 6
	ds_write2_b64 v106, v[82:83], v[80:81] offset0:7 offset1:8
	ds_write2_b64 v106, v[78:79], v[76:77] offset0:9 offset1:10
	;; [unrolled: 1-line block ×20, first 2 shown]
.LBB92_112:
	s_or_b32 exec_lo, exec_lo, s0
	s_mov_b32 s0, exec_lo
	s_waitcnt lgkmcnt(0)
	s_waitcnt_vscnt null, 0x0
	s_barrier
	buffer_gl0_inv
	v_cmpx_lt_i32_e32 6, v109
	s_cbranch_execz .LBB92_114
; %bb.113:
	v_mul_f64 v[86:87], v[0:1], v[86:87]
	ds_read2_b64 v[110:113], v106 offset0:7 offset1:8
	ds_read2_b64 v[114:117], v106 offset0:9 offset1:10
	;; [unrolled: 1-line block ×11, first 2 shown]
	s_waitcnt lgkmcnt(10)
	v_fma_f64 v[82:83], -v[86:87], v[110:111], v[82:83]
	v_fma_f64 v[80:81], -v[86:87], v[112:113], v[80:81]
	s_waitcnt lgkmcnt(9)
	v_fma_f64 v[78:79], -v[86:87], v[114:115], v[78:79]
	v_fma_f64 v[76:77], -v[86:87], v[116:117], v[76:77]
	s_waitcnt lgkmcnt(8)
	v_fma_f64 v[74:75], -v[86:87], v[118:119], v[74:75]
	v_fma_f64 v[72:73], -v[86:87], v[120:121], v[72:73]
	s_waitcnt lgkmcnt(7)
	v_fma_f64 v[68:69], -v[86:87], v[122:123], v[68:69]
	v_fma_f64 v[70:71], -v[86:87], v[124:125], v[70:71]
	s_waitcnt lgkmcnt(6)
	v_fma_f64 v[64:65], -v[86:87], v[126:127], v[64:65]
	v_fma_f64 v[66:67], -v[86:87], v[128:129], v[66:67]
	s_waitcnt lgkmcnt(5)
	v_fma_f64 v[62:63], -v[86:87], v[130:131], v[62:63]
	ds_read2_b64 v[110:113], v106 offset0:29 offset1:30
	ds_read2_b64 v[114:117], v106 offset0:31 offset1:32
	v_fma_f64 v[60:61], -v[86:87], v[132:133], v[60:61]
	s_waitcnt lgkmcnt(6)
	v_fma_f64 v[58:59], -v[86:87], v[134:135], v[58:59]
	ds_read2_b64 v[118:121], v106 offset0:33 offset1:34
	ds_read2_b64 v[122:125], v106 offset0:35 offset1:36
	v_fma_f64 v[56:57], -v[86:87], v[136:137], v[56:57]
	;; [unrolled: 5-line block ×4, first 2 shown]
	ds_read2_b64 v[142:145], v106 offset0:45 offset1:46
	s_waitcnt lgkmcnt(10)
	v_fma_f64 v[44:45], -v[86:87], v[146:147], v[44:45]
	v_fma_f64 v[46:47], -v[86:87], v[148:149], v[46:47]
	s_waitcnt lgkmcnt(9)
	v_fma_f64 v[42:43], -v[86:87], v[150:151], v[42:43]
	v_fma_f64 v[40:41], -v[86:87], v[152:153], v[40:41]
	;; [unrolled: 3-line block ×11, first 2 shown]
.LBB92_114:
	s_or_b32 exec_lo, exec_lo, s0
	v_lshl_add_u32 v0, v109, 3, v106
	s_barrier
	buffer_gl0_inv
	v_mov_b32_e32 v100, 7
	ds_write_b64 v0, v[82:83]
	s_waitcnt lgkmcnt(0)
	s_barrier
	buffer_gl0_inv
	ds_read_b64 v[0:1], v106 offset:56
	s_cmp_lt_i32 s7, 9
	s_cbranch_scc1 .LBB92_117
; %bb.115:
	v_add3_u32 v101, v107, 0, 64
	v_mov_b32_e32 v100, 7
	s_mov_b32 s0, 8
.LBB92_116:                             ; =>This Inner Loop Header: Depth=1
	ds_read_b64 v[110:111], v101
	v_add_nc_u32_e32 v101, 8, v101
	s_waitcnt lgkmcnt(0)
	v_cmp_lt_f64_e64 vcc_lo, |v[0:1]|, |v[110:111]|
	v_cndmask_b32_e32 v1, v1, v111, vcc_lo
	v_cndmask_b32_e32 v0, v0, v110, vcc_lo
	v_cndmask_b32_e64 v100, v100, s0, vcc_lo
	s_add_i32 s0, s0, 1
	s_cmp_lg_u32 s7, s0
	s_cbranch_scc1 .LBB92_116
.LBB92_117:
	s_mov_b32 s0, exec_lo
	s_waitcnt lgkmcnt(0)
	v_cmpx_eq_f64_e32 0, v[0:1]
	s_xor_b32 s0, exec_lo, s0
; %bb.118:
	v_cmp_ne_u32_e32 vcc_lo, 0, v103
	v_cndmask_b32_e32 v103, 8, v103, vcc_lo
; %bb.119:
	s_andn2_saveexec_b32 s0, s0
	s_cbranch_execz .LBB92_121
; %bb.120:
	v_div_scale_f64 v[101:102], null, v[0:1], v[0:1], 1.0
	v_rcp_f64_e32 v[110:111], v[101:102]
	v_fma_f64 v[112:113], -v[101:102], v[110:111], 1.0
	v_fma_f64 v[110:111], v[110:111], v[112:113], v[110:111]
	v_fma_f64 v[112:113], -v[101:102], v[110:111], 1.0
	v_fma_f64 v[110:111], v[110:111], v[112:113], v[110:111]
	v_div_scale_f64 v[112:113], vcc_lo, 1.0, v[0:1], 1.0
	v_mul_f64 v[114:115], v[112:113], v[110:111]
	v_fma_f64 v[101:102], -v[101:102], v[114:115], v[112:113]
	v_div_fmas_f64 v[101:102], v[101:102], v[110:111], v[114:115]
	v_div_fixup_f64 v[0:1], v[101:102], v[0:1], 1.0
.LBB92_121:
	s_or_b32 exec_lo, exec_lo, s0
	s_mov_b32 s0, exec_lo
	v_cmpx_ne_u32_e64 v109, v100
	s_xor_b32 s0, exec_lo, s0
	s_cbranch_execz .LBB92_127
; %bb.122:
	s_mov_b32 s1, exec_lo
	v_cmpx_eq_u32_e32 7, v109
	s_cbranch_execz .LBB92_126
; %bb.123:
	v_cmp_ne_u32_e32 vcc_lo, 7, v100
	s_xor_b32 s2, s6, -1
	s_and_b32 s3, s2, vcc_lo
	s_and_saveexec_b32 s2, s3
	s_cbranch_execz .LBB92_125
; %bb.124:
	v_ashrrev_i32_e32 v101, 31, v100
	v_lshlrev_b64 v[101:102], 2, v[100:101]
	v_add_co_u32 v101, vcc_lo, v4, v101
	v_add_co_ci_u32_e64 v102, null, v5, v102, vcc_lo
	s_clause 0x1
	global_load_dword v108, v[101:102], off
	global_load_dword v109, v[4:5], off offset:28
	s_waitcnt vmcnt(1)
	global_store_dword v[4:5], v108, off offset:28
	s_waitcnt vmcnt(0)
	global_store_dword v[101:102], v109, off
.LBB92_125:
	s_or_b32 exec_lo, exec_lo, s2
	v_mov_b32_e32 v108, v100
	v_mov_b32_e32 v109, v100
.LBB92_126:
	s_or_b32 exec_lo, exec_lo, s1
.LBB92_127:
	s_andn2_saveexec_b32 s0, s0
	s_cbranch_execz .LBB92_129
; %bb.128:
	v_mov_b32_e32 v100, v80
	v_mov_b32_e32 v101, v81
	v_mov_b32_e32 v109, v78
	v_mov_b32_e32 v110, v79
	v_mov_b32_e32 v111, v76
	v_mov_b32_e32 v112, v77
	v_mov_b32_e32 v113, v74
	v_mov_b32_e32 v114, v75
	v_mov_b32_e32 v115, v72
	v_mov_b32_e32 v116, v73
	v_mov_b32_e32 v117, v68
	v_mov_b32_e32 v118, v69
	v_mov_b32_e32 v119, v70
	v_mov_b32_e32 v120, v71
	v_mov_b32_e32 v121, v64
	v_mov_b32_e32 v122, v65
	v_mov_b32_e32 v123, v66
	v_mov_b32_e32 v124, v67
	v_mov_b32_e32 v125, v62
	v_mov_b32_e32 v126, v63
	ds_write2_b64 v106, v[100:101], v[109:110] offset0:8 offset1:9
	ds_write2_b64 v106, v[111:112], v[113:114] offset0:10 offset1:11
	ds_write2_b64 v106, v[115:116], v[117:118] offset0:12 offset1:13
	ds_write2_b64 v106, v[119:120], v[121:122] offset0:14 offset1:15
	ds_write2_b64 v106, v[123:124], v[125:126] offset0:16 offset1:17
	v_mov_b32_e32 v100, v60
	v_mov_b32_e32 v101, v61
	v_mov_b32_e32 v109, v58
	v_mov_b32_e32 v110, v59
	v_mov_b32_e32 v111, v56
	v_mov_b32_e32 v112, v57
	v_mov_b32_e32 v113, v54
	v_mov_b32_e32 v114, v55
	v_mov_b32_e32 v115, v52
	v_mov_b32_e32 v116, v53
	v_mov_b32_e32 v117, v48
	v_mov_b32_e32 v118, v49
	v_mov_b32_e32 v119, v50
	v_mov_b32_e32 v120, v51
	v_mov_b32_e32 v121, v44
	v_mov_b32_e32 v122, v45
	v_mov_b32_e32 v123, v46
	v_mov_b32_e32 v124, v47
	v_mov_b32_e32 v125, v42
	v_mov_b32_e32 v126, v43
	ds_write2_b64 v106, v[100:101], v[109:110] offset0:18 offset1:19
	ds_write2_b64 v106, v[111:112], v[113:114] offset0:20 offset1:21
	ds_write2_b64 v106, v[115:116], v[117:118] offset0:22 offset1:23
	ds_write2_b64 v106, v[119:120], v[121:122] offset0:24 offset1:25
	ds_write2_b64 v106, v[123:124], v[125:126] offset0:26 offset1:27
	;; [unrolled: 25-line block ×3, first 2 shown]
	v_mov_b32_e32 v100, v20
	v_mov_b32_e32 v101, v21
	;; [unrolled: 1-line block ×8, first 2 shown]
	ds_write2_b64 v106, v[100:101], v[109:110] offset0:38 offset1:39
	v_mov_b32_e32 v109, 7
	v_mov_b32_e32 v115, v12
	;; [unrolled: 1-line block ×9, first 2 shown]
	ds_write2_b64 v106, v[111:112], v[113:114] offset0:40 offset1:41
	ds_write2_b64 v106, v[115:116], v[117:118] offset0:42 offset1:43
	;; [unrolled: 1-line block ×3, first 2 shown]
	ds_write_b64 v106, v[98:99] offset:368
.LBB92_129:
	s_or_b32 exec_lo, exec_lo, s0
	s_mov_b32 s0, exec_lo
	s_waitcnt lgkmcnt(0)
	s_waitcnt_vscnt null, 0x0
	s_barrier
	buffer_gl0_inv
	v_cmpx_lt_i32_e32 7, v109
	s_cbranch_execz .LBB92_131
; %bb.130:
	v_mul_f64 v[82:83], v[0:1], v[82:83]
	ds_read2_b64 v[110:113], v106 offset0:8 offset1:9
	ds_read2_b64 v[114:117], v106 offset0:10 offset1:11
	;; [unrolled: 1-line block ×11, first 2 shown]
	ds_read_b64 v[0:1], v106 offset:368
	s_waitcnt lgkmcnt(11)
	v_fma_f64 v[80:81], -v[82:83], v[110:111], v[80:81]
	v_fma_f64 v[78:79], -v[82:83], v[112:113], v[78:79]
	s_waitcnt lgkmcnt(10)
	v_fma_f64 v[76:77], -v[82:83], v[114:115], v[76:77]
	v_fma_f64 v[74:75], -v[82:83], v[116:117], v[74:75]
	;; [unrolled: 3-line block ×5, first 2 shown]
	s_waitcnt lgkmcnt(6)
	v_fma_f64 v[60:61], -v[82:83], v[130:131], v[60:61]
	ds_read2_b64 v[110:113], v106 offset0:30 offset1:31
	ds_read2_b64 v[114:117], v106 offset0:32 offset1:33
	v_fma_f64 v[58:59], -v[82:83], v[132:133], v[58:59]
	s_waitcnt lgkmcnt(7)
	v_fma_f64 v[56:57], -v[82:83], v[134:135], v[56:57]
	ds_read2_b64 v[118:121], v106 offset0:34 offset1:35
	ds_read2_b64 v[122:125], v106 offset0:36 offset1:37
	v_fma_f64 v[54:55], -v[82:83], v[136:137], v[54:55]
	s_waitcnt lgkmcnt(8)
	v_fma_f64 v[52:53], -v[82:83], v[138:139], v[52:53]
	ds_read2_b64 v[126:129], v106 offset0:38 offset1:39
	ds_read2_b64 v[130:133], v106 offset0:40 offset1:41
	v_fma_f64 v[48:49], -v[82:83], v[140:141], v[48:49]
	ds_read2_b64 v[134:137], v106 offset0:42 offset1:43
	ds_read2_b64 v[138:141], v106 offset0:44 offset1:45
	s_waitcnt lgkmcnt(11)
	v_fma_f64 v[50:51], -v[82:83], v[142:143], v[50:51]
	v_fma_f64 v[44:45], -v[82:83], v[144:145], v[44:45]
	s_waitcnt lgkmcnt(10)
	v_fma_f64 v[46:47], -v[82:83], v[146:147], v[46:47]
	v_fma_f64 v[42:43], -v[82:83], v[148:149], v[42:43]
	;; [unrolled: 3-line block ×3, first 2 shown]
	s_waitcnt lgkmcnt(8)
	v_fma_f64 v[98:99], -v[82:83], v[0:1], v[98:99]
	s_waitcnt lgkmcnt(7)
	v_fma_f64 v[36:37], -v[82:83], v[110:111], v[36:37]
	v_fma_f64 v[34:35], -v[82:83], v[112:113], v[34:35]
	s_waitcnt lgkmcnt(6)
	v_fma_f64 v[32:33], -v[82:83], v[114:115], v[32:33]
	;; [unrolled: 3-line block ×8, first 2 shown]
	v_fma_f64 v[6:7], -v[82:83], v[140:141], v[6:7]
.LBB92_131:
	s_or_b32 exec_lo, exec_lo, s0
	v_lshl_add_u32 v0, v109, 3, v106
	s_barrier
	buffer_gl0_inv
	v_mov_b32_e32 v100, 8
	ds_write_b64 v0, v[80:81]
	s_waitcnt lgkmcnt(0)
	s_barrier
	buffer_gl0_inv
	ds_read_b64 v[0:1], v106 offset:64
	s_cmp_lt_i32 s7, 10
	s_cbranch_scc1 .LBB92_134
; %bb.132:
	v_add3_u32 v101, v107, 0, 0x48
	v_mov_b32_e32 v100, 8
	s_mov_b32 s0, 9
.LBB92_133:                             ; =>This Inner Loop Header: Depth=1
	ds_read_b64 v[110:111], v101
	v_add_nc_u32_e32 v101, 8, v101
	s_waitcnt lgkmcnt(0)
	v_cmp_lt_f64_e64 vcc_lo, |v[0:1]|, |v[110:111]|
	v_cndmask_b32_e32 v1, v1, v111, vcc_lo
	v_cndmask_b32_e32 v0, v0, v110, vcc_lo
	v_cndmask_b32_e64 v100, v100, s0, vcc_lo
	s_add_i32 s0, s0, 1
	s_cmp_lg_u32 s7, s0
	s_cbranch_scc1 .LBB92_133
.LBB92_134:
	s_mov_b32 s0, exec_lo
	s_waitcnt lgkmcnt(0)
	v_cmpx_eq_f64_e32 0, v[0:1]
	s_xor_b32 s0, exec_lo, s0
; %bb.135:
	v_cmp_ne_u32_e32 vcc_lo, 0, v103
	v_cndmask_b32_e32 v103, 9, v103, vcc_lo
; %bb.136:
	s_andn2_saveexec_b32 s0, s0
	s_cbranch_execz .LBB92_138
; %bb.137:
	v_div_scale_f64 v[101:102], null, v[0:1], v[0:1], 1.0
	v_rcp_f64_e32 v[110:111], v[101:102]
	v_fma_f64 v[112:113], -v[101:102], v[110:111], 1.0
	v_fma_f64 v[110:111], v[110:111], v[112:113], v[110:111]
	v_fma_f64 v[112:113], -v[101:102], v[110:111], 1.0
	v_fma_f64 v[110:111], v[110:111], v[112:113], v[110:111]
	v_div_scale_f64 v[112:113], vcc_lo, 1.0, v[0:1], 1.0
	v_mul_f64 v[114:115], v[112:113], v[110:111]
	v_fma_f64 v[101:102], -v[101:102], v[114:115], v[112:113]
	v_div_fmas_f64 v[101:102], v[101:102], v[110:111], v[114:115]
	v_div_fixup_f64 v[0:1], v[101:102], v[0:1], 1.0
.LBB92_138:
	s_or_b32 exec_lo, exec_lo, s0
	s_mov_b32 s0, exec_lo
	v_cmpx_ne_u32_e64 v109, v100
	s_xor_b32 s0, exec_lo, s0
	s_cbranch_execz .LBB92_144
; %bb.139:
	s_mov_b32 s1, exec_lo
	v_cmpx_eq_u32_e32 8, v109
	s_cbranch_execz .LBB92_143
; %bb.140:
	v_cmp_ne_u32_e32 vcc_lo, 8, v100
	s_xor_b32 s2, s6, -1
	s_and_b32 s3, s2, vcc_lo
	s_and_saveexec_b32 s2, s3
	s_cbranch_execz .LBB92_142
; %bb.141:
	v_ashrrev_i32_e32 v101, 31, v100
	v_lshlrev_b64 v[101:102], 2, v[100:101]
	v_add_co_u32 v101, vcc_lo, v4, v101
	v_add_co_ci_u32_e64 v102, null, v5, v102, vcc_lo
	s_clause 0x1
	global_load_dword v108, v[101:102], off
	global_load_dword v109, v[4:5], off offset:32
	s_waitcnt vmcnt(1)
	global_store_dword v[4:5], v108, off offset:32
	s_waitcnt vmcnt(0)
	global_store_dword v[101:102], v109, off
.LBB92_142:
	s_or_b32 exec_lo, exec_lo, s2
	v_mov_b32_e32 v108, v100
	v_mov_b32_e32 v109, v100
.LBB92_143:
	s_or_b32 exec_lo, exec_lo, s1
.LBB92_144:
	s_andn2_saveexec_b32 s0, s0
	s_cbranch_execz .LBB92_146
; %bb.145:
	v_mov_b32_e32 v109, 8
	ds_write2_b64 v106, v[78:79], v[76:77] offset0:9 offset1:10
	ds_write2_b64 v106, v[74:75], v[72:73] offset0:11 offset1:12
	;; [unrolled: 1-line block ×19, first 2 shown]
.LBB92_146:
	s_or_b32 exec_lo, exec_lo, s0
	s_mov_b32 s0, exec_lo
	s_waitcnt lgkmcnt(0)
	s_waitcnt_vscnt null, 0x0
	s_barrier
	buffer_gl0_inv
	v_cmpx_lt_i32_e32 8, v109
	s_cbranch_execz .LBB92_148
; %bb.147:
	v_mul_f64 v[80:81], v[0:1], v[80:81]
	ds_read2_b64 v[110:113], v106 offset0:9 offset1:10
	ds_read2_b64 v[114:117], v106 offset0:11 offset1:12
	;; [unrolled: 1-line block ×12, first 2 shown]
	s_waitcnt lgkmcnt(11)
	v_fma_f64 v[78:79], -v[80:81], v[110:111], v[78:79]
	v_fma_f64 v[76:77], -v[80:81], v[112:113], v[76:77]
	s_waitcnt lgkmcnt(10)
	v_fma_f64 v[74:75], -v[80:81], v[114:115], v[74:75]
	v_fma_f64 v[72:73], -v[80:81], v[116:117], v[72:73]
	;; [unrolled: 3-line block ×5, first 2 shown]
	s_waitcnt lgkmcnt(6)
	v_fma_f64 v[58:59], -v[80:81], v[130:131], v[58:59]
	ds_read2_b64 v[110:113], v106 offset0:33 offset1:34
	ds_read2_b64 v[114:117], v106 offset0:35 offset1:36
	v_fma_f64 v[56:57], -v[80:81], v[132:133], v[56:57]
	s_waitcnt lgkmcnt(7)
	v_fma_f64 v[54:55], -v[80:81], v[134:135], v[54:55]
	ds_read2_b64 v[118:121], v106 offset0:37 offset1:38
	ds_read2_b64 v[122:125], v106 offset0:39 offset1:40
	v_fma_f64 v[52:53], -v[80:81], v[136:137], v[52:53]
	ds_read2_b64 v[126:129], v106 offset0:41 offset1:42
	ds_read2_b64 v[130:133], v106 offset0:43 offset1:44
	ds_read2_b64 v[134:137], v106 offset0:45 offset1:46
	s_waitcnt lgkmcnt(11)
	v_fma_f64 v[48:49], -v[80:81], v[138:139], v[48:49]
	v_fma_f64 v[50:51], -v[80:81], v[140:141], v[50:51]
	s_waitcnt lgkmcnt(10)
	v_fma_f64 v[44:45], -v[80:81], v[142:143], v[44:45]
	v_fma_f64 v[46:47], -v[80:81], v[144:145], v[46:47]
	;; [unrolled: 3-line block ×12, first 2 shown]
.LBB92_148:
	s_or_b32 exec_lo, exec_lo, s0
	v_lshl_add_u32 v0, v109, 3, v106
	s_barrier
	buffer_gl0_inv
	v_mov_b32_e32 v100, 9
	ds_write_b64 v0, v[78:79]
	s_waitcnt lgkmcnt(0)
	s_barrier
	buffer_gl0_inv
	ds_read_b64 v[0:1], v106 offset:72
	s_cmp_lt_i32 s7, 11
	s_cbranch_scc1 .LBB92_151
; %bb.149:
	v_add3_u32 v101, v107, 0, 0x50
	v_mov_b32_e32 v100, 9
	s_mov_b32 s0, 10
.LBB92_150:                             ; =>This Inner Loop Header: Depth=1
	ds_read_b64 v[110:111], v101
	v_add_nc_u32_e32 v101, 8, v101
	s_waitcnt lgkmcnt(0)
	v_cmp_lt_f64_e64 vcc_lo, |v[0:1]|, |v[110:111]|
	v_cndmask_b32_e32 v1, v1, v111, vcc_lo
	v_cndmask_b32_e32 v0, v0, v110, vcc_lo
	v_cndmask_b32_e64 v100, v100, s0, vcc_lo
	s_add_i32 s0, s0, 1
	s_cmp_lg_u32 s7, s0
	s_cbranch_scc1 .LBB92_150
.LBB92_151:
	s_mov_b32 s0, exec_lo
	s_waitcnt lgkmcnt(0)
	v_cmpx_eq_f64_e32 0, v[0:1]
	s_xor_b32 s0, exec_lo, s0
; %bb.152:
	v_cmp_ne_u32_e32 vcc_lo, 0, v103
	v_cndmask_b32_e32 v103, 10, v103, vcc_lo
; %bb.153:
	s_andn2_saveexec_b32 s0, s0
	s_cbranch_execz .LBB92_155
; %bb.154:
	v_div_scale_f64 v[101:102], null, v[0:1], v[0:1], 1.0
	v_rcp_f64_e32 v[110:111], v[101:102]
	v_fma_f64 v[112:113], -v[101:102], v[110:111], 1.0
	v_fma_f64 v[110:111], v[110:111], v[112:113], v[110:111]
	v_fma_f64 v[112:113], -v[101:102], v[110:111], 1.0
	v_fma_f64 v[110:111], v[110:111], v[112:113], v[110:111]
	v_div_scale_f64 v[112:113], vcc_lo, 1.0, v[0:1], 1.0
	v_mul_f64 v[114:115], v[112:113], v[110:111]
	v_fma_f64 v[101:102], -v[101:102], v[114:115], v[112:113]
	v_div_fmas_f64 v[101:102], v[101:102], v[110:111], v[114:115]
	v_div_fixup_f64 v[0:1], v[101:102], v[0:1], 1.0
.LBB92_155:
	s_or_b32 exec_lo, exec_lo, s0
	s_mov_b32 s0, exec_lo
	v_cmpx_ne_u32_e64 v109, v100
	s_xor_b32 s0, exec_lo, s0
	s_cbranch_execz .LBB92_161
; %bb.156:
	s_mov_b32 s1, exec_lo
	v_cmpx_eq_u32_e32 9, v109
	s_cbranch_execz .LBB92_160
; %bb.157:
	v_cmp_ne_u32_e32 vcc_lo, 9, v100
	s_xor_b32 s2, s6, -1
	s_and_b32 s3, s2, vcc_lo
	s_and_saveexec_b32 s2, s3
	s_cbranch_execz .LBB92_159
; %bb.158:
	v_ashrrev_i32_e32 v101, 31, v100
	v_lshlrev_b64 v[101:102], 2, v[100:101]
	v_add_co_u32 v101, vcc_lo, v4, v101
	v_add_co_ci_u32_e64 v102, null, v5, v102, vcc_lo
	s_clause 0x1
	global_load_dword v108, v[101:102], off
	global_load_dword v109, v[4:5], off offset:36
	s_waitcnt vmcnt(1)
	global_store_dword v[4:5], v108, off offset:36
	s_waitcnt vmcnt(0)
	global_store_dword v[101:102], v109, off
.LBB92_159:
	s_or_b32 exec_lo, exec_lo, s2
	v_mov_b32_e32 v108, v100
	v_mov_b32_e32 v109, v100
.LBB92_160:
	s_or_b32 exec_lo, exec_lo, s1
.LBB92_161:
	s_andn2_saveexec_b32 s0, s0
	s_cbranch_execz .LBB92_163
; %bb.162:
	v_mov_b32_e32 v100, v76
	v_mov_b32_e32 v101, v77
	;; [unrolled: 1-line block ×16, first 2 shown]
	ds_write2_b64 v106, v[100:101], v[109:110] offset0:10 offset1:11
	ds_write2_b64 v106, v[111:112], v[113:114] offset0:12 offset1:13
	;; [unrolled: 1-line block ×4, first 2 shown]
	v_mov_b32_e32 v100, v60
	v_mov_b32_e32 v101, v61
	;; [unrolled: 1-line block ×20, first 2 shown]
	ds_write2_b64 v106, v[100:101], v[109:110] offset0:18 offset1:19
	ds_write2_b64 v106, v[111:112], v[113:114] offset0:20 offset1:21
	;; [unrolled: 1-line block ×5, first 2 shown]
	v_mov_b32_e32 v100, v40
	v_mov_b32_e32 v101, v41
	;; [unrolled: 1-line block ×20, first 2 shown]
	ds_write2_b64 v106, v[100:101], v[109:110] offset0:28 offset1:29
	ds_write2_b64 v106, v[111:112], v[113:114] offset0:30 offset1:31
	;; [unrolled: 1-line block ×5, first 2 shown]
	v_mov_b32_e32 v100, v20
	v_mov_b32_e32 v101, v21
	;; [unrolled: 1-line block ×8, first 2 shown]
	ds_write2_b64 v106, v[100:101], v[109:110] offset0:38 offset1:39
	v_mov_b32_e32 v109, 9
	v_mov_b32_e32 v115, v12
	v_mov_b32_e32 v116, v13
	v_mov_b32_e32 v117, v8
	v_mov_b32_e32 v118, v9
	v_mov_b32_e32 v119, v10
	v_mov_b32_e32 v120, v11
	v_mov_b32_e32 v121, v6
	v_mov_b32_e32 v122, v7
	ds_write2_b64 v106, v[111:112], v[113:114] offset0:40 offset1:41
	ds_write2_b64 v106, v[115:116], v[117:118] offset0:42 offset1:43
	;; [unrolled: 1-line block ×3, first 2 shown]
	ds_write_b64 v106, v[98:99] offset:368
.LBB92_163:
	s_or_b32 exec_lo, exec_lo, s0
	s_mov_b32 s0, exec_lo
	s_waitcnt lgkmcnt(0)
	s_waitcnt_vscnt null, 0x0
	s_barrier
	buffer_gl0_inv
	v_cmpx_lt_i32_e32 9, v109
	s_cbranch_execz .LBB92_165
; %bb.164:
	v_mul_f64 v[78:79], v[0:1], v[78:79]
	ds_read2_b64 v[110:113], v106 offset0:10 offset1:11
	ds_read2_b64 v[114:117], v106 offset0:12 offset1:13
	;; [unrolled: 1-line block ×12, first 2 shown]
	ds_read_b64 v[0:1], v106 offset:368
	s_waitcnt lgkmcnt(12)
	v_fma_f64 v[76:77], -v[78:79], v[110:111], v[76:77]
	v_fma_f64 v[74:75], -v[78:79], v[112:113], v[74:75]
	s_waitcnt lgkmcnt(11)
	v_fma_f64 v[72:73], -v[78:79], v[114:115], v[72:73]
	v_fma_f64 v[68:69], -v[78:79], v[116:117], v[68:69]
	;; [unrolled: 3-line block ×5, first 2 shown]
	s_waitcnt lgkmcnt(7)
	v_fma_f64 v[56:57], -v[78:79], v[130:131], v[56:57]
	ds_read2_b64 v[110:113], v106 offset0:34 offset1:35
	ds_read2_b64 v[114:117], v106 offset0:36 offset1:37
	v_fma_f64 v[54:55], -v[78:79], v[132:133], v[54:55]
	ds_read2_b64 v[118:121], v106 offset0:38 offset1:39
	ds_read2_b64 v[122:125], v106 offset0:40 offset1:41
	;; [unrolled: 1-line block ×4, first 2 shown]
	s_waitcnt lgkmcnt(12)
	v_fma_f64 v[52:53], -v[78:79], v[134:135], v[52:53]
	v_fma_f64 v[48:49], -v[78:79], v[136:137], v[48:49]
	s_waitcnt lgkmcnt(11)
	v_fma_f64 v[50:51], -v[78:79], v[138:139], v[50:51]
	v_fma_f64 v[44:45], -v[78:79], v[140:141], v[44:45]
	;; [unrolled: 3-line block ×6, first 2 shown]
	s_waitcnt lgkmcnt(6)
	v_fma_f64 v[98:99], -v[78:79], v[0:1], v[98:99]
	s_waitcnt lgkmcnt(5)
	v_fma_f64 v[30:31], -v[78:79], v[110:111], v[30:31]
	v_fma_f64 v[24:25], -v[78:79], v[112:113], v[24:25]
	s_waitcnt lgkmcnt(4)
	v_fma_f64 v[26:27], -v[78:79], v[114:115], v[26:27]
	;; [unrolled: 3-line block ×6, first 2 shown]
	v_fma_f64 v[6:7], -v[78:79], v[132:133], v[6:7]
.LBB92_165:
	s_or_b32 exec_lo, exec_lo, s0
	v_lshl_add_u32 v0, v109, 3, v106
	s_barrier
	buffer_gl0_inv
	v_mov_b32_e32 v100, 10
	ds_write_b64 v0, v[76:77]
	s_waitcnt lgkmcnt(0)
	s_barrier
	buffer_gl0_inv
	ds_read_b64 v[0:1], v106 offset:80
	s_cmp_lt_i32 s7, 12
	s_cbranch_scc1 .LBB92_168
; %bb.166:
	v_add3_u32 v101, v107, 0, 0x58
	v_mov_b32_e32 v100, 10
	s_mov_b32 s0, 11
.LBB92_167:                             ; =>This Inner Loop Header: Depth=1
	ds_read_b64 v[110:111], v101
	v_add_nc_u32_e32 v101, 8, v101
	s_waitcnt lgkmcnt(0)
	v_cmp_lt_f64_e64 vcc_lo, |v[0:1]|, |v[110:111]|
	v_cndmask_b32_e32 v1, v1, v111, vcc_lo
	v_cndmask_b32_e32 v0, v0, v110, vcc_lo
	v_cndmask_b32_e64 v100, v100, s0, vcc_lo
	s_add_i32 s0, s0, 1
	s_cmp_lg_u32 s7, s0
	s_cbranch_scc1 .LBB92_167
.LBB92_168:
	s_mov_b32 s0, exec_lo
	s_waitcnt lgkmcnt(0)
	v_cmpx_eq_f64_e32 0, v[0:1]
	s_xor_b32 s0, exec_lo, s0
; %bb.169:
	v_cmp_ne_u32_e32 vcc_lo, 0, v103
	v_cndmask_b32_e32 v103, 11, v103, vcc_lo
; %bb.170:
	s_andn2_saveexec_b32 s0, s0
	s_cbranch_execz .LBB92_172
; %bb.171:
	v_div_scale_f64 v[101:102], null, v[0:1], v[0:1], 1.0
	v_rcp_f64_e32 v[110:111], v[101:102]
	v_fma_f64 v[112:113], -v[101:102], v[110:111], 1.0
	v_fma_f64 v[110:111], v[110:111], v[112:113], v[110:111]
	v_fma_f64 v[112:113], -v[101:102], v[110:111], 1.0
	v_fma_f64 v[110:111], v[110:111], v[112:113], v[110:111]
	v_div_scale_f64 v[112:113], vcc_lo, 1.0, v[0:1], 1.0
	v_mul_f64 v[114:115], v[112:113], v[110:111]
	v_fma_f64 v[101:102], -v[101:102], v[114:115], v[112:113]
	v_div_fmas_f64 v[101:102], v[101:102], v[110:111], v[114:115]
	v_div_fixup_f64 v[0:1], v[101:102], v[0:1], 1.0
.LBB92_172:
	s_or_b32 exec_lo, exec_lo, s0
	s_mov_b32 s0, exec_lo
	v_cmpx_ne_u32_e64 v109, v100
	s_xor_b32 s0, exec_lo, s0
	s_cbranch_execz .LBB92_178
; %bb.173:
	s_mov_b32 s1, exec_lo
	v_cmpx_eq_u32_e32 10, v109
	s_cbranch_execz .LBB92_177
; %bb.174:
	v_cmp_ne_u32_e32 vcc_lo, 10, v100
	s_xor_b32 s2, s6, -1
	s_and_b32 s3, s2, vcc_lo
	s_and_saveexec_b32 s2, s3
	s_cbranch_execz .LBB92_176
; %bb.175:
	v_ashrrev_i32_e32 v101, 31, v100
	v_lshlrev_b64 v[101:102], 2, v[100:101]
	v_add_co_u32 v101, vcc_lo, v4, v101
	v_add_co_ci_u32_e64 v102, null, v5, v102, vcc_lo
	s_clause 0x1
	global_load_dword v108, v[101:102], off
	global_load_dword v109, v[4:5], off offset:40
	s_waitcnt vmcnt(1)
	global_store_dword v[4:5], v108, off offset:40
	s_waitcnt vmcnt(0)
	global_store_dword v[101:102], v109, off
.LBB92_176:
	s_or_b32 exec_lo, exec_lo, s2
	v_mov_b32_e32 v108, v100
	v_mov_b32_e32 v109, v100
.LBB92_177:
	s_or_b32 exec_lo, exec_lo, s1
.LBB92_178:
	s_andn2_saveexec_b32 s0, s0
	s_cbranch_execz .LBB92_180
; %bb.179:
	v_mov_b32_e32 v109, 10
	ds_write2_b64 v106, v[74:75], v[72:73] offset0:11 offset1:12
	ds_write2_b64 v106, v[68:69], v[70:71] offset0:13 offset1:14
	;; [unrolled: 1-line block ×18, first 2 shown]
.LBB92_180:
	s_or_b32 exec_lo, exec_lo, s0
	s_mov_b32 s0, exec_lo
	s_waitcnt lgkmcnt(0)
	s_waitcnt_vscnt null, 0x0
	s_barrier
	buffer_gl0_inv
	v_cmpx_lt_i32_e32 10, v109
	s_cbranch_execz .LBB92_182
; %bb.181:
	v_mul_f64 v[76:77], v[0:1], v[76:77]
	ds_read2_b64 v[110:113], v106 offset0:11 offset1:12
	ds_read2_b64 v[114:117], v106 offset0:13 offset1:14
	;; [unrolled: 1-line block ×12, first 2 shown]
	s_waitcnt lgkmcnt(11)
	v_fma_f64 v[74:75], -v[76:77], v[110:111], v[74:75]
	v_fma_f64 v[72:73], -v[76:77], v[112:113], v[72:73]
	s_waitcnt lgkmcnt(10)
	v_fma_f64 v[68:69], -v[76:77], v[114:115], v[68:69]
	v_fma_f64 v[70:71], -v[76:77], v[116:117], v[70:71]
	;; [unrolled: 3-line block ×5, first 2 shown]
	ds_read2_b64 v[110:113], v106 offset0:35 offset1:36
	ds_read2_b64 v[114:117], v106 offset0:37 offset1:38
	s_waitcnt lgkmcnt(8)
	v_fma_f64 v[54:55], -v[76:77], v[130:131], v[54:55]
	v_fma_f64 v[52:53], -v[76:77], v[132:133], v[52:53]
	ds_read2_b64 v[118:121], v106 offset0:39 offset1:40
	ds_read2_b64 v[122:125], v106 offset0:41 offset1:42
	;; [unrolled: 1-line block ×4, first 2 shown]
	s_waitcnt lgkmcnt(11)
	v_fma_f64 v[48:49], -v[76:77], v[134:135], v[48:49]
	v_fma_f64 v[50:51], -v[76:77], v[136:137], v[50:51]
	s_waitcnt lgkmcnt(10)
	v_fma_f64 v[44:45], -v[76:77], v[138:139], v[44:45]
	v_fma_f64 v[46:47], -v[76:77], v[140:141], v[46:47]
	;; [unrolled: 3-line block ×12, first 2 shown]
.LBB92_182:
	s_or_b32 exec_lo, exec_lo, s0
	v_lshl_add_u32 v0, v109, 3, v106
	s_barrier
	buffer_gl0_inv
	v_mov_b32_e32 v100, 11
	ds_write_b64 v0, v[74:75]
	s_waitcnt lgkmcnt(0)
	s_barrier
	buffer_gl0_inv
	ds_read_b64 v[0:1], v106 offset:88
	s_cmp_lt_i32 s7, 13
	s_cbranch_scc1 .LBB92_185
; %bb.183:
	v_add3_u32 v101, v107, 0, 0x60
	v_mov_b32_e32 v100, 11
	s_mov_b32 s0, 12
.LBB92_184:                             ; =>This Inner Loop Header: Depth=1
	ds_read_b64 v[110:111], v101
	v_add_nc_u32_e32 v101, 8, v101
	s_waitcnt lgkmcnt(0)
	v_cmp_lt_f64_e64 vcc_lo, |v[0:1]|, |v[110:111]|
	v_cndmask_b32_e32 v1, v1, v111, vcc_lo
	v_cndmask_b32_e32 v0, v0, v110, vcc_lo
	v_cndmask_b32_e64 v100, v100, s0, vcc_lo
	s_add_i32 s0, s0, 1
	s_cmp_lg_u32 s7, s0
	s_cbranch_scc1 .LBB92_184
.LBB92_185:
	s_mov_b32 s0, exec_lo
	s_waitcnt lgkmcnt(0)
	v_cmpx_eq_f64_e32 0, v[0:1]
	s_xor_b32 s0, exec_lo, s0
; %bb.186:
	v_cmp_ne_u32_e32 vcc_lo, 0, v103
	v_cndmask_b32_e32 v103, 12, v103, vcc_lo
; %bb.187:
	s_andn2_saveexec_b32 s0, s0
	s_cbranch_execz .LBB92_189
; %bb.188:
	v_div_scale_f64 v[101:102], null, v[0:1], v[0:1], 1.0
	v_rcp_f64_e32 v[110:111], v[101:102]
	v_fma_f64 v[112:113], -v[101:102], v[110:111], 1.0
	v_fma_f64 v[110:111], v[110:111], v[112:113], v[110:111]
	v_fma_f64 v[112:113], -v[101:102], v[110:111], 1.0
	v_fma_f64 v[110:111], v[110:111], v[112:113], v[110:111]
	v_div_scale_f64 v[112:113], vcc_lo, 1.0, v[0:1], 1.0
	v_mul_f64 v[114:115], v[112:113], v[110:111]
	v_fma_f64 v[101:102], -v[101:102], v[114:115], v[112:113]
	v_div_fmas_f64 v[101:102], v[101:102], v[110:111], v[114:115]
	v_div_fixup_f64 v[0:1], v[101:102], v[0:1], 1.0
.LBB92_189:
	s_or_b32 exec_lo, exec_lo, s0
	s_mov_b32 s0, exec_lo
	v_cmpx_ne_u32_e64 v109, v100
	s_xor_b32 s0, exec_lo, s0
	s_cbranch_execz .LBB92_195
; %bb.190:
	s_mov_b32 s1, exec_lo
	v_cmpx_eq_u32_e32 11, v109
	s_cbranch_execz .LBB92_194
; %bb.191:
	v_cmp_ne_u32_e32 vcc_lo, 11, v100
	s_xor_b32 s2, s6, -1
	s_and_b32 s3, s2, vcc_lo
	s_and_saveexec_b32 s2, s3
	s_cbranch_execz .LBB92_193
; %bb.192:
	v_ashrrev_i32_e32 v101, 31, v100
	v_lshlrev_b64 v[101:102], 2, v[100:101]
	v_add_co_u32 v101, vcc_lo, v4, v101
	v_add_co_ci_u32_e64 v102, null, v5, v102, vcc_lo
	s_clause 0x1
	global_load_dword v108, v[101:102], off
	global_load_dword v109, v[4:5], off offset:44
	s_waitcnt vmcnt(1)
	global_store_dword v[4:5], v108, off offset:44
	s_waitcnt vmcnt(0)
	global_store_dword v[101:102], v109, off
.LBB92_193:
	s_or_b32 exec_lo, exec_lo, s2
	v_mov_b32_e32 v108, v100
	v_mov_b32_e32 v109, v100
.LBB92_194:
	s_or_b32 exec_lo, exec_lo, s1
.LBB92_195:
	s_andn2_saveexec_b32 s0, s0
	s_cbranch_execz .LBB92_197
; %bb.196:
	v_mov_b32_e32 v100, v72
	v_mov_b32_e32 v101, v73
	;; [unrolled: 1-line block ×12, first 2 shown]
	ds_write2_b64 v106, v[100:101], v[109:110] offset0:12 offset1:13
	ds_write2_b64 v106, v[111:112], v[113:114] offset0:14 offset1:15
	;; [unrolled: 1-line block ×3, first 2 shown]
	v_mov_b32_e32 v100, v60
	v_mov_b32_e32 v101, v61
	v_mov_b32_e32 v109, v58
	v_mov_b32_e32 v110, v59
	v_mov_b32_e32 v111, v56
	v_mov_b32_e32 v112, v57
	v_mov_b32_e32 v113, v54
	v_mov_b32_e32 v114, v55
	v_mov_b32_e32 v115, v52
	v_mov_b32_e32 v116, v53
	v_mov_b32_e32 v117, v48
	v_mov_b32_e32 v118, v49
	v_mov_b32_e32 v119, v50
	v_mov_b32_e32 v120, v51
	v_mov_b32_e32 v121, v44
	v_mov_b32_e32 v122, v45
	v_mov_b32_e32 v123, v46
	v_mov_b32_e32 v124, v47
	v_mov_b32_e32 v125, v42
	v_mov_b32_e32 v126, v43
	ds_write2_b64 v106, v[100:101], v[109:110] offset0:18 offset1:19
	ds_write2_b64 v106, v[111:112], v[113:114] offset0:20 offset1:21
	;; [unrolled: 1-line block ×5, first 2 shown]
	v_mov_b32_e32 v100, v40
	v_mov_b32_e32 v101, v41
	;; [unrolled: 1-line block ×20, first 2 shown]
	ds_write2_b64 v106, v[100:101], v[109:110] offset0:28 offset1:29
	ds_write2_b64 v106, v[111:112], v[113:114] offset0:30 offset1:31
	ds_write2_b64 v106, v[115:116], v[117:118] offset0:32 offset1:33
	ds_write2_b64 v106, v[119:120], v[121:122] offset0:34 offset1:35
	ds_write2_b64 v106, v[123:124], v[125:126] offset0:36 offset1:37
	v_mov_b32_e32 v100, v20
	v_mov_b32_e32 v101, v21
	;; [unrolled: 1-line block ×8, first 2 shown]
	ds_write2_b64 v106, v[100:101], v[109:110] offset0:38 offset1:39
	v_mov_b32_e32 v109, 11
	v_mov_b32_e32 v115, v12
	;; [unrolled: 1-line block ×9, first 2 shown]
	ds_write2_b64 v106, v[111:112], v[113:114] offset0:40 offset1:41
	ds_write2_b64 v106, v[115:116], v[117:118] offset0:42 offset1:43
	;; [unrolled: 1-line block ×3, first 2 shown]
	ds_write_b64 v106, v[98:99] offset:368
.LBB92_197:
	s_or_b32 exec_lo, exec_lo, s0
	s_mov_b32 s0, exec_lo
	s_waitcnt lgkmcnt(0)
	s_waitcnt_vscnt null, 0x0
	s_barrier
	buffer_gl0_inv
	v_cmpx_lt_i32_e32 11, v109
	s_cbranch_execz .LBB92_199
; %bb.198:
	v_mul_f64 v[74:75], v[0:1], v[74:75]
	ds_read2_b64 v[110:113], v106 offset0:12 offset1:13
	ds_read2_b64 v[114:117], v106 offset0:14 offset1:15
	;; [unrolled: 1-line block ×12, first 2 shown]
	ds_read_b64 v[0:1], v106 offset:368
	s_waitcnt lgkmcnt(12)
	v_fma_f64 v[72:73], -v[74:75], v[110:111], v[72:73]
	v_fma_f64 v[68:69], -v[74:75], v[112:113], v[68:69]
	s_waitcnt lgkmcnt(11)
	v_fma_f64 v[70:71], -v[74:75], v[114:115], v[70:71]
	v_fma_f64 v[64:65], -v[74:75], v[116:117], v[64:65]
	;; [unrolled: 3-line block ×5, first 2 shown]
	ds_read2_b64 v[110:113], v106 offset0:36 offset1:37
	ds_read2_b64 v[114:117], v106 offset0:38 offset1:39
	;; [unrolled: 1-line block ×5, first 2 shown]
	s_waitcnt lgkmcnt(12)
	v_fma_f64 v[52:53], -v[74:75], v[130:131], v[52:53]
	v_fma_f64 v[48:49], -v[74:75], v[132:133], v[48:49]
	s_waitcnt lgkmcnt(11)
	v_fma_f64 v[50:51], -v[74:75], v[134:135], v[50:51]
	v_fma_f64 v[44:45], -v[74:75], v[136:137], v[44:45]
	;; [unrolled: 3-line block ×7, first 2 shown]
	s_waitcnt lgkmcnt(5)
	v_fma_f64 v[98:99], -v[74:75], v[0:1], v[98:99]
	s_waitcnt lgkmcnt(4)
	v_fma_f64 v[26:27], -v[74:75], v[110:111], v[26:27]
	v_fma_f64 v[22:23], -v[74:75], v[112:113], v[22:23]
	s_waitcnt lgkmcnt(3)
	v_fma_f64 v[20:21], -v[74:75], v[114:115], v[20:21]
	;; [unrolled: 3-line block ×5, first 2 shown]
	v_fma_f64 v[6:7], -v[74:75], v[128:129], v[6:7]
.LBB92_199:
	s_or_b32 exec_lo, exec_lo, s0
	v_lshl_add_u32 v0, v109, 3, v106
	s_barrier
	buffer_gl0_inv
	v_mov_b32_e32 v100, 12
	ds_write_b64 v0, v[72:73]
	s_waitcnt lgkmcnt(0)
	s_barrier
	buffer_gl0_inv
	ds_read_b64 v[0:1], v106 offset:96
	s_cmp_lt_i32 s7, 14
	s_cbranch_scc1 .LBB92_202
; %bb.200:
	v_add3_u32 v101, v107, 0, 0x68
	v_mov_b32_e32 v100, 12
	s_mov_b32 s0, 13
.LBB92_201:                             ; =>This Inner Loop Header: Depth=1
	ds_read_b64 v[110:111], v101
	v_add_nc_u32_e32 v101, 8, v101
	s_waitcnt lgkmcnt(0)
	v_cmp_lt_f64_e64 vcc_lo, |v[0:1]|, |v[110:111]|
	v_cndmask_b32_e32 v1, v1, v111, vcc_lo
	v_cndmask_b32_e32 v0, v0, v110, vcc_lo
	v_cndmask_b32_e64 v100, v100, s0, vcc_lo
	s_add_i32 s0, s0, 1
	s_cmp_lg_u32 s7, s0
	s_cbranch_scc1 .LBB92_201
.LBB92_202:
	s_mov_b32 s0, exec_lo
	s_waitcnt lgkmcnt(0)
	v_cmpx_eq_f64_e32 0, v[0:1]
	s_xor_b32 s0, exec_lo, s0
; %bb.203:
	v_cmp_ne_u32_e32 vcc_lo, 0, v103
	v_cndmask_b32_e32 v103, 13, v103, vcc_lo
; %bb.204:
	s_andn2_saveexec_b32 s0, s0
	s_cbranch_execz .LBB92_206
; %bb.205:
	v_div_scale_f64 v[101:102], null, v[0:1], v[0:1], 1.0
	v_rcp_f64_e32 v[110:111], v[101:102]
	v_fma_f64 v[112:113], -v[101:102], v[110:111], 1.0
	v_fma_f64 v[110:111], v[110:111], v[112:113], v[110:111]
	v_fma_f64 v[112:113], -v[101:102], v[110:111], 1.0
	v_fma_f64 v[110:111], v[110:111], v[112:113], v[110:111]
	v_div_scale_f64 v[112:113], vcc_lo, 1.0, v[0:1], 1.0
	v_mul_f64 v[114:115], v[112:113], v[110:111]
	v_fma_f64 v[101:102], -v[101:102], v[114:115], v[112:113]
	v_div_fmas_f64 v[101:102], v[101:102], v[110:111], v[114:115]
	v_div_fixup_f64 v[0:1], v[101:102], v[0:1], 1.0
.LBB92_206:
	s_or_b32 exec_lo, exec_lo, s0
	s_mov_b32 s0, exec_lo
	v_cmpx_ne_u32_e64 v109, v100
	s_xor_b32 s0, exec_lo, s0
	s_cbranch_execz .LBB92_212
; %bb.207:
	s_mov_b32 s1, exec_lo
	v_cmpx_eq_u32_e32 12, v109
	s_cbranch_execz .LBB92_211
; %bb.208:
	v_cmp_ne_u32_e32 vcc_lo, 12, v100
	s_xor_b32 s2, s6, -1
	s_and_b32 s3, s2, vcc_lo
	s_and_saveexec_b32 s2, s3
	s_cbranch_execz .LBB92_210
; %bb.209:
	v_ashrrev_i32_e32 v101, 31, v100
	v_lshlrev_b64 v[101:102], 2, v[100:101]
	v_add_co_u32 v101, vcc_lo, v4, v101
	v_add_co_ci_u32_e64 v102, null, v5, v102, vcc_lo
	s_clause 0x1
	global_load_dword v108, v[101:102], off
	global_load_dword v109, v[4:5], off offset:48
	s_waitcnt vmcnt(1)
	global_store_dword v[4:5], v108, off offset:48
	s_waitcnt vmcnt(0)
	global_store_dword v[101:102], v109, off
.LBB92_210:
	s_or_b32 exec_lo, exec_lo, s2
	v_mov_b32_e32 v108, v100
	v_mov_b32_e32 v109, v100
.LBB92_211:
	s_or_b32 exec_lo, exec_lo, s1
.LBB92_212:
	s_andn2_saveexec_b32 s0, s0
	s_cbranch_execz .LBB92_214
; %bb.213:
	v_mov_b32_e32 v109, 12
	ds_write2_b64 v106, v[68:69], v[70:71] offset0:13 offset1:14
	ds_write2_b64 v106, v[64:65], v[66:67] offset0:15 offset1:16
	ds_write2_b64 v106, v[62:63], v[60:61] offset0:17 offset1:18
	ds_write2_b64 v106, v[58:59], v[56:57] offset0:19 offset1:20
	ds_write2_b64 v106, v[54:55], v[52:53] offset0:21 offset1:22
	ds_write2_b64 v106, v[48:49], v[50:51] offset0:23 offset1:24
	ds_write2_b64 v106, v[44:45], v[46:47] offset0:25 offset1:26
	ds_write2_b64 v106, v[42:43], v[40:41] offset0:27 offset1:28
	ds_write2_b64 v106, v[38:39], v[36:37] offset0:29 offset1:30
	ds_write2_b64 v106, v[34:35], v[32:33] offset0:31 offset1:32
	ds_write2_b64 v106, v[28:29], v[30:31] offset0:33 offset1:34
	ds_write2_b64 v106, v[24:25], v[26:27] offset0:35 offset1:36
	ds_write2_b64 v106, v[22:23], v[20:21] offset0:37 offset1:38
	ds_write2_b64 v106, v[18:19], v[16:17] offset0:39 offset1:40
	ds_write2_b64 v106, v[14:15], v[12:13] offset0:41 offset1:42
	ds_write2_b64 v106, v[8:9], v[10:11] offset0:43 offset1:44
	ds_write2_b64 v106, v[6:7], v[98:99] offset0:45 offset1:46
.LBB92_214:
	s_or_b32 exec_lo, exec_lo, s0
	s_mov_b32 s0, exec_lo
	s_waitcnt lgkmcnt(0)
	s_waitcnt_vscnt null, 0x0
	s_barrier
	buffer_gl0_inv
	v_cmpx_lt_i32_e32 12, v109
	s_cbranch_execz .LBB92_216
; %bb.215:
	v_mul_f64 v[72:73], v[0:1], v[72:73]
	ds_read2_b64 v[110:113], v106 offset0:13 offset1:14
	ds_read2_b64 v[114:117], v106 offset0:15 offset1:16
	ds_read2_b64 v[118:121], v106 offset0:17 offset1:18
	ds_read2_b64 v[122:125], v106 offset0:19 offset1:20
	ds_read2_b64 v[126:129], v106 offset0:21 offset1:22
	ds_read2_b64 v[130:133], v106 offset0:23 offset1:24
	ds_read2_b64 v[134:137], v106 offset0:25 offset1:26
	ds_read2_b64 v[138:141], v106 offset0:27 offset1:28
	ds_read2_b64 v[142:145], v106 offset0:29 offset1:30
	ds_read2_b64 v[146:149], v106 offset0:31 offset1:32
	ds_read2_b64 v[150:153], v106 offset0:33 offset1:34
	ds_read2_b64 v[154:157], v106 offset0:35 offset1:36
	ds_read2_b64 v[158:161], v106 offset0:37 offset1:38
	s_waitcnt lgkmcnt(12)
	v_fma_f64 v[68:69], -v[72:73], v[110:111], v[68:69]
	v_fma_f64 v[70:71], -v[72:73], v[112:113], v[70:71]
	s_waitcnt lgkmcnt(11)
	v_fma_f64 v[64:65], -v[72:73], v[114:115], v[64:65]
	v_fma_f64 v[66:67], -v[72:73], v[116:117], v[66:67]
	;; [unrolled: 3-line block ×4, first 2 shown]
	ds_read2_b64 v[110:113], v106 offset0:39 offset1:40
	ds_read2_b64 v[114:117], v106 offset0:41 offset1:42
	;; [unrolled: 1-line block ×4, first 2 shown]
	s_waitcnt lgkmcnt(12)
	v_fma_f64 v[54:55], -v[72:73], v[126:127], v[54:55]
	v_fma_f64 v[52:53], -v[72:73], v[128:129], v[52:53]
	s_waitcnt lgkmcnt(11)
	v_fma_f64 v[48:49], -v[72:73], v[130:131], v[48:49]
	v_fma_f64 v[50:51], -v[72:73], v[132:133], v[50:51]
	;; [unrolled: 3-line block ×13, first 2 shown]
.LBB92_216:
	s_or_b32 exec_lo, exec_lo, s0
	v_lshl_add_u32 v0, v109, 3, v106
	s_barrier
	buffer_gl0_inv
	v_mov_b32_e32 v100, 13
	ds_write_b64 v0, v[68:69]
	s_waitcnt lgkmcnt(0)
	s_barrier
	buffer_gl0_inv
	ds_read_b64 v[0:1], v106 offset:104
	s_cmp_lt_i32 s7, 15
	s_cbranch_scc1 .LBB92_219
; %bb.217:
	v_add3_u32 v101, v107, 0, 0x70
	v_mov_b32_e32 v100, 13
	s_mov_b32 s0, 14
.LBB92_218:                             ; =>This Inner Loop Header: Depth=1
	ds_read_b64 v[110:111], v101
	v_add_nc_u32_e32 v101, 8, v101
	s_waitcnt lgkmcnt(0)
	v_cmp_lt_f64_e64 vcc_lo, |v[0:1]|, |v[110:111]|
	v_cndmask_b32_e32 v1, v1, v111, vcc_lo
	v_cndmask_b32_e32 v0, v0, v110, vcc_lo
	v_cndmask_b32_e64 v100, v100, s0, vcc_lo
	s_add_i32 s0, s0, 1
	s_cmp_lg_u32 s7, s0
	s_cbranch_scc1 .LBB92_218
.LBB92_219:
	s_mov_b32 s0, exec_lo
	s_waitcnt lgkmcnt(0)
	v_cmpx_eq_f64_e32 0, v[0:1]
	s_xor_b32 s0, exec_lo, s0
; %bb.220:
	v_cmp_ne_u32_e32 vcc_lo, 0, v103
	v_cndmask_b32_e32 v103, 14, v103, vcc_lo
; %bb.221:
	s_andn2_saveexec_b32 s0, s0
	s_cbranch_execz .LBB92_223
; %bb.222:
	v_div_scale_f64 v[101:102], null, v[0:1], v[0:1], 1.0
	v_rcp_f64_e32 v[110:111], v[101:102]
	v_fma_f64 v[112:113], -v[101:102], v[110:111], 1.0
	v_fma_f64 v[110:111], v[110:111], v[112:113], v[110:111]
	v_fma_f64 v[112:113], -v[101:102], v[110:111], 1.0
	v_fma_f64 v[110:111], v[110:111], v[112:113], v[110:111]
	v_div_scale_f64 v[112:113], vcc_lo, 1.0, v[0:1], 1.0
	v_mul_f64 v[114:115], v[112:113], v[110:111]
	v_fma_f64 v[101:102], -v[101:102], v[114:115], v[112:113]
	v_div_fmas_f64 v[101:102], v[101:102], v[110:111], v[114:115]
	v_div_fixup_f64 v[0:1], v[101:102], v[0:1], 1.0
.LBB92_223:
	s_or_b32 exec_lo, exec_lo, s0
	s_mov_b32 s0, exec_lo
	v_cmpx_ne_u32_e64 v109, v100
	s_xor_b32 s0, exec_lo, s0
	s_cbranch_execz .LBB92_229
; %bb.224:
	s_mov_b32 s1, exec_lo
	v_cmpx_eq_u32_e32 13, v109
	s_cbranch_execz .LBB92_228
; %bb.225:
	v_cmp_ne_u32_e32 vcc_lo, 13, v100
	s_xor_b32 s2, s6, -1
	s_and_b32 s3, s2, vcc_lo
	s_and_saveexec_b32 s2, s3
	s_cbranch_execz .LBB92_227
; %bb.226:
	v_ashrrev_i32_e32 v101, 31, v100
	v_lshlrev_b64 v[101:102], 2, v[100:101]
	v_add_co_u32 v101, vcc_lo, v4, v101
	v_add_co_ci_u32_e64 v102, null, v5, v102, vcc_lo
	s_clause 0x1
	global_load_dword v108, v[101:102], off
	global_load_dword v109, v[4:5], off offset:52
	s_waitcnt vmcnt(1)
	global_store_dword v[4:5], v108, off offset:52
	s_waitcnt vmcnt(0)
	global_store_dword v[101:102], v109, off
.LBB92_227:
	s_or_b32 exec_lo, exec_lo, s2
	v_mov_b32_e32 v108, v100
	v_mov_b32_e32 v109, v100
.LBB92_228:
	s_or_b32 exec_lo, exec_lo, s1
.LBB92_229:
	s_andn2_saveexec_b32 s0, s0
	s_cbranch_execz .LBB92_231
; %bb.230:
	v_mov_b32_e32 v100, v70
	v_mov_b32_e32 v101, v71
	;; [unrolled: 1-line block ×8, first 2 shown]
	ds_write2_b64 v106, v[100:101], v[109:110] offset0:14 offset1:15
	ds_write2_b64 v106, v[111:112], v[113:114] offset0:16 offset1:17
	v_mov_b32_e32 v100, v60
	v_mov_b32_e32 v101, v61
	;; [unrolled: 1-line block ×20, first 2 shown]
	ds_write2_b64 v106, v[100:101], v[109:110] offset0:18 offset1:19
	ds_write2_b64 v106, v[111:112], v[113:114] offset0:20 offset1:21
	;; [unrolled: 1-line block ×5, first 2 shown]
	v_mov_b32_e32 v100, v40
	v_mov_b32_e32 v101, v41
	;; [unrolled: 1-line block ×20, first 2 shown]
	ds_write2_b64 v106, v[100:101], v[109:110] offset0:28 offset1:29
	ds_write2_b64 v106, v[111:112], v[113:114] offset0:30 offset1:31
	;; [unrolled: 1-line block ×5, first 2 shown]
	v_mov_b32_e32 v100, v20
	v_mov_b32_e32 v101, v21
	v_mov_b32_e32 v109, v18
	v_mov_b32_e32 v110, v19
	v_mov_b32_e32 v111, v16
	v_mov_b32_e32 v112, v17
	v_mov_b32_e32 v113, v14
	v_mov_b32_e32 v114, v15
	ds_write2_b64 v106, v[100:101], v[109:110] offset0:38 offset1:39
	v_mov_b32_e32 v109, 13
	v_mov_b32_e32 v115, v12
	;; [unrolled: 1-line block ×9, first 2 shown]
	ds_write2_b64 v106, v[111:112], v[113:114] offset0:40 offset1:41
	ds_write2_b64 v106, v[115:116], v[117:118] offset0:42 offset1:43
	;; [unrolled: 1-line block ×3, first 2 shown]
	ds_write_b64 v106, v[98:99] offset:368
.LBB92_231:
	s_or_b32 exec_lo, exec_lo, s0
	s_mov_b32 s0, exec_lo
	s_waitcnt lgkmcnt(0)
	s_waitcnt_vscnt null, 0x0
	s_barrier
	buffer_gl0_inv
	v_cmpx_lt_i32_e32 13, v109
	s_cbranch_execz .LBB92_233
; %bb.232:
	v_mul_f64 v[68:69], v[0:1], v[68:69]
	ds_read2_b64 v[110:113], v106 offset0:14 offset1:15
	ds_read2_b64 v[114:117], v106 offset0:16 offset1:17
	;; [unrolled: 1-line block ×13, first 2 shown]
	ds_read_b64 v[0:1], v106 offset:368
	s_waitcnt lgkmcnt(13)
	v_fma_f64 v[70:71], -v[68:69], v[110:111], v[70:71]
	v_fma_f64 v[64:65], -v[68:69], v[112:113], v[64:65]
	s_waitcnt lgkmcnt(12)
	v_fma_f64 v[66:67], -v[68:69], v[114:115], v[66:67]
	v_fma_f64 v[62:63], -v[68:69], v[116:117], v[62:63]
	;; [unrolled: 3-line block ×3, first 2 shown]
	ds_read2_b64 v[110:113], v106 offset0:40 offset1:41
	ds_read2_b64 v[114:117], v106 offset0:42 offset1:43
	;; [unrolled: 1-line block ×3, first 2 shown]
	s_waitcnt lgkmcnt(13)
	v_fma_f64 v[56:57], -v[68:69], v[122:123], v[56:57]
	v_fma_f64 v[54:55], -v[68:69], v[124:125], v[54:55]
	s_waitcnt lgkmcnt(12)
	v_fma_f64 v[52:53], -v[68:69], v[126:127], v[52:53]
	v_fma_f64 v[48:49], -v[68:69], v[128:129], v[48:49]
	;; [unrolled: 3-line block ×13, first 2 shown]
	v_fma_f64 v[98:99], -v[68:69], v[0:1], v[98:99]
.LBB92_233:
	s_or_b32 exec_lo, exec_lo, s0
	v_lshl_add_u32 v0, v109, 3, v106
	s_barrier
	buffer_gl0_inv
	v_mov_b32_e32 v100, 14
	ds_write_b64 v0, v[70:71]
	s_waitcnt lgkmcnt(0)
	s_barrier
	buffer_gl0_inv
	ds_read_b64 v[0:1], v106 offset:112
	s_cmp_lt_i32 s7, 16
	s_cbranch_scc1 .LBB92_236
; %bb.234:
	v_add3_u32 v101, v107, 0, 0x78
	v_mov_b32_e32 v100, 14
	s_mov_b32 s0, 15
.LBB92_235:                             ; =>This Inner Loop Header: Depth=1
	ds_read_b64 v[110:111], v101
	v_add_nc_u32_e32 v101, 8, v101
	s_waitcnt lgkmcnt(0)
	v_cmp_lt_f64_e64 vcc_lo, |v[0:1]|, |v[110:111]|
	v_cndmask_b32_e32 v1, v1, v111, vcc_lo
	v_cndmask_b32_e32 v0, v0, v110, vcc_lo
	v_cndmask_b32_e64 v100, v100, s0, vcc_lo
	s_add_i32 s0, s0, 1
	s_cmp_lg_u32 s7, s0
	s_cbranch_scc1 .LBB92_235
.LBB92_236:
	s_mov_b32 s0, exec_lo
	s_waitcnt lgkmcnt(0)
	v_cmpx_eq_f64_e32 0, v[0:1]
	s_xor_b32 s0, exec_lo, s0
; %bb.237:
	v_cmp_ne_u32_e32 vcc_lo, 0, v103
	v_cndmask_b32_e32 v103, 15, v103, vcc_lo
; %bb.238:
	s_andn2_saveexec_b32 s0, s0
	s_cbranch_execz .LBB92_240
; %bb.239:
	v_div_scale_f64 v[101:102], null, v[0:1], v[0:1], 1.0
	v_rcp_f64_e32 v[110:111], v[101:102]
	v_fma_f64 v[112:113], -v[101:102], v[110:111], 1.0
	v_fma_f64 v[110:111], v[110:111], v[112:113], v[110:111]
	v_fma_f64 v[112:113], -v[101:102], v[110:111], 1.0
	v_fma_f64 v[110:111], v[110:111], v[112:113], v[110:111]
	v_div_scale_f64 v[112:113], vcc_lo, 1.0, v[0:1], 1.0
	v_mul_f64 v[114:115], v[112:113], v[110:111]
	v_fma_f64 v[101:102], -v[101:102], v[114:115], v[112:113]
	v_div_fmas_f64 v[101:102], v[101:102], v[110:111], v[114:115]
	v_div_fixup_f64 v[0:1], v[101:102], v[0:1], 1.0
.LBB92_240:
	s_or_b32 exec_lo, exec_lo, s0
	s_mov_b32 s0, exec_lo
	v_cmpx_ne_u32_e64 v109, v100
	s_xor_b32 s0, exec_lo, s0
	s_cbranch_execz .LBB92_246
; %bb.241:
	s_mov_b32 s1, exec_lo
	v_cmpx_eq_u32_e32 14, v109
	s_cbranch_execz .LBB92_245
; %bb.242:
	v_cmp_ne_u32_e32 vcc_lo, 14, v100
	s_xor_b32 s2, s6, -1
	s_and_b32 s3, s2, vcc_lo
	s_and_saveexec_b32 s2, s3
	s_cbranch_execz .LBB92_244
; %bb.243:
	v_ashrrev_i32_e32 v101, 31, v100
	v_lshlrev_b64 v[101:102], 2, v[100:101]
	v_add_co_u32 v101, vcc_lo, v4, v101
	v_add_co_ci_u32_e64 v102, null, v5, v102, vcc_lo
	s_clause 0x1
	global_load_dword v108, v[101:102], off
	global_load_dword v109, v[4:5], off offset:56
	s_waitcnt vmcnt(1)
	global_store_dword v[4:5], v108, off offset:56
	s_waitcnt vmcnt(0)
	global_store_dword v[101:102], v109, off
.LBB92_244:
	s_or_b32 exec_lo, exec_lo, s2
	v_mov_b32_e32 v108, v100
	v_mov_b32_e32 v109, v100
.LBB92_245:
	s_or_b32 exec_lo, exec_lo, s1
.LBB92_246:
	s_andn2_saveexec_b32 s0, s0
	s_cbranch_execz .LBB92_248
; %bb.247:
	v_mov_b32_e32 v109, 14
	ds_write2_b64 v106, v[64:65], v[66:67] offset0:15 offset1:16
	ds_write2_b64 v106, v[62:63], v[60:61] offset0:17 offset1:18
	;; [unrolled: 1-line block ×16, first 2 shown]
.LBB92_248:
	s_or_b32 exec_lo, exec_lo, s0
	s_mov_b32 s0, exec_lo
	s_waitcnt lgkmcnt(0)
	s_waitcnt_vscnt null, 0x0
	s_barrier
	buffer_gl0_inv
	v_cmpx_lt_i32_e32 14, v109
	s_cbranch_execz .LBB92_250
; %bb.249:
	v_mul_f64 v[70:71], v[0:1], v[70:71]
	ds_read2_b64 v[110:113], v106 offset0:15 offset1:16
	ds_read2_b64 v[114:117], v106 offset0:17 offset1:18
	;; [unrolled: 1-line block ×13, first 2 shown]
	s_waitcnt lgkmcnt(12)
	v_fma_f64 v[64:65], -v[70:71], v[110:111], v[64:65]
	v_fma_f64 v[66:67], -v[70:71], v[112:113], v[66:67]
	s_waitcnt lgkmcnt(11)
	v_fma_f64 v[62:63], -v[70:71], v[114:115], v[62:63]
	v_fma_f64 v[60:61], -v[70:71], v[116:117], v[60:61]
	;; [unrolled: 3-line block ×3, first 2 shown]
	ds_read2_b64 v[110:113], v106 offset0:41 offset1:42
	ds_read2_b64 v[114:117], v106 offset0:43 offset1:44
	;; [unrolled: 1-line block ×3, first 2 shown]
	s_waitcnt lgkmcnt(12)
	v_fma_f64 v[54:55], -v[70:71], v[122:123], v[54:55]
	v_fma_f64 v[52:53], -v[70:71], v[124:125], v[52:53]
	s_waitcnt lgkmcnt(11)
	v_fma_f64 v[48:49], -v[70:71], v[126:127], v[48:49]
	v_fma_f64 v[50:51], -v[70:71], v[128:129], v[50:51]
	;; [unrolled: 3-line block ×13, first 2 shown]
.LBB92_250:
	s_or_b32 exec_lo, exec_lo, s0
	v_lshl_add_u32 v0, v109, 3, v106
	s_barrier
	buffer_gl0_inv
	v_mov_b32_e32 v100, 15
	ds_write_b64 v0, v[64:65]
	s_waitcnt lgkmcnt(0)
	s_barrier
	buffer_gl0_inv
	ds_read_b64 v[0:1], v106 offset:120
	s_cmp_lt_i32 s7, 17
	s_cbranch_scc1 .LBB92_253
; %bb.251:
	v_add3_u32 v101, v107, 0, 0x80
	v_mov_b32_e32 v100, 15
	s_mov_b32 s0, 16
.LBB92_252:                             ; =>This Inner Loop Header: Depth=1
	ds_read_b64 v[110:111], v101
	v_add_nc_u32_e32 v101, 8, v101
	s_waitcnt lgkmcnt(0)
	v_cmp_lt_f64_e64 vcc_lo, |v[0:1]|, |v[110:111]|
	v_cndmask_b32_e32 v1, v1, v111, vcc_lo
	v_cndmask_b32_e32 v0, v0, v110, vcc_lo
	v_cndmask_b32_e64 v100, v100, s0, vcc_lo
	s_add_i32 s0, s0, 1
	s_cmp_lg_u32 s7, s0
	s_cbranch_scc1 .LBB92_252
.LBB92_253:
	s_mov_b32 s0, exec_lo
	s_waitcnt lgkmcnt(0)
	v_cmpx_eq_f64_e32 0, v[0:1]
	s_xor_b32 s0, exec_lo, s0
; %bb.254:
	v_cmp_ne_u32_e32 vcc_lo, 0, v103
	v_cndmask_b32_e32 v103, 16, v103, vcc_lo
; %bb.255:
	s_andn2_saveexec_b32 s0, s0
	s_cbranch_execz .LBB92_257
; %bb.256:
	v_div_scale_f64 v[101:102], null, v[0:1], v[0:1], 1.0
	v_rcp_f64_e32 v[110:111], v[101:102]
	v_fma_f64 v[112:113], -v[101:102], v[110:111], 1.0
	v_fma_f64 v[110:111], v[110:111], v[112:113], v[110:111]
	v_fma_f64 v[112:113], -v[101:102], v[110:111], 1.0
	v_fma_f64 v[110:111], v[110:111], v[112:113], v[110:111]
	v_div_scale_f64 v[112:113], vcc_lo, 1.0, v[0:1], 1.0
	v_mul_f64 v[114:115], v[112:113], v[110:111]
	v_fma_f64 v[101:102], -v[101:102], v[114:115], v[112:113]
	v_div_fmas_f64 v[101:102], v[101:102], v[110:111], v[114:115]
	v_div_fixup_f64 v[0:1], v[101:102], v[0:1], 1.0
.LBB92_257:
	s_or_b32 exec_lo, exec_lo, s0
	s_mov_b32 s0, exec_lo
	v_cmpx_ne_u32_e64 v109, v100
	s_xor_b32 s0, exec_lo, s0
	s_cbranch_execz .LBB92_263
; %bb.258:
	s_mov_b32 s1, exec_lo
	v_cmpx_eq_u32_e32 15, v109
	s_cbranch_execz .LBB92_262
; %bb.259:
	v_cmp_ne_u32_e32 vcc_lo, 15, v100
	s_xor_b32 s2, s6, -1
	s_and_b32 s3, s2, vcc_lo
	s_and_saveexec_b32 s2, s3
	s_cbranch_execz .LBB92_261
; %bb.260:
	v_ashrrev_i32_e32 v101, 31, v100
	v_lshlrev_b64 v[101:102], 2, v[100:101]
	v_add_co_u32 v101, vcc_lo, v4, v101
	v_add_co_ci_u32_e64 v102, null, v5, v102, vcc_lo
	s_clause 0x1
	global_load_dword v108, v[101:102], off
	global_load_dword v109, v[4:5], off offset:60
	s_waitcnt vmcnt(1)
	global_store_dword v[4:5], v108, off offset:60
	s_waitcnt vmcnt(0)
	global_store_dword v[101:102], v109, off
.LBB92_261:
	s_or_b32 exec_lo, exec_lo, s2
	v_mov_b32_e32 v108, v100
	v_mov_b32_e32 v109, v100
.LBB92_262:
	s_or_b32 exec_lo, exec_lo, s1
.LBB92_263:
	s_andn2_saveexec_b32 s0, s0
	s_cbranch_execz .LBB92_265
; %bb.264:
	v_mov_b32_e32 v100, v66
	v_mov_b32_e32 v101, v67
	;; [unrolled: 1-line block ×8, first 2 shown]
	ds_write2_b64 v106, v[100:101], v[109:110] offset0:16 offset1:17
	v_mov_b32_e32 v100, v58
	v_mov_b32_e32 v101, v59
	;; [unrolled: 1-line block ×16, first 2 shown]
	ds_write2_b64 v106, v[111:112], v[100:101] offset0:18 offset1:19
	ds_write2_b64 v106, v[109:110], v[113:114] offset0:20 offset1:21
	ds_write2_b64 v106, v[115:116], v[117:118] offset0:22 offset1:23
	ds_write2_b64 v106, v[119:120], v[121:122] offset0:24 offset1:25
	ds_write2_b64 v106, v[123:124], v[125:126] offset0:26 offset1:27
	v_mov_b32_e32 v100, v40
	v_mov_b32_e32 v101, v41
	;; [unrolled: 1-line block ×20, first 2 shown]
	ds_write2_b64 v106, v[100:101], v[109:110] offset0:28 offset1:29
	ds_write2_b64 v106, v[111:112], v[113:114] offset0:30 offset1:31
	;; [unrolled: 1-line block ×5, first 2 shown]
	v_mov_b32_e32 v100, v20
	v_mov_b32_e32 v101, v21
	;; [unrolled: 1-line block ×8, first 2 shown]
	ds_write2_b64 v106, v[100:101], v[109:110] offset0:38 offset1:39
	v_mov_b32_e32 v109, 15
	v_mov_b32_e32 v115, v12
	;; [unrolled: 1-line block ×9, first 2 shown]
	ds_write2_b64 v106, v[111:112], v[113:114] offset0:40 offset1:41
	ds_write2_b64 v106, v[115:116], v[117:118] offset0:42 offset1:43
	;; [unrolled: 1-line block ×3, first 2 shown]
	ds_write_b64 v106, v[98:99] offset:368
.LBB92_265:
	s_or_b32 exec_lo, exec_lo, s0
	s_mov_b32 s0, exec_lo
	s_waitcnt lgkmcnt(0)
	s_waitcnt_vscnt null, 0x0
	s_barrier
	buffer_gl0_inv
	v_cmpx_lt_i32_e32 15, v109
	s_cbranch_execz .LBB92_267
; %bb.266:
	v_mul_f64 v[64:65], v[0:1], v[64:65]
	ds_read2_b64 v[110:113], v106 offset0:16 offset1:17
	ds_read2_b64 v[114:117], v106 offset0:18 offset1:19
	;; [unrolled: 1-line block ×13, first 2 shown]
	ds_read_b64 v[0:1], v106 offset:368
	s_waitcnt lgkmcnt(13)
	v_fma_f64 v[66:67], -v[64:65], v[110:111], v[66:67]
	v_fma_f64 v[62:63], -v[64:65], v[112:113], v[62:63]
	s_waitcnt lgkmcnt(12)
	v_fma_f64 v[60:61], -v[64:65], v[114:115], v[60:61]
	v_fma_f64 v[58:59], -v[64:65], v[116:117], v[58:59]
	ds_read2_b64 v[110:113], v106 offset0:42 offset1:43
	ds_read2_b64 v[114:117], v106 offset0:44 offset1:45
	s_waitcnt lgkmcnt(13)
	v_fma_f64 v[56:57], -v[64:65], v[118:119], v[56:57]
	v_fma_f64 v[54:55], -v[64:65], v[120:121], v[54:55]
	s_waitcnt lgkmcnt(12)
	v_fma_f64 v[52:53], -v[64:65], v[122:123], v[52:53]
	v_fma_f64 v[48:49], -v[64:65], v[124:125], v[48:49]
	;; [unrolled: 3-line block ×13, first 2 shown]
	v_fma_f64 v[98:99], -v[64:65], v[0:1], v[98:99]
.LBB92_267:
	s_or_b32 exec_lo, exec_lo, s0
	v_lshl_add_u32 v0, v109, 3, v106
	s_barrier
	buffer_gl0_inv
	v_mov_b32_e32 v100, 16
	ds_write_b64 v0, v[66:67]
	s_waitcnt lgkmcnt(0)
	s_barrier
	buffer_gl0_inv
	ds_read_b64 v[0:1], v106 offset:128
	s_cmp_lt_i32 s7, 18
	s_cbranch_scc1 .LBB92_270
; %bb.268:
	v_add3_u32 v101, v107, 0, 0x88
	v_mov_b32_e32 v100, 16
	s_mov_b32 s0, 17
.LBB92_269:                             ; =>This Inner Loop Header: Depth=1
	ds_read_b64 v[110:111], v101
	v_add_nc_u32_e32 v101, 8, v101
	s_waitcnt lgkmcnt(0)
	v_cmp_lt_f64_e64 vcc_lo, |v[0:1]|, |v[110:111]|
	v_cndmask_b32_e32 v1, v1, v111, vcc_lo
	v_cndmask_b32_e32 v0, v0, v110, vcc_lo
	v_cndmask_b32_e64 v100, v100, s0, vcc_lo
	s_add_i32 s0, s0, 1
	s_cmp_lg_u32 s7, s0
	s_cbranch_scc1 .LBB92_269
.LBB92_270:
	s_mov_b32 s0, exec_lo
	s_waitcnt lgkmcnt(0)
	v_cmpx_eq_f64_e32 0, v[0:1]
	s_xor_b32 s0, exec_lo, s0
; %bb.271:
	v_cmp_ne_u32_e32 vcc_lo, 0, v103
	v_cndmask_b32_e32 v103, 17, v103, vcc_lo
; %bb.272:
	s_andn2_saveexec_b32 s0, s0
	s_cbranch_execz .LBB92_274
; %bb.273:
	v_div_scale_f64 v[101:102], null, v[0:1], v[0:1], 1.0
	v_rcp_f64_e32 v[110:111], v[101:102]
	v_fma_f64 v[112:113], -v[101:102], v[110:111], 1.0
	v_fma_f64 v[110:111], v[110:111], v[112:113], v[110:111]
	v_fma_f64 v[112:113], -v[101:102], v[110:111], 1.0
	v_fma_f64 v[110:111], v[110:111], v[112:113], v[110:111]
	v_div_scale_f64 v[112:113], vcc_lo, 1.0, v[0:1], 1.0
	v_mul_f64 v[114:115], v[112:113], v[110:111]
	v_fma_f64 v[101:102], -v[101:102], v[114:115], v[112:113]
	v_div_fmas_f64 v[101:102], v[101:102], v[110:111], v[114:115]
	v_div_fixup_f64 v[0:1], v[101:102], v[0:1], 1.0
.LBB92_274:
	s_or_b32 exec_lo, exec_lo, s0
	s_mov_b32 s0, exec_lo
	v_cmpx_ne_u32_e64 v109, v100
	s_xor_b32 s0, exec_lo, s0
	s_cbranch_execz .LBB92_280
; %bb.275:
	s_mov_b32 s1, exec_lo
	v_cmpx_eq_u32_e32 16, v109
	s_cbranch_execz .LBB92_279
; %bb.276:
	v_cmp_ne_u32_e32 vcc_lo, 16, v100
	s_xor_b32 s2, s6, -1
	s_and_b32 s3, s2, vcc_lo
	s_and_saveexec_b32 s2, s3
	s_cbranch_execz .LBB92_278
; %bb.277:
	v_ashrrev_i32_e32 v101, 31, v100
	v_lshlrev_b64 v[101:102], 2, v[100:101]
	v_add_co_u32 v101, vcc_lo, v4, v101
	v_add_co_ci_u32_e64 v102, null, v5, v102, vcc_lo
	s_clause 0x1
	global_load_dword v108, v[101:102], off
	global_load_dword v109, v[4:5], off offset:64
	s_waitcnt vmcnt(1)
	global_store_dword v[4:5], v108, off offset:64
	s_waitcnt vmcnt(0)
	global_store_dword v[101:102], v109, off
.LBB92_278:
	s_or_b32 exec_lo, exec_lo, s2
	v_mov_b32_e32 v108, v100
	v_mov_b32_e32 v109, v100
.LBB92_279:
	s_or_b32 exec_lo, exec_lo, s1
.LBB92_280:
	s_andn2_saveexec_b32 s0, s0
	s_cbranch_execz .LBB92_282
; %bb.281:
	v_mov_b32_e32 v109, 16
	ds_write2_b64 v106, v[62:63], v[60:61] offset0:17 offset1:18
	ds_write2_b64 v106, v[58:59], v[56:57] offset0:19 offset1:20
	;; [unrolled: 1-line block ×15, first 2 shown]
.LBB92_282:
	s_or_b32 exec_lo, exec_lo, s0
	s_mov_b32 s0, exec_lo
	s_waitcnt lgkmcnt(0)
	s_waitcnt_vscnt null, 0x0
	s_barrier
	buffer_gl0_inv
	v_cmpx_lt_i32_e32 16, v109
	s_cbranch_execz .LBB92_284
; %bb.283:
	v_mul_f64 v[66:67], v[0:1], v[66:67]
	ds_read2_b64 v[110:113], v106 offset0:17 offset1:18
	ds_read2_b64 v[114:117], v106 offset0:19 offset1:20
	ds_read2_b64 v[118:121], v106 offset0:21 offset1:22
	ds_read2_b64 v[122:125], v106 offset0:23 offset1:24
	ds_read2_b64 v[126:129], v106 offset0:25 offset1:26
	ds_read2_b64 v[130:133], v106 offset0:27 offset1:28
	ds_read2_b64 v[134:137], v106 offset0:29 offset1:30
	ds_read2_b64 v[138:141], v106 offset0:31 offset1:32
	ds_read2_b64 v[142:145], v106 offset0:33 offset1:34
	ds_read2_b64 v[146:149], v106 offset0:35 offset1:36
	ds_read2_b64 v[150:153], v106 offset0:37 offset1:38
	ds_read2_b64 v[154:157], v106 offset0:39 offset1:40
	ds_read2_b64 v[158:161], v106 offset0:41 offset1:42
	ds_read2_b64 v[162:165], v106 offset0:43 offset1:44
	s_waitcnt lgkmcnt(13)
	v_fma_f64 v[62:63], -v[66:67], v[110:111], v[62:63]
	v_fma_f64 v[60:61], -v[66:67], v[112:113], v[60:61]
	ds_read2_b64 v[110:113], v106 offset0:45 offset1:46
	s_waitcnt lgkmcnt(13)
	v_fma_f64 v[58:59], -v[66:67], v[114:115], v[58:59]
	v_fma_f64 v[56:57], -v[66:67], v[116:117], v[56:57]
	s_waitcnt lgkmcnt(12)
	v_fma_f64 v[54:55], -v[66:67], v[118:119], v[54:55]
	v_fma_f64 v[52:53], -v[66:67], v[120:121], v[52:53]
	;; [unrolled: 3-line block ×14, first 2 shown]
.LBB92_284:
	s_or_b32 exec_lo, exec_lo, s0
	v_lshl_add_u32 v0, v109, 3, v106
	s_barrier
	buffer_gl0_inv
	v_mov_b32_e32 v100, 17
	ds_write_b64 v0, v[62:63]
	s_waitcnt lgkmcnt(0)
	s_barrier
	buffer_gl0_inv
	ds_read_b64 v[0:1], v106 offset:136
	s_cmp_lt_i32 s7, 19
	s_cbranch_scc1 .LBB92_287
; %bb.285:
	v_add3_u32 v101, v107, 0, 0x90
	v_mov_b32_e32 v100, 17
	s_mov_b32 s0, 18
.LBB92_286:                             ; =>This Inner Loop Header: Depth=1
	ds_read_b64 v[110:111], v101
	v_add_nc_u32_e32 v101, 8, v101
	s_waitcnt lgkmcnt(0)
	v_cmp_lt_f64_e64 vcc_lo, |v[0:1]|, |v[110:111]|
	v_cndmask_b32_e32 v1, v1, v111, vcc_lo
	v_cndmask_b32_e32 v0, v0, v110, vcc_lo
	v_cndmask_b32_e64 v100, v100, s0, vcc_lo
	s_add_i32 s0, s0, 1
	s_cmp_lg_u32 s7, s0
	s_cbranch_scc1 .LBB92_286
.LBB92_287:
	s_mov_b32 s0, exec_lo
	s_waitcnt lgkmcnt(0)
	v_cmpx_eq_f64_e32 0, v[0:1]
	s_xor_b32 s0, exec_lo, s0
; %bb.288:
	v_cmp_ne_u32_e32 vcc_lo, 0, v103
	v_cndmask_b32_e32 v103, 18, v103, vcc_lo
; %bb.289:
	s_andn2_saveexec_b32 s0, s0
	s_cbranch_execz .LBB92_291
; %bb.290:
	v_div_scale_f64 v[101:102], null, v[0:1], v[0:1], 1.0
	v_rcp_f64_e32 v[110:111], v[101:102]
	v_fma_f64 v[112:113], -v[101:102], v[110:111], 1.0
	v_fma_f64 v[110:111], v[110:111], v[112:113], v[110:111]
	v_fma_f64 v[112:113], -v[101:102], v[110:111], 1.0
	v_fma_f64 v[110:111], v[110:111], v[112:113], v[110:111]
	v_div_scale_f64 v[112:113], vcc_lo, 1.0, v[0:1], 1.0
	v_mul_f64 v[114:115], v[112:113], v[110:111]
	v_fma_f64 v[101:102], -v[101:102], v[114:115], v[112:113]
	v_div_fmas_f64 v[101:102], v[101:102], v[110:111], v[114:115]
	v_div_fixup_f64 v[0:1], v[101:102], v[0:1], 1.0
.LBB92_291:
	s_or_b32 exec_lo, exec_lo, s0
	s_mov_b32 s0, exec_lo
	v_cmpx_ne_u32_e64 v109, v100
	s_xor_b32 s0, exec_lo, s0
	s_cbranch_execz .LBB92_297
; %bb.292:
	s_mov_b32 s1, exec_lo
	v_cmpx_eq_u32_e32 17, v109
	s_cbranch_execz .LBB92_296
; %bb.293:
	v_cmp_ne_u32_e32 vcc_lo, 17, v100
	s_xor_b32 s2, s6, -1
	s_and_b32 s3, s2, vcc_lo
	s_and_saveexec_b32 s2, s3
	s_cbranch_execz .LBB92_295
; %bb.294:
	v_ashrrev_i32_e32 v101, 31, v100
	v_lshlrev_b64 v[101:102], 2, v[100:101]
	v_add_co_u32 v101, vcc_lo, v4, v101
	v_add_co_ci_u32_e64 v102, null, v5, v102, vcc_lo
	s_clause 0x1
	global_load_dword v108, v[101:102], off
	global_load_dword v109, v[4:5], off offset:68
	s_waitcnt vmcnt(1)
	global_store_dword v[4:5], v108, off offset:68
	s_waitcnt vmcnt(0)
	global_store_dword v[101:102], v109, off
.LBB92_295:
	s_or_b32 exec_lo, exec_lo, s2
	v_mov_b32_e32 v108, v100
	v_mov_b32_e32 v109, v100
.LBB92_296:
	s_or_b32 exec_lo, exec_lo, s1
.LBB92_297:
	s_andn2_saveexec_b32 s0, s0
	s_cbranch_execz .LBB92_299
; %bb.298:
	v_mov_b32_e32 v100, v60
	v_mov_b32_e32 v101, v61
	;; [unrolled: 1-line block ×20, first 2 shown]
	ds_write2_b64 v106, v[100:101], v[109:110] offset0:18 offset1:19
	ds_write2_b64 v106, v[111:112], v[113:114] offset0:20 offset1:21
	;; [unrolled: 1-line block ×5, first 2 shown]
	v_mov_b32_e32 v100, v40
	v_mov_b32_e32 v101, v41
	;; [unrolled: 1-line block ×20, first 2 shown]
	ds_write2_b64 v106, v[100:101], v[109:110] offset0:28 offset1:29
	ds_write2_b64 v106, v[111:112], v[113:114] offset0:30 offset1:31
	;; [unrolled: 1-line block ×5, first 2 shown]
	v_mov_b32_e32 v100, v20
	v_mov_b32_e32 v101, v21
	;; [unrolled: 1-line block ×8, first 2 shown]
	ds_write2_b64 v106, v[100:101], v[109:110] offset0:38 offset1:39
	v_mov_b32_e32 v109, 17
	v_mov_b32_e32 v115, v12
	;; [unrolled: 1-line block ×9, first 2 shown]
	ds_write2_b64 v106, v[111:112], v[113:114] offset0:40 offset1:41
	ds_write2_b64 v106, v[115:116], v[117:118] offset0:42 offset1:43
	;; [unrolled: 1-line block ×3, first 2 shown]
	ds_write_b64 v106, v[98:99] offset:368
.LBB92_299:
	s_or_b32 exec_lo, exec_lo, s0
	s_mov_b32 s0, exec_lo
	s_waitcnt lgkmcnt(0)
	s_waitcnt_vscnt null, 0x0
	s_barrier
	buffer_gl0_inv
	v_cmpx_lt_i32_e32 17, v109
	s_cbranch_execz .LBB92_301
; %bb.300:
	v_mul_f64 v[62:63], v[0:1], v[62:63]
	ds_read2_b64 v[110:113], v106 offset0:18 offset1:19
	ds_read2_b64 v[114:117], v106 offset0:20 offset1:21
	;; [unrolled: 1-line block ×14, first 2 shown]
	ds_read_b64 v[0:1], v106 offset:368
	s_waitcnt lgkmcnt(14)
	v_fma_f64 v[60:61], -v[62:63], v[110:111], v[60:61]
	v_fma_f64 v[58:59], -v[62:63], v[112:113], v[58:59]
	s_waitcnt lgkmcnt(13)
	v_fma_f64 v[56:57], -v[62:63], v[114:115], v[56:57]
	v_fma_f64 v[54:55], -v[62:63], v[116:117], v[54:55]
	;; [unrolled: 3-line block ×14, first 2 shown]
	s_waitcnt lgkmcnt(0)
	v_fma_f64 v[98:99], -v[62:63], v[0:1], v[98:99]
.LBB92_301:
	s_or_b32 exec_lo, exec_lo, s0
	v_lshl_add_u32 v0, v109, 3, v106
	s_barrier
	buffer_gl0_inv
	v_mov_b32_e32 v100, 18
	ds_write_b64 v0, v[60:61]
	s_waitcnt lgkmcnt(0)
	s_barrier
	buffer_gl0_inv
	ds_read_b64 v[0:1], v106 offset:144
	s_cmp_lt_i32 s7, 20
	s_cbranch_scc1 .LBB92_304
; %bb.302:
	v_add3_u32 v101, v107, 0, 0x98
	v_mov_b32_e32 v100, 18
	s_mov_b32 s0, 19
.LBB92_303:                             ; =>This Inner Loop Header: Depth=1
	ds_read_b64 v[110:111], v101
	v_add_nc_u32_e32 v101, 8, v101
	s_waitcnt lgkmcnt(0)
	v_cmp_lt_f64_e64 vcc_lo, |v[0:1]|, |v[110:111]|
	v_cndmask_b32_e32 v1, v1, v111, vcc_lo
	v_cndmask_b32_e32 v0, v0, v110, vcc_lo
	v_cndmask_b32_e64 v100, v100, s0, vcc_lo
	s_add_i32 s0, s0, 1
	s_cmp_lg_u32 s7, s0
	s_cbranch_scc1 .LBB92_303
.LBB92_304:
	s_mov_b32 s0, exec_lo
	s_waitcnt lgkmcnt(0)
	v_cmpx_eq_f64_e32 0, v[0:1]
	s_xor_b32 s0, exec_lo, s0
; %bb.305:
	v_cmp_ne_u32_e32 vcc_lo, 0, v103
	v_cndmask_b32_e32 v103, 19, v103, vcc_lo
; %bb.306:
	s_andn2_saveexec_b32 s0, s0
	s_cbranch_execz .LBB92_308
; %bb.307:
	v_div_scale_f64 v[101:102], null, v[0:1], v[0:1], 1.0
	v_rcp_f64_e32 v[110:111], v[101:102]
	v_fma_f64 v[112:113], -v[101:102], v[110:111], 1.0
	v_fma_f64 v[110:111], v[110:111], v[112:113], v[110:111]
	v_fma_f64 v[112:113], -v[101:102], v[110:111], 1.0
	v_fma_f64 v[110:111], v[110:111], v[112:113], v[110:111]
	v_div_scale_f64 v[112:113], vcc_lo, 1.0, v[0:1], 1.0
	v_mul_f64 v[114:115], v[112:113], v[110:111]
	v_fma_f64 v[101:102], -v[101:102], v[114:115], v[112:113]
	v_div_fmas_f64 v[101:102], v[101:102], v[110:111], v[114:115]
	v_div_fixup_f64 v[0:1], v[101:102], v[0:1], 1.0
.LBB92_308:
	s_or_b32 exec_lo, exec_lo, s0
	s_mov_b32 s0, exec_lo
	v_cmpx_ne_u32_e64 v109, v100
	s_xor_b32 s0, exec_lo, s0
	s_cbranch_execz .LBB92_314
; %bb.309:
	s_mov_b32 s1, exec_lo
	v_cmpx_eq_u32_e32 18, v109
	s_cbranch_execz .LBB92_313
; %bb.310:
	v_cmp_ne_u32_e32 vcc_lo, 18, v100
	s_xor_b32 s2, s6, -1
	s_and_b32 s3, s2, vcc_lo
	s_and_saveexec_b32 s2, s3
	s_cbranch_execz .LBB92_312
; %bb.311:
	v_ashrrev_i32_e32 v101, 31, v100
	v_lshlrev_b64 v[101:102], 2, v[100:101]
	v_add_co_u32 v101, vcc_lo, v4, v101
	v_add_co_ci_u32_e64 v102, null, v5, v102, vcc_lo
	s_clause 0x1
	global_load_dword v108, v[101:102], off
	global_load_dword v109, v[4:5], off offset:72
	s_waitcnt vmcnt(1)
	global_store_dword v[4:5], v108, off offset:72
	s_waitcnt vmcnt(0)
	global_store_dword v[101:102], v109, off
.LBB92_312:
	s_or_b32 exec_lo, exec_lo, s2
	v_mov_b32_e32 v108, v100
	v_mov_b32_e32 v109, v100
.LBB92_313:
	s_or_b32 exec_lo, exec_lo, s1
.LBB92_314:
	s_andn2_saveexec_b32 s0, s0
	s_cbranch_execz .LBB92_316
; %bb.315:
	v_mov_b32_e32 v109, 18
	ds_write2_b64 v106, v[58:59], v[56:57] offset0:19 offset1:20
	ds_write2_b64 v106, v[54:55], v[52:53] offset0:21 offset1:22
	;; [unrolled: 1-line block ×14, first 2 shown]
.LBB92_316:
	s_or_b32 exec_lo, exec_lo, s0
	s_mov_b32 s0, exec_lo
	s_waitcnt lgkmcnt(0)
	s_waitcnt_vscnt null, 0x0
	s_barrier
	buffer_gl0_inv
	v_cmpx_lt_i32_e32 18, v109
	s_cbranch_execz .LBB92_318
; %bb.317:
	v_mul_f64 v[60:61], v[0:1], v[60:61]
	ds_read2_b64 v[110:113], v106 offset0:19 offset1:20
	ds_read2_b64 v[114:117], v106 offset0:21 offset1:22
	;; [unrolled: 1-line block ×14, first 2 shown]
	s_waitcnt lgkmcnt(13)
	v_fma_f64 v[58:59], -v[60:61], v[110:111], v[58:59]
	v_fma_f64 v[56:57], -v[60:61], v[112:113], v[56:57]
	s_waitcnt lgkmcnt(12)
	v_fma_f64 v[54:55], -v[60:61], v[114:115], v[54:55]
	v_fma_f64 v[52:53], -v[60:61], v[116:117], v[52:53]
	;; [unrolled: 3-line block ×14, first 2 shown]
.LBB92_318:
	s_or_b32 exec_lo, exec_lo, s0
	v_lshl_add_u32 v0, v109, 3, v106
	s_barrier
	buffer_gl0_inv
	v_mov_b32_e32 v100, 19
	ds_write_b64 v0, v[58:59]
	s_waitcnt lgkmcnt(0)
	s_barrier
	buffer_gl0_inv
	ds_read_b64 v[0:1], v106 offset:152
	s_cmp_lt_i32 s7, 21
	s_cbranch_scc1 .LBB92_321
; %bb.319:
	v_add3_u32 v101, v107, 0, 0xa0
	v_mov_b32_e32 v100, 19
	s_mov_b32 s0, 20
.LBB92_320:                             ; =>This Inner Loop Header: Depth=1
	ds_read_b64 v[110:111], v101
	v_add_nc_u32_e32 v101, 8, v101
	s_waitcnt lgkmcnt(0)
	v_cmp_lt_f64_e64 vcc_lo, |v[0:1]|, |v[110:111]|
	v_cndmask_b32_e32 v1, v1, v111, vcc_lo
	v_cndmask_b32_e32 v0, v0, v110, vcc_lo
	v_cndmask_b32_e64 v100, v100, s0, vcc_lo
	s_add_i32 s0, s0, 1
	s_cmp_lg_u32 s7, s0
	s_cbranch_scc1 .LBB92_320
.LBB92_321:
	s_mov_b32 s0, exec_lo
	s_waitcnt lgkmcnt(0)
	v_cmpx_eq_f64_e32 0, v[0:1]
	s_xor_b32 s0, exec_lo, s0
; %bb.322:
	v_cmp_ne_u32_e32 vcc_lo, 0, v103
	v_cndmask_b32_e32 v103, 20, v103, vcc_lo
; %bb.323:
	s_andn2_saveexec_b32 s0, s0
	s_cbranch_execz .LBB92_325
; %bb.324:
	v_div_scale_f64 v[101:102], null, v[0:1], v[0:1], 1.0
	v_rcp_f64_e32 v[110:111], v[101:102]
	v_fma_f64 v[112:113], -v[101:102], v[110:111], 1.0
	v_fma_f64 v[110:111], v[110:111], v[112:113], v[110:111]
	v_fma_f64 v[112:113], -v[101:102], v[110:111], 1.0
	v_fma_f64 v[110:111], v[110:111], v[112:113], v[110:111]
	v_div_scale_f64 v[112:113], vcc_lo, 1.0, v[0:1], 1.0
	v_mul_f64 v[114:115], v[112:113], v[110:111]
	v_fma_f64 v[101:102], -v[101:102], v[114:115], v[112:113]
	v_div_fmas_f64 v[101:102], v[101:102], v[110:111], v[114:115]
	v_div_fixup_f64 v[0:1], v[101:102], v[0:1], 1.0
.LBB92_325:
	s_or_b32 exec_lo, exec_lo, s0
	s_mov_b32 s0, exec_lo
	v_cmpx_ne_u32_e64 v109, v100
	s_xor_b32 s0, exec_lo, s0
	s_cbranch_execz .LBB92_331
; %bb.326:
	s_mov_b32 s1, exec_lo
	v_cmpx_eq_u32_e32 19, v109
	s_cbranch_execz .LBB92_330
; %bb.327:
	v_cmp_ne_u32_e32 vcc_lo, 19, v100
	s_xor_b32 s2, s6, -1
	s_and_b32 s3, s2, vcc_lo
	s_and_saveexec_b32 s2, s3
	s_cbranch_execz .LBB92_329
; %bb.328:
	v_ashrrev_i32_e32 v101, 31, v100
	v_lshlrev_b64 v[101:102], 2, v[100:101]
	v_add_co_u32 v101, vcc_lo, v4, v101
	v_add_co_ci_u32_e64 v102, null, v5, v102, vcc_lo
	s_clause 0x1
	global_load_dword v108, v[101:102], off
	global_load_dword v109, v[4:5], off offset:76
	s_waitcnt vmcnt(1)
	global_store_dword v[4:5], v108, off offset:76
	s_waitcnt vmcnt(0)
	global_store_dword v[101:102], v109, off
.LBB92_329:
	s_or_b32 exec_lo, exec_lo, s2
	v_mov_b32_e32 v108, v100
	v_mov_b32_e32 v109, v100
.LBB92_330:
	s_or_b32 exec_lo, exec_lo, s1
.LBB92_331:
	s_andn2_saveexec_b32 s0, s0
	s_cbranch_execz .LBB92_333
; %bb.332:
	v_mov_b32_e32 v100, v56
	v_mov_b32_e32 v101, v57
	;; [unrolled: 1-line block ×16, first 2 shown]
	ds_write2_b64 v106, v[100:101], v[109:110] offset0:20 offset1:21
	ds_write2_b64 v106, v[111:112], v[113:114] offset0:22 offset1:23
	;; [unrolled: 1-line block ×4, first 2 shown]
	v_mov_b32_e32 v100, v40
	v_mov_b32_e32 v101, v41
	;; [unrolled: 1-line block ×20, first 2 shown]
	ds_write2_b64 v106, v[100:101], v[109:110] offset0:28 offset1:29
	ds_write2_b64 v106, v[111:112], v[113:114] offset0:30 offset1:31
	;; [unrolled: 1-line block ×5, first 2 shown]
	v_mov_b32_e32 v100, v20
	v_mov_b32_e32 v101, v21
	;; [unrolled: 1-line block ×8, first 2 shown]
	ds_write2_b64 v106, v[100:101], v[109:110] offset0:38 offset1:39
	v_mov_b32_e32 v109, 19
	v_mov_b32_e32 v115, v12
	;; [unrolled: 1-line block ×9, first 2 shown]
	ds_write2_b64 v106, v[111:112], v[113:114] offset0:40 offset1:41
	ds_write2_b64 v106, v[115:116], v[117:118] offset0:42 offset1:43
	;; [unrolled: 1-line block ×3, first 2 shown]
	ds_write_b64 v106, v[98:99] offset:368
.LBB92_333:
	s_or_b32 exec_lo, exec_lo, s0
	s_mov_b32 s0, exec_lo
	s_waitcnt lgkmcnt(0)
	s_waitcnt_vscnt null, 0x0
	s_barrier
	buffer_gl0_inv
	v_cmpx_lt_i32_e32 19, v109
	s_cbranch_execz .LBB92_335
; %bb.334:
	v_mul_f64 v[58:59], v[0:1], v[58:59]
	ds_read2_b64 v[110:113], v106 offset0:20 offset1:21
	ds_read2_b64 v[114:117], v106 offset0:22 offset1:23
	;; [unrolled: 1-line block ×13, first 2 shown]
	ds_read_b64 v[0:1], v106 offset:368
	s_waitcnt lgkmcnt(13)
	v_fma_f64 v[56:57], -v[58:59], v[110:111], v[56:57]
	v_fma_f64 v[54:55], -v[58:59], v[112:113], v[54:55]
	s_waitcnt lgkmcnt(12)
	v_fma_f64 v[52:53], -v[58:59], v[114:115], v[52:53]
	v_fma_f64 v[48:49], -v[58:59], v[116:117], v[48:49]
	;; [unrolled: 3-line block ×13, first 2 shown]
	s_waitcnt lgkmcnt(0)
	v_fma_f64 v[98:99], -v[58:59], v[0:1], v[98:99]
.LBB92_335:
	s_or_b32 exec_lo, exec_lo, s0
	v_lshl_add_u32 v0, v109, 3, v106
	s_barrier
	buffer_gl0_inv
	v_mov_b32_e32 v100, 20
	ds_write_b64 v0, v[56:57]
	s_waitcnt lgkmcnt(0)
	s_barrier
	buffer_gl0_inv
	ds_read_b64 v[0:1], v106 offset:160
	s_cmp_lt_i32 s7, 22
	s_cbranch_scc1 .LBB92_338
; %bb.336:
	v_add3_u32 v101, v107, 0, 0xa8
	v_mov_b32_e32 v100, 20
	s_mov_b32 s0, 21
.LBB92_337:                             ; =>This Inner Loop Header: Depth=1
	ds_read_b64 v[110:111], v101
	v_add_nc_u32_e32 v101, 8, v101
	s_waitcnt lgkmcnt(0)
	v_cmp_lt_f64_e64 vcc_lo, |v[0:1]|, |v[110:111]|
	v_cndmask_b32_e32 v1, v1, v111, vcc_lo
	v_cndmask_b32_e32 v0, v0, v110, vcc_lo
	v_cndmask_b32_e64 v100, v100, s0, vcc_lo
	s_add_i32 s0, s0, 1
	s_cmp_lg_u32 s7, s0
	s_cbranch_scc1 .LBB92_337
.LBB92_338:
	s_mov_b32 s0, exec_lo
	s_waitcnt lgkmcnt(0)
	v_cmpx_eq_f64_e32 0, v[0:1]
	s_xor_b32 s0, exec_lo, s0
; %bb.339:
	v_cmp_ne_u32_e32 vcc_lo, 0, v103
	v_cndmask_b32_e32 v103, 21, v103, vcc_lo
; %bb.340:
	s_andn2_saveexec_b32 s0, s0
	s_cbranch_execz .LBB92_342
; %bb.341:
	v_div_scale_f64 v[101:102], null, v[0:1], v[0:1], 1.0
	v_rcp_f64_e32 v[110:111], v[101:102]
	v_fma_f64 v[112:113], -v[101:102], v[110:111], 1.0
	v_fma_f64 v[110:111], v[110:111], v[112:113], v[110:111]
	v_fma_f64 v[112:113], -v[101:102], v[110:111], 1.0
	v_fma_f64 v[110:111], v[110:111], v[112:113], v[110:111]
	v_div_scale_f64 v[112:113], vcc_lo, 1.0, v[0:1], 1.0
	v_mul_f64 v[114:115], v[112:113], v[110:111]
	v_fma_f64 v[101:102], -v[101:102], v[114:115], v[112:113]
	v_div_fmas_f64 v[101:102], v[101:102], v[110:111], v[114:115]
	v_div_fixup_f64 v[0:1], v[101:102], v[0:1], 1.0
.LBB92_342:
	s_or_b32 exec_lo, exec_lo, s0
	s_mov_b32 s0, exec_lo
	v_cmpx_ne_u32_e64 v109, v100
	s_xor_b32 s0, exec_lo, s0
	s_cbranch_execz .LBB92_348
; %bb.343:
	s_mov_b32 s1, exec_lo
	v_cmpx_eq_u32_e32 20, v109
	s_cbranch_execz .LBB92_347
; %bb.344:
	v_cmp_ne_u32_e32 vcc_lo, 20, v100
	s_xor_b32 s2, s6, -1
	s_and_b32 s3, s2, vcc_lo
	s_and_saveexec_b32 s2, s3
	s_cbranch_execz .LBB92_346
; %bb.345:
	v_ashrrev_i32_e32 v101, 31, v100
	v_lshlrev_b64 v[101:102], 2, v[100:101]
	v_add_co_u32 v101, vcc_lo, v4, v101
	v_add_co_ci_u32_e64 v102, null, v5, v102, vcc_lo
	s_clause 0x1
	global_load_dword v108, v[101:102], off
	global_load_dword v109, v[4:5], off offset:80
	s_waitcnt vmcnt(1)
	global_store_dword v[4:5], v108, off offset:80
	s_waitcnt vmcnt(0)
	global_store_dword v[101:102], v109, off
.LBB92_346:
	s_or_b32 exec_lo, exec_lo, s2
	v_mov_b32_e32 v108, v100
	v_mov_b32_e32 v109, v100
.LBB92_347:
	s_or_b32 exec_lo, exec_lo, s1
.LBB92_348:
	s_andn2_saveexec_b32 s0, s0
	s_cbranch_execz .LBB92_350
; %bb.349:
	v_mov_b32_e32 v109, 20
	ds_write2_b64 v106, v[54:55], v[52:53] offset0:21 offset1:22
	ds_write2_b64 v106, v[48:49], v[50:51] offset0:23 offset1:24
	;; [unrolled: 1-line block ×13, first 2 shown]
.LBB92_350:
	s_or_b32 exec_lo, exec_lo, s0
	s_mov_b32 s0, exec_lo
	s_waitcnt lgkmcnt(0)
	s_waitcnt_vscnt null, 0x0
	s_barrier
	buffer_gl0_inv
	v_cmpx_lt_i32_e32 20, v109
	s_cbranch_execz .LBB92_352
; %bb.351:
	v_mul_f64 v[56:57], v[0:1], v[56:57]
	ds_read2_b64 v[110:113], v106 offset0:21 offset1:22
	ds_read2_b64 v[114:117], v106 offset0:23 offset1:24
	;; [unrolled: 1-line block ×13, first 2 shown]
	s_waitcnt lgkmcnt(12)
	v_fma_f64 v[54:55], -v[56:57], v[110:111], v[54:55]
	v_fma_f64 v[52:53], -v[56:57], v[112:113], v[52:53]
	s_waitcnt lgkmcnt(11)
	v_fma_f64 v[48:49], -v[56:57], v[114:115], v[48:49]
	v_fma_f64 v[50:51], -v[56:57], v[116:117], v[50:51]
	s_waitcnt lgkmcnt(10)
	v_fma_f64 v[44:45], -v[56:57], v[118:119], v[44:45]
	v_fma_f64 v[46:47], -v[56:57], v[120:121], v[46:47]
	s_waitcnt lgkmcnt(9)
	v_fma_f64 v[42:43], -v[56:57], v[122:123], v[42:43]
	v_fma_f64 v[40:41], -v[56:57], v[124:125], v[40:41]
	s_waitcnt lgkmcnt(8)
	v_fma_f64 v[38:39], -v[56:57], v[126:127], v[38:39]
	v_fma_f64 v[36:37], -v[56:57], v[128:129], v[36:37]
	s_waitcnt lgkmcnt(7)
	v_fma_f64 v[34:35], -v[56:57], v[130:131], v[34:35]
	v_fma_f64 v[32:33], -v[56:57], v[132:133], v[32:33]
	s_waitcnt lgkmcnt(6)
	v_fma_f64 v[28:29], -v[56:57], v[134:135], v[28:29]
	v_fma_f64 v[30:31], -v[56:57], v[136:137], v[30:31]
	s_waitcnt lgkmcnt(5)
	v_fma_f64 v[24:25], -v[56:57], v[138:139], v[24:25]
	v_fma_f64 v[26:27], -v[56:57], v[140:141], v[26:27]
	s_waitcnt lgkmcnt(4)
	v_fma_f64 v[22:23], -v[56:57], v[142:143], v[22:23]
	v_fma_f64 v[20:21], -v[56:57], v[144:145], v[20:21]
	s_waitcnt lgkmcnt(3)
	v_fma_f64 v[18:19], -v[56:57], v[146:147], v[18:19]
	v_fma_f64 v[16:17], -v[56:57], v[148:149], v[16:17]
	s_waitcnt lgkmcnt(2)
	v_fma_f64 v[14:15], -v[56:57], v[150:151], v[14:15]
	v_fma_f64 v[12:13], -v[56:57], v[152:153], v[12:13]
	s_waitcnt lgkmcnt(1)
	v_fma_f64 v[8:9], -v[56:57], v[154:155], v[8:9]
	v_fma_f64 v[10:11], -v[56:57], v[156:157], v[10:11]
	s_waitcnt lgkmcnt(0)
	v_fma_f64 v[6:7], -v[56:57], v[158:159], v[6:7]
	v_fma_f64 v[98:99], -v[56:57], v[160:161], v[98:99]
.LBB92_352:
	s_or_b32 exec_lo, exec_lo, s0
	v_lshl_add_u32 v0, v109, 3, v106
	s_barrier
	buffer_gl0_inv
	v_mov_b32_e32 v100, 21
	ds_write_b64 v0, v[54:55]
	s_waitcnt lgkmcnt(0)
	s_barrier
	buffer_gl0_inv
	ds_read_b64 v[0:1], v106 offset:168
	s_cmp_lt_i32 s7, 23
	s_cbranch_scc1 .LBB92_355
; %bb.353:
	v_add3_u32 v101, v107, 0, 0xb0
	v_mov_b32_e32 v100, 21
	s_mov_b32 s0, 22
.LBB92_354:                             ; =>This Inner Loop Header: Depth=1
	ds_read_b64 v[110:111], v101
	v_add_nc_u32_e32 v101, 8, v101
	s_waitcnt lgkmcnt(0)
	v_cmp_lt_f64_e64 vcc_lo, |v[0:1]|, |v[110:111]|
	v_cndmask_b32_e32 v1, v1, v111, vcc_lo
	v_cndmask_b32_e32 v0, v0, v110, vcc_lo
	v_cndmask_b32_e64 v100, v100, s0, vcc_lo
	s_add_i32 s0, s0, 1
	s_cmp_lg_u32 s7, s0
	s_cbranch_scc1 .LBB92_354
.LBB92_355:
	s_mov_b32 s0, exec_lo
	s_waitcnt lgkmcnt(0)
	v_cmpx_eq_f64_e32 0, v[0:1]
	s_xor_b32 s0, exec_lo, s0
; %bb.356:
	v_cmp_ne_u32_e32 vcc_lo, 0, v103
	v_cndmask_b32_e32 v103, 22, v103, vcc_lo
; %bb.357:
	s_andn2_saveexec_b32 s0, s0
	s_cbranch_execz .LBB92_359
; %bb.358:
	v_div_scale_f64 v[101:102], null, v[0:1], v[0:1], 1.0
	v_rcp_f64_e32 v[110:111], v[101:102]
	v_fma_f64 v[112:113], -v[101:102], v[110:111], 1.0
	v_fma_f64 v[110:111], v[110:111], v[112:113], v[110:111]
	v_fma_f64 v[112:113], -v[101:102], v[110:111], 1.0
	v_fma_f64 v[110:111], v[110:111], v[112:113], v[110:111]
	v_div_scale_f64 v[112:113], vcc_lo, 1.0, v[0:1], 1.0
	v_mul_f64 v[114:115], v[112:113], v[110:111]
	v_fma_f64 v[101:102], -v[101:102], v[114:115], v[112:113]
	v_div_fmas_f64 v[101:102], v[101:102], v[110:111], v[114:115]
	v_div_fixup_f64 v[0:1], v[101:102], v[0:1], 1.0
.LBB92_359:
	s_or_b32 exec_lo, exec_lo, s0
	s_mov_b32 s0, exec_lo
	v_cmpx_ne_u32_e64 v109, v100
	s_xor_b32 s0, exec_lo, s0
	s_cbranch_execz .LBB92_365
; %bb.360:
	s_mov_b32 s1, exec_lo
	v_cmpx_eq_u32_e32 21, v109
	s_cbranch_execz .LBB92_364
; %bb.361:
	v_cmp_ne_u32_e32 vcc_lo, 21, v100
	s_xor_b32 s2, s6, -1
	s_and_b32 s3, s2, vcc_lo
	s_and_saveexec_b32 s2, s3
	s_cbranch_execz .LBB92_363
; %bb.362:
	v_ashrrev_i32_e32 v101, 31, v100
	v_lshlrev_b64 v[101:102], 2, v[100:101]
	v_add_co_u32 v101, vcc_lo, v4, v101
	v_add_co_ci_u32_e64 v102, null, v5, v102, vcc_lo
	s_clause 0x1
	global_load_dword v108, v[101:102], off
	global_load_dword v109, v[4:5], off offset:84
	s_waitcnt vmcnt(1)
	global_store_dword v[4:5], v108, off offset:84
	s_waitcnt vmcnt(0)
	global_store_dword v[101:102], v109, off
.LBB92_363:
	s_or_b32 exec_lo, exec_lo, s2
	v_mov_b32_e32 v108, v100
	v_mov_b32_e32 v109, v100
.LBB92_364:
	s_or_b32 exec_lo, exec_lo, s1
.LBB92_365:
	s_andn2_saveexec_b32 s0, s0
	s_cbranch_execz .LBB92_367
; %bb.366:
	v_mov_b32_e32 v100, v52
	v_mov_b32_e32 v101, v53
	;; [unrolled: 1-line block ×12, first 2 shown]
	ds_write2_b64 v106, v[100:101], v[109:110] offset0:22 offset1:23
	ds_write2_b64 v106, v[111:112], v[113:114] offset0:24 offset1:25
	;; [unrolled: 1-line block ×3, first 2 shown]
	v_mov_b32_e32 v100, v40
	v_mov_b32_e32 v101, v41
	;; [unrolled: 1-line block ×20, first 2 shown]
	ds_write2_b64 v106, v[100:101], v[109:110] offset0:28 offset1:29
	ds_write2_b64 v106, v[111:112], v[113:114] offset0:30 offset1:31
	;; [unrolled: 1-line block ×5, first 2 shown]
	v_mov_b32_e32 v100, v20
	v_mov_b32_e32 v101, v21
	;; [unrolled: 1-line block ×8, first 2 shown]
	ds_write2_b64 v106, v[100:101], v[109:110] offset0:38 offset1:39
	v_mov_b32_e32 v109, 21
	v_mov_b32_e32 v115, v12
	;; [unrolled: 1-line block ×9, first 2 shown]
	ds_write2_b64 v106, v[111:112], v[113:114] offset0:40 offset1:41
	ds_write2_b64 v106, v[115:116], v[117:118] offset0:42 offset1:43
	;; [unrolled: 1-line block ×3, first 2 shown]
	ds_write_b64 v106, v[98:99] offset:368
.LBB92_367:
	s_or_b32 exec_lo, exec_lo, s0
	s_mov_b32 s0, exec_lo
	s_waitcnt lgkmcnt(0)
	s_waitcnt_vscnt null, 0x0
	s_barrier
	buffer_gl0_inv
	v_cmpx_lt_i32_e32 21, v109
	s_cbranch_execz .LBB92_369
; %bb.368:
	v_mul_f64 v[54:55], v[0:1], v[54:55]
	ds_read2_b64 v[110:113], v106 offset0:22 offset1:23
	ds_read2_b64 v[114:117], v106 offset0:24 offset1:25
	;; [unrolled: 1-line block ×12, first 2 shown]
	ds_read_b64 v[0:1], v106 offset:368
	s_waitcnt lgkmcnt(12)
	v_fma_f64 v[52:53], -v[54:55], v[110:111], v[52:53]
	v_fma_f64 v[48:49], -v[54:55], v[112:113], v[48:49]
	s_waitcnt lgkmcnt(11)
	v_fma_f64 v[50:51], -v[54:55], v[114:115], v[50:51]
	v_fma_f64 v[44:45], -v[54:55], v[116:117], v[44:45]
	;; [unrolled: 3-line block ×12, first 2 shown]
	s_waitcnt lgkmcnt(0)
	v_fma_f64 v[98:99], -v[54:55], v[0:1], v[98:99]
.LBB92_369:
	s_or_b32 exec_lo, exec_lo, s0
	v_lshl_add_u32 v0, v109, 3, v106
	s_barrier
	buffer_gl0_inv
	v_mov_b32_e32 v100, 22
	ds_write_b64 v0, v[52:53]
	s_waitcnt lgkmcnt(0)
	s_barrier
	buffer_gl0_inv
	ds_read_b64 v[0:1], v106 offset:176
	s_cmp_lt_i32 s7, 24
	s_cbranch_scc1 .LBB92_372
; %bb.370:
	v_add3_u32 v101, v107, 0, 0xb8
	v_mov_b32_e32 v100, 22
	s_mov_b32 s0, 23
.LBB92_371:                             ; =>This Inner Loop Header: Depth=1
	ds_read_b64 v[110:111], v101
	v_add_nc_u32_e32 v101, 8, v101
	s_waitcnt lgkmcnt(0)
	v_cmp_lt_f64_e64 vcc_lo, |v[0:1]|, |v[110:111]|
	v_cndmask_b32_e32 v1, v1, v111, vcc_lo
	v_cndmask_b32_e32 v0, v0, v110, vcc_lo
	v_cndmask_b32_e64 v100, v100, s0, vcc_lo
	s_add_i32 s0, s0, 1
	s_cmp_lg_u32 s7, s0
	s_cbranch_scc1 .LBB92_371
.LBB92_372:
	s_mov_b32 s0, exec_lo
	s_waitcnt lgkmcnt(0)
	v_cmpx_eq_f64_e32 0, v[0:1]
	s_xor_b32 s0, exec_lo, s0
; %bb.373:
	v_cmp_ne_u32_e32 vcc_lo, 0, v103
	v_cndmask_b32_e32 v103, 23, v103, vcc_lo
; %bb.374:
	s_andn2_saveexec_b32 s0, s0
	s_cbranch_execz .LBB92_376
; %bb.375:
	v_div_scale_f64 v[101:102], null, v[0:1], v[0:1], 1.0
	v_rcp_f64_e32 v[110:111], v[101:102]
	v_fma_f64 v[112:113], -v[101:102], v[110:111], 1.0
	v_fma_f64 v[110:111], v[110:111], v[112:113], v[110:111]
	v_fma_f64 v[112:113], -v[101:102], v[110:111], 1.0
	v_fma_f64 v[110:111], v[110:111], v[112:113], v[110:111]
	v_div_scale_f64 v[112:113], vcc_lo, 1.0, v[0:1], 1.0
	v_mul_f64 v[114:115], v[112:113], v[110:111]
	v_fma_f64 v[101:102], -v[101:102], v[114:115], v[112:113]
	v_div_fmas_f64 v[101:102], v[101:102], v[110:111], v[114:115]
	v_div_fixup_f64 v[0:1], v[101:102], v[0:1], 1.0
.LBB92_376:
	s_or_b32 exec_lo, exec_lo, s0
	s_mov_b32 s0, exec_lo
	v_cmpx_ne_u32_e64 v109, v100
	s_xor_b32 s0, exec_lo, s0
	s_cbranch_execz .LBB92_382
; %bb.377:
	s_mov_b32 s1, exec_lo
	v_cmpx_eq_u32_e32 22, v109
	s_cbranch_execz .LBB92_381
; %bb.378:
	v_cmp_ne_u32_e32 vcc_lo, 22, v100
	s_xor_b32 s2, s6, -1
	s_and_b32 s3, s2, vcc_lo
	s_and_saveexec_b32 s2, s3
	s_cbranch_execz .LBB92_380
; %bb.379:
	v_ashrrev_i32_e32 v101, 31, v100
	v_lshlrev_b64 v[101:102], 2, v[100:101]
	v_add_co_u32 v101, vcc_lo, v4, v101
	v_add_co_ci_u32_e64 v102, null, v5, v102, vcc_lo
	s_clause 0x1
	global_load_dword v108, v[101:102], off
	global_load_dword v109, v[4:5], off offset:88
	s_waitcnt vmcnt(1)
	global_store_dword v[4:5], v108, off offset:88
	s_waitcnt vmcnt(0)
	global_store_dword v[101:102], v109, off
.LBB92_380:
	s_or_b32 exec_lo, exec_lo, s2
	v_mov_b32_e32 v108, v100
	v_mov_b32_e32 v109, v100
.LBB92_381:
	s_or_b32 exec_lo, exec_lo, s1
.LBB92_382:
	s_andn2_saveexec_b32 s0, s0
	s_cbranch_execz .LBB92_384
; %bb.383:
	v_mov_b32_e32 v109, 22
	ds_write2_b64 v106, v[48:49], v[50:51] offset0:23 offset1:24
	ds_write2_b64 v106, v[44:45], v[46:47] offset0:25 offset1:26
	;; [unrolled: 1-line block ×12, first 2 shown]
.LBB92_384:
	s_or_b32 exec_lo, exec_lo, s0
	s_mov_b32 s0, exec_lo
	s_waitcnt lgkmcnt(0)
	s_waitcnt_vscnt null, 0x0
	s_barrier
	buffer_gl0_inv
	v_cmpx_lt_i32_e32 22, v109
	s_cbranch_execz .LBB92_386
; %bb.385:
	v_mul_f64 v[52:53], v[0:1], v[52:53]
	ds_read2_b64 v[110:113], v106 offset0:23 offset1:24
	ds_read2_b64 v[114:117], v106 offset0:25 offset1:26
	;; [unrolled: 1-line block ×12, first 2 shown]
	s_waitcnt lgkmcnt(11)
	v_fma_f64 v[48:49], -v[52:53], v[110:111], v[48:49]
	v_fma_f64 v[50:51], -v[52:53], v[112:113], v[50:51]
	s_waitcnt lgkmcnt(10)
	v_fma_f64 v[44:45], -v[52:53], v[114:115], v[44:45]
	v_fma_f64 v[46:47], -v[52:53], v[116:117], v[46:47]
	;; [unrolled: 3-line block ×12, first 2 shown]
.LBB92_386:
	s_or_b32 exec_lo, exec_lo, s0
	v_lshl_add_u32 v0, v109, 3, v106
	s_barrier
	buffer_gl0_inv
	v_mov_b32_e32 v100, 23
	ds_write_b64 v0, v[48:49]
	s_waitcnt lgkmcnt(0)
	s_barrier
	buffer_gl0_inv
	ds_read_b64 v[0:1], v106 offset:184
	s_cmp_lt_i32 s7, 25
	s_cbranch_scc1 .LBB92_389
; %bb.387:
	v_add3_u32 v101, v107, 0, 0xc0
	v_mov_b32_e32 v100, 23
	s_mov_b32 s0, 24
.LBB92_388:                             ; =>This Inner Loop Header: Depth=1
	ds_read_b64 v[110:111], v101
	v_add_nc_u32_e32 v101, 8, v101
	s_waitcnt lgkmcnt(0)
	v_cmp_lt_f64_e64 vcc_lo, |v[0:1]|, |v[110:111]|
	v_cndmask_b32_e32 v1, v1, v111, vcc_lo
	v_cndmask_b32_e32 v0, v0, v110, vcc_lo
	v_cndmask_b32_e64 v100, v100, s0, vcc_lo
	s_add_i32 s0, s0, 1
	s_cmp_lg_u32 s7, s0
	s_cbranch_scc1 .LBB92_388
.LBB92_389:
	s_mov_b32 s0, exec_lo
	s_waitcnt lgkmcnt(0)
	v_cmpx_eq_f64_e32 0, v[0:1]
	s_xor_b32 s0, exec_lo, s0
; %bb.390:
	v_cmp_ne_u32_e32 vcc_lo, 0, v103
	v_cndmask_b32_e32 v103, 24, v103, vcc_lo
; %bb.391:
	s_andn2_saveexec_b32 s0, s0
	s_cbranch_execz .LBB92_393
; %bb.392:
	v_div_scale_f64 v[101:102], null, v[0:1], v[0:1], 1.0
	v_rcp_f64_e32 v[110:111], v[101:102]
	v_fma_f64 v[112:113], -v[101:102], v[110:111], 1.0
	v_fma_f64 v[110:111], v[110:111], v[112:113], v[110:111]
	v_fma_f64 v[112:113], -v[101:102], v[110:111], 1.0
	v_fma_f64 v[110:111], v[110:111], v[112:113], v[110:111]
	v_div_scale_f64 v[112:113], vcc_lo, 1.0, v[0:1], 1.0
	v_mul_f64 v[114:115], v[112:113], v[110:111]
	v_fma_f64 v[101:102], -v[101:102], v[114:115], v[112:113]
	v_div_fmas_f64 v[101:102], v[101:102], v[110:111], v[114:115]
	v_div_fixup_f64 v[0:1], v[101:102], v[0:1], 1.0
.LBB92_393:
	s_or_b32 exec_lo, exec_lo, s0
	s_mov_b32 s0, exec_lo
	v_cmpx_ne_u32_e64 v109, v100
	s_xor_b32 s0, exec_lo, s0
	s_cbranch_execz .LBB92_399
; %bb.394:
	s_mov_b32 s1, exec_lo
	v_cmpx_eq_u32_e32 23, v109
	s_cbranch_execz .LBB92_398
; %bb.395:
	v_cmp_ne_u32_e32 vcc_lo, 23, v100
	s_xor_b32 s2, s6, -1
	s_and_b32 s3, s2, vcc_lo
	s_and_saveexec_b32 s2, s3
	s_cbranch_execz .LBB92_397
; %bb.396:
	v_ashrrev_i32_e32 v101, 31, v100
	v_lshlrev_b64 v[101:102], 2, v[100:101]
	v_add_co_u32 v101, vcc_lo, v4, v101
	v_add_co_ci_u32_e64 v102, null, v5, v102, vcc_lo
	s_clause 0x1
	global_load_dword v108, v[101:102], off
	global_load_dword v109, v[4:5], off offset:92
	s_waitcnt vmcnt(1)
	global_store_dword v[4:5], v108, off offset:92
	s_waitcnt vmcnt(0)
	global_store_dword v[101:102], v109, off
.LBB92_397:
	s_or_b32 exec_lo, exec_lo, s2
	v_mov_b32_e32 v108, v100
	v_mov_b32_e32 v109, v100
.LBB92_398:
	s_or_b32 exec_lo, exec_lo, s1
.LBB92_399:
	s_andn2_saveexec_b32 s0, s0
	s_cbranch_execz .LBB92_401
; %bb.400:
	v_mov_b32_e32 v100, v50
	v_mov_b32_e32 v101, v51
	;; [unrolled: 1-line block ×8, first 2 shown]
	ds_write2_b64 v106, v[100:101], v[109:110] offset0:24 offset1:25
	ds_write2_b64 v106, v[111:112], v[113:114] offset0:26 offset1:27
	v_mov_b32_e32 v100, v40
	v_mov_b32_e32 v101, v41
	;; [unrolled: 1-line block ×20, first 2 shown]
	ds_write2_b64 v106, v[100:101], v[109:110] offset0:28 offset1:29
	ds_write2_b64 v106, v[111:112], v[113:114] offset0:30 offset1:31
	;; [unrolled: 1-line block ×5, first 2 shown]
	v_mov_b32_e32 v100, v20
	v_mov_b32_e32 v101, v21
	;; [unrolled: 1-line block ×8, first 2 shown]
	ds_write2_b64 v106, v[100:101], v[109:110] offset0:38 offset1:39
	v_mov_b32_e32 v109, 23
	v_mov_b32_e32 v115, v12
	;; [unrolled: 1-line block ×9, first 2 shown]
	ds_write2_b64 v106, v[111:112], v[113:114] offset0:40 offset1:41
	ds_write2_b64 v106, v[115:116], v[117:118] offset0:42 offset1:43
	;; [unrolled: 1-line block ×3, first 2 shown]
	ds_write_b64 v106, v[98:99] offset:368
.LBB92_401:
	s_or_b32 exec_lo, exec_lo, s0
	s_mov_b32 s0, exec_lo
	s_waitcnt lgkmcnt(0)
	s_waitcnt_vscnt null, 0x0
	s_barrier
	buffer_gl0_inv
	v_cmpx_lt_i32_e32 23, v109
	s_cbranch_execz .LBB92_403
; %bb.402:
	v_mul_f64 v[48:49], v[0:1], v[48:49]
	ds_read2_b64 v[110:113], v106 offset0:24 offset1:25
	ds_read2_b64 v[114:117], v106 offset0:26 offset1:27
	;; [unrolled: 1-line block ×11, first 2 shown]
	ds_read_b64 v[0:1], v106 offset:368
	s_waitcnt lgkmcnt(11)
	v_fma_f64 v[50:51], -v[48:49], v[110:111], v[50:51]
	v_fma_f64 v[44:45], -v[48:49], v[112:113], v[44:45]
	s_waitcnt lgkmcnt(10)
	v_fma_f64 v[46:47], -v[48:49], v[114:115], v[46:47]
	v_fma_f64 v[42:43], -v[48:49], v[116:117], v[42:43]
	;; [unrolled: 3-line block ×11, first 2 shown]
	s_waitcnt lgkmcnt(0)
	v_fma_f64 v[98:99], -v[48:49], v[0:1], v[98:99]
.LBB92_403:
	s_or_b32 exec_lo, exec_lo, s0
	v_lshl_add_u32 v0, v109, 3, v106
	s_barrier
	buffer_gl0_inv
	v_mov_b32_e32 v100, 24
	ds_write_b64 v0, v[50:51]
	s_waitcnt lgkmcnt(0)
	s_barrier
	buffer_gl0_inv
	ds_read_b64 v[0:1], v106 offset:192
	s_cmp_lt_i32 s7, 26
	s_cbranch_scc1 .LBB92_406
; %bb.404:
	v_add3_u32 v101, v107, 0, 0xc8
	v_mov_b32_e32 v100, 24
	s_mov_b32 s0, 25
.LBB92_405:                             ; =>This Inner Loop Header: Depth=1
	ds_read_b64 v[110:111], v101
	v_add_nc_u32_e32 v101, 8, v101
	s_waitcnt lgkmcnt(0)
	v_cmp_lt_f64_e64 vcc_lo, |v[0:1]|, |v[110:111]|
	v_cndmask_b32_e32 v1, v1, v111, vcc_lo
	v_cndmask_b32_e32 v0, v0, v110, vcc_lo
	v_cndmask_b32_e64 v100, v100, s0, vcc_lo
	s_add_i32 s0, s0, 1
	s_cmp_lg_u32 s7, s0
	s_cbranch_scc1 .LBB92_405
.LBB92_406:
	s_mov_b32 s0, exec_lo
	s_waitcnt lgkmcnt(0)
	v_cmpx_eq_f64_e32 0, v[0:1]
	s_xor_b32 s0, exec_lo, s0
; %bb.407:
	v_cmp_ne_u32_e32 vcc_lo, 0, v103
	v_cndmask_b32_e32 v103, 25, v103, vcc_lo
; %bb.408:
	s_andn2_saveexec_b32 s0, s0
	s_cbranch_execz .LBB92_410
; %bb.409:
	v_div_scale_f64 v[101:102], null, v[0:1], v[0:1], 1.0
	v_rcp_f64_e32 v[110:111], v[101:102]
	v_fma_f64 v[112:113], -v[101:102], v[110:111], 1.0
	v_fma_f64 v[110:111], v[110:111], v[112:113], v[110:111]
	v_fma_f64 v[112:113], -v[101:102], v[110:111], 1.0
	v_fma_f64 v[110:111], v[110:111], v[112:113], v[110:111]
	v_div_scale_f64 v[112:113], vcc_lo, 1.0, v[0:1], 1.0
	v_mul_f64 v[114:115], v[112:113], v[110:111]
	v_fma_f64 v[101:102], -v[101:102], v[114:115], v[112:113]
	v_div_fmas_f64 v[101:102], v[101:102], v[110:111], v[114:115]
	v_div_fixup_f64 v[0:1], v[101:102], v[0:1], 1.0
.LBB92_410:
	s_or_b32 exec_lo, exec_lo, s0
	s_mov_b32 s0, exec_lo
	v_cmpx_ne_u32_e64 v109, v100
	s_xor_b32 s0, exec_lo, s0
	s_cbranch_execz .LBB92_416
; %bb.411:
	s_mov_b32 s1, exec_lo
	v_cmpx_eq_u32_e32 24, v109
	s_cbranch_execz .LBB92_415
; %bb.412:
	v_cmp_ne_u32_e32 vcc_lo, 24, v100
	s_xor_b32 s2, s6, -1
	s_and_b32 s3, s2, vcc_lo
	s_and_saveexec_b32 s2, s3
	s_cbranch_execz .LBB92_414
; %bb.413:
	v_ashrrev_i32_e32 v101, 31, v100
	v_lshlrev_b64 v[101:102], 2, v[100:101]
	v_add_co_u32 v101, vcc_lo, v4, v101
	v_add_co_ci_u32_e64 v102, null, v5, v102, vcc_lo
	s_clause 0x1
	global_load_dword v108, v[101:102], off
	global_load_dword v109, v[4:5], off offset:96
	s_waitcnt vmcnt(1)
	global_store_dword v[4:5], v108, off offset:96
	s_waitcnt vmcnt(0)
	global_store_dword v[101:102], v109, off
.LBB92_414:
	s_or_b32 exec_lo, exec_lo, s2
	v_mov_b32_e32 v108, v100
	v_mov_b32_e32 v109, v100
.LBB92_415:
	s_or_b32 exec_lo, exec_lo, s1
.LBB92_416:
	s_andn2_saveexec_b32 s0, s0
	s_cbranch_execz .LBB92_418
; %bb.417:
	v_mov_b32_e32 v109, 24
	ds_write2_b64 v106, v[44:45], v[46:47] offset0:25 offset1:26
	ds_write2_b64 v106, v[42:43], v[40:41] offset0:27 offset1:28
	;; [unrolled: 1-line block ×11, first 2 shown]
.LBB92_418:
	s_or_b32 exec_lo, exec_lo, s0
	s_mov_b32 s0, exec_lo
	s_waitcnt lgkmcnt(0)
	s_waitcnt_vscnt null, 0x0
	s_barrier
	buffer_gl0_inv
	v_cmpx_lt_i32_e32 24, v109
	s_cbranch_execz .LBB92_420
; %bb.419:
	v_mul_f64 v[50:51], v[0:1], v[50:51]
	ds_read2_b64 v[110:113], v106 offset0:25 offset1:26
	ds_read2_b64 v[114:117], v106 offset0:27 offset1:28
	;; [unrolled: 1-line block ×11, first 2 shown]
	s_waitcnt lgkmcnt(10)
	v_fma_f64 v[44:45], -v[50:51], v[110:111], v[44:45]
	v_fma_f64 v[46:47], -v[50:51], v[112:113], v[46:47]
	s_waitcnt lgkmcnt(9)
	v_fma_f64 v[42:43], -v[50:51], v[114:115], v[42:43]
	v_fma_f64 v[40:41], -v[50:51], v[116:117], v[40:41]
	;; [unrolled: 3-line block ×11, first 2 shown]
.LBB92_420:
	s_or_b32 exec_lo, exec_lo, s0
	v_lshl_add_u32 v0, v109, 3, v106
	s_barrier
	buffer_gl0_inv
	v_mov_b32_e32 v100, 25
	ds_write_b64 v0, v[44:45]
	s_waitcnt lgkmcnt(0)
	s_barrier
	buffer_gl0_inv
	ds_read_b64 v[0:1], v106 offset:200
	s_cmp_lt_i32 s7, 27
	s_cbranch_scc1 .LBB92_423
; %bb.421:
	v_add3_u32 v101, v107, 0, 0xd0
	v_mov_b32_e32 v100, 25
	s_mov_b32 s0, 26
.LBB92_422:                             ; =>This Inner Loop Header: Depth=1
	ds_read_b64 v[110:111], v101
	v_add_nc_u32_e32 v101, 8, v101
	s_waitcnt lgkmcnt(0)
	v_cmp_lt_f64_e64 vcc_lo, |v[0:1]|, |v[110:111]|
	v_cndmask_b32_e32 v1, v1, v111, vcc_lo
	v_cndmask_b32_e32 v0, v0, v110, vcc_lo
	v_cndmask_b32_e64 v100, v100, s0, vcc_lo
	s_add_i32 s0, s0, 1
	s_cmp_lg_u32 s7, s0
	s_cbranch_scc1 .LBB92_422
.LBB92_423:
	s_mov_b32 s0, exec_lo
	s_waitcnt lgkmcnt(0)
	v_cmpx_eq_f64_e32 0, v[0:1]
	s_xor_b32 s0, exec_lo, s0
; %bb.424:
	v_cmp_ne_u32_e32 vcc_lo, 0, v103
	v_cndmask_b32_e32 v103, 26, v103, vcc_lo
; %bb.425:
	s_andn2_saveexec_b32 s0, s0
	s_cbranch_execz .LBB92_427
; %bb.426:
	v_div_scale_f64 v[101:102], null, v[0:1], v[0:1], 1.0
	v_rcp_f64_e32 v[110:111], v[101:102]
	v_fma_f64 v[112:113], -v[101:102], v[110:111], 1.0
	v_fma_f64 v[110:111], v[110:111], v[112:113], v[110:111]
	v_fma_f64 v[112:113], -v[101:102], v[110:111], 1.0
	v_fma_f64 v[110:111], v[110:111], v[112:113], v[110:111]
	v_div_scale_f64 v[112:113], vcc_lo, 1.0, v[0:1], 1.0
	v_mul_f64 v[114:115], v[112:113], v[110:111]
	v_fma_f64 v[101:102], -v[101:102], v[114:115], v[112:113]
	v_div_fmas_f64 v[101:102], v[101:102], v[110:111], v[114:115]
	v_div_fixup_f64 v[0:1], v[101:102], v[0:1], 1.0
.LBB92_427:
	s_or_b32 exec_lo, exec_lo, s0
	s_mov_b32 s0, exec_lo
	v_cmpx_ne_u32_e64 v109, v100
	s_xor_b32 s0, exec_lo, s0
	s_cbranch_execz .LBB92_433
; %bb.428:
	s_mov_b32 s1, exec_lo
	v_cmpx_eq_u32_e32 25, v109
	s_cbranch_execz .LBB92_432
; %bb.429:
	v_cmp_ne_u32_e32 vcc_lo, 25, v100
	s_xor_b32 s2, s6, -1
	s_and_b32 s3, s2, vcc_lo
	s_and_saveexec_b32 s2, s3
	s_cbranch_execz .LBB92_431
; %bb.430:
	v_ashrrev_i32_e32 v101, 31, v100
	v_lshlrev_b64 v[101:102], 2, v[100:101]
	v_add_co_u32 v101, vcc_lo, v4, v101
	v_add_co_ci_u32_e64 v102, null, v5, v102, vcc_lo
	s_clause 0x1
	global_load_dword v108, v[101:102], off
	global_load_dword v109, v[4:5], off offset:100
	s_waitcnt vmcnt(1)
	global_store_dword v[4:5], v108, off offset:100
	s_waitcnt vmcnt(0)
	global_store_dword v[101:102], v109, off
.LBB92_431:
	s_or_b32 exec_lo, exec_lo, s2
	v_mov_b32_e32 v108, v100
	v_mov_b32_e32 v109, v100
.LBB92_432:
	s_or_b32 exec_lo, exec_lo, s1
.LBB92_433:
	s_andn2_saveexec_b32 s0, s0
	s_cbranch_execz .LBB92_435
; %bb.434:
	v_mov_b32_e32 v100, v46
	v_mov_b32_e32 v101, v47
	;; [unrolled: 1-line block ×8, first 2 shown]
	ds_write2_b64 v106, v[100:101], v[109:110] offset0:26 offset1:27
	v_mov_b32_e32 v100, v38
	v_mov_b32_e32 v101, v39
	;; [unrolled: 1-line block ×16, first 2 shown]
	ds_write2_b64 v106, v[111:112], v[100:101] offset0:28 offset1:29
	ds_write2_b64 v106, v[109:110], v[113:114] offset0:30 offset1:31
	ds_write2_b64 v106, v[115:116], v[117:118] offset0:32 offset1:33
	ds_write2_b64 v106, v[119:120], v[121:122] offset0:34 offset1:35
	ds_write2_b64 v106, v[123:124], v[125:126] offset0:36 offset1:37
	v_mov_b32_e32 v100, v20
	v_mov_b32_e32 v101, v21
	v_mov_b32_e32 v109, v18
	v_mov_b32_e32 v110, v19
	v_mov_b32_e32 v111, v16
	v_mov_b32_e32 v112, v17
	v_mov_b32_e32 v113, v14
	v_mov_b32_e32 v114, v15
	ds_write2_b64 v106, v[100:101], v[109:110] offset0:38 offset1:39
	v_mov_b32_e32 v109, 25
	v_mov_b32_e32 v115, v12
	;; [unrolled: 1-line block ×9, first 2 shown]
	ds_write2_b64 v106, v[111:112], v[113:114] offset0:40 offset1:41
	ds_write2_b64 v106, v[115:116], v[117:118] offset0:42 offset1:43
	;; [unrolled: 1-line block ×3, first 2 shown]
	ds_write_b64 v106, v[98:99] offset:368
.LBB92_435:
	s_or_b32 exec_lo, exec_lo, s0
	s_mov_b32 s0, exec_lo
	s_waitcnt lgkmcnt(0)
	s_waitcnt_vscnt null, 0x0
	s_barrier
	buffer_gl0_inv
	v_cmpx_lt_i32_e32 25, v109
	s_cbranch_execz .LBB92_437
; %bb.436:
	v_mul_f64 v[44:45], v[0:1], v[44:45]
	ds_read2_b64 v[110:113], v106 offset0:26 offset1:27
	ds_read2_b64 v[114:117], v106 offset0:28 offset1:29
	;; [unrolled: 1-line block ×10, first 2 shown]
	ds_read_b64 v[0:1], v106 offset:368
	s_waitcnt lgkmcnt(10)
	v_fma_f64 v[46:47], -v[44:45], v[110:111], v[46:47]
	v_fma_f64 v[42:43], -v[44:45], v[112:113], v[42:43]
	s_waitcnt lgkmcnt(9)
	v_fma_f64 v[40:41], -v[44:45], v[114:115], v[40:41]
	v_fma_f64 v[38:39], -v[44:45], v[116:117], v[38:39]
	;; [unrolled: 3-line block ×10, first 2 shown]
	s_waitcnt lgkmcnt(0)
	v_fma_f64 v[98:99], -v[44:45], v[0:1], v[98:99]
.LBB92_437:
	s_or_b32 exec_lo, exec_lo, s0
	v_lshl_add_u32 v0, v109, 3, v106
	s_barrier
	buffer_gl0_inv
	v_mov_b32_e32 v100, 26
	ds_write_b64 v0, v[46:47]
	s_waitcnt lgkmcnt(0)
	s_barrier
	buffer_gl0_inv
	ds_read_b64 v[0:1], v106 offset:208
	s_cmp_lt_i32 s7, 28
	s_cbranch_scc1 .LBB92_440
; %bb.438:
	v_add3_u32 v101, v107, 0, 0xd8
	v_mov_b32_e32 v100, 26
	s_mov_b32 s0, 27
.LBB92_439:                             ; =>This Inner Loop Header: Depth=1
	ds_read_b64 v[110:111], v101
	v_add_nc_u32_e32 v101, 8, v101
	s_waitcnt lgkmcnt(0)
	v_cmp_lt_f64_e64 vcc_lo, |v[0:1]|, |v[110:111]|
	v_cndmask_b32_e32 v1, v1, v111, vcc_lo
	v_cndmask_b32_e32 v0, v0, v110, vcc_lo
	v_cndmask_b32_e64 v100, v100, s0, vcc_lo
	s_add_i32 s0, s0, 1
	s_cmp_lg_u32 s7, s0
	s_cbranch_scc1 .LBB92_439
.LBB92_440:
	s_mov_b32 s0, exec_lo
	s_waitcnt lgkmcnt(0)
	v_cmpx_eq_f64_e32 0, v[0:1]
	s_xor_b32 s0, exec_lo, s0
; %bb.441:
	v_cmp_ne_u32_e32 vcc_lo, 0, v103
	v_cndmask_b32_e32 v103, 27, v103, vcc_lo
; %bb.442:
	s_andn2_saveexec_b32 s0, s0
	s_cbranch_execz .LBB92_444
; %bb.443:
	v_div_scale_f64 v[101:102], null, v[0:1], v[0:1], 1.0
	v_rcp_f64_e32 v[110:111], v[101:102]
	v_fma_f64 v[112:113], -v[101:102], v[110:111], 1.0
	v_fma_f64 v[110:111], v[110:111], v[112:113], v[110:111]
	v_fma_f64 v[112:113], -v[101:102], v[110:111], 1.0
	v_fma_f64 v[110:111], v[110:111], v[112:113], v[110:111]
	v_div_scale_f64 v[112:113], vcc_lo, 1.0, v[0:1], 1.0
	v_mul_f64 v[114:115], v[112:113], v[110:111]
	v_fma_f64 v[101:102], -v[101:102], v[114:115], v[112:113]
	v_div_fmas_f64 v[101:102], v[101:102], v[110:111], v[114:115]
	v_div_fixup_f64 v[0:1], v[101:102], v[0:1], 1.0
.LBB92_444:
	s_or_b32 exec_lo, exec_lo, s0
	s_mov_b32 s0, exec_lo
	v_cmpx_ne_u32_e64 v109, v100
	s_xor_b32 s0, exec_lo, s0
	s_cbranch_execz .LBB92_450
; %bb.445:
	s_mov_b32 s1, exec_lo
	v_cmpx_eq_u32_e32 26, v109
	s_cbranch_execz .LBB92_449
; %bb.446:
	v_cmp_ne_u32_e32 vcc_lo, 26, v100
	s_xor_b32 s2, s6, -1
	s_and_b32 s3, s2, vcc_lo
	s_and_saveexec_b32 s2, s3
	s_cbranch_execz .LBB92_448
; %bb.447:
	v_ashrrev_i32_e32 v101, 31, v100
	v_lshlrev_b64 v[101:102], 2, v[100:101]
	v_add_co_u32 v101, vcc_lo, v4, v101
	v_add_co_ci_u32_e64 v102, null, v5, v102, vcc_lo
	s_clause 0x1
	global_load_dword v108, v[101:102], off
	global_load_dword v109, v[4:5], off offset:104
	s_waitcnt vmcnt(1)
	global_store_dword v[4:5], v108, off offset:104
	s_waitcnt vmcnt(0)
	global_store_dword v[101:102], v109, off
.LBB92_448:
	s_or_b32 exec_lo, exec_lo, s2
	v_mov_b32_e32 v108, v100
	v_mov_b32_e32 v109, v100
.LBB92_449:
	s_or_b32 exec_lo, exec_lo, s1
.LBB92_450:
	s_andn2_saveexec_b32 s0, s0
	s_cbranch_execz .LBB92_452
; %bb.451:
	v_mov_b32_e32 v109, 26
	ds_write2_b64 v106, v[42:43], v[40:41] offset0:27 offset1:28
	ds_write2_b64 v106, v[38:39], v[36:37] offset0:29 offset1:30
	;; [unrolled: 1-line block ×10, first 2 shown]
.LBB92_452:
	s_or_b32 exec_lo, exec_lo, s0
	s_mov_b32 s0, exec_lo
	s_waitcnt lgkmcnt(0)
	s_waitcnt_vscnt null, 0x0
	s_barrier
	buffer_gl0_inv
	v_cmpx_lt_i32_e32 26, v109
	s_cbranch_execz .LBB92_454
; %bb.453:
	v_mul_f64 v[46:47], v[0:1], v[46:47]
	ds_read2_b64 v[110:113], v106 offset0:27 offset1:28
	ds_read2_b64 v[114:117], v106 offset0:29 offset1:30
	;; [unrolled: 1-line block ×10, first 2 shown]
	s_waitcnt lgkmcnt(9)
	v_fma_f64 v[42:43], -v[46:47], v[110:111], v[42:43]
	v_fma_f64 v[40:41], -v[46:47], v[112:113], v[40:41]
	s_waitcnt lgkmcnt(8)
	v_fma_f64 v[38:39], -v[46:47], v[114:115], v[38:39]
	v_fma_f64 v[36:37], -v[46:47], v[116:117], v[36:37]
	;; [unrolled: 3-line block ×10, first 2 shown]
.LBB92_454:
	s_or_b32 exec_lo, exec_lo, s0
	v_lshl_add_u32 v0, v109, 3, v106
	s_barrier
	buffer_gl0_inv
	v_mov_b32_e32 v100, 27
	ds_write_b64 v0, v[42:43]
	s_waitcnt lgkmcnt(0)
	s_barrier
	buffer_gl0_inv
	ds_read_b64 v[0:1], v106 offset:216
	s_cmp_lt_i32 s7, 29
	s_cbranch_scc1 .LBB92_457
; %bb.455:
	v_add3_u32 v101, v107, 0, 0xe0
	v_mov_b32_e32 v100, 27
	s_mov_b32 s0, 28
.LBB92_456:                             ; =>This Inner Loop Header: Depth=1
	ds_read_b64 v[110:111], v101
	v_add_nc_u32_e32 v101, 8, v101
	s_waitcnt lgkmcnt(0)
	v_cmp_lt_f64_e64 vcc_lo, |v[0:1]|, |v[110:111]|
	v_cndmask_b32_e32 v1, v1, v111, vcc_lo
	v_cndmask_b32_e32 v0, v0, v110, vcc_lo
	v_cndmask_b32_e64 v100, v100, s0, vcc_lo
	s_add_i32 s0, s0, 1
	s_cmp_lg_u32 s7, s0
	s_cbranch_scc1 .LBB92_456
.LBB92_457:
	s_mov_b32 s0, exec_lo
	s_waitcnt lgkmcnt(0)
	v_cmpx_eq_f64_e32 0, v[0:1]
	s_xor_b32 s0, exec_lo, s0
; %bb.458:
	v_cmp_ne_u32_e32 vcc_lo, 0, v103
	v_cndmask_b32_e32 v103, 28, v103, vcc_lo
; %bb.459:
	s_andn2_saveexec_b32 s0, s0
	s_cbranch_execz .LBB92_461
; %bb.460:
	v_div_scale_f64 v[101:102], null, v[0:1], v[0:1], 1.0
	v_rcp_f64_e32 v[110:111], v[101:102]
	v_fma_f64 v[112:113], -v[101:102], v[110:111], 1.0
	v_fma_f64 v[110:111], v[110:111], v[112:113], v[110:111]
	v_fma_f64 v[112:113], -v[101:102], v[110:111], 1.0
	v_fma_f64 v[110:111], v[110:111], v[112:113], v[110:111]
	v_div_scale_f64 v[112:113], vcc_lo, 1.0, v[0:1], 1.0
	v_mul_f64 v[114:115], v[112:113], v[110:111]
	v_fma_f64 v[101:102], -v[101:102], v[114:115], v[112:113]
	v_div_fmas_f64 v[101:102], v[101:102], v[110:111], v[114:115]
	v_div_fixup_f64 v[0:1], v[101:102], v[0:1], 1.0
.LBB92_461:
	s_or_b32 exec_lo, exec_lo, s0
	s_mov_b32 s0, exec_lo
	v_cmpx_ne_u32_e64 v109, v100
	s_xor_b32 s0, exec_lo, s0
	s_cbranch_execz .LBB92_467
; %bb.462:
	s_mov_b32 s1, exec_lo
	v_cmpx_eq_u32_e32 27, v109
	s_cbranch_execz .LBB92_466
; %bb.463:
	v_cmp_ne_u32_e32 vcc_lo, 27, v100
	s_xor_b32 s2, s6, -1
	s_and_b32 s3, s2, vcc_lo
	s_and_saveexec_b32 s2, s3
	s_cbranch_execz .LBB92_465
; %bb.464:
	v_ashrrev_i32_e32 v101, 31, v100
	v_lshlrev_b64 v[101:102], 2, v[100:101]
	v_add_co_u32 v101, vcc_lo, v4, v101
	v_add_co_ci_u32_e64 v102, null, v5, v102, vcc_lo
	s_clause 0x1
	global_load_dword v108, v[101:102], off
	global_load_dword v109, v[4:5], off offset:108
	s_waitcnt vmcnt(1)
	global_store_dword v[4:5], v108, off offset:108
	s_waitcnt vmcnt(0)
	global_store_dword v[101:102], v109, off
.LBB92_465:
	s_or_b32 exec_lo, exec_lo, s2
	v_mov_b32_e32 v108, v100
	v_mov_b32_e32 v109, v100
.LBB92_466:
	s_or_b32 exec_lo, exec_lo, s1
.LBB92_467:
	s_andn2_saveexec_b32 s0, s0
	s_cbranch_execz .LBB92_469
; %bb.468:
	v_mov_b32_e32 v100, v40
	v_mov_b32_e32 v101, v41
	;; [unrolled: 1-line block ×20, first 2 shown]
	ds_write2_b64 v106, v[100:101], v[109:110] offset0:28 offset1:29
	ds_write2_b64 v106, v[111:112], v[113:114] offset0:30 offset1:31
	;; [unrolled: 1-line block ×5, first 2 shown]
	v_mov_b32_e32 v100, v20
	v_mov_b32_e32 v101, v21
	;; [unrolled: 1-line block ×8, first 2 shown]
	ds_write2_b64 v106, v[100:101], v[109:110] offset0:38 offset1:39
	v_mov_b32_e32 v109, 27
	v_mov_b32_e32 v115, v12
	v_mov_b32_e32 v116, v13
	v_mov_b32_e32 v117, v8
	v_mov_b32_e32 v118, v9
	v_mov_b32_e32 v119, v10
	v_mov_b32_e32 v120, v11
	v_mov_b32_e32 v121, v6
	v_mov_b32_e32 v122, v7
	ds_write2_b64 v106, v[111:112], v[113:114] offset0:40 offset1:41
	ds_write2_b64 v106, v[115:116], v[117:118] offset0:42 offset1:43
	;; [unrolled: 1-line block ×3, first 2 shown]
	ds_write_b64 v106, v[98:99] offset:368
.LBB92_469:
	s_or_b32 exec_lo, exec_lo, s0
	s_mov_b32 s0, exec_lo
	s_waitcnt lgkmcnt(0)
	s_waitcnt_vscnt null, 0x0
	s_barrier
	buffer_gl0_inv
	v_cmpx_lt_i32_e32 27, v109
	s_cbranch_execz .LBB92_471
; %bb.470:
	v_mul_f64 v[42:43], v[0:1], v[42:43]
	ds_read2_b64 v[110:113], v106 offset0:28 offset1:29
	ds_read2_b64 v[114:117], v106 offset0:30 offset1:31
	;; [unrolled: 1-line block ×9, first 2 shown]
	ds_read_b64 v[0:1], v106 offset:368
	s_waitcnt lgkmcnt(9)
	v_fma_f64 v[40:41], -v[42:43], v[110:111], v[40:41]
	v_fma_f64 v[38:39], -v[42:43], v[112:113], v[38:39]
	s_waitcnt lgkmcnt(8)
	v_fma_f64 v[36:37], -v[42:43], v[114:115], v[36:37]
	v_fma_f64 v[34:35], -v[42:43], v[116:117], v[34:35]
	;; [unrolled: 3-line block ×9, first 2 shown]
	s_waitcnt lgkmcnt(0)
	v_fma_f64 v[98:99], -v[42:43], v[0:1], v[98:99]
.LBB92_471:
	s_or_b32 exec_lo, exec_lo, s0
	v_lshl_add_u32 v0, v109, 3, v106
	s_barrier
	buffer_gl0_inv
	v_mov_b32_e32 v100, 28
	ds_write_b64 v0, v[40:41]
	s_waitcnt lgkmcnt(0)
	s_barrier
	buffer_gl0_inv
	ds_read_b64 v[0:1], v106 offset:224
	s_cmp_lt_i32 s7, 30
	s_cbranch_scc1 .LBB92_474
; %bb.472:
	v_add3_u32 v101, v107, 0, 0xe8
	v_mov_b32_e32 v100, 28
	s_mov_b32 s0, 29
.LBB92_473:                             ; =>This Inner Loop Header: Depth=1
	ds_read_b64 v[110:111], v101
	v_add_nc_u32_e32 v101, 8, v101
	s_waitcnt lgkmcnt(0)
	v_cmp_lt_f64_e64 vcc_lo, |v[0:1]|, |v[110:111]|
	v_cndmask_b32_e32 v1, v1, v111, vcc_lo
	v_cndmask_b32_e32 v0, v0, v110, vcc_lo
	v_cndmask_b32_e64 v100, v100, s0, vcc_lo
	s_add_i32 s0, s0, 1
	s_cmp_lg_u32 s7, s0
	s_cbranch_scc1 .LBB92_473
.LBB92_474:
	s_mov_b32 s0, exec_lo
	s_waitcnt lgkmcnt(0)
	v_cmpx_eq_f64_e32 0, v[0:1]
	s_xor_b32 s0, exec_lo, s0
; %bb.475:
	v_cmp_ne_u32_e32 vcc_lo, 0, v103
	v_cndmask_b32_e32 v103, 29, v103, vcc_lo
; %bb.476:
	s_andn2_saveexec_b32 s0, s0
	s_cbranch_execz .LBB92_478
; %bb.477:
	v_div_scale_f64 v[101:102], null, v[0:1], v[0:1], 1.0
	v_rcp_f64_e32 v[110:111], v[101:102]
	v_fma_f64 v[112:113], -v[101:102], v[110:111], 1.0
	v_fma_f64 v[110:111], v[110:111], v[112:113], v[110:111]
	v_fma_f64 v[112:113], -v[101:102], v[110:111], 1.0
	v_fma_f64 v[110:111], v[110:111], v[112:113], v[110:111]
	v_div_scale_f64 v[112:113], vcc_lo, 1.0, v[0:1], 1.0
	v_mul_f64 v[114:115], v[112:113], v[110:111]
	v_fma_f64 v[101:102], -v[101:102], v[114:115], v[112:113]
	v_div_fmas_f64 v[101:102], v[101:102], v[110:111], v[114:115]
	v_div_fixup_f64 v[0:1], v[101:102], v[0:1], 1.0
.LBB92_478:
	s_or_b32 exec_lo, exec_lo, s0
	s_mov_b32 s0, exec_lo
	v_cmpx_ne_u32_e64 v109, v100
	s_xor_b32 s0, exec_lo, s0
	s_cbranch_execz .LBB92_484
; %bb.479:
	s_mov_b32 s1, exec_lo
	v_cmpx_eq_u32_e32 28, v109
	s_cbranch_execz .LBB92_483
; %bb.480:
	v_cmp_ne_u32_e32 vcc_lo, 28, v100
	s_xor_b32 s2, s6, -1
	s_and_b32 s3, s2, vcc_lo
	s_and_saveexec_b32 s2, s3
	s_cbranch_execz .LBB92_482
; %bb.481:
	v_ashrrev_i32_e32 v101, 31, v100
	v_lshlrev_b64 v[101:102], 2, v[100:101]
	v_add_co_u32 v101, vcc_lo, v4, v101
	v_add_co_ci_u32_e64 v102, null, v5, v102, vcc_lo
	s_clause 0x1
	global_load_dword v108, v[101:102], off
	global_load_dword v109, v[4:5], off offset:112
	s_waitcnt vmcnt(1)
	global_store_dword v[4:5], v108, off offset:112
	s_waitcnt vmcnt(0)
	global_store_dword v[101:102], v109, off
.LBB92_482:
	s_or_b32 exec_lo, exec_lo, s2
	v_mov_b32_e32 v108, v100
	v_mov_b32_e32 v109, v100
.LBB92_483:
	s_or_b32 exec_lo, exec_lo, s1
.LBB92_484:
	s_andn2_saveexec_b32 s0, s0
	s_cbranch_execz .LBB92_486
; %bb.485:
	v_mov_b32_e32 v109, 28
	ds_write2_b64 v106, v[38:39], v[36:37] offset0:29 offset1:30
	ds_write2_b64 v106, v[34:35], v[32:33] offset0:31 offset1:32
	;; [unrolled: 1-line block ×9, first 2 shown]
.LBB92_486:
	s_or_b32 exec_lo, exec_lo, s0
	s_mov_b32 s0, exec_lo
	s_waitcnt lgkmcnt(0)
	s_waitcnt_vscnt null, 0x0
	s_barrier
	buffer_gl0_inv
	v_cmpx_lt_i32_e32 28, v109
	s_cbranch_execz .LBB92_488
; %bb.487:
	v_mul_f64 v[40:41], v[0:1], v[40:41]
	ds_read2_b64 v[110:113], v106 offset0:29 offset1:30
	ds_read2_b64 v[114:117], v106 offset0:31 offset1:32
	;; [unrolled: 1-line block ×9, first 2 shown]
	s_waitcnt lgkmcnt(8)
	v_fma_f64 v[38:39], -v[40:41], v[110:111], v[38:39]
	v_fma_f64 v[36:37], -v[40:41], v[112:113], v[36:37]
	s_waitcnt lgkmcnt(7)
	v_fma_f64 v[34:35], -v[40:41], v[114:115], v[34:35]
	v_fma_f64 v[32:33], -v[40:41], v[116:117], v[32:33]
	;; [unrolled: 3-line block ×9, first 2 shown]
.LBB92_488:
	s_or_b32 exec_lo, exec_lo, s0
	v_lshl_add_u32 v0, v109, 3, v106
	s_barrier
	buffer_gl0_inv
	v_mov_b32_e32 v100, 29
	ds_write_b64 v0, v[38:39]
	s_waitcnt lgkmcnt(0)
	s_barrier
	buffer_gl0_inv
	ds_read_b64 v[0:1], v106 offset:232
	s_cmp_lt_i32 s7, 31
	s_cbranch_scc1 .LBB92_491
; %bb.489:
	v_add3_u32 v101, v107, 0, 0xf0
	v_mov_b32_e32 v100, 29
	s_mov_b32 s0, 30
.LBB92_490:                             ; =>This Inner Loop Header: Depth=1
	ds_read_b64 v[110:111], v101
	v_add_nc_u32_e32 v101, 8, v101
	s_waitcnt lgkmcnt(0)
	v_cmp_lt_f64_e64 vcc_lo, |v[0:1]|, |v[110:111]|
	v_cndmask_b32_e32 v1, v1, v111, vcc_lo
	v_cndmask_b32_e32 v0, v0, v110, vcc_lo
	v_cndmask_b32_e64 v100, v100, s0, vcc_lo
	s_add_i32 s0, s0, 1
	s_cmp_lg_u32 s7, s0
	s_cbranch_scc1 .LBB92_490
.LBB92_491:
	s_mov_b32 s0, exec_lo
	s_waitcnt lgkmcnt(0)
	v_cmpx_eq_f64_e32 0, v[0:1]
	s_xor_b32 s0, exec_lo, s0
; %bb.492:
	v_cmp_ne_u32_e32 vcc_lo, 0, v103
	v_cndmask_b32_e32 v103, 30, v103, vcc_lo
; %bb.493:
	s_andn2_saveexec_b32 s0, s0
	s_cbranch_execz .LBB92_495
; %bb.494:
	v_div_scale_f64 v[101:102], null, v[0:1], v[0:1], 1.0
	v_rcp_f64_e32 v[110:111], v[101:102]
	v_fma_f64 v[112:113], -v[101:102], v[110:111], 1.0
	v_fma_f64 v[110:111], v[110:111], v[112:113], v[110:111]
	v_fma_f64 v[112:113], -v[101:102], v[110:111], 1.0
	v_fma_f64 v[110:111], v[110:111], v[112:113], v[110:111]
	v_div_scale_f64 v[112:113], vcc_lo, 1.0, v[0:1], 1.0
	v_mul_f64 v[114:115], v[112:113], v[110:111]
	v_fma_f64 v[101:102], -v[101:102], v[114:115], v[112:113]
	v_div_fmas_f64 v[101:102], v[101:102], v[110:111], v[114:115]
	v_div_fixup_f64 v[0:1], v[101:102], v[0:1], 1.0
.LBB92_495:
	s_or_b32 exec_lo, exec_lo, s0
	s_mov_b32 s0, exec_lo
	v_cmpx_ne_u32_e64 v109, v100
	s_xor_b32 s0, exec_lo, s0
	s_cbranch_execz .LBB92_501
; %bb.496:
	s_mov_b32 s1, exec_lo
	v_cmpx_eq_u32_e32 29, v109
	s_cbranch_execz .LBB92_500
; %bb.497:
	v_cmp_ne_u32_e32 vcc_lo, 29, v100
	s_xor_b32 s2, s6, -1
	s_and_b32 s3, s2, vcc_lo
	s_and_saveexec_b32 s2, s3
	s_cbranch_execz .LBB92_499
; %bb.498:
	v_ashrrev_i32_e32 v101, 31, v100
	v_lshlrev_b64 v[101:102], 2, v[100:101]
	v_add_co_u32 v101, vcc_lo, v4, v101
	v_add_co_ci_u32_e64 v102, null, v5, v102, vcc_lo
	s_clause 0x1
	global_load_dword v108, v[101:102], off
	global_load_dword v109, v[4:5], off offset:116
	s_waitcnt vmcnt(1)
	global_store_dword v[4:5], v108, off offset:116
	s_waitcnt vmcnt(0)
	global_store_dword v[101:102], v109, off
.LBB92_499:
	s_or_b32 exec_lo, exec_lo, s2
	v_mov_b32_e32 v108, v100
	v_mov_b32_e32 v109, v100
.LBB92_500:
	s_or_b32 exec_lo, exec_lo, s1
.LBB92_501:
	s_andn2_saveexec_b32 s0, s0
	s_cbranch_execz .LBB92_503
; %bb.502:
	v_mov_b32_e32 v100, v36
	v_mov_b32_e32 v101, v37
	;; [unrolled: 1-line block ×16, first 2 shown]
	ds_write2_b64 v106, v[100:101], v[109:110] offset0:30 offset1:31
	ds_write2_b64 v106, v[111:112], v[113:114] offset0:32 offset1:33
	;; [unrolled: 1-line block ×4, first 2 shown]
	v_mov_b32_e32 v100, v20
	v_mov_b32_e32 v101, v21
	;; [unrolled: 1-line block ×8, first 2 shown]
	ds_write2_b64 v106, v[100:101], v[109:110] offset0:38 offset1:39
	v_mov_b32_e32 v109, 29
	v_mov_b32_e32 v115, v12
	;; [unrolled: 1-line block ×9, first 2 shown]
	ds_write2_b64 v106, v[111:112], v[113:114] offset0:40 offset1:41
	ds_write2_b64 v106, v[115:116], v[117:118] offset0:42 offset1:43
	;; [unrolled: 1-line block ×3, first 2 shown]
	ds_write_b64 v106, v[98:99] offset:368
.LBB92_503:
	s_or_b32 exec_lo, exec_lo, s0
	s_mov_b32 s0, exec_lo
	s_waitcnt lgkmcnt(0)
	s_waitcnt_vscnt null, 0x0
	s_barrier
	buffer_gl0_inv
	v_cmpx_lt_i32_e32 29, v109
	s_cbranch_execz .LBB92_505
; %bb.504:
	v_mul_f64 v[38:39], v[0:1], v[38:39]
	ds_read2_b64 v[110:113], v106 offset0:30 offset1:31
	ds_read2_b64 v[114:117], v106 offset0:32 offset1:33
	;; [unrolled: 1-line block ×8, first 2 shown]
	ds_read_b64 v[0:1], v106 offset:368
	s_waitcnt lgkmcnt(8)
	v_fma_f64 v[36:37], -v[38:39], v[110:111], v[36:37]
	v_fma_f64 v[34:35], -v[38:39], v[112:113], v[34:35]
	s_waitcnt lgkmcnt(7)
	v_fma_f64 v[32:33], -v[38:39], v[114:115], v[32:33]
	v_fma_f64 v[28:29], -v[38:39], v[116:117], v[28:29]
	;; [unrolled: 3-line block ×8, first 2 shown]
	s_waitcnt lgkmcnt(0)
	v_fma_f64 v[98:99], -v[38:39], v[0:1], v[98:99]
.LBB92_505:
	s_or_b32 exec_lo, exec_lo, s0
	v_lshl_add_u32 v0, v109, 3, v106
	s_barrier
	buffer_gl0_inv
	v_mov_b32_e32 v100, 30
	ds_write_b64 v0, v[36:37]
	s_waitcnt lgkmcnt(0)
	s_barrier
	buffer_gl0_inv
	ds_read_b64 v[0:1], v106 offset:240
	s_cmp_lt_i32 s7, 32
	s_cbranch_scc1 .LBB92_508
; %bb.506:
	v_add3_u32 v101, v107, 0, 0xf8
	v_mov_b32_e32 v100, 30
	s_mov_b32 s0, 31
.LBB92_507:                             ; =>This Inner Loop Header: Depth=1
	ds_read_b64 v[110:111], v101
	v_add_nc_u32_e32 v101, 8, v101
	s_waitcnt lgkmcnt(0)
	v_cmp_lt_f64_e64 vcc_lo, |v[0:1]|, |v[110:111]|
	v_cndmask_b32_e32 v1, v1, v111, vcc_lo
	v_cndmask_b32_e32 v0, v0, v110, vcc_lo
	v_cndmask_b32_e64 v100, v100, s0, vcc_lo
	s_add_i32 s0, s0, 1
	s_cmp_lg_u32 s7, s0
	s_cbranch_scc1 .LBB92_507
.LBB92_508:
	s_mov_b32 s0, exec_lo
	s_waitcnt lgkmcnt(0)
	v_cmpx_eq_f64_e32 0, v[0:1]
	s_xor_b32 s0, exec_lo, s0
; %bb.509:
	v_cmp_ne_u32_e32 vcc_lo, 0, v103
	v_cndmask_b32_e32 v103, 31, v103, vcc_lo
; %bb.510:
	s_andn2_saveexec_b32 s0, s0
	s_cbranch_execz .LBB92_512
; %bb.511:
	v_div_scale_f64 v[101:102], null, v[0:1], v[0:1], 1.0
	v_rcp_f64_e32 v[110:111], v[101:102]
	v_fma_f64 v[112:113], -v[101:102], v[110:111], 1.0
	v_fma_f64 v[110:111], v[110:111], v[112:113], v[110:111]
	v_fma_f64 v[112:113], -v[101:102], v[110:111], 1.0
	v_fma_f64 v[110:111], v[110:111], v[112:113], v[110:111]
	v_div_scale_f64 v[112:113], vcc_lo, 1.0, v[0:1], 1.0
	v_mul_f64 v[114:115], v[112:113], v[110:111]
	v_fma_f64 v[101:102], -v[101:102], v[114:115], v[112:113]
	v_div_fmas_f64 v[101:102], v[101:102], v[110:111], v[114:115]
	v_div_fixup_f64 v[0:1], v[101:102], v[0:1], 1.0
.LBB92_512:
	s_or_b32 exec_lo, exec_lo, s0
	s_mov_b32 s0, exec_lo
	v_cmpx_ne_u32_e64 v109, v100
	s_xor_b32 s0, exec_lo, s0
	s_cbranch_execz .LBB92_518
; %bb.513:
	s_mov_b32 s1, exec_lo
	v_cmpx_eq_u32_e32 30, v109
	s_cbranch_execz .LBB92_517
; %bb.514:
	v_cmp_ne_u32_e32 vcc_lo, 30, v100
	s_xor_b32 s2, s6, -1
	s_and_b32 s3, s2, vcc_lo
	s_and_saveexec_b32 s2, s3
	s_cbranch_execz .LBB92_516
; %bb.515:
	v_ashrrev_i32_e32 v101, 31, v100
	v_lshlrev_b64 v[101:102], 2, v[100:101]
	v_add_co_u32 v101, vcc_lo, v4, v101
	v_add_co_ci_u32_e64 v102, null, v5, v102, vcc_lo
	s_clause 0x1
	global_load_dword v108, v[101:102], off
	global_load_dword v109, v[4:5], off offset:120
	s_waitcnt vmcnt(1)
	global_store_dword v[4:5], v108, off offset:120
	s_waitcnt vmcnt(0)
	global_store_dword v[101:102], v109, off
.LBB92_516:
	s_or_b32 exec_lo, exec_lo, s2
	v_mov_b32_e32 v108, v100
	v_mov_b32_e32 v109, v100
.LBB92_517:
	s_or_b32 exec_lo, exec_lo, s1
.LBB92_518:
	s_andn2_saveexec_b32 s0, s0
	s_cbranch_execz .LBB92_520
; %bb.519:
	v_mov_b32_e32 v109, 30
	ds_write2_b64 v106, v[34:35], v[32:33] offset0:31 offset1:32
	ds_write2_b64 v106, v[28:29], v[30:31] offset0:33 offset1:34
	;; [unrolled: 1-line block ×8, first 2 shown]
.LBB92_520:
	s_or_b32 exec_lo, exec_lo, s0
	s_mov_b32 s0, exec_lo
	s_waitcnt lgkmcnt(0)
	s_waitcnt_vscnt null, 0x0
	s_barrier
	buffer_gl0_inv
	v_cmpx_lt_i32_e32 30, v109
	s_cbranch_execz .LBB92_522
; %bb.521:
	v_mul_f64 v[36:37], v[0:1], v[36:37]
	ds_read2_b64 v[110:113], v106 offset0:31 offset1:32
	ds_read2_b64 v[114:117], v106 offset0:33 offset1:34
	;; [unrolled: 1-line block ×8, first 2 shown]
	s_waitcnt lgkmcnt(7)
	v_fma_f64 v[34:35], -v[36:37], v[110:111], v[34:35]
	v_fma_f64 v[32:33], -v[36:37], v[112:113], v[32:33]
	s_waitcnt lgkmcnt(6)
	v_fma_f64 v[28:29], -v[36:37], v[114:115], v[28:29]
	v_fma_f64 v[30:31], -v[36:37], v[116:117], v[30:31]
	;; [unrolled: 3-line block ×8, first 2 shown]
.LBB92_522:
	s_or_b32 exec_lo, exec_lo, s0
	v_lshl_add_u32 v0, v109, 3, v106
	s_barrier
	buffer_gl0_inv
	v_mov_b32_e32 v100, 31
	ds_write_b64 v0, v[34:35]
	s_waitcnt lgkmcnt(0)
	s_barrier
	buffer_gl0_inv
	ds_read_b64 v[0:1], v106 offset:248
	s_cmp_lt_i32 s7, 33
	s_cbranch_scc1 .LBB92_525
; %bb.523:
	v_add3_u32 v101, v107, 0, 0x100
	v_mov_b32_e32 v100, 31
	s_mov_b32 s0, 32
.LBB92_524:                             ; =>This Inner Loop Header: Depth=1
	ds_read_b64 v[110:111], v101
	v_add_nc_u32_e32 v101, 8, v101
	s_waitcnt lgkmcnt(0)
	v_cmp_lt_f64_e64 vcc_lo, |v[0:1]|, |v[110:111]|
	v_cndmask_b32_e32 v1, v1, v111, vcc_lo
	v_cndmask_b32_e32 v0, v0, v110, vcc_lo
	v_cndmask_b32_e64 v100, v100, s0, vcc_lo
	s_add_i32 s0, s0, 1
	s_cmp_lg_u32 s7, s0
	s_cbranch_scc1 .LBB92_524
.LBB92_525:
	s_mov_b32 s0, exec_lo
	s_waitcnt lgkmcnt(0)
	v_cmpx_eq_f64_e32 0, v[0:1]
	s_xor_b32 s0, exec_lo, s0
; %bb.526:
	v_cmp_ne_u32_e32 vcc_lo, 0, v103
	v_cndmask_b32_e32 v103, 32, v103, vcc_lo
; %bb.527:
	s_andn2_saveexec_b32 s0, s0
	s_cbranch_execz .LBB92_529
; %bb.528:
	v_div_scale_f64 v[101:102], null, v[0:1], v[0:1], 1.0
	v_rcp_f64_e32 v[110:111], v[101:102]
	v_fma_f64 v[112:113], -v[101:102], v[110:111], 1.0
	v_fma_f64 v[110:111], v[110:111], v[112:113], v[110:111]
	v_fma_f64 v[112:113], -v[101:102], v[110:111], 1.0
	v_fma_f64 v[110:111], v[110:111], v[112:113], v[110:111]
	v_div_scale_f64 v[112:113], vcc_lo, 1.0, v[0:1], 1.0
	v_mul_f64 v[114:115], v[112:113], v[110:111]
	v_fma_f64 v[101:102], -v[101:102], v[114:115], v[112:113]
	v_div_fmas_f64 v[101:102], v[101:102], v[110:111], v[114:115]
	v_div_fixup_f64 v[0:1], v[101:102], v[0:1], 1.0
.LBB92_529:
	s_or_b32 exec_lo, exec_lo, s0
	s_mov_b32 s0, exec_lo
	v_cmpx_ne_u32_e64 v109, v100
	s_xor_b32 s0, exec_lo, s0
	s_cbranch_execz .LBB92_535
; %bb.530:
	s_mov_b32 s1, exec_lo
	v_cmpx_eq_u32_e32 31, v109
	s_cbranch_execz .LBB92_534
; %bb.531:
	v_cmp_ne_u32_e32 vcc_lo, 31, v100
	s_xor_b32 s2, s6, -1
	s_and_b32 s3, s2, vcc_lo
	s_and_saveexec_b32 s2, s3
	s_cbranch_execz .LBB92_533
; %bb.532:
	v_ashrrev_i32_e32 v101, 31, v100
	v_lshlrev_b64 v[101:102], 2, v[100:101]
	v_add_co_u32 v101, vcc_lo, v4, v101
	v_add_co_ci_u32_e64 v102, null, v5, v102, vcc_lo
	s_clause 0x1
	global_load_dword v108, v[101:102], off
	global_load_dword v109, v[4:5], off offset:124
	s_waitcnt vmcnt(1)
	global_store_dword v[4:5], v108, off offset:124
	s_waitcnt vmcnt(0)
	global_store_dword v[101:102], v109, off
.LBB92_533:
	s_or_b32 exec_lo, exec_lo, s2
	v_mov_b32_e32 v108, v100
	v_mov_b32_e32 v109, v100
.LBB92_534:
	s_or_b32 exec_lo, exec_lo, s1
.LBB92_535:
	s_andn2_saveexec_b32 s0, s0
	s_cbranch_execz .LBB92_537
; %bb.536:
	v_mov_b32_e32 v100, v32
	v_mov_b32_e32 v101, v33
	;; [unrolled: 1-line block ×12, first 2 shown]
	ds_write2_b64 v106, v[100:101], v[109:110] offset0:32 offset1:33
	ds_write2_b64 v106, v[111:112], v[113:114] offset0:34 offset1:35
	;; [unrolled: 1-line block ×3, first 2 shown]
	v_mov_b32_e32 v100, v20
	v_mov_b32_e32 v101, v21
	;; [unrolled: 1-line block ×8, first 2 shown]
	ds_write2_b64 v106, v[100:101], v[109:110] offset0:38 offset1:39
	v_mov_b32_e32 v109, 31
	v_mov_b32_e32 v115, v12
	;; [unrolled: 1-line block ×9, first 2 shown]
	ds_write2_b64 v106, v[111:112], v[113:114] offset0:40 offset1:41
	ds_write2_b64 v106, v[115:116], v[117:118] offset0:42 offset1:43
	;; [unrolled: 1-line block ×3, first 2 shown]
	ds_write_b64 v106, v[98:99] offset:368
.LBB92_537:
	s_or_b32 exec_lo, exec_lo, s0
	s_mov_b32 s0, exec_lo
	s_waitcnt lgkmcnt(0)
	s_waitcnt_vscnt null, 0x0
	s_barrier
	buffer_gl0_inv
	v_cmpx_lt_i32_e32 31, v109
	s_cbranch_execz .LBB92_539
; %bb.538:
	v_mul_f64 v[34:35], v[0:1], v[34:35]
	ds_read2_b64 v[110:113], v106 offset0:32 offset1:33
	ds_read2_b64 v[114:117], v106 offset0:34 offset1:35
	;; [unrolled: 1-line block ×7, first 2 shown]
	ds_read_b64 v[0:1], v106 offset:368
	s_waitcnt lgkmcnt(7)
	v_fma_f64 v[32:33], -v[34:35], v[110:111], v[32:33]
	v_fma_f64 v[28:29], -v[34:35], v[112:113], v[28:29]
	s_waitcnt lgkmcnt(6)
	v_fma_f64 v[30:31], -v[34:35], v[114:115], v[30:31]
	v_fma_f64 v[24:25], -v[34:35], v[116:117], v[24:25]
	;; [unrolled: 3-line block ×7, first 2 shown]
	s_waitcnt lgkmcnt(0)
	v_fma_f64 v[98:99], -v[34:35], v[0:1], v[98:99]
.LBB92_539:
	s_or_b32 exec_lo, exec_lo, s0
	v_lshl_add_u32 v0, v109, 3, v106
	s_barrier
	buffer_gl0_inv
	v_mov_b32_e32 v100, 32
	ds_write_b64 v0, v[32:33]
	s_waitcnt lgkmcnt(0)
	s_barrier
	buffer_gl0_inv
	ds_read_b64 v[0:1], v106 offset:256
	s_cmp_lt_i32 s7, 34
	s_cbranch_scc1 .LBB92_542
; %bb.540:
	v_add3_u32 v101, v107, 0, 0x108
	v_mov_b32_e32 v100, 32
	s_mov_b32 s0, 33
.LBB92_541:                             ; =>This Inner Loop Header: Depth=1
	ds_read_b64 v[110:111], v101
	v_add_nc_u32_e32 v101, 8, v101
	s_waitcnt lgkmcnt(0)
	v_cmp_lt_f64_e64 vcc_lo, |v[0:1]|, |v[110:111]|
	v_cndmask_b32_e32 v1, v1, v111, vcc_lo
	v_cndmask_b32_e32 v0, v0, v110, vcc_lo
	v_cndmask_b32_e64 v100, v100, s0, vcc_lo
	s_add_i32 s0, s0, 1
	s_cmp_lg_u32 s7, s0
	s_cbranch_scc1 .LBB92_541
.LBB92_542:
	s_mov_b32 s0, exec_lo
	s_waitcnt lgkmcnt(0)
	v_cmpx_eq_f64_e32 0, v[0:1]
	s_xor_b32 s0, exec_lo, s0
; %bb.543:
	v_cmp_ne_u32_e32 vcc_lo, 0, v103
	v_cndmask_b32_e32 v103, 33, v103, vcc_lo
; %bb.544:
	s_andn2_saveexec_b32 s0, s0
	s_cbranch_execz .LBB92_546
; %bb.545:
	v_div_scale_f64 v[101:102], null, v[0:1], v[0:1], 1.0
	v_rcp_f64_e32 v[110:111], v[101:102]
	v_fma_f64 v[112:113], -v[101:102], v[110:111], 1.0
	v_fma_f64 v[110:111], v[110:111], v[112:113], v[110:111]
	v_fma_f64 v[112:113], -v[101:102], v[110:111], 1.0
	v_fma_f64 v[110:111], v[110:111], v[112:113], v[110:111]
	v_div_scale_f64 v[112:113], vcc_lo, 1.0, v[0:1], 1.0
	v_mul_f64 v[114:115], v[112:113], v[110:111]
	v_fma_f64 v[101:102], -v[101:102], v[114:115], v[112:113]
	v_div_fmas_f64 v[101:102], v[101:102], v[110:111], v[114:115]
	v_div_fixup_f64 v[0:1], v[101:102], v[0:1], 1.0
.LBB92_546:
	s_or_b32 exec_lo, exec_lo, s0
	s_mov_b32 s0, exec_lo
	v_cmpx_ne_u32_e64 v109, v100
	s_xor_b32 s0, exec_lo, s0
	s_cbranch_execz .LBB92_552
; %bb.547:
	s_mov_b32 s1, exec_lo
	v_cmpx_eq_u32_e32 32, v109
	s_cbranch_execz .LBB92_551
; %bb.548:
	v_cmp_ne_u32_e32 vcc_lo, 32, v100
	s_xor_b32 s2, s6, -1
	s_and_b32 s3, s2, vcc_lo
	s_and_saveexec_b32 s2, s3
	s_cbranch_execz .LBB92_550
; %bb.549:
	v_ashrrev_i32_e32 v101, 31, v100
	v_lshlrev_b64 v[101:102], 2, v[100:101]
	v_add_co_u32 v101, vcc_lo, v4, v101
	v_add_co_ci_u32_e64 v102, null, v5, v102, vcc_lo
	s_clause 0x1
	global_load_dword v108, v[101:102], off
	global_load_dword v109, v[4:5], off offset:128
	s_waitcnt vmcnt(1)
	global_store_dword v[4:5], v108, off offset:128
	s_waitcnt vmcnt(0)
	global_store_dword v[101:102], v109, off
.LBB92_550:
	s_or_b32 exec_lo, exec_lo, s2
	v_mov_b32_e32 v108, v100
	v_mov_b32_e32 v109, v100
.LBB92_551:
	s_or_b32 exec_lo, exec_lo, s1
.LBB92_552:
	s_andn2_saveexec_b32 s0, s0
	s_cbranch_execz .LBB92_554
; %bb.553:
	v_mov_b32_e32 v109, 32
	ds_write2_b64 v106, v[28:29], v[30:31] offset0:33 offset1:34
	ds_write2_b64 v106, v[24:25], v[26:27] offset0:35 offset1:36
	;; [unrolled: 1-line block ×7, first 2 shown]
.LBB92_554:
	s_or_b32 exec_lo, exec_lo, s0
	s_mov_b32 s0, exec_lo
	s_waitcnt lgkmcnt(0)
	s_waitcnt_vscnt null, 0x0
	s_barrier
	buffer_gl0_inv
	v_cmpx_lt_i32_e32 32, v109
	s_cbranch_execz .LBB92_556
; %bb.555:
	v_mul_f64 v[32:33], v[0:1], v[32:33]
	ds_read2_b64 v[110:113], v106 offset0:33 offset1:34
	ds_read2_b64 v[114:117], v106 offset0:35 offset1:36
	;; [unrolled: 1-line block ×7, first 2 shown]
	s_waitcnt lgkmcnt(6)
	v_fma_f64 v[28:29], -v[32:33], v[110:111], v[28:29]
	v_fma_f64 v[30:31], -v[32:33], v[112:113], v[30:31]
	s_waitcnt lgkmcnt(5)
	v_fma_f64 v[24:25], -v[32:33], v[114:115], v[24:25]
	v_fma_f64 v[26:27], -v[32:33], v[116:117], v[26:27]
	;; [unrolled: 3-line block ×7, first 2 shown]
.LBB92_556:
	s_or_b32 exec_lo, exec_lo, s0
	v_lshl_add_u32 v0, v109, 3, v106
	s_barrier
	buffer_gl0_inv
	v_mov_b32_e32 v100, 33
	ds_write_b64 v0, v[28:29]
	s_waitcnt lgkmcnt(0)
	s_barrier
	buffer_gl0_inv
	ds_read_b64 v[0:1], v106 offset:264
	s_cmp_lt_i32 s7, 35
	s_cbranch_scc1 .LBB92_559
; %bb.557:
	v_add3_u32 v101, v107, 0, 0x110
	v_mov_b32_e32 v100, 33
	s_mov_b32 s0, 34
.LBB92_558:                             ; =>This Inner Loop Header: Depth=1
	ds_read_b64 v[110:111], v101
	v_add_nc_u32_e32 v101, 8, v101
	s_waitcnt lgkmcnt(0)
	v_cmp_lt_f64_e64 vcc_lo, |v[0:1]|, |v[110:111]|
	v_cndmask_b32_e32 v1, v1, v111, vcc_lo
	v_cndmask_b32_e32 v0, v0, v110, vcc_lo
	v_cndmask_b32_e64 v100, v100, s0, vcc_lo
	s_add_i32 s0, s0, 1
	s_cmp_lg_u32 s7, s0
	s_cbranch_scc1 .LBB92_558
.LBB92_559:
	s_mov_b32 s0, exec_lo
	s_waitcnt lgkmcnt(0)
	v_cmpx_eq_f64_e32 0, v[0:1]
	s_xor_b32 s0, exec_lo, s0
; %bb.560:
	v_cmp_ne_u32_e32 vcc_lo, 0, v103
	v_cndmask_b32_e32 v103, 34, v103, vcc_lo
; %bb.561:
	s_andn2_saveexec_b32 s0, s0
	s_cbranch_execz .LBB92_563
; %bb.562:
	v_div_scale_f64 v[101:102], null, v[0:1], v[0:1], 1.0
	v_rcp_f64_e32 v[110:111], v[101:102]
	v_fma_f64 v[112:113], -v[101:102], v[110:111], 1.0
	v_fma_f64 v[110:111], v[110:111], v[112:113], v[110:111]
	v_fma_f64 v[112:113], -v[101:102], v[110:111], 1.0
	v_fma_f64 v[110:111], v[110:111], v[112:113], v[110:111]
	v_div_scale_f64 v[112:113], vcc_lo, 1.0, v[0:1], 1.0
	v_mul_f64 v[114:115], v[112:113], v[110:111]
	v_fma_f64 v[101:102], -v[101:102], v[114:115], v[112:113]
	v_div_fmas_f64 v[101:102], v[101:102], v[110:111], v[114:115]
	v_div_fixup_f64 v[0:1], v[101:102], v[0:1], 1.0
.LBB92_563:
	s_or_b32 exec_lo, exec_lo, s0
	s_mov_b32 s0, exec_lo
	v_cmpx_ne_u32_e64 v109, v100
	s_xor_b32 s0, exec_lo, s0
	s_cbranch_execz .LBB92_569
; %bb.564:
	s_mov_b32 s1, exec_lo
	v_cmpx_eq_u32_e32 33, v109
	s_cbranch_execz .LBB92_568
; %bb.565:
	v_cmp_ne_u32_e32 vcc_lo, 33, v100
	s_xor_b32 s2, s6, -1
	s_and_b32 s3, s2, vcc_lo
	s_and_saveexec_b32 s2, s3
	s_cbranch_execz .LBB92_567
; %bb.566:
	v_ashrrev_i32_e32 v101, 31, v100
	v_lshlrev_b64 v[101:102], 2, v[100:101]
	v_add_co_u32 v101, vcc_lo, v4, v101
	v_add_co_ci_u32_e64 v102, null, v5, v102, vcc_lo
	s_clause 0x1
	global_load_dword v108, v[101:102], off
	global_load_dword v109, v[4:5], off offset:132
	s_waitcnt vmcnt(1)
	global_store_dword v[4:5], v108, off offset:132
	s_waitcnt vmcnt(0)
	global_store_dword v[101:102], v109, off
.LBB92_567:
	s_or_b32 exec_lo, exec_lo, s2
	v_mov_b32_e32 v108, v100
	v_mov_b32_e32 v109, v100
.LBB92_568:
	s_or_b32 exec_lo, exec_lo, s1
.LBB92_569:
	s_andn2_saveexec_b32 s0, s0
	s_cbranch_execz .LBB92_571
; %bb.570:
	v_mov_b32_e32 v100, v30
	v_mov_b32_e32 v101, v31
	;; [unrolled: 1-line block ×8, first 2 shown]
	ds_write2_b64 v106, v[100:101], v[109:110] offset0:34 offset1:35
	ds_write2_b64 v106, v[111:112], v[113:114] offset0:36 offset1:37
	v_mov_b32_e32 v100, v20
	v_mov_b32_e32 v101, v21
	;; [unrolled: 1-line block ×8, first 2 shown]
	ds_write2_b64 v106, v[100:101], v[109:110] offset0:38 offset1:39
	v_mov_b32_e32 v109, 33
	v_mov_b32_e32 v115, v12
	;; [unrolled: 1-line block ×9, first 2 shown]
	ds_write2_b64 v106, v[111:112], v[113:114] offset0:40 offset1:41
	ds_write2_b64 v106, v[115:116], v[117:118] offset0:42 offset1:43
	;; [unrolled: 1-line block ×3, first 2 shown]
	ds_write_b64 v106, v[98:99] offset:368
.LBB92_571:
	s_or_b32 exec_lo, exec_lo, s0
	s_mov_b32 s0, exec_lo
	s_waitcnt lgkmcnt(0)
	s_waitcnt_vscnt null, 0x0
	s_barrier
	buffer_gl0_inv
	v_cmpx_lt_i32_e32 33, v109
	s_cbranch_execz .LBB92_573
; %bb.572:
	v_mul_f64 v[28:29], v[0:1], v[28:29]
	ds_read2_b64 v[110:113], v106 offset0:34 offset1:35
	ds_read2_b64 v[114:117], v106 offset0:36 offset1:37
	;; [unrolled: 1-line block ×6, first 2 shown]
	ds_read_b64 v[0:1], v106 offset:368
	s_waitcnt lgkmcnt(6)
	v_fma_f64 v[30:31], -v[28:29], v[110:111], v[30:31]
	v_fma_f64 v[24:25], -v[28:29], v[112:113], v[24:25]
	s_waitcnt lgkmcnt(5)
	v_fma_f64 v[26:27], -v[28:29], v[114:115], v[26:27]
	v_fma_f64 v[22:23], -v[28:29], v[116:117], v[22:23]
	s_waitcnt lgkmcnt(4)
	v_fma_f64 v[20:21], -v[28:29], v[118:119], v[20:21]
	v_fma_f64 v[18:19], -v[28:29], v[120:121], v[18:19]
	s_waitcnt lgkmcnt(3)
	v_fma_f64 v[16:17], -v[28:29], v[122:123], v[16:17]
	v_fma_f64 v[14:15], -v[28:29], v[124:125], v[14:15]
	s_waitcnt lgkmcnt(2)
	v_fma_f64 v[12:13], -v[28:29], v[126:127], v[12:13]
	v_fma_f64 v[8:9], -v[28:29], v[128:129], v[8:9]
	s_waitcnt lgkmcnt(1)
	v_fma_f64 v[10:11], -v[28:29], v[130:131], v[10:11]
	v_fma_f64 v[6:7], -v[28:29], v[132:133], v[6:7]
	s_waitcnt lgkmcnt(0)
	v_fma_f64 v[98:99], -v[28:29], v[0:1], v[98:99]
.LBB92_573:
	s_or_b32 exec_lo, exec_lo, s0
	v_lshl_add_u32 v0, v109, 3, v106
	s_barrier
	buffer_gl0_inv
	v_mov_b32_e32 v100, 34
	ds_write_b64 v0, v[30:31]
	s_waitcnt lgkmcnt(0)
	s_barrier
	buffer_gl0_inv
	ds_read_b64 v[0:1], v106 offset:272
	s_cmp_lt_i32 s7, 36
	s_cbranch_scc1 .LBB92_576
; %bb.574:
	v_add3_u32 v101, v107, 0, 0x118
	v_mov_b32_e32 v100, 34
	s_mov_b32 s0, 35
.LBB92_575:                             ; =>This Inner Loop Header: Depth=1
	ds_read_b64 v[110:111], v101
	v_add_nc_u32_e32 v101, 8, v101
	s_waitcnt lgkmcnt(0)
	v_cmp_lt_f64_e64 vcc_lo, |v[0:1]|, |v[110:111]|
	v_cndmask_b32_e32 v1, v1, v111, vcc_lo
	v_cndmask_b32_e32 v0, v0, v110, vcc_lo
	v_cndmask_b32_e64 v100, v100, s0, vcc_lo
	s_add_i32 s0, s0, 1
	s_cmp_lg_u32 s7, s0
	s_cbranch_scc1 .LBB92_575
.LBB92_576:
	s_mov_b32 s0, exec_lo
	s_waitcnt lgkmcnt(0)
	v_cmpx_eq_f64_e32 0, v[0:1]
	s_xor_b32 s0, exec_lo, s0
; %bb.577:
	v_cmp_ne_u32_e32 vcc_lo, 0, v103
	v_cndmask_b32_e32 v103, 35, v103, vcc_lo
; %bb.578:
	s_andn2_saveexec_b32 s0, s0
	s_cbranch_execz .LBB92_580
; %bb.579:
	v_div_scale_f64 v[101:102], null, v[0:1], v[0:1], 1.0
	v_rcp_f64_e32 v[110:111], v[101:102]
	v_fma_f64 v[112:113], -v[101:102], v[110:111], 1.0
	v_fma_f64 v[110:111], v[110:111], v[112:113], v[110:111]
	v_fma_f64 v[112:113], -v[101:102], v[110:111], 1.0
	v_fma_f64 v[110:111], v[110:111], v[112:113], v[110:111]
	v_div_scale_f64 v[112:113], vcc_lo, 1.0, v[0:1], 1.0
	v_mul_f64 v[114:115], v[112:113], v[110:111]
	v_fma_f64 v[101:102], -v[101:102], v[114:115], v[112:113]
	v_div_fmas_f64 v[101:102], v[101:102], v[110:111], v[114:115]
	v_div_fixup_f64 v[0:1], v[101:102], v[0:1], 1.0
.LBB92_580:
	s_or_b32 exec_lo, exec_lo, s0
	s_mov_b32 s0, exec_lo
	v_cmpx_ne_u32_e64 v109, v100
	s_xor_b32 s0, exec_lo, s0
	s_cbranch_execz .LBB92_586
; %bb.581:
	s_mov_b32 s1, exec_lo
	v_cmpx_eq_u32_e32 34, v109
	s_cbranch_execz .LBB92_585
; %bb.582:
	v_cmp_ne_u32_e32 vcc_lo, 34, v100
	s_xor_b32 s2, s6, -1
	s_and_b32 s3, s2, vcc_lo
	s_and_saveexec_b32 s2, s3
	s_cbranch_execz .LBB92_584
; %bb.583:
	v_ashrrev_i32_e32 v101, 31, v100
	v_lshlrev_b64 v[101:102], 2, v[100:101]
	v_add_co_u32 v101, vcc_lo, v4, v101
	v_add_co_ci_u32_e64 v102, null, v5, v102, vcc_lo
	s_clause 0x1
	global_load_dword v108, v[101:102], off
	global_load_dword v109, v[4:5], off offset:136
	s_waitcnt vmcnt(1)
	global_store_dword v[4:5], v108, off offset:136
	s_waitcnt vmcnt(0)
	global_store_dword v[101:102], v109, off
.LBB92_584:
	s_or_b32 exec_lo, exec_lo, s2
	v_mov_b32_e32 v108, v100
	v_mov_b32_e32 v109, v100
.LBB92_585:
	s_or_b32 exec_lo, exec_lo, s1
.LBB92_586:
	s_andn2_saveexec_b32 s0, s0
	s_cbranch_execz .LBB92_588
; %bb.587:
	v_mov_b32_e32 v109, 34
	ds_write2_b64 v106, v[24:25], v[26:27] offset0:35 offset1:36
	ds_write2_b64 v106, v[22:23], v[20:21] offset0:37 offset1:38
	;; [unrolled: 1-line block ×6, first 2 shown]
.LBB92_588:
	s_or_b32 exec_lo, exec_lo, s0
	s_mov_b32 s0, exec_lo
	s_waitcnt lgkmcnt(0)
	s_waitcnt_vscnt null, 0x0
	s_barrier
	buffer_gl0_inv
	v_cmpx_lt_i32_e32 34, v109
	s_cbranch_execz .LBB92_590
; %bb.589:
	v_mul_f64 v[30:31], v[0:1], v[30:31]
	ds_read2_b64 v[110:113], v106 offset0:35 offset1:36
	ds_read2_b64 v[114:117], v106 offset0:37 offset1:38
	;; [unrolled: 1-line block ×6, first 2 shown]
	s_waitcnt lgkmcnt(5)
	v_fma_f64 v[24:25], -v[30:31], v[110:111], v[24:25]
	v_fma_f64 v[26:27], -v[30:31], v[112:113], v[26:27]
	s_waitcnt lgkmcnt(4)
	v_fma_f64 v[22:23], -v[30:31], v[114:115], v[22:23]
	v_fma_f64 v[20:21], -v[30:31], v[116:117], v[20:21]
	;; [unrolled: 3-line block ×6, first 2 shown]
.LBB92_590:
	s_or_b32 exec_lo, exec_lo, s0
	v_lshl_add_u32 v0, v109, 3, v106
	s_barrier
	buffer_gl0_inv
	v_mov_b32_e32 v100, 35
	ds_write_b64 v0, v[24:25]
	s_waitcnt lgkmcnt(0)
	s_barrier
	buffer_gl0_inv
	ds_read_b64 v[0:1], v106 offset:280
	s_cmp_lt_i32 s7, 37
	s_cbranch_scc1 .LBB92_593
; %bb.591:
	v_add3_u32 v101, v107, 0, 0x120
	v_mov_b32_e32 v100, 35
	s_mov_b32 s0, 36
.LBB92_592:                             ; =>This Inner Loop Header: Depth=1
	ds_read_b64 v[110:111], v101
	v_add_nc_u32_e32 v101, 8, v101
	s_waitcnt lgkmcnt(0)
	v_cmp_lt_f64_e64 vcc_lo, |v[0:1]|, |v[110:111]|
	v_cndmask_b32_e32 v1, v1, v111, vcc_lo
	v_cndmask_b32_e32 v0, v0, v110, vcc_lo
	v_cndmask_b32_e64 v100, v100, s0, vcc_lo
	s_add_i32 s0, s0, 1
	s_cmp_lg_u32 s7, s0
	s_cbranch_scc1 .LBB92_592
.LBB92_593:
	s_mov_b32 s0, exec_lo
	s_waitcnt lgkmcnt(0)
	v_cmpx_eq_f64_e32 0, v[0:1]
	s_xor_b32 s0, exec_lo, s0
; %bb.594:
	v_cmp_ne_u32_e32 vcc_lo, 0, v103
	v_cndmask_b32_e32 v103, 36, v103, vcc_lo
; %bb.595:
	s_andn2_saveexec_b32 s0, s0
	s_cbranch_execz .LBB92_597
; %bb.596:
	v_div_scale_f64 v[101:102], null, v[0:1], v[0:1], 1.0
	v_rcp_f64_e32 v[110:111], v[101:102]
	v_fma_f64 v[112:113], -v[101:102], v[110:111], 1.0
	v_fma_f64 v[110:111], v[110:111], v[112:113], v[110:111]
	v_fma_f64 v[112:113], -v[101:102], v[110:111], 1.0
	v_fma_f64 v[110:111], v[110:111], v[112:113], v[110:111]
	v_div_scale_f64 v[112:113], vcc_lo, 1.0, v[0:1], 1.0
	v_mul_f64 v[114:115], v[112:113], v[110:111]
	v_fma_f64 v[101:102], -v[101:102], v[114:115], v[112:113]
	v_div_fmas_f64 v[101:102], v[101:102], v[110:111], v[114:115]
	v_div_fixup_f64 v[0:1], v[101:102], v[0:1], 1.0
.LBB92_597:
	s_or_b32 exec_lo, exec_lo, s0
	s_mov_b32 s0, exec_lo
	v_cmpx_ne_u32_e64 v109, v100
	s_xor_b32 s0, exec_lo, s0
	s_cbranch_execz .LBB92_603
; %bb.598:
	s_mov_b32 s1, exec_lo
	v_cmpx_eq_u32_e32 35, v109
	s_cbranch_execz .LBB92_602
; %bb.599:
	v_cmp_ne_u32_e32 vcc_lo, 35, v100
	s_xor_b32 s2, s6, -1
	s_and_b32 s3, s2, vcc_lo
	s_and_saveexec_b32 s2, s3
	s_cbranch_execz .LBB92_601
; %bb.600:
	v_ashrrev_i32_e32 v101, 31, v100
	v_lshlrev_b64 v[101:102], 2, v[100:101]
	v_add_co_u32 v101, vcc_lo, v4, v101
	v_add_co_ci_u32_e64 v102, null, v5, v102, vcc_lo
	s_clause 0x1
	global_load_dword v108, v[101:102], off
	global_load_dword v109, v[4:5], off offset:140
	s_waitcnt vmcnt(1)
	global_store_dword v[4:5], v108, off offset:140
	s_waitcnt vmcnt(0)
	global_store_dword v[101:102], v109, off
.LBB92_601:
	s_or_b32 exec_lo, exec_lo, s2
	v_mov_b32_e32 v108, v100
	v_mov_b32_e32 v109, v100
.LBB92_602:
	s_or_b32 exec_lo, exec_lo, s1
.LBB92_603:
	s_andn2_saveexec_b32 s0, s0
	s_cbranch_execz .LBB92_605
; %bb.604:
	v_mov_b32_e32 v100, v26
	v_mov_b32_e32 v101, v27
	;; [unrolled: 1-line block ×8, first 2 shown]
	ds_write2_b64 v106, v[100:101], v[109:110] offset0:36 offset1:37
	v_mov_b32_e32 v100, v18
	v_mov_b32_e32 v101, v19
	;; [unrolled: 1-line block ×13, first 2 shown]
	ds_write2_b64 v106, v[111:112], v[100:101] offset0:38 offset1:39
	ds_write2_b64 v106, v[113:114], v[115:116] offset0:40 offset1:41
	ds_write2_b64 v106, v[117:118], v[119:120] offset0:42 offset1:43
	ds_write2_b64 v106, v[121:122], v[123:124] offset0:44 offset1:45
	ds_write_b64 v106, v[98:99] offset:368
.LBB92_605:
	s_or_b32 exec_lo, exec_lo, s0
	s_mov_b32 s0, exec_lo
	s_waitcnt lgkmcnt(0)
	s_waitcnt_vscnt null, 0x0
	s_barrier
	buffer_gl0_inv
	v_cmpx_lt_i32_e32 35, v109
	s_cbranch_execz .LBB92_607
; %bb.606:
	v_mul_f64 v[24:25], v[0:1], v[24:25]
	ds_read2_b64 v[110:113], v106 offset0:36 offset1:37
	ds_read2_b64 v[114:117], v106 offset0:38 offset1:39
	;; [unrolled: 1-line block ×5, first 2 shown]
	ds_read_b64 v[0:1], v106 offset:368
	s_waitcnt lgkmcnt(5)
	v_fma_f64 v[26:27], -v[24:25], v[110:111], v[26:27]
	v_fma_f64 v[22:23], -v[24:25], v[112:113], v[22:23]
	s_waitcnt lgkmcnt(4)
	v_fma_f64 v[20:21], -v[24:25], v[114:115], v[20:21]
	v_fma_f64 v[18:19], -v[24:25], v[116:117], v[18:19]
	;; [unrolled: 3-line block ×5, first 2 shown]
	s_waitcnt lgkmcnt(0)
	v_fma_f64 v[98:99], -v[24:25], v[0:1], v[98:99]
.LBB92_607:
	s_or_b32 exec_lo, exec_lo, s0
	v_lshl_add_u32 v0, v109, 3, v106
	s_barrier
	buffer_gl0_inv
	v_mov_b32_e32 v100, 36
	ds_write_b64 v0, v[26:27]
	s_waitcnt lgkmcnt(0)
	s_barrier
	buffer_gl0_inv
	ds_read_b64 v[0:1], v106 offset:288
	s_cmp_lt_i32 s7, 38
	s_cbranch_scc1 .LBB92_610
; %bb.608:
	v_add3_u32 v101, v107, 0, 0x128
	v_mov_b32_e32 v100, 36
	s_mov_b32 s0, 37
.LBB92_609:                             ; =>This Inner Loop Header: Depth=1
	ds_read_b64 v[110:111], v101
	v_add_nc_u32_e32 v101, 8, v101
	s_waitcnt lgkmcnt(0)
	v_cmp_lt_f64_e64 vcc_lo, |v[0:1]|, |v[110:111]|
	v_cndmask_b32_e32 v1, v1, v111, vcc_lo
	v_cndmask_b32_e32 v0, v0, v110, vcc_lo
	v_cndmask_b32_e64 v100, v100, s0, vcc_lo
	s_add_i32 s0, s0, 1
	s_cmp_lg_u32 s7, s0
	s_cbranch_scc1 .LBB92_609
.LBB92_610:
	s_mov_b32 s0, exec_lo
	s_waitcnt lgkmcnt(0)
	v_cmpx_eq_f64_e32 0, v[0:1]
	s_xor_b32 s0, exec_lo, s0
; %bb.611:
	v_cmp_ne_u32_e32 vcc_lo, 0, v103
	v_cndmask_b32_e32 v103, 37, v103, vcc_lo
; %bb.612:
	s_andn2_saveexec_b32 s0, s0
	s_cbranch_execz .LBB92_614
; %bb.613:
	v_div_scale_f64 v[101:102], null, v[0:1], v[0:1], 1.0
	v_rcp_f64_e32 v[110:111], v[101:102]
	v_fma_f64 v[112:113], -v[101:102], v[110:111], 1.0
	v_fma_f64 v[110:111], v[110:111], v[112:113], v[110:111]
	v_fma_f64 v[112:113], -v[101:102], v[110:111], 1.0
	v_fma_f64 v[110:111], v[110:111], v[112:113], v[110:111]
	v_div_scale_f64 v[112:113], vcc_lo, 1.0, v[0:1], 1.0
	v_mul_f64 v[114:115], v[112:113], v[110:111]
	v_fma_f64 v[101:102], -v[101:102], v[114:115], v[112:113]
	v_div_fmas_f64 v[101:102], v[101:102], v[110:111], v[114:115]
	v_div_fixup_f64 v[0:1], v[101:102], v[0:1], 1.0
.LBB92_614:
	s_or_b32 exec_lo, exec_lo, s0
	s_mov_b32 s0, exec_lo
	v_cmpx_ne_u32_e64 v109, v100
	s_xor_b32 s0, exec_lo, s0
	s_cbranch_execz .LBB92_620
; %bb.615:
	s_mov_b32 s1, exec_lo
	v_cmpx_eq_u32_e32 36, v109
	s_cbranch_execz .LBB92_619
; %bb.616:
	v_cmp_ne_u32_e32 vcc_lo, 36, v100
	s_xor_b32 s2, s6, -1
	s_and_b32 s3, s2, vcc_lo
	s_and_saveexec_b32 s2, s3
	s_cbranch_execz .LBB92_618
; %bb.617:
	v_ashrrev_i32_e32 v101, 31, v100
	v_lshlrev_b64 v[101:102], 2, v[100:101]
	v_add_co_u32 v101, vcc_lo, v4, v101
	v_add_co_ci_u32_e64 v102, null, v5, v102, vcc_lo
	s_clause 0x1
	global_load_dword v108, v[101:102], off
	global_load_dword v109, v[4:5], off offset:144
	s_waitcnt vmcnt(1)
	global_store_dword v[4:5], v108, off offset:144
	s_waitcnt vmcnt(0)
	global_store_dword v[101:102], v109, off
.LBB92_618:
	s_or_b32 exec_lo, exec_lo, s2
	v_mov_b32_e32 v108, v100
	v_mov_b32_e32 v109, v100
.LBB92_619:
	s_or_b32 exec_lo, exec_lo, s1
.LBB92_620:
	s_andn2_saveexec_b32 s0, s0
	s_cbranch_execz .LBB92_622
; %bb.621:
	v_mov_b32_e32 v109, 36
	ds_write2_b64 v106, v[22:23], v[20:21] offset0:37 offset1:38
	ds_write2_b64 v106, v[18:19], v[16:17] offset0:39 offset1:40
	ds_write2_b64 v106, v[14:15], v[12:13] offset0:41 offset1:42
	ds_write2_b64 v106, v[8:9], v[10:11] offset0:43 offset1:44
	ds_write2_b64 v106, v[6:7], v[98:99] offset0:45 offset1:46
.LBB92_622:
	s_or_b32 exec_lo, exec_lo, s0
	s_mov_b32 s0, exec_lo
	s_waitcnt lgkmcnt(0)
	s_waitcnt_vscnt null, 0x0
	s_barrier
	buffer_gl0_inv
	v_cmpx_lt_i32_e32 36, v109
	s_cbranch_execz .LBB92_624
; %bb.623:
	v_mul_f64 v[26:27], v[0:1], v[26:27]
	ds_read2_b64 v[110:113], v106 offset0:37 offset1:38
	ds_read2_b64 v[114:117], v106 offset0:39 offset1:40
	;; [unrolled: 1-line block ×5, first 2 shown]
	s_waitcnt lgkmcnt(4)
	v_fma_f64 v[22:23], -v[26:27], v[110:111], v[22:23]
	v_fma_f64 v[20:21], -v[26:27], v[112:113], v[20:21]
	s_waitcnt lgkmcnt(3)
	v_fma_f64 v[18:19], -v[26:27], v[114:115], v[18:19]
	v_fma_f64 v[16:17], -v[26:27], v[116:117], v[16:17]
	s_waitcnt lgkmcnt(2)
	v_fma_f64 v[14:15], -v[26:27], v[118:119], v[14:15]
	v_fma_f64 v[12:13], -v[26:27], v[120:121], v[12:13]
	s_waitcnt lgkmcnt(1)
	v_fma_f64 v[8:9], -v[26:27], v[122:123], v[8:9]
	v_fma_f64 v[10:11], -v[26:27], v[124:125], v[10:11]
	s_waitcnt lgkmcnt(0)
	v_fma_f64 v[6:7], -v[26:27], v[126:127], v[6:7]
	v_fma_f64 v[98:99], -v[26:27], v[128:129], v[98:99]
.LBB92_624:
	s_or_b32 exec_lo, exec_lo, s0
	v_lshl_add_u32 v0, v109, 3, v106
	s_barrier
	buffer_gl0_inv
	v_mov_b32_e32 v100, 37
	ds_write_b64 v0, v[22:23]
	s_waitcnt lgkmcnt(0)
	s_barrier
	buffer_gl0_inv
	ds_read_b64 v[0:1], v106 offset:296
	s_cmp_lt_i32 s7, 39
	s_cbranch_scc1 .LBB92_627
; %bb.625:
	v_add3_u32 v101, v107, 0, 0x130
	v_mov_b32_e32 v100, 37
	s_mov_b32 s0, 38
.LBB92_626:                             ; =>This Inner Loop Header: Depth=1
	ds_read_b64 v[110:111], v101
	v_add_nc_u32_e32 v101, 8, v101
	s_waitcnt lgkmcnt(0)
	v_cmp_lt_f64_e64 vcc_lo, |v[0:1]|, |v[110:111]|
	v_cndmask_b32_e32 v1, v1, v111, vcc_lo
	v_cndmask_b32_e32 v0, v0, v110, vcc_lo
	v_cndmask_b32_e64 v100, v100, s0, vcc_lo
	s_add_i32 s0, s0, 1
	s_cmp_lg_u32 s7, s0
	s_cbranch_scc1 .LBB92_626
.LBB92_627:
	s_mov_b32 s0, exec_lo
	s_waitcnt lgkmcnt(0)
	v_cmpx_eq_f64_e32 0, v[0:1]
	s_xor_b32 s0, exec_lo, s0
; %bb.628:
	v_cmp_ne_u32_e32 vcc_lo, 0, v103
	v_cndmask_b32_e32 v103, 38, v103, vcc_lo
; %bb.629:
	s_andn2_saveexec_b32 s0, s0
	s_cbranch_execz .LBB92_631
; %bb.630:
	v_div_scale_f64 v[101:102], null, v[0:1], v[0:1], 1.0
	v_rcp_f64_e32 v[110:111], v[101:102]
	v_fma_f64 v[112:113], -v[101:102], v[110:111], 1.0
	v_fma_f64 v[110:111], v[110:111], v[112:113], v[110:111]
	v_fma_f64 v[112:113], -v[101:102], v[110:111], 1.0
	v_fma_f64 v[110:111], v[110:111], v[112:113], v[110:111]
	v_div_scale_f64 v[112:113], vcc_lo, 1.0, v[0:1], 1.0
	v_mul_f64 v[114:115], v[112:113], v[110:111]
	v_fma_f64 v[101:102], -v[101:102], v[114:115], v[112:113]
	v_div_fmas_f64 v[101:102], v[101:102], v[110:111], v[114:115]
	v_div_fixup_f64 v[0:1], v[101:102], v[0:1], 1.0
.LBB92_631:
	s_or_b32 exec_lo, exec_lo, s0
	s_mov_b32 s0, exec_lo
	v_cmpx_ne_u32_e64 v109, v100
	s_xor_b32 s0, exec_lo, s0
	s_cbranch_execz .LBB92_637
; %bb.632:
	s_mov_b32 s1, exec_lo
	v_cmpx_eq_u32_e32 37, v109
	s_cbranch_execz .LBB92_636
; %bb.633:
	v_cmp_ne_u32_e32 vcc_lo, 37, v100
	s_xor_b32 s2, s6, -1
	s_and_b32 s3, s2, vcc_lo
	s_and_saveexec_b32 s2, s3
	s_cbranch_execz .LBB92_635
; %bb.634:
	v_ashrrev_i32_e32 v101, 31, v100
	v_lshlrev_b64 v[101:102], 2, v[100:101]
	v_add_co_u32 v101, vcc_lo, v4, v101
	v_add_co_ci_u32_e64 v102, null, v5, v102, vcc_lo
	s_clause 0x1
	global_load_dword v108, v[101:102], off
	global_load_dword v109, v[4:5], off offset:148
	s_waitcnt vmcnt(1)
	global_store_dword v[4:5], v108, off offset:148
	s_waitcnt vmcnt(0)
	global_store_dword v[101:102], v109, off
.LBB92_635:
	s_or_b32 exec_lo, exec_lo, s2
	v_mov_b32_e32 v108, v100
	v_mov_b32_e32 v109, v100
.LBB92_636:
	s_or_b32 exec_lo, exec_lo, s1
.LBB92_637:
	s_andn2_saveexec_b32 s0, s0
	s_cbranch_execz .LBB92_639
; %bb.638:
	v_mov_b32_e32 v100, v20
	v_mov_b32_e32 v101, v21
	;; [unrolled: 1-line block ×8, first 2 shown]
	ds_write2_b64 v106, v[100:101], v[109:110] offset0:38 offset1:39
	v_mov_b32_e32 v109, 37
	v_mov_b32_e32 v115, v12
	v_mov_b32_e32 v116, v13
	v_mov_b32_e32 v117, v8
	v_mov_b32_e32 v118, v9
	v_mov_b32_e32 v119, v10
	v_mov_b32_e32 v120, v11
	v_mov_b32_e32 v121, v6
	v_mov_b32_e32 v122, v7
	ds_write2_b64 v106, v[111:112], v[113:114] offset0:40 offset1:41
	ds_write2_b64 v106, v[115:116], v[117:118] offset0:42 offset1:43
	ds_write2_b64 v106, v[119:120], v[121:122] offset0:44 offset1:45
	ds_write_b64 v106, v[98:99] offset:368
.LBB92_639:
	s_or_b32 exec_lo, exec_lo, s0
	s_mov_b32 s0, exec_lo
	s_waitcnt lgkmcnt(0)
	s_waitcnt_vscnt null, 0x0
	s_barrier
	buffer_gl0_inv
	v_cmpx_lt_i32_e32 37, v109
	s_cbranch_execz .LBB92_641
; %bb.640:
	v_mul_f64 v[22:23], v[0:1], v[22:23]
	ds_read2_b64 v[110:113], v106 offset0:38 offset1:39
	ds_read2_b64 v[114:117], v106 offset0:40 offset1:41
	;; [unrolled: 1-line block ×4, first 2 shown]
	ds_read_b64 v[0:1], v106 offset:368
	s_waitcnt lgkmcnt(4)
	v_fma_f64 v[20:21], -v[22:23], v[110:111], v[20:21]
	v_fma_f64 v[18:19], -v[22:23], v[112:113], v[18:19]
	s_waitcnt lgkmcnt(3)
	v_fma_f64 v[16:17], -v[22:23], v[114:115], v[16:17]
	v_fma_f64 v[14:15], -v[22:23], v[116:117], v[14:15]
	;; [unrolled: 3-line block ×4, first 2 shown]
	s_waitcnt lgkmcnt(0)
	v_fma_f64 v[98:99], -v[22:23], v[0:1], v[98:99]
.LBB92_641:
	s_or_b32 exec_lo, exec_lo, s0
	v_lshl_add_u32 v0, v109, 3, v106
	s_barrier
	buffer_gl0_inv
	v_mov_b32_e32 v100, 38
	ds_write_b64 v0, v[20:21]
	s_waitcnt lgkmcnt(0)
	s_barrier
	buffer_gl0_inv
	ds_read_b64 v[0:1], v106 offset:304
	s_cmp_lt_i32 s7, 40
	s_cbranch_scc1 .LBB92_644
; %bb.642:
	v_add3_u32 v101, v107, 0, 0x138
	v_mov_b32_e32 v100, 38
	s_mov_b32 s0, 39
.LBB92_643:                             ; =>This Inner Loop Header: Depth=1
	ds_read_b64 v[110:111], v101
	v_add_nc_u32_e32 v101, 8, v101
	s_waitcnt lgkmcnt(0)
	v_cmp_lt_f64_e64 vcc_lo, |v[0:1]|, |v[110:111]|
	v_cndmask_b32_e32 v1, v1, v111, vcc_lo
	v_cndmask_b32_e32 v0, v0, v110, vcc_lo
	v_cndmask_b32_e64 v100, v100, s0, vcc_lo
	s_add_i32 s0, s0, 1
	s_cmp_lg_u32 s7, s0
	s_cbranch_scc1 .LBB92_643
.LBB92_644:
	s_mov_b32 s0, exec_lo
	s_waitcnt lgkmcnt(0)
	v_cmpx_eq_f64_e32 0, v[0:1]
	s_xor_b32 s0, exec_lo, s0
; %bb.645:
	v_cmp_ne_u32_e32 vcc_lo, 0, v103
	v_cndmask_b32_e32 v103, 39, v103, vcc_lo
; %bb.646:
	s_andn2_saveexec_b32 s0, s0
	s_cbranch_execz .LBB92_648
; %bb.647:
	v_div_scale_f64 v[101:102], null, v[0:1], v[0:1], 1.0
	v_rcp_f64_e32 v[110:111], v[101:102]
	v_fma_f64 v[112:113], -v[101:102], v[110:111], 1.0
	v_fma_f64 v[110:111], v[110:111], v[112:113], v[110:111]
	v_fma_f64 v[112:113], -v[101:102], v[110:111], 1.0
	v_fma_f64 v[110:111], v[110:111], v[112:113], v[110:111]
	v_div_scale_f64 v[112:113], vcc_lo, 1.0, v[0:1], 1.0
	v_mul_f64 v[114:115], v[112:113], v[110:111]
	v_fma_f64 v[101:102], -v[101:102], v[114:115], v[112:113]
	v_div_fmas_f64 v[101:102], v[101:102], v[110:111], v[114:115]
	v_div_fixup_f64 v[0:1], v[101:102], v[0:1], 1.0
.LBB92_648:
	s_or_b32 exec_lo, exec_lo, s0
	s_mov_b32 s0, exec_lo
	v_cmpx_ne_u32_e64 v109, v100
	s_xor_b32 s0, exec_lo, s0
	s_cbranch_execz .LBB92_654
; %bb.649:
	s_mov_b32 s1, exec_lo
	v_cmpx_eq_u32_e32 38, v109
	s_cbranch_execz .LBB92_653
; %bb.650:
	v_cmp_ne_u32_e32 vcc_lo, 38, v100
	s_xor_b32 s2, s6, -1
	s_and_b32 s3, s2, vcc_lo
	s_and_saveexec_b32 s2, s3
	s_cbranch_execz .LBB92_652
; %bb.651:
	v_ashrrev_i32_e32 v101, 31, v100
	v_lshlrev_b64 v[101:102], 2, v[100:101]
	v_add_co_u32 v101, vcc_lo, v4, v101
	v_add_co_ci_u32_e64 v102, null, v5, v102, vcc_lo
	s_clause 0x1
	global_load_dword v108, v[101:102], off
	global_load_dword v109, v[4:5], off offset:152
	s_waitcnt vmcnt(1)
	global_store_dword v[4:5], v108, off offset:152
	s_waitcnt vmcnt(0)
	global_store_dword v[101:102], v109, off
.LBB92_652:
	s_or_b32 exec_lo, exec_lo, s2
	v_mov_b32_e32 v108, v100
	v_mov_b32_e32 v109, v100
.LBB92_653:
	s_or_b32 exec_lo, exec_lo, s1
.LBB92_654:
	s_andn2_saveexec_b32 s0, s0
	s_cbranch_execz .LBB92_656
; %bb.655:
	v_mov_b32_e32 v109, 38
	ds_write2_b64 v106, v[18:19], v[16:17] offset0:39 offset1:40
	ds_write2_b64 v106, v[14:15], v[12:13] offset0:41 offset1:42
	;; [unrolled: 1-line block ×4, first 2 shown]
.LBB92_656:
	s_or_b32 exec_lo, exec_lo, s0
	s_mov_b32 s0, exec_lo
	s_waitcnt lgkmcnt(0)
	s_waitcnt_vscnt null, 0x0
	s_barrier
	buffer_gl0_inv
	v_cmpx_lt_i32_e32 38, v109
	s_cbranch_execz .LBB92_658
; %bb.657:
	v_mul_f64 v[20:21], v[0:1], v[20:21]
	ds_read2_b64 v[110:113], v106 offset0:39 offset1:40
	ds_read2_b64 v[114:117], v106 offset0:41 offset1:42
	;; [unrolled: 1-line block ×4, first 2 shown]
	s_waitcnt lgkmcnt(3)
	v_fma_f64 v[18:19], -v[20:21], v[110:111], v[18:19]
	v_fma_f64 v[16:17], -v[20:21], v[112:113], v[16:17]
	s_waitcnt lgkmcnt(2)
	v_fma_f64 v[14:15], -v[20:21], v[114:115], v[14:15]
	v_fma_f64 v[12:13], -v[20:21], v[116:117], v[12:13]
	;; [unrolled: 3-line block ×4, first 2 shown]
.LBB92_658:
	s_or_b32 exec_lo, exec_lo, s0
	v_lshl_add_u32 v0, v109, 3, v106
	s_barrier
	buffer_gl0_inv
	v_mov_b32_e32 v100, 39
	ds_write_b64 v0, v[18:19]
	s_waitcnt lgkmcnt(0)
	s_barrier
	buffer_gl0_inv
	ds_read_b64 v[0:1], v106 offset:312
	s_cmp_lt_i32 s7, 41
	s_cbranch_scc1 .LBB92_661
; %bb.659:
	v_add3_u32 v101, v107, 0, 0x140
	v_mov_b32_e32 v100, 39
	s_mov_b32 s0, 40
.LBB92_660:                             ; =>This Inner Loop Header: Depth=1
	ds_read_b64 v[110:111], v101
	v_add_nc_u32_e32 v101, 8, v101
	s_waitcnt lgkmcnt(0)
	v_cmp_lt_f64_e64 vcc_lo, |v[0:1]|, |v[110:111]|
	v_cndmask_b32_e32 v1, v1, v111, vcc_lo
	v_cndmask_b32_e32 v0, v0, v110, vcc_lo
	v_cndmask_b32_e64 v100, v100, s0, vcc_lo
	s_add_i32 s0, s0, 1
	s_cmp_lg_u32 s7, s0
	s_cbranch_scc1 .LBB92_660
.LBB92_661:
	s_mov_b32 s0, exec_lo
	s_waitcnt lgkmcnt(0)
	v_cmpx_eq_f64_e32 0, v[0:1]
	s_xor_b32 s0, exec_lo, s0
; %bb.662:
	v_cmp_ne_u32_e32 vcc_lo, 0, v103
	v_cndmask_b32_e32 v103, 40, v103, vcc_lo
; %bb.663:
	s_andn2_saveexec_b32 s0, s0
	s_cbranch_execz .LBB92_665
; %bb.664:
	v_div_scale_f64 v[101:102], null, v[0:1], v[0:1], 1.0
	v_rcp_f64_e32 v[110:111], v[101:102]
	v_fma_f64 v[112:113], -v[101:102], v[110:111], 1.0
	v_fma_f64 v[110:111], v[110:111], v[112:113], v[110:111]
	v_fma_f64 v[112:113], -v[101:102], v[110:111], 1.0
	v_fma_f64 v[110:111], v[110:111], v[112:113], v[110:111]
	v_div_scale_f64 v[112:113], vcc_lo, 1.0, v[0:1], 1.0
	v_mul_f64 v[114:115], v[112:113], v[110:111]
	v_fma_f64 v[101:102], -v[101:102], v[114:115], v[112:113]
	v_div_fmas_f64 v[101:102], v[101:102], v[110:111], v[114:115]
	v_div_fixup_f64 v[0:1], v[101:102], v[0:1], 1.0
.LBB92_665:
	s_or_b32 exec_lo, exec_lo, s0
	s_mov_b32 s0, exec_lo
	v_cmpx_ne_u32_e64 v109, v100
	s_xor_b32 s0, exec_lo, s0
	s_cbranch_execz .LBB92_671
; %bb.666:
	s_mov_b32 s1, exec_lo
	v_cmpx_eq_u32_e32 39, v109
	s_cbranch_execz .LBB92_670
; %bb.667:
	v_cmp_ne_u32_e32 vcc_lo, 39, v100
	s_xor_b32 s2, s6, -1
	s_and_b32 s3, s2, vcc_lo
	s_and_saveexec_b32 s2, s3
	s_cbranch_execz .LBB92_669
; %bb.668:
	v_ashrrev_i32_e32 v101, 31, v100
	v_lshlrev_b64 v[101:102], 2, v[100:101]
	v_add_co_u32 v101, vcc_lo, v4, v101
	v_add_co_ci_u32_e64 v102, null, v5, v102, vcc_lo
	s_clause 0x1
	global_load_dword v108, v[101:102], off
	global_load_dword v109, v[4:5], off offset:156
	s_waitcnt vmcnt(1)
	global_store_dword v[4:5], v108, off offset:156
	s_waitcnt vmcnt(0)
	global_store_dword v[101:102], v109, off
.LBB92_669:
	s_or_b32 exec_lo, exec_lo, s2
	v_mov_b32_e32 v108, v100
	v_mov_b32_e32 v109, v100
.LBB92_670:
	s_or_b32 exec_lo, exec_lo, s1
.LBB92_671:
	s_andn2_saveexec_b32 s0, s0
	s_cbranch_execz .LBB92_673
; %bb.672:
	v_mov_b32_e32 v100, v16
	v_mov_b32_e32 v101, v17
	;; [unrolled: 1-line block ×13, first 2 shown]
	ds_write2_b64 v106, v[100:101], v[110:111] offset0:40 offset1:41
	ds_write2_b64 v106, v[112:113], v[114:115] offset0:42 offset1:43
	;; [unrolled: 1-line block ×3, first 2 shown]
	ds_write_b64 v106, v[98:99] offset:368
.LBB92_673:
	s_or_b32 exec_lo, exec_lo, s0
	s_mov_b32 s0, exec_lo
	s_waitcnt lgkmcnt(0)
	s_waitcnt_vscnt null, 0x0
	s_barrier
	buffer_gl0_inv
	v_cmpx_lt_i32_e32 39, v109
	s_cbranch_execz .LBB92_675
; %bb.674:
	v_mul_f64 v[18:19], v[0:1], v[18:19]
	ds_read2_b64 v[110:113], v106 offset0:40 offset1:41
	ds_read2_b64 v[114:117], v106 offset0:42 offset1:43
	;; [unrolled: 1-line block ×3, first 2 shown]
	ds_read_b64 v[0:1], v106 offset:368
	s_waitcnt lgkmcnt(3)
	v_fma_f64 v[16:17], -v[18:19], v[110:111], v[16:17]
	v_fma_f64 v[14:15], -v[18:19], v[112:113], v[14:15]
	s_waitcnt lgkmcnt(2)
	v_fma_f64 v[12:13], -v[18:19], v[114:115], v[12:13]
	v_fma_f64 v[8:9], -v[18:19], v[116:117], v[8:9]
	;; [unrolled: 3-line block ×3, first 2 shown]
	s_waitcnt lgkmcnt(0)
	v_fma_f64 v[98:99], -v[18:19], v[0:1], v[98:99]
.LBB92_675:
	s_or_b32 exec_lo, exec_lo, s0
	v_lshl_add_u32 v0, v109, 3, v106
	s_barrier
	buffer_gl0_inv
	v_mov_b32_e32 v100, 40
	ds_write_b64 v0, v[16:17]
	s_waitcnt lgkmcnt(0)
	s_barrier
	buffer_gl0_inv
	ds_read_b64 v[0:1], v106 offset:320
	s_cmp_lt_i32 s7, 42
	s_cbranch_scc1 .LBB92_678
; %bb.676:
	v_add3_u32 v101, v107, 0, 0x148
	v_mov_b32_e32 v100, 40
	s_mov_b32 s0, 41
.LBB92_677:                             ; =>This Inner Loop Header: Depth=1
	ds_read_b64 v[110:111], v101
	v_add_nc_u32_e32 v101, 8, v101
	s_waitcnt lgkmcnt(0)
	v_cmp_lt_f64_e64 vcc_lo, |v[0:1]|, |v[110:111]|
	v_cndmask_b32_e32 v1, v1, v111, vcc_lo
	v_cndmask_b32_e32 v0, v0, v110, vcc_lo
	v_cndmask_b32_e64 v100, v100, s0, vcc_lo
	s_add_i32 s0, s0, 1
	s_cmp_lg_u32 s7, s0
	s_cbranch_scc1 .LBB92_677
.LBB92_678:
	s_mov_b32 s0, exec_lo
	s_waitcnt lgkmcnt(0)
	v_cmpx_eq_f64_e32 0, v[0:1]
	s_xor_b32 s0, exec_lo, s0
; %bb.679:
	v_cmp_ne_u32_e32 vcc_lo, 0, v103
	v_cndmask_b32_e32 v103, 41, v103, vcc_lo
; %bb.680:
	s_andn2_saveexec_b32 s0, s0
	s_cbranch_execz .LBB92_682
; %bb.681:
	v_div_scale_f64 v[101:102], null, v[0:1], v[0:1], 1.0
	v_rcp_f64_e32 v[110:111], v[101:102]
	v_fma_f64 v[112:113], -v[101:102], v[110:111], 1.0
	v_fma_f64 v[110:111], v[110:111], v[112:113], v[110:111]
	v_fma_f64 v[112:113], -v[101:102], v[110:111], 1.0
	v_fma_f64 v[110:111], v[110:111], v[112:113], v[110:111]
	v_div_scale_f64 v[112:113], vcc_lo, 1.0, v[0:1], 1.0
	v_mul_f64 v[114:115], v[112:113], v[110:111]
	v_fma_f64 v[101:102], -v[101:102], v[114:115], v[112:113]
	v_div_fmas_f64 v[101:102], v[101:102], v[110:111], v[114:115]
	v_div_fixup_f64 v[0:1], v[101:102], v[0:1], 1.0
.LBB92_682:
	s_or_b32 exec_lo, exec_lo, s0
	s_mov_b32 s0, exec_lo
	v_cmpx_ne_u32_e64 v109, v100
	s_xor_b32 s0, exec_lo, s0
	s_cbranch_execz .LBB92_688
; %bb.683:
	s_mov_b32 s1, exec_lo
	v_cmpx_eq_u32_e32 40, v109
	s_cbranch_execz .LBB92_687
; %bb.684:
	v_cmp_ne_u32_e32 vcc_lo, 40, v100
	s_xor_b32 s2, s6, -1
	s_and_b32 s3, s2, vcc_lo
	s_and_saveexec_b32 s2, s3
	s_cbranch_execz .LBB92_686
; %bb.685:
	v_ashrrev_i32_e32 v101, 31, v100
	v_lshlrev_b64 v[101:102], 2, v[100:101]
	v_add_co_u32 v101, vcc_lo, v4, v101
	v_add_co_ci_u32_e64 v102, null, v5, v102, vcc_lo
	s_clause 0x1
	global_load_dword v108, v[101:102], off
	global_load_dword v109, v[4:5], off offset:160
	s_waitcnt vmcnt(1)
	global_store_dword v[4:5], v108, off offset:160
	s_waitcnt vmcnt(0)
	global_store_dword v[101:102], v109, off
.LBB92_686:
	s_or_b32 exec_lo, exec_lo, s2
	v_mov_b32_e32 v108, v100
	v_mov_b32_e32 v109, v100
.LBB92_687:
	s_or_b32 exec_lo, exec_lo, s1
.LBB92_688:
	s_andn2_saveexec_b32 s0, s0
	s_cbranch_execz .LBB92_690
; %bb.689:
	v_mov_b32_e32 v109, 40
	ds_write2_b64 v106, v[14:15], v[12:13] offset0:41 offset1:42
	ds_write2_b64 v106, v[8:9], v[10:11] offset0:43 offset1:44
	;; [unrolled: 1-line block ×3, first 2 shown]
.LBB92_690:
	s_or_b32 exec_lo, exec_lo, s0
	s_mov_b32 s0, exec_lo
	s_waitcnt lgkmcnt(0)
	s_waitcnt_vscnt null, 0x0
	s_barrier
	buffer_gl0_inv
	v_cmpx_lt_i32_e32 40, v109
	s_cbranch_execz .LBB92_692
; %bb.691:
	v_mul_f64 v[16:17], v[0:1], v[16:17]
	ds_read2_b64 v[110:113], v106 offset0:41 offset1:42
	ds_read2_b64 v[114:117], v106 offset0:43 offset1:44
	;; [unrolled: 1-line block ×3, first 2 shown]
	s_waitcnt lgkmcnt(2)
	v_fma_f64 v[14:15], -v[16:17], v[110:111], v[14:15]
	v_fma_f64 v[12:13], -v[16:17], v[112:113], v[12:13]
	s_waitcnt lgkmcnt(1)
	v_fma_f64 v[8:9], -v[16:17], v[114:115], v[8:9]
	v_fma_f64 v[10:11], -v[16:17], v[116:117], v[10:11]
	;; [unrolled: 3-line block ×3, first 2 shown]
.LBB92_692:
	s_or_b32 exec_lo, exec_lo, s0
	v_lshl_add_u32 v0, v109, 3, v106
	s_barrier
	buffer_gl0_inv
	v_mov_b32_e32 v100, 41
	ds_write_b64 v0, v[14:15]
	s_waitcnt lgkmcnt(0)
	s_barrier
	buffer_gl0_inv
	ds_read_b64 v[0:1], v106 offset:328
	s_cmp_lt_i32 s7, 43
	s_cbranch_scc1 .LBB92_695
; %bb.693:
	v_add3_u32 v101, v107, 0, 0x150
	v_mov_b32_e32 v100, 41
	s_mov_b32 s0, 42
.LBB92_694:                             ; =>This Inner Loop Header: Depth=1
	ds_read_b64 v[110:111], v101
	v_add_nc_u32_e32 v101, 8, v101
	s_waitcnt lgkmcnt(0)
	v_cmp_lt_f64_e64 vcc_lo, |v[0:1]|, |v[110:111]|
	v_cndmask_b32_e32 v1, v1, v111, vcc_lo
	v_cndmask_b32_e32 v0, v0, v110, vcc_lo
	v_cndmask_b32_e64 v100, v100, s0, vcc_lo
	s_add_i32 s0, s0, 1
	s_cmp_lg_u32 s7, s0
	s_cbranch_scc1 .LBB92_694
.LBB92_695:
	s_mov_b32 s0, exec_lo
	s_waitcnt lgkmcnt(0)
	v_cmpx_eq_f64_e32 0, v[0:1]
	s_xor_b32 s0, exec_lo, s0
; %bb.696:
	v_cmp_ne_u32_e32 vcc_lo, 0, v103
	v_cndmask_b32_e32 v103, 42, v103, vcc_lo
; %bb.697:
	s_andn2_saveexec_b32 s0, s0
	s_cbranch_execz .LBB92_699
; %bb.698:
	v_div_scale_f64 v[101:102], null, v[0:1], v[0:1], 1.0
	v_rcp_f64_e32 v[110:111], v[101:102]
	v_fma_f64 v[112:113], -v[101:102], v[110:111], 1.0
	v_fma_f64 v[110:111], v[110:111], v[112:113], v[110:111]
	v_fma_f64 v[112:113], -v[101:102], v[110:111], 1.0
	v_fma_f64 v[110:111], v[110:111], v[112:113], v[110:111]
	v_div_scale_f64 v[112:113], vcc_lo, 1.0, v[0:1], 1.0
	v_mul_f64 v[114:115], v[112:113], v[110:111]
	v_fma_f64 v[101:102], -v[101:102], v[114:115], v[112:113]
	v_div_fmas_f64 v[101:102], v[101:102], v[110:111], v[114:115]
	v_div_fixup_f64 v[0:1], v[101:102], v[0:1], 1.0
.LBB92_699:
	s_or_b32 exec_lo, exec_lo, s0
	s_mov_b32 s0, exec_lo
	v_cmpx_ne_u32_e64 v109, v100
	s_xor_b32 s0, exec_lo, s0
	s_cbranch_execz .LBB92_705
; %bb.700:
	s_mov_b32 s1, exec_lo
	v_cmpx_eq_u32_e32 41, v109
	s_cbranch_execz .LBB92_704
; %bb.701:
	v_cmp_ne_u32_e32 vcc_lo, 41, v100
	s_xor_b32 s2, s6, -1
	s_and_b32 s3, s2, vcc_lo
	s_and_saveexec_b32 s2, s3
	s_cbranch_execz .LBB92_703
; %bb.702:
	v_ashrrev_i32_e32 v101, 31, v100
	v_lshlrev_b64 v[101:102], 2, v[100:101]
	v_add_co_u32 v101, vcc_lo, v4, v101
	v_add_co_ci_u32_e64 v102, null, v5, v102, vcc_lo
	s_clause 0x1
	global_load_dword v108, v[101:102], off
	global_load_dword v109, v[4:5], off offset:164
	s_waitcnt vmcnt(1)
	global_store_dword v[4:5], v108, off offset:164
	s_waitcnt vmcnt(0)
	global_store_dword v[101:102], v109, off
.LBB92_703:
	s_or_b32 exec_lo, exec_lo, s2
	v_mov_b32_e32 v108, v100
	v_mov_b32_e32 v109, v100
.LBB92_704:
	s_or_b32 exec_lo, exec_lo, s1
.LBB92_705:
	s_andn2_saveexec_b32 s0, s0
	s_cbranch_execz .LBB92_707
; %bb.706:
	v_mov_b32_e32 v100, v12
	v_mov_b32_e32 v101, v13
	;; [unrolled: 1-line block ×9, first 2 shown]
	ds_write2_b64 v106, v[100:101], v[110:111] offset0:42 offset1:43
	ds_write2_b64 v106, v[112:113], v[114:115] offset0:44 offset1:45
	ds_write_b64 v106, v[98:99] offset:368
.LBB92_707:
	s_or_b32 exec_lo, exec_lo, s0
	s_mov_b32 s0, exec_lo
	s_waitcnt lgkmcnt(0)
	s_waitcnt_vscnt null, 0x0
	s_barrier
	buffer_gl0_inv
	v_cmpx_lt_i32_e32 41, v109
	s_cbranch_execz .LBB92_709
; %bb.708:
	v_mul_f64 v[14:15], v[0:1], v[14:15]
	ds_read2_b64 v[110:113], v106 offset0:42 offset1:43
	ds_read2_b64 v[114:117], v106 offset0:44 offset1:45
	ds_read_b64 v[0:1], v106 offset:368
	s_waitcnt lgkmcnt(2)
	v_fma_f64 v[12:13], -v[14:15], v[110:111], v[12:13]
	v_fma_f64 v[8:9], -v[14:15], v[112:113], v[8:9]
	s_waitcnt lgkmcnt(1)
	v_fma_f64 v[10:11], -v[14:15], v[114:115], v[10:11]
	v_fma_f64 v[6:7], -v[14:15], v[116:117], v[6:7]
	s_waitcnt lgkmcnt(0)
	v_fma_f64 v[98:99], -v[14:15], v[0:1], v[98:99]
.LBB92_709:
	s_or_b32 exec_lo, exec_lo, s0
	v_lshl_add_u32 v0, v109, 3, v106
	s_barrier
	buffer_gl0_inv
	v_mov_b32_e32 v100, 42
	ds_write_b64 v0, v[12:13]
	s_waitcnt lgkmcnt(0)
	s_barrier
	buffer_gl0_inv
	ds_read_b64 v[0:1], v106 offset:336
	s_cmp_lt_i32 s7, 44
	s_cbranch_scc1 .LBB92_712
; %bb.710:
	v_add3_u32 v101, v107, 0, 0x158
	v_mov_b32_e32 v100, 42
	s_mov_b32 s0, 43
.LBB92_711:                             ; =>This Inner Loop Header: Depth=1
	ds_read_b64 v[110:111], v101
	v_add_nc_u32_e32 v101, 8, v101
	s_waitcnt lgkmcnt(0)
	v_cmp_lt_f64_e64 vcc_lo, |v[0:1]|, |v[110:111]|
	v_cndmask_b32_e32 v1, v1, v111, vcc_lo
	v_cndmask_b32_e32 v0, v0, v110, vcc_lo
	v_cndmask_b32_e64 v100, v100, s0, vcc_lo
	s_add_i32 s0, s0, 1
	s_cmp_lg_u32 s7, s0
	s_cbranch_scc1 .LBB92_711
.LBB92_712:
	s_mov_b32 s0, exec_lo
	s_waitcnt lgkmcnt(0)
	v_cmpx_eq_f64_e32 0, v[0:1]
	s_xor_b32 s0, exec_lo, s0
; %bb.713:
	v_cmp_ne_u32_e32 vcc_lo, 0, v103
	v_cndmask_b32_e32 v103, 43, v103, vcc_lo
; %bb.714:
	s_andn2_saveexec_b32 s0, s0
	s_cbranch_execz .LBB92_716
; %bb.715:
	v_div_scale_f64 v[101:102], null, v[0:1], v[0:1], 1.0
	v_rcp_f64_e32 v[110:111], v[101:102]
	v_fma_f64 v[112:113], -v[101:102], v[110:111], 1.0
	v_fma_f64 v[110:111], v[110:111], v[112:113], v[110:111]
	v_fma_f64 v[112:113], -v[101:102], v[110:111], 1.0
	v_fma_f64 v[110:111], v[110:111], v[112:113], v[110:111]
	v_div_scale_f64 v[112:113], vcc_lo, 1.0, v[0:1], 1.0
	v_mul_f64 v[114:115], v[112:113], v[110:111]
	v_fma_f64 v[101:102], -v[101:102], v[114:115], v[112:113]
	v_div_fmas_f64 v[101:102], v[101:102], v[110:111], v[114:115]
	v_div_fixup_f64 v[0:1], v[101:102], v[0:1], 1.0
.LBB92_716:
	s_or_b32 exec_lo, exec_lo, s0
	s_mov_b32 s0, exec_lo
	v_cmpx_ne_u32_e64 v109, v100
	s_xor_b32 s0, exec_lo, s0
	s_cbranch_execz .LBB92_722
; %bb.717:
	s_mov_b32 s1, exec_lo
	v_cmpx_eq_u32_e32 42, v109
	s_cbranch_execz .LBB92_721
; %bb.718:
	v_cmp_ne_u32_e32 vcc_lo, 42, v100
	s_xor_b32 s2, s6, -1
	s_and_b32 s3, s2, vcc_lo
	s_and_saveexec_b32 s2, s3
	s_cbranch_execz .LBB92_720
; %bb.719:
	v_ashrrev_i32_e32 v101, 31, v100
	v_lshlrev_b64 v[101:102], 2, v[100:101]
	v_add_co_u32 v101, vcc_lo, v4, v101
	v_add_co_ci_u32_e64 v102, null, v5, v102, vcc_lo
	s_clause 0x1
	global_load_dword v108, v[101:102], off
	global_load_dword v109, v[4:5], off offset:168
	s_waitcnt vmcnt(1)
	global_store_dword v[4:5], v108, off offset:168
	s_waitcnt vmcnt(0)
	global_store_dword v[101:102], v109, off
.LBB92_720:
	s_or_b32 exec_lo, exec_lo, s2
	v_mov_b32_e32 v108, v100
	v_mov_b32_e32 v109, v100
.LBB92_721:
	s_or_b32 exec_lo, exec_lo, s1
.LBB92_722:
	s_andn2_saveexec_b32 s0, s0
	s_cbranch_execz .LBB92_724
; %bb.723:
	v_mov_b32_e32 v109, 42
	ds_write2_b64 v106, v[8:9], v[10:11] offset0:43 offset1:44
	ds_write2_b64 v106, v[6:7], v[98:99] offset0:45 offset1:46
.LBB92_724:
	s_or_b32 exec_lo, exec_lo, s0
	s_mov_b32 s0, exec_lo
	s_waitcnt lgkmcnt(0)
	s_waitcnt_vscnt null, 0x0
	s_barrier
	buffer_gl0_inv
	v_cmpx_lt_i32_e32 42, v109
	s_cbranch_execz .LBB92_726
; %bb.725:
	v_mul_f64 v[12:13], v[0:1], v[12:13]
	ds_read2_b64 v[110:113], v106 offset0:43 offset1:44
	ds_read2_b64 v[114:117], v106 offset0:45 offset1:46
	s_waitcnt lgkmcnt(1)
	v_fma_f64 v[8:9], -v[12:13], v[110:111], v[8:9]
	v_fma_f64 v[10:11], -v[12:13], v[112:113], v[10:11]
	s_waitcnt lgkmcnt(0)
	v_fma_f64 v[6:7], -v[12:13], v[114:115], v[6:7]
	v_fma_f64 v[98:99], -v[12:13], v[116:117], v[98:99]
.LBB92_726:
	s_or_b32 exec_lo, exec_lo, s0
	v_lshl_add_u32 v0, v109, 3, v106
	s_barrier
	buffer_gl0_inv
	v_mov_b32_e32 v100, 43
	ds_write_b64 v0, v[8:9]
	s_waitcnt lgkmcnt(0)
	s_barrier
	buffer_gl0_inv
	ds_read_b64 v[0:1], v106 offset:344
	s_cmp_lt_i32 s7, 45
	s_cbranch_scc1 .LBB92_729
; %bb.727:
	v_add3_u32 v101, v107, 0, 0x160
	v_mov_b32_e32 v100, 43
	s_mov_b32 s0, 44
.LBB92_728:                             ; =>This Inner Loop Header: Depth=1
	ds_read_b64 v[110:111], v101
	v_add_nc_u32_e32 v101, 8, v101
	s_waitcnt lgkmcnt(0)
	v_cmp_lt_f64_e64 vcc_lo, |v[0:1]|, |v[110:111]|
	v_cndmask_b32_e32 v1, v1, v111, vcc_lo
	v_cndmask_b32_e32 v0, v0, v110, vcc_lo
	v_cndmask_b32_e64 v100, v100, s0, vcc_lo
	s_add_i32 s0, s0, 1
	s_cmp_lg_u32 s7, s0
	s_cbranch_scc1 .LBB92_728
.LBB92_729:
	s_mov_b32 s0, exec_lo
	s_waitcnt lgkmcnt(0)
	v_cmpx_eq_f64_e32 0, v[0:1]
	s_xor_b32 s0, exec_lo, s0
; %bb.730:
	v_cmp_ne_u32_e32 vcc_lo, 0, v103
	v_cndmask_b32_e32 v103, 44, v103, vcc_lo
; %bb.731:
	s_andn2_saveexec_b32 s0, s0
	s_cbranch_execz .LBB92_733
; %bb.732:
	v_div_scale_f64 v[101:102], null, v[0:1], v[0:1], 1.0
	v_rcp_f64_e32 v[110:111], v[101:102]
	v_fma_f64 v[112:113], -v[101:102], v[110:111], 1.0
	v_fma_f64 v[110:111], v[110:111], v[112:113], v[110:111]
	v_fma_f64 v[112:113], -v[101:102], v[110:111], 1.0
	v_fma_f64 v[110:111], v[110:111], v[112:113], v[110:111]
	v_div_scale_f64 v[112:113], vcc_lo, 1.0, v[0:1], 1.0
	v_mul_f64 v[114:115], v[112:113], v[110:111]
	v_fma_f64 v[101:102], -v[101:102], v[114:115], v[112:113]
	v_div_fmas_f64 v[101:102], v[101:102], v[110:111], v[114:115]
	v_div_fixup_f64 v[0:1], v[101:102], v[0:1], 1.0
.LBB92_733:
	s_or_b32 exec_lo, exec_lo, s0
	s_mov_b32 s0, exec_lo
	v_cmpx_ne_u32_e64 v109, v100
	s_xor_b32 s0, exec_lo, s0
	s_cbranch_execz .LBB92_739
; %bb.734:
	s_mov_b32 s1, exec_lo
	v_cmpx_eq_u32_e32 43, v109
	s_cbranch_execz .LBB92_738
; %bb.735:
	v_cmp_ne_u32_e32 vcc_lo, 43, v100
	s_xor_b32 s2, s6, -1
	s_and_b32 s3, s2, vcc_lo
	s_and_saveexec_b32 s2, s3
	s_cbranch_execz .LBB92_737
; %bb.736:
	v_ashrrev_i32_e32 v101, 31, v100
	v_lshlrev_b64 v[101:102], 2, v[100:101]
	v_add_co_u32 v101, vcc_lo, v4, v101
	v_add_co_ci_u32_e64 v102, null, v5, v102, vcc_lo
	s_clause 0x1
	global_load_dword v108, v[101:102], off
	global_load_dword v109, v[4:5], off offset:172
	s_waitcnt vmcnt(1)
	global_store_dword v[4:5], v108, off offset:172
	s_waitcnt vmcnt(0)
	global_store_dword v[101:102], v109, off
.LBB92_737:
	s_or_b32 exec_lo, exec_lo, s2
	v_mov_b32_e32 v108, v100
	v_mov_b32_e32 v109, v100
.LBB92_738:
	s_or_b32 exec_lo, exec_lo, s1
.LBB92_739:
	s_andn2_saveexec_b32 s0, s0
	s_cbranch_execz .LBB92_741
; %bb.740:
	v_mov_b32_e32 v100, v10
	v_mov_b32_e32 v101, v11
	;; [unrolled: 1-line block ×5, first 2 shown]
	ds_write2_b64 v106, v[100:101], v[110:111] offset0:44 offset1:45
	ds_write_b64 v106, v[98:99] offset:368
.LBB92_741:
	s_or_b32 exec_lo, exec_lo, s0
	s_mov_b32 s0, exec_lo
	s_waitcnt lgkmcnt(0)
	s_waitcnt_vscnt null, 0x0
	s_barrier
	buffer_gl0_inv
	v_cmpx_lt_i32_e32 43, v109
	s_cbranch_execz .LBB92_743
; %bb.742:
	v_mul_f64 v[8:9], v[0:1], v[8:9]
	ds_read2_b64 v[110:113], v106 offset0:44 offset1:45
	ds_read_b64 v[0:1], v106 offset:368
	s_waitcnt lgkmcnt(1)
	v_fma_f64 v[10:11], -v[8:9], v[110:111], v[10:11]
	v_fma_f64 v[6:7], -v[8:9], v[112:113], v[6:7]
	s_waitcnt lgkmcnt(0)
	v_fma_f64 v[98:99], -v[8:9], v[0:1], v[98:99]
.LBB92_743:
	s_or_b32 exec_lo, exec_lo, s0
	v_lshl_add_u32 v0, v109, 3, v106
	s_barrier
	buffer_gl0_inv
	v_mov_b32_e32 v100, 44
	ds_write_b64 v0, v[10:11]
	s_waitcnt lgkmcnt(0)
	s_barrier
	buffer_gl0_inv
	ds_read_b64 v[0:1], v106 offset:352
	s_cmp_lt_i32 s7, 46
	s_cbranch_scc1 .LBB92_746
; %bb.744:
	v_add3_u32 v101, v107, 0, 0x168
	v_mov_b32_e32 v100, 44
	s_mov_b32 s0, 45
.LBB92_745:                             ; =>This Inner Loop Header: Depth=1
	ds_read_b64 v[110:111], v101
	v_add_nc_u32_e32 v101, 8, v101
	s_waitcnt lgkmcnt(0)
	v_cmp_lt_f64_e64 vcc_lo, |v[0:1]|, |v[110:111]|
	v_cndmask_b32_e32 v1, v1, v111, vcc_lo
	v_cndmask_b32_e32 v0, v0, v110, vcc_lo
	v_cndmask_b32_e64 v100, v100, s0, vcc_lo
	s_add_i32 s0, s0, 1
	s_cmp_lg_u32 s7, s0
	s_cbranch_scc1 .LBB92_745
.LBB92_746:
	s_mov_b32 s0, exec_lo
	s_waitcnt lgkmcnt(0)
	v_cmpx_eq_f64_e32 0, v[0:1]
	s_xor_b32 s0, exec_lo, s0
; %bb.747:
	v_cmp_ne_u32_e32 vcc_lo, 0, v103
	v_cndmask_b32_e32 v103, 45, v103, vcc_lo
; %bb.748:
	s_andn2_saveexec_b32 s0, s0
	s_cbranch_execz .LBB92_750
; %bb.749:
	v_div_scale_f64 v[101:102], null, v[0:1], v[0:1], 1.0
	v_rcp_f64_e32 v[110:111], v[101:102]
	v_fma_f64 v[112:113], -v[101:102], v[110:111], 1.0
	v_fma_f64 v[110:111], v[110:111], v[112:113], v[110:111]
	v_fma_f64 v[112:113], -v[101:102], v[110:111], 1.0
	v_fma_f64 v[110:111], v[110:111], v[112:113], v[110:111]
	v_div_scale_f64 v[112:113], vcc_lo, 1.0, v[0:1], 1.0
	v_mul_f64 v[114:115], v[112:113], v[110:111]
	v_fma_f64 v[101:102], -v[101:102], v[114:115], v[112:113]
	v_div_fmas_f64 v[101:102], v[101:102], v[110:111], v[114:115]
	v_div_fixup_f64 v[0:1], v[101:102], v[0:1], 1.0
.LBB92_750:
	s_or_b32 exec_lo, exec_lo, s0
	s_mov_b32 s0, exec_lo
	v_cmpx_ne_u32_e64 v109, v100
	s_xor_b32 s0, exec_lo, s0
	s_cbranch_execz .LBB92_756
; %bb.751:
	s_mov_b32 s1, exec_lo
	v_cmpx_eq_u32_e32 44, v109
	s_cbranch_execz .LBB92_755
; %bb.752:
	v_cmp_ne_u32_e32 vcc_lo, 44, v100
	s_xor_b32 s2, s6, -1
	s_and_b32 s3, s2, vcc_lo
	s_and_saveexec_b32 s2, s3
	s_cbranch_execz .LBB92_754
; %bb.753:
	v_ashrrev_i32_e32 v101, 31, v100
	v_lshlrev_b64 v[101:102], 2, v[100:101]
	v_add_co_u32 v101, vcc_lo, v4, v101
	v_add_co_ci_u32_e64 v102, null, v5, v102, vcc_lo
	s_clause 0x1
	global_load_dword v108, v[101:102], off
	global_load_dword v109, v[4:5], off offset:176
	s_waitcnt vmcnt(1)
	global_store_dword v[4:5], v108, off offset:176
	s_waitcnt vmcnt(0)
	global_store_dword v[101:102], v109, off
.LBB92_754:
	s_or_b32 exec_lo, exec_lo, s2
	v_mov_b32_e32 v108, v100
	v_mov_b32_e32 v109, v100
.LBB92_755:
	s_or_b32 exec_lo, exec_lo, s1
.LBB92_756:
	s_andn2_saveexec_b32 s0, s0
; %bb.757:
	v_mov_b32_e32 v109, 44
	ds_write2_b64 v106, v[6:7], v[98:99] offset0:45 offset1:46
; %bb.758:
	s_or_b32 exec_lo, exec_lo, s0
	s_mov_b32 s0, exec_lo
	s_waitcnt lgkmcnt(0)
	s_waitcnt_vscnt null, 0x0
	s_barrier
	buffer_gl0_inv
	v_cmpx_lt_i32_e32 44, v109
	s_cbranch_execz .LBB92_760
; %bb.759:
	v_mul_f64 v[10:11], v[0:1], v[10:11]
	ds_read2_b64 v[110:113], v106 offset0:45 offset1:46
	s_waitcnt lgkmcnt(0)
	v_fma_f64 v[6:7], -v[10:11], v[110:111], v[6:7]
	v_fma_f64 v[98:99], -v[10:11], v[112:113], v[98:99]
.LBB92_760:
	s_or_b32 exec_lo, exec_lo, s0
	v_lshl_add_u32 v0, v109, 3, v106
	s_barrier
	buffer_gl0_inv
	v_mov_b32_e32 v100, 45
	ds_write_b64 v0, v[6:7]
	s_waitcnt lgkmcnt(0)
	s_barrier
	buffer_gl0_inv
	ds_read_b64 v[0:1], v106 offset:360
	s_cmp_lt_i32 s7, 47
	s_cbranch_scc1 .LBB92_763
; %bb.761:
	v_add3_u32 v101, v107, 0, 0x170
	v_mov_b32_e32 v100, 45
	s_mov_b32 s0, 46
.LBB92_762:                             ; =>This Inner Loop Header: Depth=1
	ds_read_b64 v[110:111], v101
	v_add_nc_u32_e32 v101, 8, v101
	s_waitcnt lgkmcnt(0)
	v_cmp_lt_f64_e64 vcc_lo, |v[0:1]|, |v[110:111]|
	v_cndmask_b32_e32 v1, v1, v111, vcc_lo
	v_cndmask_b32_e32 v0, v0, v110, vcc_lo
	v_cndmask_b32_e64 v100, v100, s0, vcc_lo
	s_add_i32 s0, s0, 1
	s_cmp_lg_u32 s7, s0
	s_cbranch_scc1 .LBB92_762
.LBB92_763:
	s_mov_b32 s0, exec_lo
	s_waitcnt lgkmcnt(0)
	v_cmpx_eq_f64_e32 0, v[0:1]
	s_xor_b32 s0, exec_lo, s0
; %bb.764:
	v_cmp_ne_u32_e32 vcc_lo, 0, v103
	v_cndmask_b32_e32 v103, 46, v103, vcc_lo
; %bb.765:
	s_andn2_saveexec_b32 s0, s0
	s_cbranch_execz .LBB92_767
; %bb.766:
	v_div_scale_f64 v[101:102], null, v[0:1], v[0:1], 1.0
	v_rcp_f64_e32 v[110:111], v[101:102]
	v_fma_f64 v[112:113], -v[101:102], v[110:111], 1.0
	v_fma_f64 v[110:111], v[110:111], v[112:113], v[110:111]
	v_fma_f64 v[112:113], -v[101:102], v[110:111], 1.0
	v_fma_f64 v[110:111], v[110:111], v[112:113], v[110:111]
	v_div_scale_f64 v[112:113], vcc_lo, 1.0, v[0:1], 1.0
	v_mul_f64 v[114:115], v[112:113], v[110:111]
	v_fma_f64 v[101:102], -v[101:102], v[114:115], v[112:113]
	v_div_fmas_f64 v[101:102], v[101:102], v[110:111], v[114:115]
	v_div_fixup_f64 v[0:1], v[101:102], v[0:1], 1.0
.LBB92_767:
	s_or_b32 exec_lo, exec_lo, s0
	s_mov_b32 s0, exec_lo
	v_cmpx_ne_u32_e64 v109, v100
	s_xor_b32 s0, exec_lo, s0
	s_cbranch_execz .LBB92_773
; %bb.768:
	s_mov_b32 s1, exec_lo
	v_cmpx_eq_u32_e32 45, v109
	s_cbranch_execz .LBB92_772
; %bb.769:
	v_cmp_ne_u32_e32 vcc_lo, 45, v100
	s_xor_b32 s2, s6, -1
	s_and_b32 s3, s2, vcc_lo
	s_and_saveexec_b32 s2, s3
	s_cbranch_execz .LBB92_771
; %bb.770:
	v_ashrrev_i32_e32 v101, 31, v100
	v_lshlrev_b64 v[101:102], 2, v[100:101]
	v_add_co_u32 v101, vcc_lo, v4, v101
	v_add_co_ci_u32_e64 v102, null, v5, v102, vcc_lo
	s_clause 0x1
	global_load_dword v108, v[101:102], off
	global_load_dword v109, v[4:5], off offset:180
	s_waitcnt vmcnt(1)
	global_store_dword v[4:5], v108, off offset:180
	s_waitcnt vmcnt(0)
	global_store_dword v[101:102], v109, off
.LBB92_771:
	s_or_b32 exec_lo, exec_lo, s2
	v_mov_b32_e32 v108, v100
	v_mov_b32_e32 v109, v100
.LBB92_772:
	s_or_b32 exec_lo, exec_lo, s1
.LBB92_773:
	s_andn2_saveexec_b32 s0, s0
; %bb.774:
	v_mov_b32_e32 v109, 45
	ds_write_b64 v106, v[98:99] offset:368
; %bb.775:
	s_or_b32 exec_lo, exec_lo, s0
	s_mov_b32 s0, exec_lo
	s_waitcnt lgkmcnt(0)
	s_waitcnt_vscnt null, 0x0
	s_barrier
	buffer_gl0_inv
	v_cmpx_lt_i32_e32 45, v109
	s_cbranch_execz .LBB92_777
; %bb.776:
	v_mul_f64 v[6:7], v[0:1], v[6:7]
	ds_read_b64 v[0:1], v106 offset:368
	s_waitcnt lgkmcnt(0)
	v_fma_f64 v[98:99], -v[6:7], v[0:1], v[98:99]
.LBB92_777:
	s_or_b32 exec_lo, exec_lo, s0
	v_lshl_add_u32 v0, v109, 3, v106
	s_barrier
	buffer_gl0_inv
	v_mov_b32_e32 v100, 46
	ds_write_b64 v0, v[98:99]
	s_waitcnt lgkmcnt(0)
	s_barrier
	buffer_gl0_inv
	ds_read_b64 v[0:1], v106 offset:368
	s_cmp_lt_i32 s7, 48
	s_cbranch_scc1 .LBB92_780
; %bb.778:
	v_add3_u32 v101, v107, 0, 0x178
	v_mov_b32_e32 v100, 46
	s_mov_b32 s0, 47
.LBB92_779:                             ; =>This Inner Loop Header: Depth=1
	ds_read_b64 v[106:107], v101
	v_add_nc_u32_e32 v101, 8, v101
	s_waitcnt lgkmcnt(0)
	v_cmp_lt_f64_e64 vcc_lo, |v[0:1]|, |v[106:107]|
	v_cndmask_b32_e32 v1, v1, v107, vcc_lo
	v_cndmask_b32_e32 v0, v0, v106, vcc_lo
	v_cndmask_b32_e64 v100, v100, s0, vcc_lo
	s_add_i32 s0, s0, 1
	s_cmp_lg_u32 s7, s0
	s_cbranch_scc1 .LBB92_779
.LBB92_780:
	s_mov_b32 s0, exec_lo
	s_waitcnt lgkmcnt(0)
	v_cmpx_eq_f64_e32 0, v[0:1]
	s_xor_b32 s0, exec_lo, s0
; %bb.781:
	v_cmp_ne_u32_e32 vcc_lo, 0, v103
	v_cndmask_b32_e32 v103, 47, v103, vcc_lo
; %bb.782:
	s_andn2_saveexec_b32 s0, s0
	s_cbranch_execz .LBB92_784
; %bb.783:
	v_div_scale_f64 v[101:102], null, v[0:1], v[0:1], 1.0
	v_rcp_f64_e32 v[106:107], v[101:102]
	v_fma_f64 v[110:111], -v[101:102], v[106:107], 1.0
	v_fma_f64 v[106:107], v[106:107], v[110:111], v[106:107]
	v_fma_f64 v[110:111], -v[101:102], v[106:107], 1.0
	v_fma_f64 v[106:107], v[106:107], v[110:111], v[106:107]
	v_div_scale_f64 v[110:111], vcc_lo, 1.0, v[0:1], 1.0
	v_mul_f64 v[112:113], v[110:111], v[106:107]
	v_fma_f64 v[101:102], -v[101:102], v[112:113], v[110:111]
	v_div_fmas_f64 v[101:102], v[101:102], v[106:107], v[112:113]
	v_div_fixup_f64 v[0:1], v[101:102], v[0:1], 1.0
.LBB92_784:
	s_or_b32 exec_lo, exec_lo, s0
	v_mov_b32_e32 v101, 46
	s_mov_b32 s0, exec_lo
	v_cmpx_ne_u32_e64 v109, v100
	s_cbranch_execz .LBB92_790
; %bb.785:
	s_mov_b32 s1, exec_lo
	v_cmpx_eq_u32_e32 46, v109
	s_cbranch_execz .LBB92_789
; %bb.786:
	v_cmp_ne_u32_e32 vcc_lo, 46, v100
	s_xor_b32 s2, s6, -1
	s_and_b32 s3, s2, vcc_lo
	s_and_saveexec_b32 s2, s3
	s_cbranch_execz .LBB92_788
; %bb.787:
	v_ashrrev_i32_e32 v101, 31, v100
	v_lshlrev_b64 v[101:102], 2, v[100:101]
	v_add_co_u32 v101, vcc_lo, v4, v101
	v_add_co_ci_u32_e64 v102, null, v5, v102, vcc_lo
	s_clause 0x1
	global_load_dword v106, v[101:102], off
	global_load_dword v107, v[4:5], off offset:184
	s_waitcnt vmcnt(1)
	global_store_dword v[4:5], v106, off offset:184
	s_waitcnt vmcnt(0)
	global_store_dword v[101:102], v107, off
.LBB92_788:
	s_or_b32 exec_lo, exec_lo, s2
	v_mov_b32_e32 v108, v100
	v_mov_b32_e32 v109, v100
.LBB92_789:
	s_or_b32 exec_lo, exec_lo, s1
	v_mov_b32_e32 v101, v109
.LBB92_790:
	s_or_b32 exec_lo, exec_lo, s0
	s_load_dwordx8 s[0:7], s[4:5], 0x28
	v_ashrrev_i32_e32 v102, 31, v101
	s_mov_b32 s9, exec_lo
	s_waitcnt lgkmcnt(0)
	s_waitcnt_vscnt null, 0x0
	s_barrier
	buffer_gl0_inv
	s_barrier
	buffer_gl0_inv
	v_cmpx_gt_i32_e32 47, v101
	s_cbranch_execz .LBB92_792
; %bb.791:
	v_mul_lo_u32 v100, s5, v2
	v_mul_lo_u32 v106, s4, v3
	v_mad_u64_u32 v[4:5], null, s4, v2, 0
	s_lshl_b64 s[2:3], s[2:3], 2
	v_add3_u32 v5, v5, v106, v100
	v_lshlrev_b64 v[4:5], 2, v[4:5]
	v_add_co_u32 v100, vcc_lo, s0, v4
	v_add_co_ci_u32_e64 v106, null, s1, v5, vcc_lo
	v_lshlrev_b64 v[4:5], 2, v[101:102]
	v_add_co_u32 v100, vcc_lo, v100, s2
	v_add_co_ci_u32_e64 v106, null, s3, v106, vcc_lo
	v_add_co_u32 v4, vcc_lo, v100, v4
	v_add_co_ci_u32_e64 v5, null, v106, v5, vcc_lo
	v_add3_u32 v100, v108, s13, 1
	global_store_dword v[4:5], v100, off
.LBB92_792:
	s_or_b32 exec_lo, exec_lo, s9
	s_mov_b32 s1, exec_lo
	v_cmpx_eq_u32_e32 0, v101
	s_cbranch_execz .LBB92_795
; %bb.793:
	v_lshlrev_b64 v[2:3], 2, v[2:3]
	v_cmp_ne_u32_e64 s0, 0, v103
	v_add_co_u32 v2, vcc_lo, s6, v2
	v_add_co_ci_u32_e64 v3, null, s7, v3, vcc_lo
	global_load_dword v4, v[2:3], off
	s_waitcnt vmcnt(0)
	v_cmp_eq_u32_e32 vcc_lo, 0, v4
	s_and_b32 s0, vcc_lo, s0
	s_and_b32 exec_lo, exec_lo, s0
	s_cbranch_execz .LBB92_795
; %bb.794:
	v_add_nc_u32_e32 v4, s13, v103
	global_store_dword v[2:3], v4, off
.LBB92_795:
	s_or_b32 exec_lo, exec_lo, s1
	v_mul_f64 v[0:1], v[0:1], v[98:99]
	v_add3_u32 v2, s8, s8, v101
	v_lshlrev_b64 v[4:5], 3, v[101:102]
	v_cmp_lt_i32_e32 vcc_lo, 46, v101
	v_add_nc_u32_e32 v100, s8, v2
	v_ashrrev_i32_e32 v3, 31, v2
	v_add_co_u32 v4, s0, v104, v4
	v_add_co_ci_u32_e64 v5, null, v105, v5, s0
	v_add_nc_u32_e32 v102, s8, v100
	v_ashrrev_i32_e32 v101, 31, v100
	v_add_co_u32 v106, s0, v4, s10
	v_add_co_ci_u32_e64 v107, null, s11, v5, s0
	v_ashrrev_i32_e32 v103, 31, v102
	v_lshlrev_b64 v[2:3], 3, v[2:3]
	flat_store_dwordx2 v[4:5], v[96:97]
	v_lshlrev_b64 v[4:5], 3, v[100:101]
	flat_store_dwordx2 v[106:107], v[94:95]
	v_lshlrev_b64 v[94:95], 3, v[102:103]
	v_cndmask_b32_e32 v1, v99, v1, vcc_lo
	v_cndmask_b32_e32 v0, v98, v0, vcc_lo
	v_add_co_u32 v2, vcc_lo, v104, v2
	v_add_nc_u32_e32 v96, s8, v102
	v_add_co_ci_u32_e64 v3, null, v105, v3, vcc_lo
	v_add_co_u32 v4, vcc_lo, v104, v4
	v_add_co_ci_u32_e64 v5, null, v105, v5, vcc_lo
	v_add_co_u32 v94, vcc_lo, v104, v94
	v_add_nc_u32_e32 v98, s8, v96
	v_add_co_ci_u32_e64 v95, null, v105, v95, vcc_lo
	v_ashrrev_i32_e32 v97, 31, v96
	flat_store_dwordx2 v[2:3], v[92:93]
	flat_store_dwordx2 v[4:5], v[88:89]
	flat_store_dwordx2 v[94:95], v[90:91]
	v_add_nc_u32_e32 v88, s8, v98
	v_ashrrev_i32_e32 v99, 31, v98
	v_lshlrev_b64 v[2:3], 3, v[96:97]
	v_add_nc_u32_e32 v90, s8, v88
	v_lshlrev_b64 v[4:5], 3, v[98:99]
	v_ashrrev_i32_e32 v89, 31, v88
	v_add_co_u32 v2, vcc_lo, v104, v2
	v_add_nc_u32_e32 v92, s8, v90
	v_add_co_ci_u32_e64 v3, null, v105, v3, vcc_lo
	v_add_co_u32 v4, vcc_lo, v104, v4
	v_ashrrev_i32_e32 v91, 31, v90
	v_add_co_ci_u32_e64 v5, null, v105, v5, vcc_lo
	v_ashrrev_i32_e32 v93, 31, v92
	v_lshlrev_b64 v[88:89], 3, v[88:89]
	flat_store_dwordx2 v[2:3], v[84:85]
	flat_store_dwordx2 v[4:5], v[86:87]
	v_lshlrev_b64 v[2:3], 3, v[90:91]
	v_add_nc_u32_e32 v86, s8, v92
	v_lshlrev_b64 v[84:85], 3, v[92:93]
	v_add_co_u32 v4, vcc_lo, v104, v88
	v_add_co_ci_u32_e64 v5, null, v105, v89, vcc_lo
	v_add_co_u32 v2, vcc_lo, v104, v2
	v_add_co_ci_u32_e64 v3, null, v105, v3, vcc_lo
	v_add_co_u32 v84, vcc_lo, v104, v84
	v_add_nc_u32_e32 v88, s8, v86
	v_add_co_ci_u32_e64 v85, null, v105, v85, vcc_lo
	v_ashrrev_i32_e32 v87, 31, v86
	flat_store_dwordx2 v[4:5], v[82:83]
	flat_store_dwordx2 v[2:3], v[80:81]
	flat_store_dwordx2 v[84:85], v[78:79]
	v_add_nc_u32_e32 v78, s8, v88
	v_ashrrev_i32_e32 v89, 31, v88
	v_lshlrev_b64 v[4:5], 3, v[86:87]
	v_add_nc_u32_e32 v80, s8, v78
	v_lshlrev_b64 v[2:3], 3, v[88:89]
	v_ashrrev_i32_e32 v79, 31, v78
	v_add_co_u32 v4, vcc_lo, v104, v4
	v_add_nc_u32_e32 v82, s8, v80
	v_add_co_ci_u32_e64 v5, null, v105, v5, vcc_lo
	v_add_co_u32 v2, vcc_lo, v104, v2
	v_ashrrev_i32_e32 v81, 31, v80
	v_add_co_ci_u32_e64 v3, null, v105, v3, vcc_lo
	v_ashrrev_i32_e32 v83, 31, v82
	v_lshlrev_b64 v[78:79], 3, v[78:79]
	flat_store_dwordx2 v[4:5], v[76:77]
	flat_store_dwordx2 v[2:3], v[74:75]
	v_lshlrev_b64 v[2:3], 3, v[80:81]
	v_add_nc_u32_e32 v76, s8, v82
	v_lshlrev_b64 v[74:75], 3, v[82:83]
	v_add_co_u32 v4, vcc_lo, v104, v78
	;; [unrolled: 30-line block ×7, first 2 shown]
	v_add_co_ci_u32_e64 v5, null, v105, v29, vcc_lo
	v_add_co_u32 v2, vcc_lo, v104, v2
	v_add_nc_u32_e32 v28, s8, v26
	v_add_co_ci_u32_e64 v3, null, v105, v3, vcc_lo
	v_add_co_u32 v24, vcc_lo, v104, v24
	v_ashrrev_i32_e32 v27, 31, v26
	v_add_co_ci_u32_e64 v25, null, v105, v25, vcc_lo
	v_ashrrev_i32_e32 v29, 31, v28
	flat_store_dwordx2 v[4:5], v[22:23]
	v_lshlrev_b64 v[4:5], 3, v[26:27]
	flat_store_dwordx2 v[2:3], v[20:21]
	flat_store_dwordx2 v[24:25], v[18:19]
	v_add_nc_u32_e32 v18, s8, v28
	v_lshlrev_b64 v[2:3], 3, v[28:29]
	v_add_co_u32 v4, vcc_lo, v104, v4
	v_add_nc_u32_e32 v20, s8, v18
	v_add_co_ci_u32_e64 v5, null, v105, v5, vcc_lo
	v_add_co_u32 v2, vcc_lo, v104, v2
	v_add_co_ci_u32_e64 v3, null, v105, v3, vcc_lo
	v_add_nc_u32_e32 v22, s8, v20
	v_ashrrev_i32_e32 v19, 31, v18
	flat_store_dwordx2 v[4:5], v[16:17]
	flat_store_dwordx2 v[2:3], v[14:15]
	v_ashrrev_i32_e32 v21, 31, v20
	v_add_nc_u32_e32 v14, s8, v22
	v_lshlrev_b64 v[4:5], 3, v[18:19]
	v_ashrrev_i32_e32 v23, 31, v22
	v_lshlrev_b64 v[2:3], 3, v[20:21]
	v_add_nc_u32_e32 v18, s8, v14
	v_ashrrev_i32_e32 v15, 31, v14
	v_lshlrev_b64 v[16:17], 3, v[22:23]
	v_add_co_u32 v4, vcc_lo, v104, v4
	v_ashrrev_i32_e32 v19, 31, v18
	v_lshlrev_b64 v[14:15], 3, v[14:15]
	v_add_co_ci_u32_e64 v5, null, v105, v5, vcc_lo
	v_add_co_u32 v2, vcc_lo, v104, v2
	v_lshlrev_b64 v[18:19], 3, v[18:19]
	v_add_co_ci_u32_e64 v3, null, v105, v3, vcc_lo
	v_add_co_u32 v16, vcc_lo, v104, v16
	v_add_co_ci_u32_e64 v17, null, v105, v17, vcc_lo
	v_add_co_u32 v14, vcc_lo, v104, v14
	;; [unrolled: 2-line block ×3, first 2 shown]
	v_add_co_ci_u32_e64 v19, null, v105, v19, vcc_lo
	flat_store_dwordx2 v[4:5], v[12:13]
	flat_store_dwordx2 v[2:3], v[8:9]
	;; [unrolled: 1-line block ×5, first 2 shown]
.LBB92_796:
	s_endpgm
	.section	.rodata,"a",@progbits
	.p2align	6, 0x0
	.amdhsa_kernel _ZN9rocsolver6v33100L18getf2_small_kernelILi47EdiiPKPdEEvT1_T3_lS5_lPS5_llPT2_S5_S5_S7_l
		.amdhsa_group_segment_fixed_size 0
		.amdhsa_private_segment_fixed_size 0
		.amdhsa_kernarg_size 352
		.amdhsa_user_sgpr_count 6
		.amdhsa_user_sgpr_private_segment_buffer 1
		.amdhsa_user_sgpr_dispatch_ptr 0
		.amdhsa_user_sgpr_queue_ptr 0
		.amdhsa_user_sgpr_kernarg_segment_ptr 1
		.amdhsa_user_sgpr_dispatch_id 0
		.amdhsa_user_sgpr_flat_scratch_init 0
		.amdhsa_user_sgpr_private_segment_size 0
		.amdhsa_wavefront_size32 1
		.amdhsa_uses_dynamic_stack 0
		.amdhsa_system_sgpr_private_segment_wavefront_offset 0
		.amdhsa_system_sgpr_workgroup_id_x 1
		.amdhsa_system_sgpr_workgroup_id_y 1
		.amdhsa_system_sgpr_workgroup_id_z 0
		.amdhsa_system_sgpr_workgroup_info 0
		.amdhsa_system_vgpr_workitem_id 1
		.amdhsa_next_free_vgpr 198
		.amdhsa_next_free_sgpr 14
		.amdhsa_reserve_vcc 1
		.amdhsa_reserve_flat_scratch 1
		.amdhsa_float_round_mode_32 0
		.amdhsa_float_round_mode_16_64 0
		.amdhsa_float_denorm_mode_32 3
		.amdhsa_float_denorm_mode_16_64 3
		.amdhsa_dx10_clamp 1
		.amdhsa_ieee_mode 1
		.amdhsa_fp16_overflow 0
		.amdhsa_workgroup_processor_mode 1
		.amdhsa_memory_ordered 1
		.amdhsa_forward_progress 1
		.amdhsa_shared_vgpr_count 0
		.amdhsa_exception_fp_ieee_invalid_op 0
		.amdhsa_exception_fp_denorm_src 0
		.amdhsa_exception_fp_ieee_div_zero 0
		.amdhsa_exception_fp_ieee_overflow 0
		.amdhsa_exception_fp_ieee_underflow 0
		.amdhsa_exception_fp_ieee_inexact 0
		.amdhsa_exception_int_div_zero 0
	.end_amdhsa_kernel
	.section	.text._ZN9rocsolver6v33100L18getf2_small_kernelILi47EdiiPKPdEEvT1_T3_lS5_lPS5_llPT2_S5_S5_S7_l,"axG",@progbits,_ZN9rocsolver6v33100L18getf2_small_kernelILi47EdiiPKPdEEvT1_T3_lS5_lPS5_llPT2_S5_S5_S7_l,comdat
.Lfunc_end92:
	.size	_ZN9rocsolver6v33100L18getf2_small_kernelILi47EdiiPKPdEEvT1_T3_lS5_lPS5_llPT2_S5_S5_S7_l, .Lfunc_end92-_ZN9rocsolver6v33100L18getf2_small_kernelILi47EdiiPKPdEEvT1_T3_lS5_lPS5_llPT2_S5_S5_S7_l
                                        ; -- End function
	.set _ZN9rocsolver6v33100L18getf2_small_kernelILi47EdiiPKPdEEvT1_T3_lS5_lPS5_llPT2_S5_S5_S7_l.num_vgpr, 198
	.set _ZN9rocsolver6v33100L18getf2_small_kernelILi47EdiiPKPdEEvT1_T3_lS5_lPS5_llPT2_S5_S5_S7_l.num_agpr, 0
	.set _ZN9rocsolver6v33100L18getf2_small_kernelILi47EdiiPKPdEEvT1_T3_lS5_lPS5_llPT2_S5_S5_S7_l.numbered_sgpr, 14
	.set _ZN9rocsolver6v33100L18getf2_small_kernelILi47EdiiPKPdEEvT1_T3_lS5_lPS5_llPT2_S5_S5_S7_l.num_named_barrier, 0
	.set _ZN9rocsolver6v33100L18getf2_small_kernelILi47EdiiPKPdEEvT1_T3_lS5_lPS5_llPT2_S5_S5_S7_l.private_seg_size, 0
	.set _ZN9rocsolver6v33100L18getf2_small_kernelILi47EdiiPKPdEEvT1_T3_lS5_lPS5_llPT2_S5_S5_S7_l.uses_vcc, 1
	.set _ZN9rocsolver6v33100L18getf2_small_kernelILi47EdiiPKPdEEvT1_T3_lS5_lPS5_llPT2_S5_S5_S7_l.uses_flat_scratch, 1
	.set _ZN9rocsolver6v33100L18getf2_small_kernelILi47EdiiPKPdEEvT1_T3_lS5_lPS5_llPT2_S5_S5_S7_l.has_dyn_sized_stack, 0
	.set _ZN9rocsolver6v33100L18getf2_small_kernelILi47EdiiPKPdEEvT1_T3_lS5_lPS5_llPT2_S5_S5_S7_l.has_recursion, 0
	.set _ZN9rocsolver6v33100L18getf2_small_kernelILi47EdiiPKPdEEvT1_T3_lS5_lPS5_llPT2_S5_S5_S7_l.has_indirect_call, 0
	.section	.AMDGPU.csdata,"",@progbits
; Kernel info:
; codeLenInByte = 49344
; TotalNumSgprs: 16
; NumVgprs: 198
; ScratchSize: 0
; MemoryBound: 0
; FloatMode: 240
; IeeeMode: 1
; LDSByteSize: 0 bytes/workgroup (compile time only)
; SGPRBlocks: 0
; VGPRBlocks: 24
; NumSGPRsForWavesPerEU: 16
; NumVGPRsForWavesPerEU: 198
; Occupancy: 4
; WaveLimiterHint : 1
; COMPUTE_PGM_RSRC2:SCRATCH_EN: 0
; COMPUTE_PGM_RSRC2:USER_SGPR: 6
; COMPUTE_PGM_RSRC2:TRAP_HANDLER: 0
; COMPUTE_PGM_RSRC2:TGID_X_EN: 1
; COMPUTE_PGM_RSRC2:TGID_Y_EN: 1
; COMPUTE_PGM_RSRC2:TGID_Z_EN: 0
; COMPUTE_PGM_RSRC2:TIDIG_COMP_CNT: 1
	.section	.text._ZN9rocsolver6v33100L23getf2_npvt_small_kernelILi47EdiiPKPdEEvT1_T3_lS5_lPT2_S5_S5_,"axG",@progbits,_ZN9rocsolver6v33100L23getf2_npvt_small_kernelILi47EdiiPKPdEEvT1_T3_lS5_lPT2_S5_S5_,comdat
	.globl	_ZN9rocsolver6v33100L23getf2_npvt_small_kernelILi47EdiiPKPdEEvT1_T3_lS5_lPT2_S5_S5_ ; -- Begin function _ZN9rocsolver6v33100L23getf2_npvt_small_kernelILi47EdiiPKPdEEvT1_T3_lS5_lPT2_S5_S5_
	.p2align	8
	.type	_ZN9rocsolver6v33100L23getf2_npvt_small_kernelILi47EdiiPKPdEEvT1_T3_lS5_lPT2_S5_S5_,@function
_ZN9rocsolver6v33100L23getf2_npvt_small_kernelILi47EdiiPKPdEEvT1_T3_lS5_lPT2_S5_S5_: ; @_ZN9rocsolver6v33100L23getf2_npvt_small_kernelILi47EdiiPKPdEEvT1_T3_lS5_lPT2_S5_S5_
; %bb.0:
	s_mov_b64 s[14:15], s[2:3]
	s_mov_b64 s[12:13], s[0:1]
	s_add_u32 s12, s12, s8
	s_clause 0x1
	s_load_dword s0, s[4:5], 0x44
	s_load_dwordx2 s[8:9], s[4:5], 0x30
	s_addc_u32 s13, s13, 0
	s_waitcnt lgkmcnt(0)
	s_lshr_b32 s10, s0, 16
	s_mov_b32 s0, exec_lo
	v_mad_u64_u32 v[2:3], null, s7, s10, v[1:2]
	v_cmpx_gt_i32_e64 s8, v2
	s_cbranch_execz .LBB93_238
; %bb.1:
	s_clause 0x1
	s_load_dwordx4 s[0:3], s[4:5], 0x8
	s_load_dword s6, s[4:5], 0x18
	v_ashrrev_i32_e32 v3, 31, v2
	v_lshlrev_b32_e32 v98, 3, v0
	v_lshlrev_b32_e32 v192, 3, v1
	s_mulk_i32 s10, 0x178
	v_mad_u32_u24 v222, 0x178, v1, 0
	v_lshlrev_b64 v[4:5], 3, v[2:3]
	v_add3_u32 v1, 0, s10, v192
	s_waitcnt lgkmcnt(0)
	v_add_co_u32 v4, vcc_lo, s0, v4
	v_add_co_ci_u32_e64 v5, null, s1, v5, vcc_lo
	v_add3_u32 v6, s6, s6, v0
	s_lshl_b64 s[2:3], s[2:3], 3
	s_ashr_i32 s7, s6, 31
	global_load_dwordx2 v[4:5], v[4:5], off
	s_lshl_b64 s[0:1], s[6:7], 3
	v_add_nc_u32_e32 v8, s6, v6
	v_ashrrev_i32_e32 v7, 31, v6
	v_add_nc_u32_e32 v10, s6, v8
	v_ashrrev_i32_e32 v9, 31, v8
	v_lshlrev_b64 v[6:7], 3, v[6:7]
	v_ashrrev_i32_e32 v11, 31, v10
	v_lshlrev_b64 v[8:9], 3, v[8:9]
	v_add_nc_u32_e32 v12, s6, v10
	v_lshlrev_b64 v[10:11], 3, v[10:11]
	v_ashrrev_i32_e32 v13, 31, v12
	v_add_nc_u32_e32 v14, s6, v12
	v_lshlrev_b64 v[12:13], 3, v[12:13]
	v_ashrrev_i32_e32 v15, 31, v14
	;; [unrolled: 3-line block ×3, first 2 shown]
	v_add_nc_u32_e32 v18, s6, v16
	v_lshlrev_b64 v[16:17], 3, v[16:17]
	v_add_nc_u32_e32 v20, s6, v18
	v_ashrrev_i32_e32 v19, 31, v18
	v_add_nc_u32_e32 v22, s6, v20
	v_ashrrev_i32_e32 v21, 31, v20
	v_lshlrev_b64 v[18:19], 3, v[18:19]
	v_add_nc_u32_e32 v24, s6, v22
	v_ashrrev_i32_e32 v23, 31, v22
	v_lshlrev_b64 v[20:21], 3, v[20:21]
	;; [unrolled: 3-line block ×37, first 2 shown]
	v_ashrrev_i32_e32 v95, 31, v94
	v_lshlrev_b64 v[92:93], 3, v[92:93]
	v_lshlrev_b64 v[96:97], 3, v[94:95]
	s_waitcnt vmcnt(0)
	v_add_co_u32 v99, vcc_lo, v4, s2
	v_add_co_ci_u32_e64 v100, null, s3, v5, vcc_lo
	v_add_co_u32 v4, vcc_lo, v99, v6
	v_add_co_ci_u32_e64 v5, null, v100, v7, vcc_lo
	;; [unrolled: 2-line block ×4, first 2 shown]
	buffer_store_dword v8, off, s[12:15], 0 offset:80 ; 4-byte Folded Spill
	buffer_store_dword v9, off, s[12:15], 0 offset:84 ; 4-byte Folded Spill
	v_add_co_u32 v10, vcc_lo, v99, v12
	v_add_co_ci_u32_e64 v11, null, v100, v13, vcc_lo
	v_add_co_u32 v12, vcc_lo, v99, v14
	v_add_co_ci_u32_e64 v13, null, v100, v15, vcc_lo
	v_add_co_u32 v14, vcc_lo, v99, v16
	v_add_co_ci_u32_e64 v15, null, v100, v17, vcc_lo
	v_add_co_u32 v16, vcc_lo, v99, v18
	v_add_co_ci_u32_e64 v17, null, v100, v19, vcc_lo
	v_add_co_u32 v18, vcc_lo, v99, v20
	v_add_co_ci_u32_e64 v19, null, v100, v21, vcc_lo
	v_add_co_u32 v20, vcc_lo, v99, v22
	v_add_co_ci_u32_e64 v21, null, v100, v23, vcc_lo
	v_add_co_u32 v22, vcc_lo, v99, v24
	v_add_co_ci_u32_e64 v23, null, v100, v25, vcc_lo
	v_add_co_u32 v24, vcc_lo, v99, v26
	v_add_co_ci_u32_e64 v25, null, v100, v27, vcc_lo
	v_add_co_u32 v26, vcc_lo, v99, v28
	v_add_co_ci_u32_e64 v27, null, v100, v29, vcc_lo
	v_add_co_u32 v28, vcc_lo, v99, v30
	v_add_co_ci_u32_e64 v29, null, v100, v31, vcc_lo
	v_add_co_u32 v30, vcc_lo, v99, v32
	v_add_co_ci_u32_e64 v31, null, v100, v33, vcc_lo
	v_add_co_u32 v32, vcc_lo, v99, v34
	v_add_co_ci_u32_e64 v33, null, v100, v35, vcc_lo
	v_add_co_u32 v34, vcc_lo, v99, v36
	v_add_co_ci_u32_e64 v35, null, v100, v37, vcc_lo
	v_add_co_u32 v38, vcc_lo, v99, v38
	v_add_co_ci_u32_e64 v39, null, v100, v39, vcc_lo
	v_add_co_u32 v36, vcc_lo, v99, v40
	v_add_co_ci_u32_e64 v37, null, v100, v41, vcc_lo
	v_add_co_u32 v40, vcc_lo, v99, v42
	v_add_co_ci_u32_e64 v41, null, v100, v43, vcc_lo
	v_add_co_u32 v42, vcc_lo, v99, v44
	v_add_co_ci_u32_e64 v43, null, v100, v45, vcc_lo
	v_add_co_u32 v44, vcc_lo, v99, v46
	v_add_co_ci_u32_e64 v45, null, v100, v47, vcc_lo
	v_add_co_u32 v46, vcc_lo, v99, v48
	v_add_co_ci_u32_e64 v47, null, v100, v49, vcc_lo
	v_add_co_u32 v48, vcc_lo, v99, v50
	v_add_co_ci_u32_e64 v49, null, v100, v51, vcc_lo
	v_add_co_u32 v50, vcc_lo, v99, v52
	v_add_co_ci_u32_e64 v51, null, v100, v53, vcc_lo
	v_add_co_u32 v52, vcc_lo, v99, v54
	v_add_co_ci_u32_e64 v53, null, v100, v55, vcc_lo
	v_add_co_u32 v54, vcc_lo, v99, v56
	v_add_co_ci_u32_e64 v55, null, v100, v57, vcc_lo
	v_add_co_u32 v56, vcc_lo, v99, v58
	v_add_co_ci_u32_e64 v57, null, v100, v59, vcc_lo
	v_add_co_u32 v58, vcc_lo, v99, v60
	v_add_co_ci_u32_e64 v59, null, v100, v61, vcc_lo
	v_add_co_u32 v60, vcc_lo, v99, v62
	v_add_co_ci_u32_e64 v61, null, v100, v63, vcc_lo
	v_add_co_u32 v62, vcc_lo, v99, v64
	v_add_co_ci_u32_e64 v63, null, v100, v65, vcc_lo
	v_add_co_u32 v64, vcc_lo, v99, v66
	v_add_co_ci_u32_e64 v65, null, v100, v67, vcc_lo
	v_add_co_u32 v66, vcc_lo, v99, v68
	v_add_co_ci_u32_e64 v67, null, v100, v69, vcc_lo
	v_add_co_u32 v68, vcc_lo, v99, v70
	v_add_co_ci_u32_e64 v69, null, v100, v71, vcc_lo
	v_add_co_u32 v70, vcc_lo, v99, v72
	v_add_co_ci_u32_e64 v71, null, v100, v73, vcc_lo
	v_add_co_u32 v72, vcc_lo, v99, v74
	v_add_co_ci_u32_e64 v73, null, v100, v75, vcc_lo
	v_add_co_u32 v74, vcc_lo, v99, v76
	v_add_co_ci_u32_e64 v75, null, v100, v77, vcc_lo
	v_add_co_u32 v76, vcc_lo, v99, v78
	v_add_co_ci_u32_e64 v77, null, v100, v79, vcc_lo
	v_add_co_u32 v78, vcc_lo, v99, v80
	v_add_co_ci_u32_e64 v79, null, v100, v81, vcc_lo
	v_add_co_u32 v80, vcc_lo, v99, v82
	v_add_co_ci_u32_e64 v81, null, v100, v83, vcc_lo
	v_add_co_u32 v82, vcc_lo, v99, v84
	v_add_co_ci_u32_e64 v83, null, v100, v85, vcc_lo
	v_add_co_u32 v84, vcc_lo, v99, v86
	v_add_co_ci_u32_e64 v85, null, v100, v87, vcc_lo
	v_add_co_u32 v86, vcc_lo, v99, v88
	v_add_co_ci_u32_e64 v87, null, v100, v89, vcc_lo
	v_add_co_u32 v88, vcc_lo, v99, v90
	v_add_co_ci_u32_e64 v89, null, v100, v91, vcc_lo
	v_add_co_u32 v90, vcc_lo, v99, v92
	v_add_co_ci_u32_e64 v91, null, v100, v93, vcc_lo
	v_add_co_u32 v94, vcc_lo, v99, v98
	v_add_co_ci_u32_e64 v95, null, 0, v100, vcc_lo
	v_add_co_u32 v92, vcc_lo, v99, v96
	v_add_co_ci_u32_e64 v93, null, v100, v97, vcc_lo
	v_add_co_u32 v112, vcc_lo, v94, s0
	v_add_co_ci_u32_e64 v113, null, s1, v95, vcc_lo
	v_cmp_ne_u32_e64 s1, 0, v0
	v_cmp_eq_u32_e64 s0, 0, v0
	flat_load_dwordx2 v[110:111], v[8:9]
	buffer_store_dword v10, off, s[12:15], 0 offset:88 ; 4-byte Folded Spill
	buffer_store_dword v11, off, s[12:15], 0 offset:92 ; 4-byte Folded Spill
	flat_load_dwordx2 v[102:103], v[10:11]
	buffer_store_dword v12, off, s[12:15], 0 offset:96 ; 4-byte Folded Spill
	buffer_store_dword v13, off, s[12:15], 0 offset:100 ; 4-byte Folded Spill
	;; [unrolled: 3-line block ×9, first 2 shown]
	s_clause 0x8
	flat_load_dwordx2 v[120:121], v[26:27]
	flat_load_dwordx2 v[126:127], v[28:29]
	;; [unrolled: 1-line block ×9, first 2 shown]
	buffer_store_dword v4, off, s[12:15], 0 offset:64 ; 4-byte Folded Spill
	buffer_store_dword v5, off, s[12:15], 0 offset:68 ; 4-byte Folded Spill
	flat_load_dwordx2 v[188:189], v[4:5]
	buffer_store_dword v6, off, s[12:15], 0 offset:72 ; 4-byte Folded Spill
	buffer_store_dword v7, off, s[12:15], 0 offset:76 ; 4-byte Folded Spill
	s_clause 0x1b
	flat_load_dwordx2 v[184:185], v[6:7]
	flat_load_dwordx2 v[180:181], v[40:41]
	;; [unrolled: 1-line block ×28, first 2 shown]
	s_and_saveexec_b32 s2, s0
	s_cbranch_execz .LBB93_4
; %bb.2:
	s_waitcnt vmcnt(30) lgkmcnt(30)
	ds_write_b64 v1, v[182:183]
	s_waitcnt vmcnt(28) lgkmcnt(29)
	ds_write2_b64 v222, v[186:187], v[188:189] offset0:1 offset1:2
	s_waitcnt vmcnt(27) lgkmcnt(29)
	ds_write2_b64 v222, v[184:185], v[110:111] offset0:3 offset1:4
	ds_write2_b64 v222, v[102:103], v[108:109] offset0:5 offset1:6
	;; [unrolled: 1-line block ×8, first 2 shown]
	s_waitcnt vmcnt(26) lgkmcnt(36)
	ds_write2_b64 v222, v[114:115], v[180:181] offset0:19 offset1:20
	s_waitcnt vmcnt(24) lgkmcnt(35)
	ds_write2_b64 v222, v[154:155], v[178:179] offset0:21 offset1:22
	;; [unrolled: 2-line block ×14, first 2 shown]
	ds_read_b64 v[192:193], v1
	s_waitcnt lgkmcnt(0)
	v_cmp_neq_f64_e32 vcc_lo, 0, v[192:193]
	s_and_b32 exec_lo, exec_lo, vcc_lo
	s_cbranch_execz .LBB93_4
; %bb.3:
	v_div_scale_f64 v[194:195], null, v[192:193], v[192:193], 1.0
	v_rcp_f64_e32 v[196:197], v[194:195]
	v_fma_f64 v[198:199], -v[194:195], v[196:197], 1.0
	v_fma_f64 v[196:197], v[196:197], v[198:199], v[196:197]
	v_fma_f64 v[198:199], -v[194:195], v[196:197], 1.0
	v_fma_f64 v[196:197], v[196:197], v[198:199], v[196:197]
	v_div_scale_f64 v[198:199], vcc_lo, 1.0, v[192:193], 1.0
	v_mul_f64 v[200:201], v[198:199], v[196:197]
	v_fma_f64 v[194:195], -v[194:195], v[200:201], v[198:199]
	v_div_fmas_f64 v[194:195], v[194:195], v[196:197], v[200:201]
	v_div_fixup_f64 v[192:193], v[194:195], v[192:193], 1.0
	ds_write_b64 v1, v[192:193]
.LBB93_4:
	s_or_b32 exec_lo, exec_lo, s2
	s_waitcnt vmcnt(0) lgkmcnt(0)
	s_waitcnt_vscnt null, 0x0
	s_barrier
	buffer_gl0_inv
	ds_read_b64 v[192:193], v1
	s_waitcnt lgkmcnt(0)
	buffer_store_dword v192, off, s[12:15], 0 ; 4-byte Folded Spill
	buffer_store_dword v193, off, s[12:15], 0 offset:4 ; 4-byte Folded Spill
	s_and_saveexec_b32 s2, s1
	s_cbranch_execz .LBB93_6
; %bb.5:
	s_clause 0x1
	buffer_load_dword v192, off, s[12:15], 0
	buffer_load_dword v193, off, s[12:15], 0 offset:4
	s_waitcnt vmcnt(0)
	v_mul_f64 v[182:183], v[192:193], v[182:183]
	ds_read2_b64 v[192:195], v222 offset0:1 offset1:2
	ds_read2_b64 v[196:199], v222 offset0:3 offset1:4
	;; [unrolled: 1-line block ×11, first 2 shown]
	s_waitcnt lgkmcnt(10)
	v_fma_f64 v[186:187], -v[182:183], v[192:193], v[186:187]
	v_fma_f64 v[188:189], -v[182:183], v[194:195], v[188:189]
	ds_read2_b64 v[192:195], v222 offset0:23 offset1:24
	s_waitcnt lgkmcnt(10)
	v_fma_f64 v[184:185], -v[182:183], v[196:197], v[184:185]
	v_fma_f64 v[110:111], -v[182:183], v[198:199], v[110:111]
	s_waitcnt lgkmcnt(9)
	v_fma_f64 v[102:103], -v[182:183], v[200:201], v[102:103]
	v_fma_f64 v[108:109], -v[182:183], v[202:203], v[108:109]
	;; [unrolled: 3-line block ×6, first 2 shown]
	ds_read2_b64 v[196:199], v222 offset0:25 offset1:26
	s_waitcnt lgkmcnt(5)
	v_fma_f64 v[118:119], -v[182:183], v[223:224], v[118:119]
	v_fma_f64 v[124:125], -v[182:183], v[225:226], v[124:125]
	ds_read2_b64 v[200:203], v222 offset0:27 offset1:28
	ds_read2_b64 v[204:207], v222 offset0:29 offset1:30
	s_waitcnt lgkmcnt(6)
	v_fma_f64 v[116:117], -v[182:183], v[227:228], v[116:117]
	v_fma_f64 v[122:123], -v[182:183], v[229:230], v[122:123]
	ds_read2_b64 v[208:211], v222 offset0:31 offset1:32
	;; [unrolled: 5-line block ×5, first 2 shown]
	ds_read2_b64 v[235:238], v222 offset0:45 offset1:46
	s_waitcnt lgkmcnt(10)
	v_fma_f64 v[150:151], -v[182:183], v[196:197], v[150:151]
	v_fma_f64 v[174:175], -v[182:183], v[198:199], v[174:175]
	s_waitcnt lgkmcnt(9)
	v_fma_f64 v[148:149], -v[182:183], v[200:201], v[148:149]
	v_fma_f64 v[172:173], -v[182:183], v[202:203], v[172:173]
	;; [unrolled: 3-line block ×11, first 2 shown]
.LBB93_6:
	s_or_b32 exec_lo, exec_lo, s2
	s_mov_b32 s1, exec_lo
	s_waitcnt_vscnt null, 0x0
	s_barrier
	buffer_gl0_inv
	v_cmpx_eq_u32_e32 1, v0
	s_cbranch_execz .LBB93_9
; %bb.7:
	v_mov_b32_e32 v192, v188
	v_mov_b32_e32 v193, v189
	;; [unrolled: 1-line block ×8, first 2 shown]
	ds_write_b64 v1, v[186:187]
	ds_write2_b64 v222, v[192:193], v[194:195] offset0:2 offset1:3
	ds_write2_b64 v222, v[196:197], v[198:199] offset0:4 offset1:5
	v_mov_b32_e32 v192, v108
	v_mov_b32_e32 v193, v109
	v_mov_b32_e32 v194, v100
	v_mov_b32_e32 v195, v101
	v_mov_b32_e32 v196, v106
	v_mov_b32_e32 v197, v107
	v_mov_b32_e32 v198, v98
	v_mov_b32_e32 v199, v99
	v_mov_b32_e32 v200, v104
	v_mov_b32_e32 v201, v105
	v_mov_b32_e32 v202, v96
	v_mov_b32_e32 v203, v97
	v_mov_b32_e32 v204, v128
	v_mov_b32_e32 v205, v129
	v_mov_b32_e32 v206, v120
	v_mov_b32_e32 v207, v121
	v_mov_b32_e32 v208, v126
	v_mov_b32_e32 v209, v127
	v_mov_b32_e32 v210, v118
	v_mov_b32_e32 v211, v119
	ds_write2_b64 v222, v[192:193], v[194:195] offset0:6 offset1:7
	ds_write2_b64 v222, v[196:197], v[198:199] offset0:8 offset1:9
	ds_write2_b64 v222, v[200:201], v[202:203] offset0:10 offset1:11
	ds_write2_b64 v222, v[204:205], v[206:207] offset0:12 offset1:13
	ds_write2_b64 v222, v[208:209], v[210:211] offset0:14 offset1:15
	v_mov_b32_e32 v192, v124
	v_mov_b32_e32 v193, v125
	v_mov_b32_e32 v194, v116
	v_mov_b32_e32 v195, v117
	v_mov_b32_e32 v196, v122
	v_mov_b32_e32 v197, v123
	v_mov_b32_e32 v198, v114
	v_mov_b32_e32 v199, v115
	v_mov_b32_e32 v200, v180
	v_mov_b32_e32 v201, v181
	v_mov_b32_e32 v202, v154
	v_mov_b32_e32 v203, v155
	v_mov_b32_e32 v204, v178
	v_mov_b32_e32 v205, v179
	v_mov_b32_e32 v206, v152
	v_mov_b32_e32 v207, v153
	v_mov_b32_e32 v208, v176
	v_mov_b32_e32 v209, v177
	v_mov_b32_e32 v210, v150
	v_mov_b32_e32 v211, v151
	ds_write2_b64 v222, v[192:193], v[194:195] offset0:16 offset1:17
	ds_write2_b64 v222, v[196:197], v[198:199] offset0:18 offset1:19
	ds_write2_b64 v222, v[200:201], v[202:203] offset0:20 offset1:21
	;; [unrolled: 25-line block ×4, first 2 shown]
	ds_write2_b64 v222, v[204:205], v[206:207] offset0:42 offset1:43
	ds_write2_b64 v222, v[208:209], v[210:211] offset0:44 offset1:45
	ds_write_b64 v222, v[190:191] offset:368
	ds_read_b64 v[192:193], v1
	s_waitcnt lgkmcnt(0)
	v_cmp_neq_f64_e32 vcc_lo, 0, v[192:193]
	s_and_b32 exec_lo, exec_lo, vcc_lo
	s_cbranch_execz .LBB93_9
; %bb.8:
	v_div_scale_f64 v[194:195], null, v[192:193], v[192:193], 1.0
	v_rcp_f64_e32 v[196:197], v[194:195]
	v_fma_f64 v[198:199], -v[194:195], v[196:197], 1.0
	v_fma_f64 v[196:197], v[196:197], v[198:199], v[196:197]
	v_fma_f64 v[198:199], -v[194:195], v[196:197], 1.0
	v_fma_f64 v[196:197], v[196:197], v[198:199], v[196:197]
	v_div_scale_f64 v[198:199], vcc_lo, 1.0, v[192:193], 1.0
	v_mul_f64 v[200:201], v[198:199], v[196:197]
	v_fma_f64 v[194:195], -v[194:195], v[200:201], v[198:199]
	v_div_fmas_f64 v[194:195], v[194:195], v[196:197], v[200:201]
	v_div_fixup_f64 v[192:193], v[194:195], v[192:193], 1.0
	ds_write_b64 v1, v[192:193]
.LBB93_9:
	s_or_b32 exec_lo, exec_lo, s1
	s_waitcnt lgkmcnt(0)
	s_barrier
	buffer_gl0_inv
	ds_read_b64 v[192:193], v1
	s_mov_b32 s1, exec_lo
	s_waitcnt lgkmcnt(0)
	buffer_store_dword v192, off, s[12:15], 0 offset:8 ; 4-byte Folded Spill
	buffer_store_dword v193, off, s[12:15], 0 offset:12 ; 4-byte Folded Spill
	v_cmpx_lt_u32_e32 1, v0
	s_cbranch_execz .LBB93_11
; %bb.10:
	s_clause 0x1
	buffer_load_dword v192, off, s[12:15], 0 offset:8
	buffer_load_dword v193, off, s[12:15], 0 offset:12
	s_waitcnt vmcnt(0)
	v_mul_f64 v[186:187], v[192:193], v[186:187]
	ds_read2_b64 v[192:195], v222 offset0:2 offset1:3
	ds_read2_b64 v[196:199], v222 offset0:4 offset1:5
	;; [unrolled: 1-line block ×11, first 2 shown]
	s_waitcnt lgkmcnt(10)
	v_fma_f64 v[188:189], -v[186:187], v[192:193], v[188:189]
	v_fma_f64 v[184:185], -v[186:187], v[194:195], v[184:185]
	s_waitcnt lgkmcnt(9)
	v_fma_f64 v[110:111], -v[186:187], v[196:197], v[110:111]
	v_fma_f64 v[102:103], -v[186:187], v[198:199], v[102:103]
	ds_read2_b64 v[192:195], v222 offset0:24 offset1:25
	ds_read2_b64 v[196:199], v222 offset0:26 offset1:27
	s_waitcnt lgkmcnt(10)
	v_fma_f64 v[108:109], -v[186:187], v[200:201], v[108:109]
	v_fma_f64 v[100:101], -v[186:187], v[202:203], v[100:101]
	s_waitcnt lgkmcnt(9)
	v_fma_f64 v[106:107], -v[186:187], v[204:205], v[106:107]
	v_fma_f64 v[98:99], -v[186:187], v[206:207], v[98:99]
	;; [unrolled: 3-line block ×6, first 2 shown]
	ds_read2_b64 v[200:203], v222 offset0:28 offset1:29
	ds_read2_b64 v[204:207], v222 offset0:30 offset1:31
	s_waitcnt lgkmcnt(6)
	v_fma_f64 v[122:123], -v[186:187], v[227:228], v[122:123]
	v_fma_f64 v[114:115], -v[186:187], v[229:230], v[114:115]
	ds_read2_b64 v[208:211], v222 offset0:32 offset1:33
	ds_read2_b64 v[212:215], v222 offset0:34 offset1:35
	s_waitcnt lgkmcnt(7)
	v_fma_f64 v[180:181], -v[186:187], v[231:232], v[180:181]
	v_fma_f64 v[154:155], -v[186:187], v[233:234], v[154:155]
	ds_read2_b64 v[216:219], v222 offset0:36 offset1:37
	ds_read2_b64 v[223:226], v222 offset0:38 offset1:39
	;; [unrolled: 1-line block ×4, first 2 shown]
	s_waitcnt lgkmcnt(9)
	v_fma_f64 v[176:177], -v[186:187], v[192:193], v[176:177]
	v_fma_f64 v[150:151], -v[186:187], v[194:195], v[150:151]
	ds_read2_b64 v[192:195], v222 offset0:44 offset1:45
	s_waitcnt lgkmcnt(9)
	v_fma_f64 v[174:175], -v[186:187], v[196:197], v[174:175]
	ds_read_b64 v[196:197], v222 offset:368
	v_fma_f64 v[178:179], -v[186:187], v[235:236], v[178:179]
	v_fma_f64 v[152:153], -v[186:187], v[237:238], v[152:153]
	;; [unrolled: 1-line block ×3, first 2 shown]
	s_waitcnt lgkmcnt(9)
	v_fma_f64 v[172:173], -v[186:187], v[200:201], v[172:173]
	v_fma_f64 v[146:147], -v[186:187], v[202:203], v[146:147]
	s_waitcnt lgkmcnt(8)
	v_fma_f64 v[170:171], -v[186:187], v[204:205], v[170:171]
	v_fma_f64 v[144:145], -v[186:187], v[206:207], v[144:145]
	s_waitcnt lgkmcnt(7)
	v_fma_f64 v[168:169], -v[186:187], v[208:209], v[168:169]
	v_fma_f64 v[142:143], -v[186:187], v[210:211], v[142:143]
	s_waitcnt lgkmcnt(6)
	v_fma_f64 v[166:167], -v[186:187], v[212:213], v[166:167]
	v_fma_f64 v[140:141], -v[186:187], v[214:215], v[140:141]
	s_waitcnt lgkmcnt(5)
	v_fma_f64 v[164:165], -v[186:187], v[216:217], v[164:165]
	v_fma_f64 v[138:139], -v[186:187], v[218:219], v[138:139]
	s_waitcnt lgkmcnt(4)
	v_fma_f64 v[162:163], -v[186:187], v[223:224], v[162:163]
	v_fma_f64 v[136:137], -v[186:187], v[225:226], v[136:137]
	s_waitcnt lgkmcnt(3)
	v_fma_f64 v[160:161], -v[186:187], v[227:228], v[160:161]
	v_fma_f64 v[134:135], -v[186:187], v[229:230], v[134:135]
	s_waitcnt lgkmcnt(2)
	v_fma_f64 v[158:159], -v[186:187], v[231:232], v[158:159]
	v_fma_f64 v[132:133], -v[186:187], v[233:234], v[132:133]
	s_waitcnt lgkmcnt(1)
	v_fma_f64 v[156:157], -v[186:187], v[192:193], v[156:157]
	v_fma_f64 v[130:131], -v[186:187], v[194:195], v[130:131]
	s_waitcnt lgkmcnt(0)
	v_fma_f64 v[190:191], -v[186:187], v[196:197], v[190:191]
.LBB93_11:
	s_or_b32 exec_lo, exec_lo, s1
	s_mov_b32 s1, exec_lo
	s_waitcnt_vscnt null, 0x0
	s_barrier
	buffer_gl0_inv
	v_cmpx_eq_u32_e32 2, v0
	s_cbranch_execz .LBB93_14
; %bb.12:
	ds_write_b64 v1, v[188:189]
	ds_write2_b64 v222, v[184:185], v[110:111] offset0:3 offset1:4
	ds_write2_b64 v222, v[102:103], v[108:109] offset0:5 offset1:6
	;; [unrolled: 1-line block ×22, first 2 shown]
	ds_read_b64 v[192:193], v1
	s_waitcnt lgkmcnt(0)
	v_cmp_neq_f64_e32 vcc_lo, 0, v[192:193]
	s_and_b32 exec_lo, exec_lo, vcc_lo
	s_cbranch_execz .LBB93_14
; %bb.13:
	v_div_scale_f64 v[194:195], null, v[192:193], v[192:193], 1.0
	v_rcp_f64_e32 v[196:197], v[194:195]
	v_fma_f64 v[198:199], -v[194:195], v[196:197], 1.0
	v_fma_f64 v[196:197], v[196:197], v[198:199], v[196:197]
	v_fma_f64 v[198:199], -v[194:195], v[196:197], 1.0
	v_fma_f64 v[196:197], v[196:197], v[198:199], v[196:197]
	v_div_scale_f64 v[198:199], vcc_lo, 1.0, v[192:193], 1.0
	v_mul_f64 v[200:201], v[198:199], v[196:197]
	v_fma_f64 v[194:195], -v[194:195], v[200:201], v[198:199]
	v_div_fmas_f64 v[194:195], v[194:195], v[196:197], v[200:201]
	v_div_fixup_f64 v[192:193], v[194:195], v[192:193], 1.0
	ds_write_b64 v1, v[192:193]
.LBB93_14:
	s_or_b32 exec_lo, exec_lo, s1
	s_waitcnt lgkmcnt(0)
	s_barrier
	buffer_gl0_inv
	ds_read_b64 v[192:193], v1
	s_mov_b32 s1, exec_lo
	s_waitcnt lgkmcnt(0)
	buffer_store_dword v192, off, s[12:15], 0 offset:16 ; 4-byte Folded Spill
	buffer_store_dword v193, off, s[12:15], 0 offset:20 ; 4-byte Folded Spill
	v_cmpx_lt_u32_e32 2, v0
	s_cbranch_execz .LBB93_16
; %bb.15:
	s_clause 0x1
	buffer_load_dword v192, off, s[12:15], 0 offset:16
	buffer_load_dword v193, off, s[12:15], 0 offset:20
	s_waitcnt vmcnt(0)
	v_mul_f64 v[188:189], v[192:193], v[188:189]
	ds_read2_b64 v[192:195], v222 offset0:3 offset1:4
	ds_read2_b64 v[196:199], v222 offset0:5 offset1:6
	;; [unrolled: 1-line block ×11, first 2 shown]
	s_waitcnt lgkmcnt(10)
	v_fma_f64 v[184:185], -v[188:189], v[192:193], v[184:185]
	v_fma_f64 v[110:111], -v[188:189], v[194:195], v[110:111]
	s_waitcnt lgkmcnt(9)
	v_fma_f64 v[102:103], -v[188:189], v[196:197], v[102:103]
	v_fma_f64 v[108:109], -v[188:189], v[198:199], v[108:109]
	;; [unrolled: 3-line block ×6, first 2 shown]
	ds_read2_b64 v[192:195], v222 offset0:25 offset1:26
	ds_read2_b64 v[196:199], v222 offset0:27 offset1:28
	s_waitcnt lgkmcnt(6)
	v_fma_f64 v[118:119], -v[188:189], v[216:217], v[118:119]
	v_fma_f64 v[124:125], -v[188:189], v[218:219], v[124:125]
	s_waitcnt lgkmcnt(5)
	v_fma_f64 v[116:117], -v[188:189], v[223:224], v[116:117]
	ds_read2_b64 v[200:203], v222 offset0:29 offset1:30
	ds_read2_b64 v[204:207], v222 offset0:31 offset1:32
	v_fma_f64 v[122:123], -v[188:189], v[225:226], v[122:123]
	s_waitcnt lgkmcnt(6)
	v_fma_f64 v[114:115], -v[188:189], v[227:228], v[114:115]
	ds_read2_b64 v[208:211], v222 offset0:33 offset1:34
	ds_read2_b64 v[212:215], v222 offset0:35 offset1:36
	;; [unrolled: 5-line block ×4, first 2 shown]
	v_fma_f64 v[176:177], -v[188:189], v[237:238], v[176:177]
	ds_read2_b64 v[235:238], v222 offset0:45 offset1:46
	s_waitcnt lgkmcnt(10)
	v_fma_f64 v[150:151], -v[188:189], v[192:193], v[150:151]
	v_fma_f64 v[174:175], -v[188:189], v[194:195], v[174:175]
	s_waitcnt lgkmcnt(9)
	v_fma_f64 v[148:149], -v[188:189], v[196:197], v[148:149]
	v_fma_f64 v[172:173], -v[188:189], v[198:199], v[172:173]
	;; [unrolled: 3-line block ×11, first 2 shown]
.LBB93_16:
	s_or_b32 exec_lo, exec_lo, s1
	s_mov_b32 s1, exec_lo
	s_waitcnt_vscnt null, 0x0
	s_barrier
	buffer_gl0_inv
	v_cmpx_eq_u32_e32 3, v0
	s_cbranch_execz .LBB93_19
; %bb.17:
	v_mov_b32_e32 v192, v110
	v_mov_b32_e32 v193, v111
	;; [unrolled: 1-line block ×4, first 2 shown]
	ds_write_b64 v1, v[184:185]
	ds_write2_b64 v222, v[192:193], v[194:195] offset0:4 offset1:5
	v_mov_b32_e32 v192, v108
	v_mov_b32_e32 v193, v109
	v_mov_b32_e32 v194, v100
	v_mov_b32_e32 v195, v101
	v_mov_b32_e32 v196, v106
	v_mov_b32_e32 v197, v107
	v_mov_b32_e32 v198, v98
	v_mov_b32_e32 v199, v99
	v_mov_b32_e32 v200, v104
	v_mov_b32_e32 v201, v105
	v_mov_b32_e32 v202, v96
	v_mov_b32_e32 v203, v97
	v_mov_b32_e32 v204, v128
	v_mov_b32_e32 v205, v129
	v_mov_b32_e32 v206, v120
	v_mov_b32_e32 v207, v121
	v_mov_b32_e32 v208, v126
	v_mov_b32_e32 v209, v127
	v_mov_b32_e32 v210, v118
	v_mov_b32_e32 v211, v119
	ds_write2_b64 v222, v[192:193], v[194:195] offset0:6 offset1:7
	ds_write2_b64 v222, v[196:197], v[198:199] offset0:8 offset1:9
	ds_write2_b64 v222, v[200:201], v[202:203] offset0:10 offset1:11
	ds_write2_b64 v222, v[204:205], v[206:207] offset0:12 offset1:13
	ds_write2_b64 v222, v[208:209], v[210:211] offset0:14 offset1:15
	v_mov_b32_e32 v192, v124
	v_mov_b32_e32 v193, v125
	v_mov_b32_e32 v194, v116
	v_mov_b32_e32 v195, v117
	v_mov_b32_e32 v196, v122
	v_mov_b32_e32 v197, v123
	v_mov_b32_e32 v198, v114
	v_mov_b32_e32 v199, v115
	v_mov_b32_e32 v200, v180
	v_mov_b32_e32 v201, v181
	v_mov_b32_e32 v202, v154
	v_mov_b32_e32 v203, v155
	v_mov_b32_e32 v204, v178
	v_mov_b32_e32 v205, v179
	v_mov_b32_e32 v206, v152
	v_mov_b32_e32 v207, v153
	v_mov_b32_e32 v208, v176
	v_mov_b32_e32 v209, v177
	v_mov_b32_e32 v210, v150
	v_mov_b32_e32 v211, v151
	ds_write2_b64 v222, v[192:193], v[194:195] offset0:16 offset1:17
	ds_write2_b64 v222, v[196:197], v[198:199] offset0:18 offset1:19
	ds_write2_b64 v222, v[200:201], v[202:203] offset0:20 offset1:21
	ds_write2_b64 v222, v[204:205], v[206:207] offset0:22 offset1:23
	;; [unrolled: 25-line block ×4, first 2 shown]
	ds_write2_b64 v222, v[208:209], v[210:211] offset0:44 offset1:45
	ds_write_b64 v222, v[190:191] offset:368
	ds_read_b64 v[192:193], v1
	s_waitcnt lgkmcnt(0)
	v_cmp_neq_f64_e32 vcc_lo, 0, v[192:193]
	s_and_b32 exec_lo, exec_lo, vcc_lo
	s_cbranch_execz .LBB93_19
; %bb.18:
	v_div_scale_f64 v[194:195], null, v[192:193], v[192:193], 1.0
	v_rcp_f64_e32 v[196:197], v[194:195]
	v_fma_f64 v[198:199], -v[194:195], v[196:197], 1.0
	v_fma_f64 v[196:197], v[196:197], v[198:199], v[196:197]
	v_fma_f64 v[198:199], -v[194:195], v[196:197], 1.0
	v_fma_f64 v[196:197], v[196:197], v[198:199], v[196:197]
	v_div_scale_f64 v[198:199], vcc_lo, 1.0, v[192:193], 1.0
	v_mul_f64 v[200:201], v[198:199], v[196:197]
	v_fma_f64 v[194:195], -v[194:195], v[200:201], v[198:199]
	v_div_fmas_f64 v[194:195], v[194:195], v[196:197], v[200:201]
	v_div_fixup_f64 v[192:193], v[194:195], v[192:193], 1.0
	ds_write_b64 v1, v[192:193]
.LBB93_19:
	s_or_b32 exec_lo, exec_lo, s1
	s_waitcnt lgkmcnt(0)
	s_barrier
	buffer_gl0_inv
	ds_read_b64 v[192:193], v1
	s_mov_b32 s1, exec_lo
	s_waitcnt lgkmcnt(0)
	buffer_store_dword v192, off, s[12:15], 0 offset:24 ; 4-byte Folded Spill
	buffer_store_dword v193, off, s[12:15], 0 offset:28 ; 4-byte Folded Spill
	v_cmpx_lt_u32_e32 3, v0
	s_cbranch_execz .LBB93_21
; %bb.20:
	s_clause 0x1
	buffer_load_dword v192, off, s[12:15], 0 offset:24
	buffer_load_dword v193, off, s[12:15], 0 offset:28
	s_waitcnt vmcnt(0)
	v_mul_f64 v[184:185], v[192:193], v[184:185]
	ds_read2_b64 v[192:195], v222 offset0:4 offset1:5
	ds_read2_b64 v[196:199], v222 offset0:6 offset1:7
	ds_read2_b64 v[200:203], v222 offset0:8 offset1:9
	ds_read2_b64 v[204:207], v222 offset0:10 offset1:11
	ds_read2_b64 v[208:211], v222 offset0:12 offset1:13
	ds_read2_b64 v[212:215], v222 offset0:14 offset1:15
	ds_read2_b64 v[216:219], v222 offset0:16 offset1:17
	ds_read2_b64 v[223:226], v222 offset0:18 offset1:19
	ds_read2_b64 v[227:230], v222 offset0:20 offset1:21
	ds_read2_b64 v[231:234], v222 offset0:22 offset1:23
	ds_read2_b64 v[235:238], v222 offset0:24 offset1:25
	s_waitcnt lgkmcnt(10)
	v_fma_f64 v[110:111], -v[184:185], v[192:193], v[110:111]
	v_fma_f64 v[102:103], -v[184:185], v[194:195], v[102:103]
	ds_read2_b64 v[192:195], v222 offset0:26 offset1:27
	s_waitcnt lgkmcnt(10)
	v_fma_f64 v[108:109], -v[184:185], v[196:197], v[108:109]
	v_fma_f64 v[100:101], -v[184:185], v[198:199], v[100:101]
	s_waitcnt lgkmcnt(9)
	v_fma_f64 v[106:107], -v[184:185], v[200:201], v[106:107]
	v_fma_f64 v[98:99], -v[184:185], v[202:203], v[98:99]
	;; [unrolled: 3-line block ×6, first 2 shown]
	ds_read2_b64 v[196:199], v222 offset0:28 offset1:29
	s_waitcnt lgkmcnt(5)
	v_fma_f64 v[122:123], -v[184:185], v[223:224], v[122:123]
	ds_read2_b64 v[200:203], v222 offset0:30 offset1:31
	ds_read2_b64 v[204:207], v222 offset0:32 offset1:33
	v_fma_f64 v[114:115], -v[184:185], v[225:226], v[114:115]
	s_waitcnt lgkmcnt(6)
	v_fma_f64 v[180:181], -v[184:185], v[227:228], v[180:181]
	ds_read2_b64 v[208:211], v222 offset0:34 offset1:35
	ds_read2_b64 v[212:215], v222 offset0:36 offset1:37
	v_fma_f64 v[154:155], -v[184:185], v[229:230], v[154:155]
	;; [unrolled: 5-line block ×3, first 2 shown]
	ds_read2_b64 v[227:230], v222 offset0:42 offset1:43
	ds_read2_b64 v[231:234], v222 offset0:44 offset1:45
	s_waitcnt lgkmcnt(9)
	v_fma_f64 v[174:175], -v[184:185], v[192:193], v[174:175]
	ds_read_b64 v[192:193], v222 offset:368
	v_fma_f64 v[176:177], -v[184:185], v[235:236], v[176:177]
	v_fma_f64 v[150:151], -v[184:185], v[237:238], v[150:151]
	;; [unrolled: 1-line block ×3, first 2 shown]
	s_waitcnt lgkmcnt(9)
	v_fma_f64 v[172:173], -v[184:185], v[196:197], v[172:173]
	v_fma_f64 v[146:147], -v[184:185], v[198:199], v[146:147]
	s_waitcnt lgkmcnt(8)
	v_fma_f64 v[170:171], -v[184:185], v[200:201], v[170:171]
	v_fma_f64 v[144:145], -v[184:185], v[202:203], v[144:145]
	;; [unrolled: 3-line block ×9, first 2 shown]
	s_waitcnt lgkmcnt(0)
	v_fma_f64 v[190:191], -v[184:185], v[192:193], v[190:191]
.LBB93_21:
	s_or_b32 exec_lo, exec_lo, s1
	s_mov_b32 s1, exec_lo
	s_waitcnt_vscnt null, 0x0
	s_barrier
	buffer_gl0_inv
	v_cmpx_eq_u32_e32 4, v0
	s_cbranch_execz .LBB93_24
; %bb.22:
	ds_write_b64 v1, v[110:111]
	ds_write2_b64 v222, v[102:103], v[108:109] offset0:5 offset1:6
	ds_write2_b64 v222, v[100:101], v[106:107] offset0:7 offset1:8
	;; [unrolled: 1-line block ×21, first 2 shown]
	ds_read_b64 v[192:193], v1
	s_waitcnt lgkmcnt(0)
	v_cmp_neq_f64_e32 vcc_lo, 0, v[192:193]
	s_and_b32 exec_lo, exec_lo, vcc_lo
	s_cbranch_execz .LBB93_24
; %bb.23:
	v_div_scale_f64 v[194:195], null, v[192:193], v[192:193], 1.0
	v_rcp_f64_e32 v[196:197], v[194:195]
	v_fma_f64 v[198:199], -v[194:195], v[196:197], 1.0
	v_fma_f64 v[196:197], v[196:197], v[198:199], v[196:197]
	v_fma_f64 v[198:199], -v[194:195], v[196:197], 1.0
	v_fma_f64 v[196:197], v[196:197], v[198:199], v[196:197]
	v_div_scale_f64 v[198:199], vcc_lo, 1.0, v[192:193], 1.0
	v_mul_f64 v[200:201], v[198:199], v[196:197]
	v_fma_f64 v[194:195], -v[194:195], v[200:201], v[198:199]
	v_div_fmas_f64 v[194:195], v[194:195], v[196:197], v[200:201]
	v_div_fixup_f64 v[192:193], v[194:195], v[192:193], 1.0
	ds_write_b64 v1, v[192:193]
.LBB93_24:
	s_or_b32 exec_lo, exec_lo, s1
	s_waitcnt lgkmcnt(0)
	s_barrier
	buffer_gl0_inv
	ds_read_b64 v[192:193], v1
	s_mov_b32 s1, exec_lo
	s_waitcnt lgkmcnt(0)
	buffer_store_dword v192, off, s[12:15], 0 offset:32 ; 4-byte Folded Spill
	buffer_store_dword v193, off, s[12:15], 0 offset:36 ; 4-byte Folded Spill
	v_cmpx_lt_u32_e32 4, v0
	s_cbranch_execz .LBB93_26
; %bb.25:
	s_clause 0x1
	buffer_load_dword v192, off, s[12:15], 0 offset:32
	buffer_load_dword v193, off, s[12:15], 0 offset:36
	s_waitcnt vmcnt(0)
	v_mul_f64 v[110:111], v[192:193], v[110:111]
	ds_read2_b64 v[192:195], v222 offset0:5 offset1:6
	ds_read2_b64 v[196:199], v222 offset0:7 offset1:8
	ds_read2_b64 v[200:203], v222 offset0:9 offset1:10
	ds_read2_b64 v[204:207], v222 offset0:11 offset1:12
	ds_read2_b64 v[208:211], v222 offset0:13 offset1:14
	ds_read2_b64 v[212:215], v222 offset0:15 offset1:16
	ds_read2_b64 v[216:219], v222 offset0:17 offset1:18
	ds_read2_b64 v[223:226], v222 offset0:19 offset1:20
	ds_read2_b64 v[227:230], v222 offset0:21 offset1:22
	ds_read2_b64 v[231:234], v222 offset0:23 offset1:24
	ds_read2_b64 v[235:238], v222 offset0:25 offset1:26
	s_waitcnt lgkmcnt(10)
	v_fma_f64 v[102:103], -v[110:111], v[192:193], v[102:103]
	v_fma_f64 v[108:109], -v[110:111], v[194:195], v[108:109]
	s_waitcnt lgkmcnt(9)
	v_fma_f64 v[100:101], -v[110:111], v[196:197], v[100:101]
	v_fma_f64 v[106:107], -v[110:111], v[198:199], v[106:107]
	;; [unrolled: 3-line block ×6, first 2 shown]
	ds_read2_b64 v[192:195], v222 offset0:27 offset1:28
	ds_read2_b64 v[196:199], v222 offset0:29 offset1:30
	s_waitcnt lgkmcnt(6)
	v_fma_f64 v[116:117], -v[110:111], v[216:217], v[116:117]
	v_fma_f64 v[122:123], -v[110:111], v[218:219], v[122:123]
	ds_read2_b64 v[200:203], v222 offset0:31 offset1:32
	ds_read2_b64 v[204:207], v222 offset0:33 offset1:34
	s_waitcnt lgkmcnt(7)
	v_fma_f64 v[114:115], -v[110:111], v[223:224], v[114:115]
	v_fma_f64 v[180:181], -v[110:111], v[225:226], v[180:181]
	;; [unrolled: 5-line block ×5, first 2 shown]
	s_waitcnt lgkmcnt(9)
	v_fma_f64 v[148:149], -v[110:111], v[192:193], v[148:149]
	v_fma_f64 v[172:173], -v[110:111], v[194:195], v[172:173]
	s_waitcnt lgkmcnt(8)
	v_fma_f64 v[146:147], -v[110:111], v[196:197], v[146:147]
	v_fma_f64 v[170:171], -v[110:111], v[198:199], v[170:171]
	;; [unrolled: 3-line block ×10, first 2 shown]
.LBB93_26:
	s_or_b32 exec_lo, exec_lo, s1
	s_mov_b32 s1, exec_lo
	s_waitcnt_vscnt null, 0x0
	s_barrier
	buffer_gl0_inv
	v_cmpx_eq_u32_e32 5, v0
	s_cbranch_execz .LBB93_29
; %bb.27:
	v_mov_b32_e32 v192, v108
	v_mov_b32_e32 v193, v109
	;; [unrolled: 1-line block ×20, first 2 shown]
	ds_write_b64 v1, v[102:103]
	ds_write2_b64 v222, v[192:193], v[194:195] offset0:6 offset1:7
	ds_write2_b64 v222, v[196:197], v[198:199] offset0:8 offset1:9
	ds_write2_b64 v222, v[200:201], v[202:203] offset0:10 offset1:11
	ds_write2_b64 v222, v[204:205], v[206:207] offset0:12 offset1:13
	ds_write2_b64 v222, v[208:209], v[210:211] offset0:14 offset1:15
	v_mov_b32_e32 v192, v124
	v_mov_b32_e32 v193, v125
	v_mov_b32_e32 v194, v116
	v_mov_b32_e32 v195, v117
	v_mov_b32_e32 v196, v122
	v_mov_b32_e32 v197, v123
	v_mov_b32_e32 v198, v114
	v_mov_b32_e32 v199, v115
	v_mov_b32_e32 v200, v180
	v_mov_b32_e32 v201, v181
	v_mov_b32_e32 v202, v154
	v_mov_b32_e32 v203, v155
	v_mov_b32_e32 v204, v178
	v_mov_b32_e32 v205, v179
	v_mov_b32_e32 v206, v152
	v_mov_b32_e32 v207, v153
	v_mov_b32_e32 v208, v176
	v_mov_b32_e32 v209, v177
	v_mov_b32_e32 v210, v150
	v_mov_b32_e32 v211, v151
	ds_write2_b64 v222, v[192:193], v[194:195] offset0:16 offset1:17
	ds_write2_b64 v222, v[196:197], v[198:199] offset0:18 offset1:19
	ds_write2_b64 v222, v[200:201], v[202:203] offset0:20 offset1:21
	ds_write2_b64 v222, v[204:205], v[206:207] offset0:22 offset1:23
	ds_write2_b64 v222, v[208:209], v[210:211] offset0:24 offset1:25
	v_mov_b32_e32 v192, v174
	v_mov_b32_e32 v193, v175
	v_mov_b32_e32 v194, v148
	v_mov_b32_e32 v195, v149
	v_mov_b32_e32 v196, v172
	v_mov_b32_e32 v197, v173
	v_mov_b32_e32 v198, v146
	v_mov_b32_e32 v199, v147
	v_mov_b32_e32 v200, v170
	v_mov_b32_e32 v201, v171
	v_mov_b32_e32 v202, v144
	v_mov_b32_e32 v203, v145
	v_mov_b32_e32 v204, v168
	v_mov_b32_e32 v205, v169
	v_mov_b32_e32 v206, v142
	v_mov_b32_e32 v207, v143
	v_mov_b32_e32 v208, v166
	v_mov_b32_e32 v209, v167
	v_mov_b32_e32 v210, v140
	v_mov_b32_e32 v211, v141
	;; [unrolled: 25-line block ×3, first 2 shown]
	ds_write2_b64 v222, v[192:193], v[194:195] offset0:36 offset1:37
	ds_write2_b64 v222, v[196:197], v[198:199] offset0:38 offset1:39
	;; [unrolled: 1-line block ×5, first 2 shown]
	ds_write_b64 v222, v[190:191] offset:368
	ds_read_b64 v[192:193], v1
	s_waitcnt lgkmcnt(0)
	v_cmp_neq_f64_e32 vcc_lo, 0, v[192:193]
	s_and_b32 exec_lo, exec_lo, vcc_lo
	s_cbranch_execz .LBB93_29
; %bb.28:
	v_div_scale_f64 v[194:195], null, v[192:193], v[192:193], 1.0
	v_rcp_f64_e32 v[196:197], v[194:195]
	v_fma_f64 v[198:199], -v[194:195], v[196:197], 1.0
	v_fma_f64 v[196:197], v[196:197], v[198:199], v[196:197]
	v_fma_f64 v[198:199], -v[194:195], v[196:197], 1.0
	v_fma_f64 v[196:197], v[196:197], v[198:199], v[196:197]
	v_div_scale_f64 v[198:199], vcc_lo, 1.0, v[192:193], 1.0
	v_mul_f64 v[200:201], v[198:199], v[196:197]
	v_fma_f64 v[194:195], -v[194:195], v[200:201], v[198:199]
	v_div_fmas_f64 v[194:195], v[194:195], v[196:197], v[200:201]
	v_div_fixup_f64 v[192:193], v[194:195], v[192:193], 1.0
	ds_write_b64 v1, v[192:193]
.LBB93_29:
	s_or_b32 exec_lo, exec_lo, s1
	s_waitcnt lgkmcnt(0)
	s_barrier
	buffer_gl0_inv
	ds_read_b64 v[192:193], v1
	s_mov_b32 s1, exec_lo
	s_waitcnt lgkmcnt(0)
	buffer_store_dword v192, off, s[12:15], 0 offset:40 ; 4-byte Folded Spill
	buffer_store_dword v193, off, s[12:15], 0 offset:44 ; 4-byte Folded Spill
	v_cmpx_lt_u32_e32 5, v0
	s_cbranch_execz .LBB93_31
; %bb.30:
	s_clause 0x1
	buffer_load_dword v192, off, s[12:15], 0 offset:40
	buffer_load_dword v193, off, s[12:15], 0 offset:44
	s_waitcnt vmcnt(0)
	v_mul_f64 v[102:103], v[192:193], v[102:103]
	ds_read2_b64 v[192:195], v222 offset0:6 offset1:7
	ds_read2_b64 v[196:199], v222 offset0:8 offset1:9
	ds_read2_b64 v[200:203], v222 offset0:10 offset1:11
	ds_read2_b64 v[204:207], v222 offset0:12 offset1:13
	ds_read2_b64 v[208:211], v222 offset0:14 offset1:15
	ds_read2_b64 v[212:215], v222 offset0:16 offset1:17
	ds_read2_b64 v[216:219], v222 offset0:18 offset1:19
	ds_read2_b64 v[223:226], v222 offset0:20 offset1:21
	ds_read2_b64 v[227:230], v222 offset0:22 offset1:23
	ds_read2_b64 v[231:234], v222 offset0:24 offset1:25
	ds_read2_b64 v[235:238], v222 offset0:26 offset1:27
	ds_read_b64 v[220:221], v222 offset:368
	s_waitcnt lgkmcnt(11)
	v_fma_f64 v[108:109], -v[102:103], v[192:193], v[108:109]
	v_fma_f64 v[100:101], -v[102:103], v[194:195], v[100:101]
	s_waitcnt lgkmcnt(10)
	v_fma_f64 v[106:107], -v[102:103], v[196:197], v[106:107]
	v_fma_f64 v[98:99], -v[102:103], v[198:199], v[98:99]
	;; [unrolled: 3-line block ×6, first 2 shown]
	ds_read2_b64 v[192:195], v222 offset0:28 offset1:29
	ds_read2_b64 v[196:199], v222 offset0:30 offset1:31
	s_waitcnt lgkmcnt(7)
	v_fma_f64 v[122:123], -v[102:103], v[216:217], v[122:123]
	v_fma_f64 v[114:115], -v[102:103], v[218:219], v[114:115]
	ds_read2_b64 v[200:203], v222 offset0:32 offset1:33
	ds_read2_b64 v[204:207], v222 offset0:34 offset1:35
	s_waitcnt lgkmcnt(8)
	v_fma_f64 v[180:181], -v[102:103], v[223:224], v[180:181]
	v_fma_f64 v[154:155], -v[102:103], v[225:226], v[154:155]
	;; [unrolled: 5-line block ×3, first 2 shown]
	ds_read2_b64 v[216:219], v222 offset0:40 offset1:41
	ds_read2_b64 v[223:226], v222 offset0:42 offset1:43
	;; [unrolled: 1-line block ×3, first 2 shown]
	s_waitcnt lgkmcnt(11)
	v_fma_f64 v[176:177], -v[102:103], v[231:232], v[176:177]
	v_fma_f64 v[150:151], -v[102:103], v[233:234], v[150:151]
	s_waitcnt lgkmcnt(10)
	v_fma_f64 v[174:175], -v[102:103], v[235:236], v[174:175]
	v_fma_f64 v[148:149], -v[102:103], v[237:238], v[148:149]
	s_waitcnt lgkmcnt(9)
	v_fma_f64 v[190:191], -v[102:103], v[220:221], v[190:191]
	s_waitcnt lgkmcnt(8)
	v_fma_f64 v[172:173], -v[102:103], v[192:193], v[172:173]
	v_fma_f64 v[146:147], -v[102:103], v[194:195], v[146:147]
	s_waitcnt lgkmcnt(7)
	v_fma_f64 v[170:171], -v[102:103], v[196:197], v[170:171]
	;; [unrolled: 3-line block ×9, first 2 shown]
	v_fma_f64 v[130:131], -v[102:103], v[229:230], v[130:131]
.LBB93_31:
	s_or_b32 exec_lo, exec_lo, s1
	s_mov_b32 s1, exec_lo
	s_waitcnt_vscnt null, 0x0
	s_barrier
	buffer_gl0_inv
	v_cmpx_eq_u32_e32 6, v0
	s_cbranch_execz .LBB93_34
; %bb.32:
	ds_write_b64 v1, v[108:109]
	ds_write2_b64 v222, v[100:101], v[106:107] offset0:7 offset1:8
	ds_write2_b64 v222, v[98:99], v[104:105] offset0:9 offset1:10
	;; [unrolled: 1-line block ×20, first 2 shown]
	ds_read_b64 v[192:193], v1
	s_waitcnt lgkmcnt(0)
	v_cmp_neq_f64_e32 vcc_lo, 0, v[192:193]
	s_and_b32 exec_lo, exec_lo, vcc_lo
	s_cbranch_execz .LBB93_34
; %bb.33:
	v_div_scale_f64 v[194:195], null, v[192:193], v[192:193], 1.0
	v_rcp_f64_e32 v[196:197], v[194:195]
	v_fma_f64 v[198:199], -v[194:195], v[196:197], 1.0
	v_fma_f64 v[196:197], v[196:197], v[198:199], v[196:197]
	v_fma_f64 v[198:199], -v[194:195], v[196:197], 1.0
	v_fma_f64 v[196:197], v[196:197], v[198:199], v[196:197]
	v_div_scale_f64 v[198:199], vcc_lo, 1.0, v[192:193], 1.0
	v_mul_f64 v[200:201], v[198:199], v[196:197]
	v_fma_f64 v[194:195], -v[194:195], v[200:201], v[198:199]
	v_div_fmas_f64 v[194:195], v[194:195], v[196:197], v[200:201]
	v_div_fixup_f64 v[192:193], v[194:195], v[192:193], 1.0
	ds_write_b64 v1, v[192:193]
.LBB93_34:
	s_or_b32 exec_lo, exec_lo, s1
	s_waitcnt lgkmcnt(0)
	s_barrier
	buffer_gl0_inv
	ds_read_b64 v[192:193], v1
	s_mov_b32 s1, exec_lo
	s_waitcnt lgkmcnt(0)
	buffer_store_dword v192, off, s[12:15], 0 offset:48 ; 4-byte Folded Spill
	buffer_store_dword v193, off, s[12:15], 0 offset:52 ; 4-byte Folded Spill
	v_cmpx_lt_u32_e32 6, v0
	s_cbranch_execz .LBB93_36
; %bb.35:
	s_clause 0x1
	buffer_load_dword v192, off, s[12:15], 0 offset:48
	buffer_load_dword v193, off, s[12:15], 0 offset:52
	s_waitcnt vmcnt(0)
	v_mul_f64 v[108:109], v[192:193], v[108:109]
	ds_read2_b64 v[192:195], v222 offset0:7 offset1:8
	ds_read2_b64 v[196:199], v222 offset0:9 offset1:10
	;; [unrolled: 1-line block ×11, first 2 shown]
	s_waitcnt lgkmcnt(10)
	v_fma_f64 v[100:101], -v[108:109], v[192:193], v[100:101]
	v_fma_f64 v[106:107], -v[108:109], v[194:195], v[106:107]
	s_waitcnt lgkmcnt(9)
	v_fma_f64 v[98:99], -v[108:109], v[196:197], v[98:99]
	v_fma_f64 v[104:105], -v[108:109], v[198:199], v[104:105]
	;; [unrolled: 3-line block ×5, first 2 shown]
	s_waitcnt lgkmcnt(5)
	v_fma_f64 v[116:117], -v[108:109], v[212:213], v[116:117]
	ds_read2_b64 v[192:195], v222 offset0:29 offset1:30
	ds_read2_b64 v[196:199], v222 offset0:31 offset1:32
	v_fma_f64 v[122:123], -v[108:109], v[214:215], v[122:123]
	s_waitcnt lgkmcnt(6)
	v_fma_f64 v[114:115], -v[108:109], v[216:217], v[114:115]
	ds_read2_b64 v[200:203], v222 offset0:33 offset1:34
	ds_read2_b64 v[204:207], v222 offset0:35 offset1:36
	v_fma_f64 v[180:181], -v[108:109], v[218:219], v[180:181]
	;; [unrolled: 5-line block ×4, first 2 shown]
	ds_read2_b64 v[227:230], v222 offset0:45 offset1:46
	s_waitcnt lgkmcnt(10)
	v_fma_f64 v[150:151], -v[108:109], v[231:232], v[150:151]
	v_fma_f64 v[174:175], -v[108:109], v[233:234], v[174:175]
	s_waitcnt lgkmcnt(9)
	v_fma_f64 v[148:149], -v[108:109], v[235:236], v[148:149]
	v_fma_f64 v[172:173], -v[108:109], v[237:238], v[172:173]
	;; [unrolled: 3-line block ×11, first 2 shown]
.LBB93_36:
	s_or_b32 exec_lo, exec_lo, s1
	s_mov_b32 s1, exec_lo
	s_waitcnt_vscnt null, 0x0
	s_barrier
	buffer_gl0_inv
	v_cmpx_eq_u32_e32 7, v0
	s_cbranch_execz .LBB93_39
; %bb.37:
	v_mov_b32_e32 v192, v106
	v_mov_b32_e32 v193, v107
	;; [unrolled: 1-line block ×16, first 2 shown]
	ds_write_b64 v1, v[100:101]
	ds_write2_b64 v222, v[192:193], v[194:195] offset0:8 offset1:9
	ds_write2_b64 v222, v[196:197], v[198:199] offset0:10 offset1:11
	ds_write2_b64 v222, v[200:201], v[202:203] offset0:12 offset1:13
	ds_write2_b64 v222, v[204:205], v[206:207] offset0:14 offset1:15
	v_mov_b32_e32 v192, v124
	v_mov_b32_e32 v193, v125
	v_mov_b32_e32 v194, v116
	v_mov_b32_e32 v195, v117
	v_mov_b32_e32 v196, v122
	v_mov_b32_e32 v197, v123
	v_mov_b32_e32 v198, v114
	v_mov_b32_e32 v199, v115
	v_mov_b32_e32 v200, v180
	v_mov_b32_e32 v201, v181
	v_mov_b32_e32 v202, v154
	v_mov_b32_e32 v203, v155
	v_mov_b32_e32 v204, v178
	v_mov_b32_e32 v205, v179
	v_mov_b32_e32 v206, v152
	v_mov_b32_e32 v207, v153
	v_mov_b32_e32 v208, v176
	v_mov_b32_e32 v209, v177
	v_mov_b32_e32 v210, v150
	v_mov_b32_e32 v211, v151
	ds_write2_b64 v222, v[192:193], v[194:195] offset0:16 offset1:17
	ds_write2_b64 v222, v[196:197], v[198:199] offset0:18 offset1:19
	ds_write2_b64 v222, v[200:201], v[202:203] offset0:20 offset1:21
	ds_write2_b64 v222, v[204:205], v[206:207] offset0:22 offset1:23
	ds_write2_b64 v222, v[208:209], v[210:211] offset0:24 offset1:25
	v_mov_b32_e32 v192, v174
	v_mov_b32_e32 v193, v175
	v_mov_b32_e32 v194, v148
	v_mov_b32_e32 v195, v149
	v_mov_b32_e32 v196, v172
	v_mov_b32_e32 v197, v173
	v_mov_b32_e32 v198, v146
	v_mov_b32_e32 v199, v147
	v_mov_b32_e32 v200, v170
	v_mov_b32_e32 v201, v171
	v_mov_b32_e32 v202, v144
	v_mov_b32_e32 v203, v145
	v_mov_b32_e32 v204, v168
	v_mov_b32_e32 v205, v169
	v_mov_b32_e32 v206, v142
	v_mov_b32_e32 v207, v143
	v_mov_b32_e32 v208, v166
	v_mov_b32_e32 v209, v167
	v_mov_b32_e32 v210, v140
	v_mov_b32_e32 v211, v141
	ds_write2_b64 v222, v[192:193], v[194:195] offset0:26 offset1:27
	;; [unrolled: 25-line block ×3, first 2 shown]
	ds_write2_b64 v222, v[196:197], v[198:199] offset0:38 offset1:39
	ds_write2_b64 v222, v[200:201], v[202:203] offset0:40 offset1:41
	;; [unrolled: 1-line block ×4, first 2 shown]
	ds_write_b64 v222, v[190:191] offset:368
	ds_read_b64 v[192:193], v1
	s_waitcnt lgkmcnt(0)
	v_cmp_neq_f64_e32 vcc_lo, 0, v[192:193]
	s_and_b32 exec_lo, exec_lo, vcc_lo
	s_cbranch_execz .LBB93_39
; %bb.38:
	v_div_scale_f64 v[194:195], null, v[192:193], v[192:193], 1.0
	v_rcp_f64_e32 v[196:197], v[194:195]
	v_fma_f64 v[198:199], -v[194:195], v[196:197], 1.0
	v_fma_f64 v[196:197], v[196:197], v[198:199], v[196:197]
	v_fma_f64 v[198:199], -v[194:195], v[196:197], 1.0
	v_fma_f64 v[196:197], v[196:197], v[198:199], v[196:197]
	v_div_scale_f64 v[198:199], vcc_lo, 1.0, v[192:193], 1.0
	v_mul_f64 v[200:201], v[198:199], v[196:197]
	v_fma_f64 v[194:195], -v[194:195], v[200:201], v[198:199]
	v_div_fmas_f64 v[194:195], v[194:195], v[196:197], v[200:201]
	v_div_fixup_f64 v[192:193], v[194:195], v[192:193], 1.0
	ds_write_b64 v1, v[192:193]
.LBB93_39:
	s_or_b32 exec_lo, exec_lo, s1
	s_waitcnt lgkmcnt(0)
	s_barrier
	buffer_gl0_inv
	ds_read_b64 v[228:229], v1
	s_mov_b32 s1, exec_lo
	v_cmpx_lt_u32_e32 7, v0
	s_cbranch_execz .LBB93_41
; %bb.40:
	s_waitcnt lgkmcnt(0)
	v_mul_f64 v[100:101], v[228:229], v[100:101]
	ds_read2_b64 v[192:195], v222 offset0:8 offset1:9
	ds_read2_b64 v[196:199], v222 offset0:10 offset1:11
	ds_read2_b64 v[200:203], v222 offset0:12 offset1:13
	ds_read2_b64 v[204:207], v222 offset0:14 offset1:15
	ds_read2_b64 v[208:211], v222 offset0:16 offset1:17
	ds_read2_b64 v[212:215], v222 offset0:18 offset1:19
	ds_read2_b64 v[216:219], v222 offset0:20 offset1:21
	ds_read2_b64 v[223:226], v222 offset0:22 offset1:23
	v_mov_b32_e32 v220, v228
	v_mov_b32_e32 v221, v229
	ds_read2_b64 v[227:230], v222 offset0:24 offset1:25
	ds_read2_b64 v[231:234], v222 offset0:26 offset1:27
	;; [unrolled: 1-line block ×3, first 2 shown]
	s_waitcnt lgkmcnt(2)
	v_fma_f64 v[176:177], -v[100:101], v[227:228], v[176:177]
	v_fma_f64 v[150:151], -v[100:101], v[229:230], v[150:151]
	v_mov_b32_e32 v229, v221
	v_fma_f64 v[106:107], -v[100:101], v[192:193], v[106:107]
	v_fma_f64 v[98:99], -v[100:101], v[194:195], v[98:99]
	;; [unrolled: 1-line block ×11, first 2 shown]
	ds_read2_b64 v[192:195], v222 offset0:30 offset1:31
	ds_read2_b64 v[196:199], v222 offset0:32 offset1:33
	v_fma_f64 v[114:115], -v[100:101], v[214:215], v[114:115]
	v_fma_f64 v[180:181], -v[100:101], v[216:217], v[180:181]
	ds_read2_b64 v[200:203], v222 offset0:34 offset1:35
	ds_read2_b64 v[204:207], v222 offset0:36 offset1:37
	v_fma_f64 v[154:155], -v[100:101], v[218:219], v[154:155]
	v_fma_f64 v[178:179], -v[100:101], v[223:224], v[178:179]
	ds_read2_b64 v[208:211], v222 offset0:38 offset1:39
	ds_read2_b64 v[212:215], v222 offset0:40 offset1:41
	v_fma_f64 v[152:153], -v[100:101], v[225:226], v[152:153]
	ds_read2_b64 v[216:219], v222 offset0:42 offset1:43
	ds_read2_b64 v[223:226], v222 offset0:44 offset1:45
	v_mov_b32_e32 v228, v220
	ds_read_b64 v[220:221], v222 offset:368
	s_waitcnt lgkmcnt(10)
	v_fma_f64 v[174:175], -v[100:101], v[231:232], v[174:175]
	v_fma_f64 v[148:149], -v[100:101], v[233:234], v[148:149]
	s_waitcnt lgkmcnt(9)
	v_fma_f64 v[172:173], -v[100:101], v[235:236], v[172:173]
	v_fma_f64 v[146:147], -v[100:101], v[237:238], v[146:147]
	;; [unrolled: 3-line block ×10, first 2 shown]
	s_waitcnt lgkmcnt(0)
	v_fma_f64 v[190:191], -v[100:101], v[220:221], v[190:191]
.LBB93_41:
	s_or_b32 exec_lo, exec_lo, s1
	s_mov_b32 s1, exec_lo
	s_waitcnt lgkmcnt(0)
	s_barrier
	buffer_gl0_inv
	v_cmpx_eq_u32_e32 8, v0
	s_cbranch_execz .LBB93_44
; %bb.42:
	ds_write_b64 v1, v[106:107]
	ds_write2_b64 v222, v[98:99], v[104:105] offset0:9 offset1:10
	ds_write2_b64 v222, v[96:97], v[128:129] offset0:11 offset1:12
	ds_write2_b64 v222, v[120:121], v[126:127] offset0:13 offset1:14
	ds_write2_b64 v222, v[118:119], v[124:125] offset0:15 offset1:16
	ds_write2_b64 v222, v[116:117], v[122:123] offset0:17 offset1:18
	ds_write2_b64 v222, v[114:115], v[180:181] offset0:19 offset1:20
	ds_write2_b64 v222, v[154:155], v[178:179] offset0:21 offset1:22
	ds_write2_b64 v222, v[152:153], v[176:177] offset0:23 offset1:24
	ds_write2_b64 v222, v[150:151], v[174:175] offset0:25 offset1:26
	ds_write2_b64 v222, v[148:149], v[172:173] offset0:27 offset1:28
	ds_write2_b64 v222, v[146:147], v[170:171] offset0:29 offset1:30
	ds_write2_b64 v222, v[144:145], v[168:169] offset0:31 offset1:32
	ds_write2_b64 v222, v[142:143], v[166:167] offset0:33 offset1:34
	ds_write2_b64 v222, v[140:141], v[164:165] offset0:35 offset1:36
	ds_write2_b64 v222, v[138:139], v[162:163] offset0:37 offset1:38
	ds_write2_b64 v222, v[136:137], v[160:161] offset0:39 offset1:40
	ds_write2_b64 v222, v[134:135], v[158:159] offset0:41 offset1:42
	ds_write2_b64 v222, v[132:133], v[156:157] offset0:43 offset1:44
	ds_write2_b64 v222, v[130:131], v[190:191] offset0:45 offset1:46
	ds_read_b64 v[192:193], v1
	s_waitcnt lgkmcnt(0)
	v_cmp_neq_f64_e32 vcc_lo, 0, v[192:193]
	s_and_b32 exec_lo, exec_lo, vcc_lo
	s_cbranch_execz .LBB93_44
; %bb.43:
	v_div_scale_f64 v[194:195], null, v[192:193], v[192:193], 1.0
	v_rcp_f64_e32 v[196:197], v[194:195]
	v_fma_f64 v[198:199], -v[194:195], v[196:197], 1.0
	v_fma_f64 v[196:197], v[196:197], v[198:199], v[196:197]
	v_fma_f64 v[198:199], -v[194:195], v[196:197], 1.0
	v_fma_f64 v[196:197], v[196:197], v[198:199], v[196:197]
	v_div_scale_f64 v[198:199], vcc_lo, 1.0, v[192:193], 1.0
	v_mul_f64 v[200:201], v[198:199], v[196:197]
	v_fma_f64 v[194:195], -v[194:195], v[200:201], v[198:199]
	v_div_fmas_f64 v[194:195], v[194:195], v[196:197], v[200:201]
	v_div_fixup_f64 v[192:193], v[194:195], v[192:193], 1.0
	ds_write_b64 v1, v[192:193]
.LBB93_44:
	s_or_b32 exec_lo, exec_lo, s1
	s_waitcnt lgkmcnt(0)
	s_barrier
	buffer_gl0_inv
	ds_read_b64 v[192:193], v1
	s_mov_b32 s1, exec_lo
	s_waitcnt lgkmcnt(0)
	buffer_store_dword v192, off, s[12:15], 0 offset:56 ; 4-byte Folded Spill
	buffer_store_dword v193, off, s[12:15], 0 offset:60 ; 4-byte Folded Spill
	v_cmpx_lt_u32_e32 8, v0
	s_cbranch_execz .LBB93_46
; %bb.45:
	s_clause 0x1
	buffer_load_dword v192, off, s[12:15], 0 offset:56
	buffer_load_dword v193, off, s[12:15], 0 offset:60
	s_waitcnt vmcnt(0)
	v_mul_f64 v[106:107], v[192:193], v[106:107]
	ds_read2_b64 v[192:195], v222 offset0:9 offset1:10
	s_waitcnt lgkmcnt(0)
	v_fma_f64 v[98:99], -v[106:107], v[192:193], v[98:99]
	v_fma_f64 v[104:105], -v[106:107], v[194:195], v[104:105]
	ds_read2_b64 v[192:195], v222 offset0:11 offset1:12
	s_waitcnt lgkmcnt(0)
	v_fma_f64 v[96:97], -v[106:107], v[192:193], v[96:97]
	v_fma_f64 v[128:129], -v[106:107], v[194:195], v[128:129]
	;; [unrolled: 4-line block ×19, first 2 shown]
.LBB93_46:
	s_or_b32 exec_lo, exec_lo, s1
	s_mov_b32 s1, exec_lo
	s_waitcnt_vscnt null, 0x0
	s_barrier
	buffer_gl0_inv
	v_cmpx_eq_u32_e32 9, v0
	s_cbranch_execz .LBB93_49
; %bb.47:
	v_mov_b32_e32 v192, v104
	v_mov_b32_e32 v193, v105
	;; [unrolled: 1-line block ×12, first 2 shown]
	ds_write_b64 v1, v[98:99]
	ds_write2_b64 v222, v[192:193], v[194:195] offset0:10 offset1:11
	ds_write2_b64 v222, v[196:197], v[198:199] offset0:12 offset1:13
	ds_write2_b64 v222, v[200:201], v[202:203] offset0:14 offset1:15
	v_mov_b32_e32 v192, v124
	v_mov_b32_e32 v193, v125
	v_mov_b32_e32 v194, v116
	v_mov_b32_e32 v195, v117
	v_mov_b32_e32 v196, v122
	v_mov_b32_e32 v197, v123
	v_mov_b32_e32 v198, v114
	v_mov_b32_e32 v199, v115
	v_mov_b32_e32 v200, v180
	v_mov_b32_e32 v201, v181
	v_mov_b32_e32 v202, v154
	v_mov_b32_e32 v203, v155
	v_mov_b32_e32 v204, v178
	v_mov_b32_e32 v205, v179
	v_mov_b32_e32 v206, v152
	v_mov_b32_e32 v207, v153
	v_mov_b32_e32 v208, v176
	v_mov_b32_e32 v209, v177
	v_mov_b32_e32 v210, v150
	v_mov_b32_e32 v211, v151
	ds_write2_b64 v222, v[192:193], v[194:195] offset0:16 offset1:17
	ds_write2_b64 v222, v[196:197], v[198:199] offset0:18 offset1:19
	ds_write2_b64 v222, v[200:201], v[202:203] offset0:20 offset1:21
	ds_write2_b64 v222, v[204:205], v[206:207] offset0:22 offset1:23
	ds_write2_b64 v222, v[208:209], v[210:211] offset0:24 offset1:25
	v_mov_b32_e32 v192, v174
	v_mov_b32_e32 v193, v175
	v_mov_b32_e32 v194, v148
	v_mov_b32_e32 v195, v149
	v_mov_b32_e32 v196, v172
	v_mov_b32_e32 v197, v173
	v_mov_b32_e32 v198, v146
	v_mov_b32_e32 v199, v147
	v_mov_b32_e32 v200, v170
	v_mov_b32_e32 v201, v171
	v_mov_b32_e32 v202, v144
	v_mov_b32_e32 v203, v145
	v_mov_b32_e32 v204, v168
	v_mov_b32_e32 v205, v169
	v_mov_b32_e32 v206, v142
	v_mov_b32_e32 v207, v143
	v_mov_b32_e32 v208, v166
	v_mov_b32_e32 v209, v167
	v_mov_b32_e32 v210, v140
	v_mov_b32_e32 v211, v141
	ds_write2_b64 v222, v[192:193], v[194:195] offset0:26 offset1:27
	ds_write2_b64 v222, v[196:197], v[198:199] offset0:28 offset1:29
	;; [unrolled: 25-line block ×3, first 2 shown]
	ds_write2_b64 v222, v[200:201], v[202:203] offset0:40 offset1:41
	ds_write2_b64 v222, v[204:205], v[206:207] offset0:42 offset1:43
	;; [unrolled: 1-line block ×3, first 2 shown]
	ds_write_b64 v222, v[190:191] offset:368
	ds_read_b64 v[192:193], v1
	s_waitcnt lgkmcnt(0)
	v_cmp_neq_f64_e32 vcc_lo, 0, v[192:193]
	s_and_b32 exec_lo, exec_lo, vcc_lo
	s_cbranch_execz .LBB93_49
; %bb.48:
	v_div_scale_f64 v[194:195], null, v[192:193], v[192:193], 1.0
	v_rcp_f64_e32 v[196:197], v[194:195]
	v_fma_f64 v[198:199], -v[194:195], v[196:197], 1.0
	v_fma_f64 v[196:197], v[196:197], v[198:199], v[196:197]
	v_fma_f64 v[198:199], -v[194:195], v[196:197], 1.0
	v_fma_f64 v[196:197], v[196:197], v[198:199], v[196:197]
	v_div_scale_f64 v[198:199], vcc_lo, 1.0, v[192:193], 1.0
	v_mul_f64 v[200:201], v[198:199], v[196:197]
	v_fma_f64 v[194:195], -v[194:195], v[200:201], v[198:199]
	v_div_fmas_f64 v[194:195], v[194:195], v[196:197], v[200:201]
	v_div_fixup_f64 v[192:193], v[194:195], v[192:193], 1.0
	ds_write_b64 v1, v[192:193]
.LBB93_49:
	s_or_b32 exec_lo, exec_lo, s1
	s_waitcnt lgkmcnt(0)
	s_barrier
	buffer_gl0_inv
	ds_read_b64 v[230:231], v1
	s_mov_b32 s1, exec_lo
	v_cmpx_lt_u32_e32 9, v0
	s_cbranch_execz .LBB93_51
; %bb.50:
	s_waitcnt lgkmcnt(0)
	v_mul_f64 v[98:99], v[230:231], v[98:99]
	ds_read2_b64 v[192:195], v222 offset0:10 offset1:11
	s_waitcnt lgkmcnt(0)
	v_fma_f64 v[104:105], -v[98:99], v[192:193], v[104:105]
	v_fma_f64 v[96:97], -v[98:99], v[194:195], v[96:97]
	ds_read2_b64 v[192:195], v222 offset0:12 offset1:13
	s_waitcnt lgkmcnt(0)
	v_fma_f64 v[128:129], -v[98:99], v[192:193], v[128:129]
	v_fma_f64 v[120:121], -v[98:99], v[194:195], v[120:121]
	ds_read2_b64 v[192:195], v222 offset0:14 offset1:15
	s_waitcnt lgkmcnt(0)
	v_fma_f64 v[126:127], -v[98:99], v[192:193], v[126:127]
	v_fma_f64 v[118:119], -v[98:99], v[194:195], v[118:119]
	ds_read2_b64 v[192:195], v222 offset0:16 offset1:17
	s_waitcnt lgkmcnt(0)
	v_fma_f64 v[124:125], -v[98:99], v[192:193], v[124:125]
	v_fma_f64 v[116:117], -v[98:99], v[194:195], v[116:117]
	ds_read2_b64 v[192:195], v222 offset0:18 offset1:19
	s_waitcnt lgkmcnt(0)
	v_fma_f64 v[122:123], -v[98:99], v[192:193], v[122:123]
	v_fma_f64 v[114:115], -v[98:99], v[194:195], v[114:115]
	ds_read2_b64 v[192:195], v222 offset0:20 offset1:21
	s_waitcnt lgkmcnt(0)
	v_fma_f64 v[180:181], -v[98:99], v[192:193], v[180:181]
	v_fma_f64 v[154:155], -v[98:99], v[194:195], v[154:155]
	ds_read2_b64 v[192:195], v222 offset0:22 offset1:23
	s_waitcnt lgkmcnt(0)
	v_fma_f64 v[178:179], -v[98:99], v[192:193], v[178:179]
	v_fma_f64 v[152:153], -v[98:99], v[194:195], v[152:153]
	ds_read2_b64 v[192:195], v222 offset0:24 offset1:25
	s_waitcnt lgkmcnt(0)
	v_fma_f64 v[176:177], -v[98:99], v[192:193], v[176:177]
	v_fma_f64 v[150:151], -v[98:99], v[194:195], v[150:151]
	ds_read2_b64 v[192:195], v222 offset0:26 offset1:27
	s_waitcnt lgkmcnt(0)
	v_fma_f64 v[174:175], -v[98:99], v[192:193], v[174:175]
	v_fma_f64 v[148:149], -v[98:99], v[194:195], v[148:149]
	ds_read2_b64 v[192:195], v222 offset0:28 offset1:29
	s_waitcnt lgkmcnt(0)
	v_fma_f64 v[172:173], -v[98:99], v[192:193], v[172:173]
	v_fma_f64 v[146:147], -v[98:99], v[194:195], v[146:147]
	ds_read2_b64 v[192:195], v222 offset0:30 offset1:31
	s_waitcnt lgkmcnt(0)
	v_fma_f64 v[170:171], -v[98:99], v[192:193], v[170:171]
	v_fma_f64 v[144:145], -v[98:99], v[194:195], v[144:145]
	ds_read2_b64 v[192:195], v222 offset0:32 offset1:33
	s_waitcnt lgkmcnt(0)
	v_fma_f64 v[168:169], -v[98:99], v[192:193], v[168:169]
	v_fma_f64 v[142:143], -v[98:99], v[194:195], v[142:143]
	ds_read2_b64 v[192:195], v222 offset0:34 offset1:35
	s_waitcnt lgkmcnt(0)
	v_fma_f64 v[166:167], -v[98:99], v[192:193], v[166:167]
	v_fma_f64 v[140:141], -v[98:99], v[194:195], v[140:141]
	ds_read2_b64 v[192:195], v222 offset0:36 offset1:37
	s_waitcnt lgkmcnt(0)
	v_fma_f64 v[164:165], -v[98:99], v[192:193], v[164:165]
	v_fma_f64 v[138:139], -v[98:99], v[194:195], v[138:139]
	ds_read2_b64 v[192:195], v222 offset0:38 offset1:39
	s_waitcnt lgkmcnt(0)
	v_fma_f64 v[162:163], -v[98:99], v[192:193], v[162:163]
	v_fma_f64 v[136:137], -v[98:99], v[194:195], v[136:137]
	ds_read2_b64 v[192:195], v222 offset0:40 offset1:41
	s_waitcnt lgkmcnt(0)
	v_fma_f64 v[160:161], -v[98:99], v[192:193], v[160:161]
	v_fma_f64 v[134:135], -v[98:99], v[194:195], v[134:135]
	ds_read2_b64 v[192:195], v222 offset0:42 offset1:43
	s_waitcnt lgkmcnt(0)
	v_fma_f64 v[158:159], -v[98:99], v[192:193], v[158:159]
	v_fma_f64 v[132:133], -v[98:99], v[194:195], v[132:133]
	ds_read2_b64 v[192:195], v222 offset0:44 offset1:45
	s_waitcnt lgkmcnt(0)
	v_fma_f64 v[156:157], -v[98:99], v[192:193], v[156:157]
	ds_read_b64 v[192:193], v222 offset:368
	v_fma_f64 v[130:131], -v[98:99], v[194:195], v[130:131]
	s_waitcnt lgkmcnt(0)
	v_fma_f64 v[190:191], -v[98:99], v[192:193], v[190:191]
.LBB93_51:
	s_or_b32 exec_lo, exec_lo, s1
	s_mov_b32 s1, exec_lo
	s_waitcnt lgkmcnt(0)
	s_barrier
	buffer_gl0_inv
	v_cmpx_eq_u32_e32 10, v0
	s_cbranch_execz .LBB93_54
; %bb.52:
	ds_write_b64 v1, v[104:105]
	ds_write2_b64 v222, v[96:97], v[128:129] offset0:11 offset1:12
	ds_write2_b64 v222, v[120:121], v[126:127] offset0:13 offset1:14
	;; [unrolled: 1-line block ×18, first 2 shown]
	ds_read_b64 v[192:193], v1
	s_waitcnt lgkmcnt(0)
	v_cmp_neq_f64_e32 vcc_lo, 0, v[192:193]
	s_and_b32 exec_lo, exec_lo, vcc_lo
	s_cbranch_execz .LBB93_54
; %bb.53:
	v_div_scale_f64 v[194:195], null, v[192:193], v[192:193], 1.0
	v_rcp_f64_e32 v[196:197], v[194:195]
	v_fma_f64 v[198:199], -v[194:195], v[196:197], 1.0
	v_fma_f64 v[196:197], v[196:197], v[198:199], v[196:197]
	v_fma_f64 v[198:199], -v[194:195], v[196:197], 1.0
	v_fma_f64 v[196:197], v[196:197], v[198:199], v[196:197]
	v_div_scale_f64 v[198:199], vcc_lo, 1.0, v[192:193], 1.0
	v_mul_f64 v[200:201], v[198:199], v[196:197]
	v_fma_f64 v[194:195], -v[194:195], v[200:201], v[198:199]
	v_div_fmas_f64 v[194:195], v[194:195], v[196:197], v[200:201]
	v_div_fixup_f64 v[192:193], v[194:195], v[192:193], 1.0
	ds_write_b64 v1, v[192:193]
.LBB93_54:
	s_or_b32 exec_lo, exec_lo, s1
	s_waitcnt lgkmcnt(0)
	s_barrier
	buffer_gl0_inv
	ds_read_b64 v[232:233], v1
	s_mov_b32 s1, exec_lo
	v_cmpx_lt_u32_e32 10, v0
	s_cbranch_execz .LBB93_56
; %bb.55:
	s_waitcnt lgkmcnt(0)
	v_mul_f64 v[104:105], v[232:233], v[104:105]
	ds_read2_b64 v[192:195], v222 offset0:11 offset1:12
	s_waitcnt lgkmcnt(0)
	v_fma_f64 v[96:97], -v[104:105], v[192:193], v[96:97]
	v_fma_f64 v[128:129], -v[104:105], v[194:195], v[128:129]
	ds_read2_b64 v[192:195], v222 offset0:13 offset1:14
	s_waitcnt lgkmcnt(0)
	v_fma_f64 v[120:121], -v[104:105], v[192:193], v[120:121]
	v_fma_f64 v[126:127], -v[104:105], v[194:195], v[126:127]
	;; [unrolled: 4-line block ×18, first 2 shown]
.LBB93_56:
	s_or_b32 exec_lo, exec_lo, s1
	s_mov_b32 s1, exec_lo
	s_waitcnt lgkmcnt(0)
	s_barrier
	buffer_gl0_inv
	v_cmpx_eq_u32_e32 11, v0
	s_cbranch_execz .LBB93_59
; %bb.57:
	v_mov_b32_e32 v192, v128
	v_mov_b32_e32 v193, v129
	;; [unrolled: 1-line block ×8, first 2 shown]
	ds_write_b64 v1, v[96:97]
	ds_write2_b64 v222, v[192:193], v[194:195] offset0:12 offset1:13
	ds_write2_b64 v222, v[196:197], v[198:199] offset0:14 offset1:15
	v_mov_b32_e32 v192, v124
	v_mov_b32_e32 v193, v125
	v_mov_b32_e32 v194, v116
	v_mov_b32_e32 v195, v117
	v_mov_b32_e32 v196, v122
	v_mov_b32_e32 v197, v123
	v_mov_b32_e32 v198, v114
	v_mov_b32_e32 v199, v115
	v_mov_b32_e32 v200, v180
	v_mov_b32_e32 v201, v181
	v_mov_b32_e32 v202, v154
	v_mov_b32_e32 v203, v155
	v_mov_b32_e32 v204, v178
	v_mov_b32_e32 v205, v179
	v_mov_b32_e32 v206, v152
	v_mov_b32_e32 v207, v153
	v_mov_b32_e32 v208, v176
	v_mov_b32_e32 v209, v177
	v_mov_b32_e32 v210, v150
	v_mov_b32_e32 v211, v151
	ds_write2_b64 v222, v[192:193], v[194:195] offset0:16 offset1:17
	ds_write2_b64 v222, v[196:197], v[198:199] offset0:18 offset1:19
	ds_write2_b64 v222, v[200:201], v[202:203] offset0:20 offset1:21
	ds_write2_b64 v222, v[204:205], v[206:207] offset0:22 offset1:23
	ds_write2_b64 v222, v[208:209], v[210:211] offset0:24 offset1:25
	v_mov_b32_e32 v192, v174
	v_mov_b32_e32 v193, v175
	v_mov_b32_e32 v194, v148
	v_mov_b32_e32 v195, v149
	v_mov_b32_e32 v196, v172
	v_mov_b32_e32 v197, v173
	v_mov_b32_e32 v198, v146
	v_mov_b32_e32 v199, v147
	v_mov_b32_e32 v200, v170
	v_mov_b32_e32 v201, v171
	v_mov_b32_e32 v202, v144
	v_mov_b32_e32 v203, v145
	v_mov_b32_e32 v204, v168
	v_mov_b32_e32 v205, v169
	v_mov_b32_e32 v206, v142
	v_mov_b32_e32 v207, v143
	v_mov_b32_e32 v208, v166
	v_mov_b32_e32 v209, v167
	v_mov_b32_e32 v210, v140
	v_mov_b32_e32 v211, v141
	ds_write2_b64 v222, v[192:193], v[194:195] offset0:26 offset1:27
	ds_write2_b64 v222, v[196:197], v[198:199] offset0:28 offset1:29
	ds_write2_b64 v222, v[200:201], v[202:203] offset0:30 offset1:31
	;; [unrolled: 25-line block ×3, first 2 shown]
	ds_write2_b64 v222, v[204:205], v[206:207] offset0:42 offset1:43
	ds_write2_b64 v222, v[208:209], v[210:211] offset0:44 offset1:45
	ds_write_b64 v222, v[190:191] offset:368
	ds_read_b64 v[192:193], v1
	s_waitcnt lgkmcnt(0)
	v_cmp_neq_f64_e32 vcc_lo, 0, v[192:193]
	s_and_b32 exec_lo, exec_lo, vcc_lo
	s_cbranch_execz .LBB93_59
; %bb.58:
	v_div_scale_f64 v[194:195], null, v[192:193], v[192:193], 1.0
	v_rcp_f64_e32 v[196:197], v[194:195]
	v_fma_f64 v[198:199], -v[194:195], v[196:197], 1.0
	v_fma_f64 v[196:197], v[196:197], v[198:199], v[196:197]
	v_fma_f64 v[198:199], -v[194:195], v[196:197], 1.0
	v_fma_f64 v[196:197], v[196:197], v[198:199], v[196:197]
	v_div_scale_f64 v[198:199], vcc_lo, 1.0, v[192:193], 1.0
	v_mul_f64 v[200:201], v[198:199], v[196:197]
	v_fma_f64 v[194:195], -v[194:195], v[200:201], v[198:199]
	v_div_fmas_f64 v[194:195], v[194:195], v[196:197], v[200:201]
	v_div_fixup_f64 v[192:193], v[194:195], v[192:193], 1.0
	ds_write_b64 v1, v[192:193]
.LBB93_59:
	s_or_b32 exec_lo, exec_lo, s1
	s_waitcnt lgkmcnt(0)
	s_barrier
	buffer_gl0_inv
	ds_read_b64 v[4:5], v1
	s_mov_b32 s1, exec_lo
	v_cmpx_lt_u32_e32 11, v0
	s_cbranch_execz .LBB93_61
; %bb.60:
	s_waitcnt lgkmcnt(0)
	v_mul_f64 v[96:97], v[4:5], v[96:97]
	ds_read2_b64 v[192:195], v222 offset0:12 offset1:13
	s_waitcnt lgkmcnt(0)
	v_fma_f64 v[128:129], -v[96:97], v[192:193], v[128:129]
	v_fma_f64 v[120:121], -v[96:97], v[194:195], v[120:121]
	ds_read2_b64 v[192:195], v222 offset0:14 offset1:15
	s_waitcnt lgkmcnt(0)
	v_fma_f64 v[126:127], -v[96:97], v[192:193], v[126:127]
	v_fma_f64 v[118:119], -v[96:97], v[194:195], v[118:119]
	;; [unrolled: 4-line block ×16, first 2 shown]
	ds_read2_b64 v[192:195], v222 offset0:44 offset1:45
	s_waitcnt lgkmcnt(0)
	v_fma_f64 v[156:157], -v[96:97], v[192:193], v[156:157]
	ds_read_b64 v[192:193], v222 offset:368
	v_fma_f64 v[130:131], -v[96:97], v[194:195], v[130:131]
	s_waitcnt lgkmcnt(0)
	v_fma_f64 v[190:191], -v[96:97], v[192:193], v[190:191]
.LBB93_61:
	s_or_b32 exec_lo, exec_lo, s1
	s_mov_b32 s1, exec_lo
	s_waitcnt lgkmcnt(0)
	s_barrier
	buffer_gl0_inv
	v_cmpx_eq_u32_e32 12, v0
	s_cbranch_execz .LBB93_64
; %bb.62:
	ds_write_b64 v1, v[128:129]
	ds_write2_b64 v222, v[120:121], v[126:127] offset0:13 offset1:14
	ds_write2_b64 v222, v[118:119], v[124:125] offset0:15 offset1:16
	;; [unrolled: 1-line block ×17, first 2 shown]
	ds_read_b64 v[192:193], v1
	s_waitcnt lgkmcnt(0)
	v_cmp_neq_f64_e32 vcc_lo, 0, v[192:193]
	s_and_b32 exec_lo, exec_lo, vcc_lo
	s_cbranch_execz .LBB93_64
; %bb.63:
	v_div_scale_f64 v[194:195], null, v[192:193], v[192:193], 1.0
	v_rcp_f64_e32 v[196:197], v[194:195]
	v_fma_f64 v[198:199], -v[194:195], v[196:197], 1.0
	v_fma_f64 v[196:197], v[196:197], v[198:199], v[196:197]
	v_fma_f64 v[198:199], -v[194:195], v[196:197], 1.0
	v_fma_f64 v[196:197], v[196:197], v[198:199], v[196:197]
	v_div_scale_f64 v[198:199], vcc_lo, 1.0, v[192:193], 1.0
	v_mul_f64 v[200:201], v[198:199], v[196:197]
	v_fma_f64 v[194:195], -v[194:195], v[200:201], v[198:199]
	v_div_fmas_f64 v[194:195], v[194:195], v[196:197], v[200:201]
	v_div_fixup_f64 v[192:193], v[194:195], v[192:193], 1.0
	ds_write_b64 v1, v[192:193]
.LBB93_64:
	s_or_b32 exec_lo, exec_lo, s1
	s_waitcnt lgkmcnt(0)
	s_barrier
	buffer_gl0_inv
	ds_read_b64 v[6:7], v1
	s_mov_b32 s1, exec_lo
	v_cmpx_lt_u32_e32 12, v0
	s_cbranch_execz .LBB93_66
; %bb.65:
	s_waitcnt lgkmcnt(0)
	v_mul_f64 v[128:129], v[6:7], v[128:129]
	ds_read2_b64 v[192:195], v222 offset0:13 offset1:14
	s_waitcnt lgkmcnt(0)
	v_fma_f64 v[120:121], -v[128:129], v[192:193], v[120:121]
	v_fma_f64 v[126:127], -v[128:129], v[194:195], v[126:127]
	ds_read2_b64 v[192:195], v222 offset0:15 offset1:16
	s_waitcnt lgkmcnt(0)
	v_fma_f64 v[118:119], -v[128:129], v[192:193], v[118:119]
	v_fma_f64 v[124:125], -v[128:129], v[194:195], v[124:125]
	;; [unrolled: 4-line block ×17, first 2 shown]
.LBB93_66:
	s_or_b32 exec_lo, exec_lo, s1
	s_mov_b32 s1, exec_lo
	s_waitcnt lgkmcnt(0)
	s_barrier
	buffer_gl0_inv
	v_cmpx_eq_u32_e32 13, v0
	s_cbranch_execz .LBB93_69
; %bb.67:
	v_mov_b32_e32 v192, v126
	v_mov_b32_e32 v193, v127
	;; [unrolled: 1-line block ×4, first 2 shown]
	ds_write_b64 v1, v[120:121]
	ds_write2_b64 v222, v[192:193], v[194:195] offset0:14 offset1:15
	v_mov_b32_e32 v192, v124
	v_mov_b32_e32 v193, v125
	v_mov_b32_e32 v194, v116
	v_mov_b32_e32 v195, v117
	v_mov_b32_e32 v196, v122
	v_mov_b32_e32 v197, v123
	v_mov_b32_e32 v198, v114
	v_mov_b32_e32 v199, v115
	v_mov_b32_e32 v200, v180
	v_mov_b32_e32 v201, v181
	v_mov_b32_e32 v202, v154
	v_mov_b32_e32 v203, v155
	v_mov_b32_e32 v204, v178
	v_mov_b32_e32 v205, v179
	v_mov_b32_e32 v206, v152
	v_mov_b32_e32 v207, v153
	v_mov_b32_e32 v208, v176
	v_mov_b32_e32 v209, v177
	v_mov_b32_e32 v210, v150
	v_mov_b32_e32 v211, v151
	ds_write2_b64 v222, v[192:193], v[194:195] offset0:16 offset1:17
	ds_write2_b64 v222, v[196:197], v[198:199] offset0:18 offset1:19
	ds_write2_b64 v222, v[200:201], v[202:203] offset0:20 offset1:21
	ds_write2_b64 v222, v[204:205], v[206:207] offset0:22 offset1:23
	ds_write2_b64 v222, v[208:209], v[210:211] offset0:24 offset1:25
	v_mov_b32_e32 v192, v174
	v_mov_b32_e32 v193, v175
	v_mov_b32_e32 v194, v148
	v_mov_b32_e32 v195, v149
	v_mov_b32_e32 v196, v172
	v_mov_b32_e32 v197, v173
	v_mov_b32_e32 v198, v146
	v_mov_b32_e32 v199, v147
	v_mov_b32_e32 v200, v170
	v_mov_b32_e32 v201, v171
	v_mov_b32_e32 v202, v144
	v_mov_b32_e32 v203, v145
	v_mov_b32_e32 v204, v168
	v_mov_b32_e32 v205, v169
	v_mov_b32_e32 v206, v142
	v_mov_b32_e32 v207, v143
	v_mov_b32_e32 v208, v166
	v_mov_b32_e32 v209, v167
	v_mov_b32_e32 v210, v140
	v_mov_b32_e32 v211, v141
	ds_write2_b64 v222, v[192:193], v[194:195] offset0:26 offset1:27
	ds_write2_b64 v222, v[196:197], v[198:199] offset0:28 offset1:29
	ds_write2_b64 v222, v[200:201], v[202:203] offset0:30 offset1:31
	ds_write2_b64 v222, v[204:205], v[206:207] offset0:32 offset1:33
	;; [unrolled: 25-line block ×3, first 2 shown]
	ds_write2_b64 v222, v[208:209], v[210:211] offset0:44 offset1:45
	ds_write_b64 v222, v[190:191] offset:368
	ds_read_b64 v[192:193], v1
	s_waitcnt lgkmcnt(0)
	v_cmp_neq_f64_e32 vcc_lo, 0, v[192:193]
	s_and_b32 exec_lo, exec_lo, vcc_lo
	s_cbranch_execz .LBB93_69
; %bb.68:
	v_div_scale_f64 v[194:195], null, v[192:193], v[192:193], 1.0
	v_rcp_f64_e32 v[196:197], v[194:195]
	v_fma_f64 v[198:199], -v[194:195], v[196:197], 1.0
	v_fma_f64 v[196:197], v[196:197], v[198:199], v[196:197]
	v_fma_f64 v[198:199], -v[194:195], v[196:197], 1.0
	v_fma_f64 v[196:197], v[196:197], v[198:199], v[196:197]
	v_div_scale_f64 v[198:199], vcc_lo, 1.0, v[192:193], 1.0
	v_mul_f64 v[200:201], v[198:199], v[196:197]
	v_fma_f64 v[194:195], -v[194:195], v[200:201], v[198:199]
	v_div_fmas_f64 v[194:195], v[194:195], v[196:197], v[200:201]
	v_div_fixup_f64 v[192:193], v[194:195], v[192:193], 1.0
	ds_write_b64 v1, v[192:193]
.LBB93_69:
	s_or_b32 exec_lo, exec_lo, s1
	s_waitcnt lgkmcnt(0)
	s_barrier
	buffer_gl0_inv
	ds_read_b64 v[8:9], v1
	s_mov_b32 s1, exec_lo
	v_cmpx_lt_u32_e32 13, v0
	s_cbranch_execz .LBB93_71
; %bb.70:
	s_waitcnt lgkmcnt(0)
	v_mul_f64 v[120:121], v[8:9], v[120:121]
	ds_read2_b64 v[192:195], v222 offset0:14 offset1:15
	s_waitcnt lgkmcnt(0)
	v_fma_f64 v[126:127], -v[120:121], v[192:193], v[126:127]
	v_fma_f64 v[118:119], -v[120:121], v[194:195], v[118:119]
	ds_read2_b64 v[192:195], v222 offset0:16 offset1:17
	s_waitcnt lgkmcnt(0)
	v_fma_f64 v[124:125], -v[120:121], v[192:193], v[124:125]
	v_fma_f64 v[116:117], -v[120:121], v[194:195], v[116:117]
	ds_read2_b64 v[192:195], v222 offset0:18 offset1:19
	s_waitcnt lgkmcnt(0)
	v_fma_f64 v[122:123], -v[120:121], v[192:193], v[122:123]
	v_fma_f64 v[114:115], -v[120:121], v[194:195], v[114:115]
	ds_read2_b64 v[192:195], v222 offset0:20 offset1:21
	s_waitcnt lgkmcnt(0)
	v_fma_f64 v[180:181], -v[120:121], v[192:193], v[180:181]
	v_fma_f64 v[154:155], -v[120:121], v[194:195], v[154:155]
	ds_read2_b64 v[192:195], v222 offset0:22 offset1:23
	s_waitcnt lgkmcnt(0)
	v_fma_f64 v[178:179], -v[120:121], v[192:193], v[178:179]
	v_fma_f64 v[152:153], -v[120:121], v[194:195], v[152:153]
	ds_read2_b64 v[192:195], v222 offset0:24 offset1:25
	s_waitcnt lgkmcnt(0)
	v_fma_f64 v[176:177], -v[120:121], v[192:193], v[176:177]
	v_fma_f64 v[150:151], -v[120:121], v[194:195], v[150:151]
	ds_read2_b64 v[192:195], v222 offset0:26 offset1:27
	s_waitcnt lgkmcnt(0)
	v_fma_f64 v[174:175], -v[120:121], v[192:193], v[174:175]
	v_fma_f64 v[148:149], -v[120:121], v[194:195], v[148:149]
	ds_read2_b64 v[192:195], v222 offset0:28 offset1:29
	s_waitcnt lgkmcnt(0)
	v_fma_f64 v[172:173], -v[120:121], v[192:193], v[172:173]
	v_fma_f64 v[146:147], -v[120:121], v[194:195], v[146:147]
	ds_read2_b64 v[192:195], v222 offset0:30 offset1:31
	s_waitcnt lgkmcnt(0)
	v_fma_f64 v[170:171], -v[120:121], v[192:193], v[170:171]
	v_fma_f64 v[144:145], -v[120:121], v[194:195], v[144:145]
	ds_read2_b64 v[192:195], v222 offset0:32 offset1:33
	s_waitcnt lgkmcnt(0)
	v_fma_f64 v[168:169], -v[120:121], v[192:193], v[168:169]
	v_fma_f64 v[142:143], -v[120:121], v[194:195], v[142:143]
	ds_read2_b64 v[192:195], v222 offset0:34 offset1:35
	s_waitcnt lgkmcnt(0)
	v_fma_f64 v[166:167], -v[120:121], v[192:193], v[166:167]
	v_fma_f64 v[140:141], -v[120:121], v[194:195], v[140:141]
	ds_read2_b64 v[192:195], v222 offset0:36 offset1:37
	s_waitcnt lgkmcnt(0)
	v_fma_f64 v[164:165], -v[120:121], v[192:193], v[164:165]
	v_fma_f64 v[138:139], -v[120:121], v[194:195], v[138:139]
	ds_read2_b64 v[192:195], v222 offset0:38 offset1:39
	s_waitcnt lgkmcnt(0)
	v_fma_f64 v[162:163], -v[120:121], v[192:193], v[162:163]
	v_fma_f64 v[136:137], -v[120:121], v[194:195], v[136:137]
	ds_read2_b64 v[192:195], v222 offset0:40 offset1:41
	s_waitcnt lgkmcnt(0)
	v_fma_f64 v[160:161], -v[120:121], v[192:193], v[160:161]
	v_fma_f64 v[134:135], -v[120:121], v[194:195], v[134:135]
	ds_read2_b64 v[192:195], v222 offset0:42 offset1:43
	s_waitcnt lgkmcnt(0)
	v_fma_f64 v[158:159], -v[120:121], v[192:193], v[158:159]
	v_fma_f64 v[132:133], -v[120:121], v[194:195], v[132:133]
	ds_read2_b64 v[192:195], v222 offset0:44 offset1:45
	s_waitcnt lgkmcnt(0)
	v_fma_f64 v[156:157], -v[120:121], v[192:193], v[156:157]
	ds_read_b64 v[192:193], v222 offset:368
	v_fma_f64 v[130:131], -v[120:121], v[194:195], v[130:131]
	s_waitcnt lgkmcnt(0)
	v_fma_f64 v[190:191], -v[120:121], v[192:193], v[190:191]
.LBB93_71:
	s_or_b32 exec_lo, exec_lo, s1
	s_mov_b32 s1, exec_lo
	s_waitcnt lgkmcnt(0)
	s_barrier
	buffer_gl0_inv
	v_cmpx_eq_u32_e32 14, v0
	s_cbranch_execz .LBB93_74
; %bb.72:
	ds_write_b64 v1, v[126:127]
	ds_write2_b64 v222, v[118:119], v[124:125] offset0:15 offset1:16
	ds_write2_b64 v222, v[116:117], v[122:123] offset0:17 offset1:18
	;; [unrolled: 1-line block ×16, first 2 shown]
	ds_read_b64 v[192:193], v1
	s_waitcnt lgkmcnt(0)
	v_cmp_neq_f64_e32 vcc_lo, 0, v[192:193]
	s_and_b32 exec_lo, exec_lo, vcc_lo
	s_cbranch_execz .LBB93_74
; %bb.73:
	v_div_scale_f64 v[194:195], null, v[192:193], v[192:193], 1.0
	v_rcp_f64_e32 v[196:197], v[194:195]
	v_fma_f64 v[198:199], -v[194:195], v[196:197], 1.0
	v_fma_f64 v[196:197], v[196:197], v[198:199], v[196:197]
	v_fma_f64 v[198:199], -v[194:195], v[196:197], 1.0
	v_fma_f64 v[196:197], v[196:197], v[198:199], v[196:197]
	v_div_scale_f64 v[198:199], vcc_lo, 1.0, v[192:193], 1.0
	v_mul_f64 v[200:201], v[198:199], v[196:197]
	v_fma_f64 v[194:195], -v[194:195], v[200:201], v[198:199]
	v_div_fmas_f64 v[194:195], v[194:195], v[196:197], v[200:201]
	v_div_fixup_f64 v[192:193], v[194:195], v[192:193], 1.0
	ds_write_b64 v1, v[192:193]
.LBB93_74:
	s_or_b32 exec_lo, exec_lo, s1
	s_waitcnt lgkmcnt(0)
	s_barrier
	buffer_gl0_inv
	ds_read_b64 v[10:11], v1
	s_mov_b32 s1, exec_lo
	v_cmpx_lt_u32_e32 14, v0
	s_cbranch_execz .LBB93_76
; %bb.75:
	s_waitcnt lgkmcnt(0)
	v_mul_f64 v[126:127], v[10:11], v[126:127]
	ds_read2_b64 v[192:195], v222 offset0:15 offset1:16
	s_waitcnt lgkmcnt(0)
	v_fma_f64 v[118:119], -v[126:127], v[192:193], v[118:119]
	v_fma_f64 v[124:125], -v[126:127], v[194:195], v[124:125]
	ds_read2_b64 v[192:195], v222 offset0:17 offset1:18
	s_waitcnt lgkmcnt(0)
	v_fma_f64 v[116:117], -v[126:127], v[192:193], v[116:117]
	v_fma_f64 v[122:123], -v[126:127], v[194:195], v[122:123]
	;; [unrolled: 4-line block ×16, first 2 shown]
.LBB93_76:
	s_or_b32 exec_lo, exec_lo, s1
	s_mov_b32 s1, exec_lo
	s_waitcnt lgkmcnt(0)
	s_barrier
	buffer_gl0_inv
	v_cmpx_eq_u32_e32 15, v0
	s_cbranch_execz .LBB93_79
; %bb.77:
	v_mov_b32_e32 v192, v124
	v_mov_b32_e32 v193, v125
	v_mov_b32_e32 v194, v116
	v_mov_b32_e32 v195, v117
	v_mov_b32_e32 v196, v122
	v_mov_b32_e32 v197, v123
	v_mov_b32_e32 v198, v114
	v_mov_b32_e32 v199, v115
	v_mov_b32_e32 v200, v180
	v_mov_b32_e32 v201, v181
	v_mov_b32_e32 v202, v154
	v_mov_b32_e32 v203, v155
	v_mov_b32_e32 v204, v178
	v_mov_b32_e32 v205, v179
	v_mov_b32_e32 v206, v152
	v_mov_b32_e32 v207, v153
	v_mov_b32_e32 v208, v176
	v_mov_b32_e32 v209, v177
	v_mov_b32_e32 v210, v150
	v_mov_b32_e32 v211, v151
	ds_write_b64 v1, v[118:119]
	ds_write2_b64 v222, v[192:193], v[194:195] offset0:16 offset1:17
	ds_write2_b64 v222, v[196:197], v[198:199] offset0:18 offset1:19
	;; [unrolled: 1-line block ×5, first 2 shown]
	v_mov_b32_e32 v192, v174
	v_mov_b32_e32 v193, v175
	;; [unrolled: 1-line block ×20, first 2 shown]
	ds_write2_b64 v222, v[192:193], v[194:195] offset0:26 offset1:27
	ds_write2_b64 v222, v[196:197], v[198:199] offset0:28 offset1:29
	;; [unrolled: 1-line block ×5, first 2 shown]
	v_mov_b32_e32 v192, v164
	v_mov_b32_e32 v193, v165
	;; [unrolled: 1-line block ×20, first 2 shown]
	ds_write2_b64 v222, v[192:193], v[194:195] offset0:36 offset1:37
	ds_write2_b64 v222, v[196:197], v[198:199] offset0:38 offset1:39
	;; [unrolled: 1-line block ×5, first 2 shown]
	ds_write_b64 v222, v[190:191] offset:368
	ds_read_b64 v[192:193], v1
	s_waitcnt lgkmcnt(0)
	v_cmp_neq_f64_e32 vcc_lo, 0, v[192:193]
	s_and_b32 exec_lo, exec_lo, vcc_lo
	s_cbranch_execz .LBB93_79
; %bb.78:
	v_div_scale_f64 v[194:195], null, v[192:193], v[192:193], 1.0
	v_rcp_f64_e32 v[196:197], v[194:195]
	v_fma_f64 v[198:199], -v[194:195], v[196:197], 1.0
	v_fma_f64 v[196:197], v[196:197], v[198:199], v[196:197]
	v_fma_f64 v[198:199], -v[194:195], v[196:197], 1.0
	v_fma_f64 v[196:197], v[196:197], v[198:199], v[196:197]
	v_div_scale_f64 v[198:199], vcc_lo, 1.0, v[192:193], 1.0
	v_mul_f64 v[200:201], v[198:199], v[196:197]
	v_fma_f64 v[194:195], -v[194:195], v[200:201], v[198:199]
	v_div_fmas_f64 v[194:195], v[194:195], v[196:197], v[200:201]
	v_div_fixup_f64 v[192:193], v[194:195], v[192:193], 1.0
	ds_write_b64 v1, v[192:193]
.LBB93_79:
	s_or_b32 exec_lo, exec_lo, s1
	s_waitcnt lgkmcnt(0)
	s_barrier
	buffer_gl0_inv
	ds_read_b64 v[12:13], v1
	s_mov_b32 s1, exec_lo
	v_cmpx_lt_u32_e32 15, v0
	s_cbranch_execz .LBB93_81
; %bb.80:
	s_waitcnt lgkmcnt(0)
	v_mul_f64 v[118:119], v[12:13], v[118:119]
	ds_read2_b64 v[192:195], v222 offset0:16 offset1:17
	s_waitcnt lgkmcnt(0)
	v_fma_f64 v[124:125], -v[118:119], v[192:193], v[124:125]
	v_fma_f64 v[116:117], -v[118:119], v[194:195], v[116:117]
	ds_read2_b64 v[192:195], v222 offset0:18 offset1:19
	s_waitcnt lgkmcnt(0)
	v_fma_f64 v[122:123], -v[118:119], v[192:193], v[122:123]
	v_fma_f64 v[114:115], -v[118:119], v[194:195], v[114:115]
	;; [unrolled: 4-line block ×14, first 2 shown]
	ds_read2_b64 v[192:195], v222 offset0:44 offset1:45
	s_waitcnt lgkmcnt(0)
	v_fma_f64 v[156:157], -v[118:119], v[192:193], v[156:157]
	ds_read_b64 v[192:193], v222 offset:368
	v_fma_f64 v[130:131], -v[118:119], v[194:195], v[130:131]
	s_waitcnt lgkmcnt(0)
	v_fma_f64 v[190:191], -v[118:119], v[192:193], v[190:191]
.LBB93_81:
	s_or_b32 exec_lo, exec_lo, s1
	s_mov_b32 s1, exec_lo
	s_waitcnt lgkmcnt(0)
	s_barrier
	buffer_gl0_inv
	v_cmpx_eq_u32_e32 16, v0
	s_cbranch_execz .LBB93_84
; %bb.82:
	ds_write_b64 v1, v[124:125]
	ds_write2_b64 v222, v[116:117], v[122:123] offset0:17 offset1:18
	ds_write2_b64 v222, v[114:115], v[180:181] offset0:19 offset1:20
	;; [unrolled: 1-line block ×15, first 2 shown]
	ds_read_b64 v[192:193], v1
	s_waitcnt lgkmcnt(0)
	v_cmp_neq_f64_e32 vcc_lo, 0, v[192:193]
	s_and_b32 exec_lo, exec_lo, vcc_lo
	s_cbranch_execz .LBB93_84
; %bb.83:
	v_div_scale_f64 v[194:195], null, v[192:193], v[192:193], 1.0
	v_rcp_f64_e32 v[196:197], v[194:195]
	v_fma_f64 v[198:199], -v[194:195], v[196:197], 1.0
	v_fma_f64 v[196:197], v[196:197], v[198:199], v[196:197]
	v_fma_f64 v[198:199], -v[194:195], v[196:197], 1.0
	v_fma_f64 v[196:197], v[196:197], v[198:199], v[196:197]
	v_div_scale_f64 v[198:199], vcc_lo, 1.0, v[192:193], 1.0
	v_mul_f64 v[200:201], v[198:199], v[196:197]
	v_fma_f64 v[194:195], -v[194:195], v[200:201], v[198:199]
	v_div_fmas_f64 v[194:195], v[194:195], v[196:197], v[200:201]
	v_div_fixup_f64 v[192:193], v[194:195], v[192:193], 1.0
	ds_write_b64 v1, v[192:193]
.LBB93_84:
	s_or_b32 exec_lo, exec_lo, s1
	s_waitcnt lgkmcnt(0)
	s_barrier
	buffer_gl0_inv
	ds_read_b64 v[14:15], v1
	s_mov_b32 s1, exec_lo
	v_cmpx_lt_u32_e32 16, v0
	s_cbranch_execz .LBB93_86
; %bb.85:
	s_waitcnt lgkmcnt(0)
	v_mul_f64 v[124:125], v[14:15], v[124:125]
	ds_read2_b64 v[192:195], v222 offset0:17 offset1:18
	s_waitcnt lgkmcnt(0)
	v_fma_f64 v[116:117], -v[124:125], v[192:193], v[116:117]
	v_fma_f64 v[122:123], -v[124:125], v[194:195], v[122:123]
	ds_read2_b64 v[192:195], v222 offset0:19 offset1:20
	s_waitcnt lgkmcnt(0)
	v_fma_f64 v[114:115], -v[124:125], v[192:193], v[114:115]
	v_fma_f64 v[180:181], -v[124:125], v[194:195], v[180:181]
	;; [unrolled: 4-line block ×15, first 2 shown]
.LBB93_86:
	s_or_b32 exec_lo, exec_lo, s1
	s_mov_b32 s1, exec_lo
	s_waitcnt lgkmcnt(0)
	s_barrier
	buffer_gl0_inv
	v_cmpx_eq_u32_e32 17, v0
	s_cbranch_execz .LBB93_89
; %bb.87:
	v_mov_b32_e32 v192, v122
	v_mov_b32_e32 v193, v123
	;; [unrolled: 1-line block ×16, first 2 shown]
	ds_write_b64 v1, v[116:117]
	ds_write2_b64 v222, v[192:193], v[194:195] offset0:18 offset1:19
	ds_write2_b64 v222, v[196:197], v[198:199] offset0:20 offset1:21
	;; [unrolled: 1-line block ×4, first 2 shown]
	v_mov_b32_e32 v192, v174
	v_mov_b32_e32 v193, v175
	v_mov_b32_e32 v194, v148
	v_mov_b32_e32 v195, v149
	v_mov_b32_e32 v196, v172
	v_mov_b32_e32 v197, v173
	v_mov_b32_e32 v198, v146
	v_mov_b32_e32 v199, v147
	v_mov_b32_e32 v200, v170
	v_mov_b32_e32 v201, v171
	v_mov_b32_e32 v202, v144
	v_mov_b32_e32 v203, v145
	v_mov_b32_e32 v204, v168
	v_mov_b32_e32 v205, v169
	v_mov_b32_e32 v206, v142
	v_mov_b32_e32 v207, v143
	v_mov_b32_e32 v208, v166
	v_mov_b32_e32 v209, v167
	v_mov_b32_e32 v210, v140
	v_mov_b32_e32 v211, v141
	ds_write2_b64 v222, v[192:193], v[194:195] offset0:26 offset1:27
	ds_write2_b64 v222, v[196:197], v[198:199] offset0:28 offset1:29
	;; [unrolled: 1-line block ×5, first 2 shown]
	v_mov_b32_e32 v192, v164
	v_mov_b32_e32 v193, v165
	;; [unrolled: 1-line block ×20, first 2 shown]
	ds_write2_b64 v222, v[192:193], v[194:195] offset0:36 offset1:37
	ds_write2_b64 v222, v[196:197], v[198:199] offset0:38 offset1:39
	;; [unrolled: 1-line block ×5, first 2 shown]
	ds_write_b64 v222, v[190:191] offset:368
	ds_read_b64 v[192:193], v1
	s_waitcnt lgkmcnt(0)
	v_cmp_neq_f64_e32 vcc_lo, 0, v[192:193]
	s_and_b32 exec_lo, exec_lo, vcc_lo
	s_cbranch_execz .LBB93_89
; %bb.88:
	v_div_scale_f64 v[194:195], null, v[192:193], v[192:193], 1.0
	v_rcp_f64_e32 v[196:197], v[194:195]
	v_fma_f64 v[198:199], -v[194:195], v[196:197], 1.0
	v_fma_f64 v[196:197], v[196:197], v[198:199], v[196:197]
	v_fma_f64 v[198:199], -v[194:195], v[196:197], 1.0
	v_fma_f64 v[196:197], v[196:197], v[198:199], v[196:197]
	v_div_scale_f64 v[198:199], vcc_lo, 1.0, v[192:193], 1.0
	v_mul_f64 v[200:201], v[198:199], v[196:197]
	v_fma_f64 v[194:195], -v[194:195], v[200:201], v[198:199]
	v_div_fmas_f64 v[194:195], v[194:195], v[196:197], v[200:201]
	v_div_fixup_f64 v[192:193], v[194:195], v[192:193], 1.0
	ds_write_b64 v1, v[192:193]
.LBB93_89:
	s_or_b32 exec_lo, exec_lo, s1
	s_waitcnt lgkmcnt(0)
	s_barrier
	buffer_gl0_inv
	ds_read_b64 v[16:17], v1
	s_mov_b32 s1, exec_lo
	v_cmpx_lt_u32_e32 17, v0
	s_cbranch_execz .LBB93_91
; %bb.90:
	s_waitcnt lgkmcnt(0)
	v_mul_f64 v[116:117], v[16:17], v[116:117]
	ds_read2_b64 v[192:195], v222 offset0:18 offset1:19
	s_waitcnt lgkmcnt(0)
	v_fma_f64 v[122:123], -v[116:117], v[192:193], v[122:123]
	v_fma_f64 v[114:115], -v[116:117], v[194:195], v[114:115]
	ds_read2_b64 v[192:195], v222 offset0:20 offset1:21
	s_waitcnt lgkmcnt(0)
	v_fma_f64 v[180:181], -v[116:117], v[192:193], v[180:181]
	v_fma_f64 v[154:155], -v[116:117], v[194:195], v[154:155]
	;; [unrolled: 4-line block ×13, first 2 shown]
	ds_read2_b64 v[192:195], v222 offset0:44 offset1:45
	s_waitcnt lgkmcnt(0)
	v_fma_f64 v[156:157], -v[116:117], v[192:193], v[156:157]
	ds_read_b64 v[192:193], v222 offset:368
	v_fma_f64 v[130:131], -v[116:117], v[194:195], v[130:131]
	s_waitcnt lgkmcnt(0)
	v_fma_f64 v[190:191], -v[116:117], v[192:193], v[190:191]
.LBB93_91:
	s_or_b32 exec_lo, exec_lo, s1
	s_mov_b32 s1, exec_lo
	s_waitcnt lgkmcnt(0)
	s_barrier
	buffer_gl0_inv
	v_cmpx_eq_u32_e32 18, v0
	s_cbranch_execz .LBB93_94
; %bb.92:
	ds_write_b64 v1, v[122:123]
	ds_write2_b64 v222, v[114:115], v[180:181] offset0:19 offset1:20
	ds_write2_b64 v222, v[154:155], v[178:179] offset0:21 offset1:22
	;; [unrolled: 1-line block ×14, first 2 shown]
	ds_read_b64 v[192:193], v1
	s_waitcnt lgkmcnt(0)
	v_cmp_neq_f64_e32 vcc_lo, 0, v[192:193]
	s_and_b32 exec_lo, exec_lo, vcc_lo
	s_cbranch_execz .LBB93_94
; %bb.93:
	v_div_scale_f64 v[194:195], null, v[192:193], v[192:193], 1.0
	v_rcp_f64_e32 v[196:197], v[194:195]
	v_fma_f64 v[198:199], -v[194:195], v[196:197], 1.0
	v_fma_f64 v[196:197], v[196:197], v[198:199], v[196:197]
	v_fma_f64 v[198:199], -v[194:195], v[196:197], 1.0
	v_fma_f64 v[196:197], v[196:197], v[198:199], v[196:197]
	v_div_scale_f64 v[198:199], vcc_lo, 1.0, v[192:193], 1.0
	v_mul_f64 v[200:201], v[198:199], v[196:197]
	v_fma_f64 v[194:195], -v[194:195], v[200:201], v[198:199]
	v_div_fmas_f64 v[194:195], v[194:195], v[196:197], v[200:201]
	v_div_fixup_f64 v[192:193], v[194:195], v[192:193], 1.0
	ds_write_b64 v1, v[192:193]
.LBB93_94:
	s_or_b32 exec_lo, exec_lo, s1
	s_waitcnt lgkmcnt(0)
	s_barrier
	buffer_gl0_inv
	ds_read_b64 v[18:19], v1
	s_mov_b32 s1, exec_lo
	v_cmpx_lt_u32_e32 18, v0
	s_cbranch_execz .LBB93_96
; %bb.95:
	s_waitcnt lgkmcnt(0)
	v_mul_f64 v[122:123], v[18:19], v[122:123]
	ds_read2_b64 v[192:195], v222 offset0:19 offset1:20
	s_waitcnt lgkmcnt(0)
	v_fma_f64 v[114:115], -v[122:123], v[192:193], v[114:115]
	v_fma_f64 v[180:181], -v[122:123], v[194:195], v[180:181]
	ds_read2_b64 v[192:195], v222 offset0:21 offset1:22
	s_waitcnt lgkmcnt(0)
	v_fma_f64 v[154:155], -v[122:123], v[192:193], v[154:155]
	v_fma_f64 v[178:179], -v[122:123], v[194:195], v[178:179]
	ds_read2_b64 v[192:195], v222 offset0:23 offset1:24
	s_waitcnt lgkmcnt(0)
	v_fma_f64 v[152:153], -v[122:123], v[192:193], v[152:153]
	v_fma_f64 v[176:177], -v[122:123], v[194:195], v[176:177]
	ds_read2_b64 v[192:195], v222 offset0:25 offset1:26
	s_waitcnt lgkmcnt(0)
	v_fma_f64 v[150:151], -v[122:123], v[192:193], v[150:151]
	v_fma_f64 v[174:175], -v[122:123], v[194:195], v[174:175]
	ds_read2_b64 v[192:195], v222 offset0:27 offset1:28
	s_waitcnt lgkmcnt(0)
	v_fma_f64 v[148:149], -v[122:123], v[192:193], v[148:149]
	v_fma_f64 v[172:173], -v[122:123], v[194:195], v[172:173]
	ds_read2_b64 v[192:195], v222 offset0:29 offset1:30
	s_waitcnt lgkmcnt(0)
	v_fma_f64 v[146:147], -v[122:123], v[192:193], v[146:147]
	v_fma_f64 v[170:171], -v[122:123], v[194:195], v[170:171]
	ds_read2_b64 v[192:195], v222 offset0:31 offset1:32
	s_waitcnt lgkmcnt(0)
	v_fma_f64 v[144:145], -v[122:123], v[192:193], v[144:145]
	v_fma_f64 v[168:169], -v[122:123], v[194:195], v[168:169]
	ds_read2_b64 v[192:195], v222 offset0:33 offset1:34
	s_waitcnt lgkmcnt(0)
	v_fma_f64 v[142:143], -v[122:123], v[192:193], v[142:143]
	v_fma_f64 v[166:167], -v[122:123], v[194:195], v[166:167]
	ds_read2_b64 v[192:195], v222 offset0:35 offset1:36
	s_waitcnt lgkmcnt(0)
	v_fma_f64 v[140:141], -v[122:123], v[192:193], v[140:141]
	v_fma_f64 v[164:165], -v[122:123], v[194:195], v[164:165]
	ds_read2_b64 v[192:195], v222 offset0:37 offset1:38
	s_waitcnt lgkmcnt(0)
	v_fma_f64 v[138:139], -v[122:123], v[192:193], v[138:139]
	v_fma_f64 v[162:163], -v[122:123], v[194:195], v[162:163]
	ds_read2_b64 v[192:195], v222 offset0:39 offset1:40
	s_waitcnt lgkmcnt(0)
	v_fma_f64 v[136:137], -v[122:123], v[192:193], v[136:137]
	v_fma_f64 v[160:161], -v[122:123], v[194:195], v[160:161]
	ds_read2_b64 v[192:195], v222 offset0:41 offset1:42
	s_waitcnt lgkmcnt(0)
	v_fma_f64 v[134:135], -v[122:123], v[192:193], v[134:135]
	v_fma_f64 v[158:159], -v[122:123], v[194:195], v[158:159]
	ds_read2_b64 v[192:195], v222 offset0:43 offset1:44
	s_waitcnt lgkmcnt(0)
	v_fma_f64 v[132:133], -v[122:123], v[192:193], v[132:133]
	v_fma_f64 v[156:157], -v[122:123], v[194:195], v[156:157]
	ds_read2_b64 v[192:195], v222 offset0:45 offset1:46
	s_waitcnt lgkmcnt(0)
	v_fma_f64 v[130:131], -v[122:123], v[192:193], v[130:131]
	v_fma_f64 v[190:191], -v[122:123], v[194:195], v[190:191]
.LBB93_96:
	s_or_b32 exec_lo, exec_lo, s1
	s_mov_b32 s1, exec_lo
	s_waitcnt lgkmcnt(0)
	s_barrier
	buffer_gl0_inv
	v_cmpx_eq_u32_e32 19, v0
	s_cbranch_execz .LBB93_99
; %bb.97:
	v_mov_b32_e32 v192, v180
	v_mov_b32_e32 v193, v181
	;; [unrolled: 1-line block ×12, first 2 shown]
	ds_write_b64 v1, v[114:115]
	ds_write2_b64 v222, v[192:193], v[194:195] offset0:20 offset1:21
	ds_write2_b64 v222, v[196:197], v[198:199] offset0:22 offset1:23
	;; [unrolled: 1-line block ×3, first 2 shown]
	v_mov_b32_e32 v192, v174
	v_mov_b32_e32 v193, v175
	;; [unrolled: 1-line block ×20, first 2 shown]
	ds_write2_b64 v222, v[192:193], v[194:195] offset0:26 offset1:27
	ds_write2_b64 v222, v[196:197], v[198:199] offset0:28 offset1:29
	;; [unrolled: 1-line block ×5, first 2 shown]
	v_mov_b32_e32 v192, v164
	v_mov_b32_e32 v193, v165
	;; [unrolled: 1-line block ×20, first 2 shown]
	ds_write2_b64 v222, v[192:193], v[194:195] offset0:36 offset1:37
	ds_write2_b64 v222, v[196:197], v[198:199] offset0:38 offset1:39
	;; [unrolled: 1-line block ×5, first 2 shown]
	ds_write_b64 v222, v[190:191] offset:368
	ds_read_b64 v[192:193], v1
	s_waitcnt lgkmcnt(0)
	v_cmp_neq_f64_e32 vcc_lo, 0, v[192:193]
	s_and_b32 exec_lo, exec_lo, vcc_lo
	s_cbranch_execz .LBB93_99
; %bb.98:
	v_div_scale_f64 v[194:195], null, v[192:193], v[192:193], 1.0
	v_rcp_f64_e32 v[196:197], v[194:195]
	v_fma_f64 v[198:199], -v[194:195], v[196:197], 1.0
	v_fma_f64 v[196:197], v[196:197], v[198:199], v[196:197]
	v_fma_f64 v[198:199], -v[194:195], v[196:197], 1.0
	v_fma_f64 v[196:197], v[196:197], v[198:199], v[196:197]
	v_div_scale_f64 v[198:199], vcc_lo, 1.0, v[192:193], 1.0
	v_mul_f64 v[200:201], v[198:199], v[196:197]
	v_fma_f64 v[194:195], -v[194:195], v[200:201], v[198:199]
	v_div_fmas_f64 v[194:195], v[194:195], v[196:197], v[200:201]
	v_div_fixup_f64 v[192:193], v[194:195], v[192:193], 1.0
	ds_write_b64 v1, v[192:193]
.LBB93_99:
	s_or_b32 exec_lo, exec_lo, s1
	s_waitcnt lgkmcnt(0)
	s_barrier
	buffer_gl0_inv
	ds_read_b64 v[20:21], v1
	s_mov_b32 s1, exec_lo
	v_cmpx_lt_u32_e32 19, v0
	s_cbranch_execz .LBB93_101
; %bb.100:
	s_waitcnt lgkmcnt(0)
	v_mul_f64 v[114:115], v[20:21], v[114:115]
	ds_read2_b64 v[192:195], v222 offset0:20 offset1:21
	s_waitcnt lgkmcnt(0)
	v_fma_f64 v[180:181], -v[114:115], v[192:193], v[180:181]
	v_fma_f64 v[154:155], -v[114:115], v[194:195], v[154:155]
	ds_read2_b64 v[192:195], v222 offset0:22 offset1:23
	s_waitcnt lgkmcnt(0)
	v_fma_f64 v[178:179], -v[114:115], v[192:193], v[178:179]
	v_fma_f64 v[152:153], -v[114:115], v[194:195], v[152:153]
	;; [unrolled: 4-line block ×12, first 2 shown]
	ds_read2_b64 v[192:195], v222 offset0:44 offset1:45
	s_waitcnt lgkmcnt(0)
	v_fma_f64 v[156:157], -v[114:115], v[192:193], v[156:157]
	ds_read_b64 v[192:193], v222 offset:368
	v_fma_f64 v[130:131], -v[114:115], v[194:195], v[130:131]
	s_waitcnt lgkmcnt(0)
	v_fma_f64 v[190:191], -v[114:115], v[192:193], v[190:191]
.LBB93_101:
	s_or_b32 exec_lo, exec_lo, s1
	s_mov_b32 s1, exec_lo
	s_waitcnt lgkmcnt(0)
	s_barrier
	buffer_gl0_inv
	v_cmpx_eq_u32_e32 20, v0
	s_cbranch_execz .LBB93_104
; %bb.102:
	ds_write_b64 v1, v[180:181]
	ds_write2_b64 v222, v[154:155], v[178:179] offset0:21 offset1:22
	ds_write2_b64 v222, v[152:153], v[176:177] offset0:23 offset1:24
	;; [unrolled: 1-line block ×13, first 2 shown]
	ds_read_b64 v[192:193], v1
	s_waitcnt lgkmcnt(0)
	v_cmp_neq_f64_e32 vcc_lo, 0, v[192:193]
	s_and_b32 exec_lo, exec_lo, vcc_lo
	s_cbranch_execz .LBB93_104
; %bb.103:
	v_div_scale_f64 v[194:195], null, v[192:193], v[192:193], 1.0
	v_rcp_f64_e32 v[196:197], v[194:195]
	v_fma_f64 v[198:199], -v[194:195], v[196:197], 1.0
	v_fma_f64 v[196:197], v[196:197], v[198:199], v[196:197]
	v_fma_f64 v[198:199], -v[194:195], v[196:197], 1.0
	v_fma_f64 v[196:197], v[196:197], v[198:199], v[196:197]
	v_div_scale_f64 v[198:199], vcc_lo, 1.0, v[192:193], 1.0
	v_mul_f64 v[200:201], v[198:199], v[196:197]
	v_fma_f64 v[194:195], -v[194:195], v[200:201], v[198:199]
	v_div_fmas_f64 v[194:195], v[194:195], v[196:197], v[200:201]
	v_div_fixup_f64 v[192:193], v[194:195], v[192:193], 1.0
	ds_write_b64 v1, v[192:193]
.LBB93_104:
	s_or_b32 exec_lo, exec_lo, s1
	s_waitcnt lgkmcnt(0)
	s_barrier
	buffer_gl0_inv
	ds_read_b64 v[22:23], v1
	s_mov_b32 s1, exec_lo
	v_cmpx_lt_u32_e32 20, v0
	s_cbranch_execz .LBB93_106
; %bb.105:
	s_waitcnt lgkmcnt(0)
	v_mul_f64 v[180:181], v[22:23], v[180:181]
	ds_read2_b64 v[192:195], v222 offset0:21 offset1:22
	s_waitcnt lgkmcnt(0)
	v_fma_f64 v[154:155], -v[180:181], v[192:193], v[154:155]
	v_fma_f64 v[178:179], -v[180:181], v[194:195], v[178:179]
	ds_read2_b64 v[192:195], v222 offset0:23 offset1:24
	s_waitcnt lgkmcnt(0)
	v_fma_f64 v[152:153], -v[180:181], v[192:193], v[152:153]
	v_fma_f64 v[176:177], -v[180:181], v[194:195], v[176:177]
	;; [unrolled: 4-line block ×13, first 2 shown]
.LBB93_106:
	s_or_b32 exec_lo, exec_lo, s1
	s_mov_b32 s1, exec_lo
	s_waitcnt lgkmcnt(0)
	s_barrier
	buffer_gl0_inv
	v_cmpx_eq_u32_e32 21, v0
	s_cbranch_execz .LBB93_109
; %bb.107:
	v_mov_b32_e32 v192, v178
	v_mov_b32_e32 v193, v179
	;; [unrolled: 1-line block ×8, first 2 shown]
	ds_write_b64 v1, v[154:155]
	ds_write2_b64 v222, v[192:193], v[194:195] offset0:22 offset1:23
	ds_write2_b64 v222, v[196:197], v[198:199] offset0:24 offset1:25
	v_mov_b32_e32 v192, v174
	v_mov_b32_e32 v193, v175
	;; [unrolled: 1-line block ×20, first 2 shown]
	ds_write2_b64 v222, v[192:193], v[194:195] offset0:26 offset1:27
	ds_write2_b64 v222, v[196:197], v[198:199] offset0:28 offset1:29
	;; [unrolled: 1-line block ×5, first 2 shown]
	v_mov_b32_e32 v192, v164
	v_mov_b32_e32 v193, v165
	;; [unrolled: 1-line block ×20, first 2 shown]
	ds_write2_b64 v222, v[192:193], v[194:195] offset0:36 offset1:37
	ds_write2_b64 v222, v[196:197], v[198:199] offset0:38 offset1:39
	;; [unrolled: 1-line block ×5, first 2 shown]
	ds_write_b64 v222, v[190:191] offset:368
	ds_read_b64 v[192:193], v1
	s_waitcnt lgkmcnt(0)
	v_cmp_neq_f64_e32 vcc_lo, 0, v[192:193]
	s_and_b32 exec_lo, exec_lo, vcc_lo
	s_cbranch_execz .LBB93_109
; %bb.108:
	v_div_scale_f64 v[194:195], null, v[192:193], v[192:193], 1.0
	v_rcp_f64_e32 v[196:197], v[194:195]
	v_fma_f64 v[198:199], -v[194:195], v[196:197], 1.0
	v_fma_f64 v[196:197], v[196:197], v[198:199], v[196:197]
	v_fma_f64 v[198:199], -v[194:195], v[196:197], 1.0
	v_fma_f64 v[196:197], v[196:197], v[198:199], v[196:197]
	v_div_scale_f64 v[198:199], vcc_lo, 1.0, v[192:193], 1.0
	v_mul_f64 v[200:201], v[198:199], v[196:197]
	v_fma_f64 v[194:195], -v[194:195], v[200:201], v[198:199]
	v_div_fmas_f64 v[194:195], v[194:195], v[196:197], v[200:201]
	v_div_fixup_f64 v[192:193], v[194:195], v[192:193], 1.0
	ds_write_b64 v1, v[192:193]
.LBB93_109:
	s_or_b32 exec_lo, exec_lo, s1
	s_waitcnt lgkmcnt(0)
	s_barrier
	buffer_gl0_inv
	ds_read_b64 v[26:27], v1
	s_mov_b32 s1, exec_lo
	v_cmpx_lt_u32_e32 21, v0
	s_cbranch_execz .LBB93_111
; %bb.110:
	s_waitcnt lgkmcnt(0)
	v_mul_f64 v[154:155], v[26:27], v[154:155]
	ds_read2_b64 v[192:195], v222 offset0:22 offset1:23
	s_waitcnt lgkmcnt(0)
	v_fma_f64 v[178:179], -v[154:155], v[192:193], v[178:179]
	v_fma_f64 v[152:153], -v[154:155], v[194:195], v[152:153]
	ds_read2_b64 v[192:195], v222 offset0:24 offset1:25
	s_waitcnt lgkmcnt(0)
	v_fma_f64 v[176:177], -v[154:155], v[192:193], v[176:177]
	v_fma_f64 v[150:151], -v[154:155], v[194:195], v[150:151]
	;; [unrolled: 4-line block ×11, first 2 shown]
	ds_read2_b64 v[192:195], v222 offset0:44 offset1:45
	s_waitcnt lgkmcnt(0)
	v_fma_f64 v[156:157], -v[154:155], v[192:193], v[156:157]
	ds_read_b64 v[192:193], v222 offset:368
	v_fma_f64 v[130:131], -v[154:155], v[194:195], v[130:131]
	s_waitcnt lgkmcnt(0)
	v_fma_f64 v[190:191], -v[154:155], v[192:193], v[190:191]
.LBB93_111:
	s_or_b32 exec_lo, exec_lo, s1
	s_mov_b32 s1, exec_lo
	s_waitcnt lgkmcnt(0)
	s_barrier
	buffer_gl0_inv
	v_cmpx_eq_u32_e32 22, v0
	s_cbranch_execz .LBB93_114
; %bb.112:
	ds_write_b64 v1, v[178:179]
	ds_write2_b64 v222, v[152:153], v[176:177] offset0:23 offset1:24
	ds_write2_b64 v222, v[150:151], v[174:175] offset0:25 offset1:26
	;; [unrolled: 1-line block ×12, first 2 shown]
	ds_read_b64 v[192:193], v1
	s_waitcnt lgkmcnt(0)
	v_cmp_neq_f64_e32 vcc_lo, 0, v[192:193]
	s_and_b32 exec_lo, exec_lo, vcc_lo
	s_cbranch_execz .LBB93_114
; %bb.113:
	v_div_scale_f64 v[194:195], null, v[192:193], v[192:193], 1.0
	v_rcp_f64_e32 v[196:197], v[194:195]
	v_fma_f64 v[198:199], -v[194:195], v[196:197], 1.0
	v_fma_f64 v[196:197], v[196:197], v[198:199], v[196:197]
	v_fma_f64 v[198:199], -v[194:195], v[196:197], 1.0
	v_fma_f64 v[196:197], v[196:197], v[198:199], v[196:197]
	v_div_scale_f64 v[198:199], vcc_lo, 1.0, v[192:193], 1.0
	v_mul_f64 v[200:201], v[198:199], v[196:197]
	v_fma_f64 v[194:195], -v[194:195], v[200:201], v[198:199]
	v_div_fmas_f64 v[194:195], v[194:195], v[196:197], v[200:201]
	v_div_fixup_f64 v[192:193], v[194:195], v[192:193], 1.0
	ds_write_b64 v1, v[192:193]
.LBB93_114:
	s_or_b32 exec_lo, exec_lo, s1
	s_waitcnt lgkmcnt(0)
	s_barrier
	buffer_gl0_inv
	ds_read_b64 v[236:237], v1
	s_mov_b32 s1, exec_lo
	v_cmpx_lt_u32_e32 22, v0
	s_cbranch_execz .LBB93_116
; %bb.115:
	s_waitcnt lgkmcnt(0)
	v_mul_f64 v[178:179], v[236:237], v[178:179]
	ds_read2_b64 v[192:195], v222 offset0:23 offset1:24
	s_waitcnt lgkmcnt(0)
	v_fma_f64 v[152:153], -v[178:179], v[192:193], v[152:153]
	v_fma_f64 v[176:177], -v[178:179], v[194:195], v[176:177]
	ds_read2_b64 v[192:195], v222 offset0:25 offset1:26
	s_waitcnt lgkmcnt(0)
	v_fma_f64 v[150:151], -v[178:179], v[192:193], v[150:151]
	v_fma_f64 v[174:175], -v[178:179], v[194:195], v[174:175]
	;; [unrolled: 4-line block ×12, first 2 shown]
.LBB93_116:
	s_or_b32 exec_lo, exec_lo, s1
	s_mov_b32 s1, exec_lo
	s_waitcnt lgkmcnt(0)
	s_barrier
	buffer_gl0_inv
	v_cmpx_eq_u32_e32 23, v0
	s_cbranch_execz .LBB93_119
; %bb.117:
	v_mov_b32_e32 v192, v176
	v_mov_b32_e32 v193, v177
	;; [unrolled: 1-line block ×4, first 2 shown]
	ds_write_b64 v1, v[152:153]
	ds_write2_b64 v222, v[192:193], v[194:195] offset0:24 offset1:25
	v_mov_b32_e32 v192, v174
	v_mov_b32_e32 v193, v175
	v_mov_b32_e32 v194, v148
	v_mov_b32_e32 v195, v149
	ds_write2_b64 v222, v[192:193], v[194:195] offset0:26 offset1:27
	v_mov_b32_e32 v192, v172
	v_mov_b32_e32 v193, v173
	v_mov_b32_e32 v194, v146
	v_mov_b32_e32 v195, v147
	;; [unrolled: 5-line block ×10, first 2 shown]
	ds_write2_b64 v222, v[192:193], v[194:195] offset0:44 offset1:45
	ds_write_b64 v222, v[190:191] offset:368
	ds_read_b64 v[192:193], v1
	s_waitcnt lgkmcnt(0)
	v_cmp_neq_f64_e32 vcc_lo, 0, v[192:193]
	s_and_b32 exec_lo, exec_lo, vcc_lo
	s_cbranch_execz .LBB93_119
; %bb.118:
	v_div_scale_f64 v[194:195], null, v[192:193], v[192:193], 1.0
	v_rcp_f64_e32 v[196:197], v[194:195]
	v_fma_f64 v[198:199], -v[194:195], v[196:197], 1.0
	v_fma_f64 v[196:197], v[196:197], v[198:199], v[196:197]
	v_fma_f64 v[198:199], -v[194:195], v[196:197], 1.0
	v_fma_f64 v[196:197], v[196:197], v[198:199], v[196:197]
	v_div_scale_f64 v[198:199], vcc_lo, 1.0, v[192:193], 1.0
	v_mul_f64 v[200:201], v[198:199], v[196:197]
	v_fma_f64 v[194:195], -v[194:195], v[200:201], v[198:199]
	v_div_fmas_f64 v[194:195], v[194:195], v[196:197], v[200:201]
	v_div_fixup_f64 v[192:193], v[194:195], v[192:193], 1.0
	ds_write_b64 v1, v[192:193]
.LBB93_119:
	s_or_b32 exec_lo, exec_lo, s1
	s_waitcnt lgkmcnt(0)
	s_barrier
	buffer_gl0_inv
	ds_read_b64 v[238:239], v1
	s_mov_b32 s1, exec_lo
	v_cmpx_lt_u32_e32 23, v0
	s_cbranch_execz .LBB93_121
; %bb.120:
	s_waitcnt lgkmcnt(0)
	v_mul_f64 v[152:153], v[238:239], v[152:153]
	ds_read2_b64 v[192:195], v222 offset0:24 offset1:25
	s_waitcnt lgkmcnt(0)
	v_fma_f64 v[176:177], -v[152:153], v[192:193], v[176:177]
	v_fma_f64 v[150:151], -v[152:153], v[194:195], v[150:151]
	ds_read2_b64 v[192:195], v222 offset0:26 offset1:27
	s_waitcnt lgkmcnt(0)
	v_fma_f64 v[174:175], -v[152:153], v[192:193], v[174:175]
	v_fma_f64 v[148:149], -v[152:153], v[194:195], v[148:149]
	ds_read2_b64 v[192:195], v222 offset0:28 offset1:29
	s_waitcnt lgkmcnt(0)
	v_fma_f64 v[172:173], -v[152:153], v[192:193], v[172:173]
	v_fma_f64 v[146:147], -v[152:153], v[194:195], v[146:147]
	ds_read2_b64 v[192:195], v222 offset0:30 offset1:31
	s_waitcnt lgkmcnt(0)
	v_fma_f64 v[170:171], -v[152:153], v[192:193], v[170:171]
	v_fma_f64 v[144:145], -v[152:153], v[194:195], v[144:145]
	ds_read2_b64 v[192:195], v222 offset0:32 offset1:33
	s_waitcnt lgkmcnt(0)
	v_fma_f64 v[168:169], -v[152:153], v[192:193], v[168:169]
	v_fma_f64 v[142:143], -v[152:153], v[194:195], v[142:143]
	ds_read2_b64 v[192:195], v222 offset0:34 offset1:35
	s_waitcnt lgkmcnt(0)
	v_fma_f64 v[166:167], -v[152:153], v[192:193], v[166:167]
	v_fma_f64 v[140:141], -v[152:153], v[194:195], v[140:141]
	ds_read2_b64 v[192:195], v222 offset0:36 offset1:37
	s_waitcnt lgkmcnt(0)
	v_fma_f64 v[164:165], -v[152:153], v[192:193], v[164:165]
	v_fma_f64 v[138:139], -v[152:153], v[194:195], v[138:139]
	ds_read2_b64 v[192:195], v222 offset0:38 offset1:39
	s_waitcnt lgkmcnt(0)
	v_fma_f64 v[162:163], -v[152:153], v[192:193], v[162:163]
	v_fma_f64 v[136:137], -v[152:153], v[194:195], v[136:137]
	ds_read2_b64 v[192:195], v222 offset0:40 offset1:41
	s_waitcnt lgkmcnt(0)
	v_fma_f64 v[160:161], -v[152:153], v[192:193], v[160:161]
	v_fma_f64 v[134:135], -v[152:153], v[194:195], v[134:135]
	ds_read2_b64 v[192:195], v222 offset0:42 offset1:43
	s_waitcnt lgkmcnt(0)
	v_fma_f64 v[158:159], -v[152:153], v[192:193], v[158:159]
	v_fma_f64 v[132:133], -v[152:153], v[194:195], v[132:133]
	ds_read2_b64 v[192:195], v222 offset0:44 offset1:45
	s_waitcnt lgkmcnt(0)
	v_fma_f64 v[156:157], -v[152:153], v[192:193], v[156:157]
	ds_read_b64 v[192:193], v222 offset:368
	v_fma_f64 v[130:131], -v[152:153], v[194:195], v[130:131]
	s_waitcnt lgkmcnt(0)
	v_fma_f64 v[190:191], -v[152:153], v[192:193], v[190:191]
.LBB93_121:
	s_or_b32 exec_lo, exec_lo, s1
	s_mov_b32 s1, exec_lo
	s_waitcnt lgkmcnt(0)
	s_barrier
	buffer_gl0_inv
	v_cmpx_eq_u32_e32 24, v0
	s_cbranch_execz .LBB93_124
; %bb.122:
	ds_write_b64 v1, v[176:177]
	ds_write2_b64 v222, v[150:151], v[174:175] offset0:25 offset1:26
	ds_write2_b64 v222, v[148:149], v[172:173] offset0:27 offset1:28
	;; [unrolled: 1-line block ×11, first 2 shown]
	ds_read_b64 v[192:193], v1
	s_waitcnt lgkmcnt(0)
	v_cmp_neq_f64_e32 vcc_lo, 0, v[192:193]
	s_and_b32 exec_lo, exec_lo, vcc_lo
	s_cbranch_execz .LBB93_124
; %bb.123:
	v_div_scale_f64 v[194:195], null, v[192:193], v[192:193], 1.0
	v_rcp_f64_e32 v[196:197], v[194:195]
	v_fma_f64 v[198:199], -v[194:195], v[196:197], 1.0
	v_fma_f64 v[196:197], v[196:197], v[198:199], v[196:197]
	v_fma_f64 v[198:199], -v[194:195], v[196:197], 1.0
	v_fma_f64 v[196:197], v[196:197], v[198:199], v[196:197]
	v_div_scale_f64 v[198:199], vcc_lo, 1.0, v[192:193], 1.0
	v_mul_f64 v[200:201], v[198:199], v[196:197]
	v_fma_f64 v[194:195], -v[194:195], v[200:201], v[198:199]
	v_div_fmas_f64 v[194:195], v[194:195], v[196:197], v[200:201]
	v_div_fixup_f64 v[192:193], v[194:195], v[192:193], 1.0
	ds_write_b64 v1, v[192:193]
.LBB93_124:
	s_or_b32 exec_lo, exec_lo, s1
	s_waitcnt lgkmcnt(0)
	s_barrier
	buffer_gl0_inv
	ds_read_b64 v[240:241], v1
	s_mov_b32 s1, exec_lo
	v_cmpx_lt_u32_e32 24, v0
	s_cbranch_execz .LBB93_126
; %bb.125:
	s_waitcnt lgkmcnt(0)
	v_mul_f64 v[176:177], v[240:241], v[176:177]
	ds_read2_b64 v[192:195], v222 offset0:25 offset1:26
	s_waitcnt lgkmcnt(0)
	v_fma_f64 v[150:151], -v[176:177], v[192:193], v[150:151]
	v_fma_f64 v[174:175], -v[176:177], v[194:195], v[174:175]
	ds_read2_b64 v[192:195], v222 offset0:27 offset1:28
	s_waitcnt lgkmcnt(0)
	v_fma_f64 v[148:149], -v[176:177], v[192:193], v[148:149]
	v_fma_f64 v[172:173], -v[176:177], v[194:195], v[172:173]
	;; [unrolled: 4-line block ×11, first 2 shown]
.LBB93_126:
	s_or_b32 exec_lo, exec_lo, s1
	s_mov_b32 s1, exec_lo
	s_waitcnt lgkmcnt(0)
	s_barrier
	buffer_gl0_inv
	v_cmpx_eq_u32_e32 25, v0
	s_cbranch_execz .LBB93_129
; %bb.127:
	v_mov_b32_e32 v192, v174
	v_mov_b32_e32 v193, v175
	;; [unrolled: 1-line block ×4, first 2 shown]
	ds_write_b64 v1, v[150:151]
	ds_write2_b64 v222, v[192:193], v[194:195] offset0:26 offset1:27
	v_mov_b32_e32 v192, v172
	v_mov_b32_e32 v193, v173
	v_mov_b32_e32 v194, v146
	v_mov_b32_e32 v195, v147
	ds_write2_b64 v222, v[192:193], v[194:195] offset0:28 offset1:29
	v_mov_b32_e32 v192, v170
	v_mov_b32_e32 v193, v171
	v_mov_b32_e32 v194, v144
	v_mov_b32_e32 v195, v145
	;; [unrolled: 5-line block ×9, first 2 shown]
	ds_write2_b64 v222, v[192:193], v[194:195] offset0:44 offset1:45
	ds_write_b64 v222, v[190:191] offset:368
	ds_read_b64 v[192:193], v1
	s_waitcnt lgkmcnt(0)
	v_cmp_neq_f64_e32 vcc_lo, 0, v[192:193]
	s_and_b32 exec_lo, exec_lo, vcc_lo
	s_cbranch_execz .LBB93_129
; %bb.128:
	v_div_scale_f64 v[194:195], null, v[192:193], v[192:193], 1.0
	v_rcp_f64_e32 v[196:197], v[194:195]
	v_fma_f64 v[198:199], -v[194:195], v[196:197], 1.0
	v_fma_f64 v[196:197], v[196:197], v[198:199], v[196:197]
	v_fma_f64 v[198:199], -v[194:195], v[196:197], 1.0
	v_fma_f64 v[196:197], v[196:197], v[198:199], v[196:197]
	v_div_scale_f64 v[198:199], vcc_lo, 1.0, v[192:193], 1.0
	v_mul_f64 v[200:201], v[198:199], v[196:197]
	v_fma_f64 v[194:195], -v[194:195], v[200:201], v[198:199]
	v_div_fmas_f64 v[194:195], v[194:195], v[196:197], v[200:201]
	v_div_fixup_f64 v[192:193], v[194:195], v[192:193], 1.0
	ds_write_b64 v1, v[192:193]
.LBB93_129:
	s_or_b32 exec_lo, exec_lo, s1
	s_waitcnt lgkmcnt(0)
	s_barrier
	buffer_gl0_inv
	ds_read_b64 v[242:243], v1
	s_mov_b32 s1, exec_lo
	v_cmpx_lt_u32_e32 25, v0
	s_cbranch_execz .LBB93_131
; %bb.130:
	s_waitcnt lgkmcnt(0)
	v_mul_f64 v[150:151], v[242:243], v[150:151]
	ds_read2_b64 v[192:195], v222 offset0:26 offset1:27
	s_waitcnt lgkmcnt(0)
	v_fma_f64 v[174:175], -v[150:151], v[192:193], v[174:175]
	v_fma_f64 v[148:149], -v[150:151], v[194:195], v[148:149]
	ds_read2_b64 v[192:195], v222 offset0:28 offset1:29
	s_waitcnt lgkmcnt(0)
	v_fma_f64 v[172:173], -v[150:151], v[192:193], v[172:173]
	v_fma_f64 v[146:147], -v[150:151], v[194:195], v[146:147]
	;; [unrolled: 4-line block ×9, first 2 shown]
	ds_read2_b64 v[192:195], v222 offset0:44 offset1:45
	s_waitcnt lgkmcnt(0)
	v_fma_f64 v[156:157], -v[150:151], v[192:193], v[156:157]
	ds_read_b64 v[192:193], v222 offset:368
	v_fma_f64 v[130:131], -v[150:151], v[194:195], v[130:131]
	s_waitcnt lgkmcnt(0)
	v_fma_f64 v[190:191], -v[150:151], v[192:193], v[190:191]
.LBB93_131:
	s_or_b32 exec_lo, exec_lo, s1
	s_mov_b32 s1, exec_lo
	s_waitcnt lgkmcnt(0)
	s_barrier
	buffer_gl0_inv
	v_cmpx_eq_u32_e32 26, v0
	s_cbranch_execz .LBB93_134
; %bb.132:
	ds_write_b64 v1, v[174:175]
	ds_write2_b64 v222, v[148:149], v[172:173] offset0:27 offset1:28
	ds_write2_b64 v222, v[146:147], v[170:171] offset0:29 offset1:30
	ds_write2_b64 v222, v[144:145], v[168:169] offset0:31 offset1:32
	ds_write2_b64 v222, v[142:143], v[166:167] offset0:33 offset1:34
	ds_write2_b64 v222, v[140:141], v[164:165] offset0:35 offset1:36
	ds_write2_b64 v222, v[138:139], v[162:163] offset0:37 offset1:38
	ds_write2_b64 v222, v[136:137], v[160:161] offset0:39 offset1:40
	ds_write2_b64 v222, v[134:135], v[158:159] offset0:41 offset1:42
	ds_write2_b64 v222, v[132:133], v[156:157] offset0:43 offset1:44
	ds_write2_b64 v222, v[130:131], v[190:191] offset0:45 offset1:46
	ds_read_b64 v[192:193], v1
	s_waitcnt lgkmcnt(0)
	v_cmp_neq_f64_e32 vcc_lo, 0, v[192:193]
	s_and_b32 exec_lo, exec_lo, vcc_lo
	s_cbranch_execz .LBB93_134
; %bb.133:
	v_div_scale_f64 v[194:195], null, v[192:193], v[192:193], 1.0
	v_rcp_f64_e32 v[196:197], v[194:195]
	v_fma_f64 v[198:199], -v[194:195], v[196:197], 1.0
	v_fma_f64 v[196:197], v[196:197], v[198:199], v[196:197]
	v_fma_f64 v[198:199], -v[194:195], v[196:197], 1.0
	v_fma_f64 v[196:197], v[196:197], v[198:199], v[196:197]
	v_div_scale_f64 v[198:199], vcc_lo, 1.0, v[192:193], 1.0
	v_mul_f64 v[200:201], v[198:199], v[196:197]
	v_fma_f64 v[194:195], -v[194:195], v[200:201], v[198:199]
	v_div_fmas_f64 v[194:195], v[194:195], v[196:197], v[200:201]
	v_div_fixup_f64 v[192:193], v[194:195], v[192:193], 1.0
	ds_write_b64 v1, v[192:193]
.LBB93_134:
	s_or_b32 exec_lo, exec_lo, s1
	s_waitcnt lgkmcnt(0)
	s_barrier
	buffer_gl0_inv
	ds_read_b64 v[244:245], v1
	s_mov_b32 s1, exec_lo
	v_cmpx_lt_u32_e32 26, v0
	s_cbranch_execz .LBB93_136
; %bb.135:
	s_waitcnt lgkmcnt(0)
	v_mul_f64 v[174:175], v[244:245], v[174:175]
	ds_read2_b64 v[192:195], v222 offset0:27 offset1:28
	s_waitcnt lgkmcnt(0)
	v_fma_f64 v[148:149], -v[174:175], v[192:193], v[148:149]
	v_fma_f64 v[172:173], -v[174:175], v[194:195], v[172:173]
	ds_read2_b64 v[192:195], v222 offset0:29 offset1:30
	s_waitcnt lgkmcnt(0)
	v_fma_f64 v[146:147], -v[174:175], v[192:193], v[146:147]
	v_fma_f64 v[170:171], -v[174:175], v[194:195], v[170:171]
	;; [unrolled: 4-line block ×10, first 2 shown]
.LBB93_136:
	s_or_b32 exec_lo, exec_lo, s1
	s_mov_b32 s1, exec_lo
	s_waitcnt lgkmcnt(0)
	s_barrier
	buffer_gl0_inv
	v_cmpx_eq_u32_e32 27, v0
	s_cbranch_execz .LBB93_139
; %bb.137:
	v_mov_b32_e32 v192, v172
	v_mov_b32_e32 v193, v173
	;; [unrolled: 1-line block ×4, first 2 shown]
	ds_write_b64 v1, v[148:149]
	ds_write2_b64 v222, v[192:193], v[194:195] offset0:28 offset1:29
	v_mov_b32_e32 v192, v170
	v_mov_b32_e32 v193, v171
	v_mov_b32_e32 v194, v144
	v_mov_b32_e32 v195, v145
	ds_write2_b64 v222, v[192:193], v[194:195] offset0:30 offset1:31
	v_mov_b32_e32 v192, v168
	v_mov_b32_e32 v193, v169
	v_mov_b32_e32 v194, v142
	v_mov_b32_e32 v195, v143
	;; [unrolled: 5-line block ×8, first 2 shown]
	ds_write2_b64 v222, v[192:193], v[194:195] offset0:44 offset1:45
	ds_write_b64 v222, v[190:191] offset:368
	ds_read_b64 v[192:193], v1
	s_waitcnt lgkmcnt(0)
	v_cmp_neq_f64_e32 vcc_lo, 0, v[192:193]
	s_and_b32 exec_lo, exec_lo, vcc_lo
	s_cbranch_execz .LBB93_139
; %bb.138:
	v_div_scale_f64 v[194:195], null, v[192:193], v[192:193], 1.0
	v_rcp_f64_e32 v[196:197], v[194:195]
	v_fma_f64 v[198:199], -v[194:195], v[196:197], 1.0
	v_fma_f64 v[196:197], v[196:197], v[198:199], v[196:197]
	v_fma_f64 v[198:199], -v[194:195], v[196:197], 1.0
	v_fma_f64 v[196:197], v[196:197], v[198:199], v[196:197]
	v_div_scale_f64 v[198:199], vcc_lo, 1.0, v[192:193], 1.0
	v_mul_f64 v[200:201], v[198:199], v[196:197]
	v_fma_f64 v[194:195], -v[194:195], v[200:201], v[198:199]
	v_div_fmas_f64 v[194:195], v[194:195], v[196:197], v[200:201]
	v_div_fixup_f64 v[192:193], v[194:195], v[192:193], 1.0
	ds_write_b64 v1, v[192:193]
.LBB93_139:
	s_or_b32 exec_lo, exec_lo, s1
	s_waitcnt lgkmcnt(0)
	s_barrier
	buffer_gl0_inv
	ds_read_b64 v[246:247], v1
	s_mov_b32 s1, exec_lo
	v_cmpx_lt_u32_e32 27, v0
	s_cbranch_execz .LBB93_141
; %bb.140:
	s_waitcnt lgkmcnt(0)
	v_mul_f64 v[148:149], v[246:247], v[148:149]
	ds_read2_b64 v[192:195], v222 offset0:28 offset1:29
	s_waitcnt lgkmcnt(0)
	v_fma_f64 v[172:173], -v[148:149], v[192:193], v[172:173]
	v_fma_f64 v[146:147], -v[148:149], v[194:195], v[146:147]
	ds_read2_b64 v[192:195], v222 offset0:30 offset1:31
	s_waitcnt lgkmcnt(0)
	v_fma_f64 v[170:171], -v[148:149], v[192:193], v[170:171]
	v_fma_f64 v[144:145], -v[148:149], v[194:195], v[144:145]
	;; [unrolled: 4-line block ×8, first 2 shown]
	ds_read2_b64 v[192:195], v222 offset0:44 offset1:45
	s_waitcnt lgkmcnt(0)
	v_fma_f64 v[156:157], -v[148:149], v[192:193], v[156:157]
	ds_read_b64 v[192:193], v222 offset:368
	v_fma_f64 v[130:131], -v[148:149], v[194:195], v[130:131]
	s_waitcnt lgkmcnt(0)
	v_fma_f64 v[190:191], -v[148:149], v[192:193], v[190:191]
.LBB93_141:
	s_or_b32 exec_lo, exec_lo, s1
	s_mov_b32 s1, exec_lo
	s_waitcnt lgkmcnt(0)
	s_barrier
	buffer_gl0_inv
	v_cmpx_eq_u32_e32 28, v0
	s_cbranch_execz .LBB93_144
; %bb.142:
	ds_write_b64 v1, v[172:173]
	ds_write2_b64 v222, v[146:147], v[170:171] offset0:29 offset1:30
	ds_write2_b64 v222, v[144:145], v[168:169] offset0:31 offset1:32
	;; [unrolled: 1-line block ×9, first 2 shown]
	ds_read_b64 v[192:193], v1
	s_waitcnt lgkmcnt(0)
	v_cmp_neq_f64_e32 vcc_lo, 0, v[192:193]
	s_and_b32 exec_lo, exec_lo, vcc_lo
	s_cbranch_execz .LBB93_144
; %bb.143:
	v_div_scale_f64 v[194:195], null, v[192:193], v[192:193], 1.0
	v_rcp_f64_e32 v[196:197], v[194:195]
	v_fma_f64 v[198:199], -v[194:195], v[196:197], 1.0
	v_fma_f64 v[196:197], v[196:197], v[198:199], v[196:197]
	v_fma_f64 v[198:199], -v[194:195], v[196:197], 1.0
	v_fma_f64 v[196:197], v[196:197], v[198:199], v[196:197]
	v_div_scale_f64 v[198:199], vcc_lo, 1.0, v[192:193], 1.0
	v_mul_f64 v[200:201], v[198:199], v[196:197]
	v_fma_f64 v[194:195], -v[194:195], v[200:201], v[198:199]
	v_div_fmas_f64 v[194:195], v[194:195], v[196:197], v[200:201]
	v_div_fixup_f64 v[192:193], v[194:195], v[192:193], 1.0
	ds_write_b64 v1, v[192:193]
.LBB93_144:
	s_or_b32 exec_lo, exec_lo, s1
	s_waitcnt lgkmcnt(0)
	s_barrier
	buffer_gl0_inv
	ds_read_b64 v[248:249], v1
	s_mov_b32 s1, exec_lo
	v_cmpx_lt_u32_e32 28, v0
	s_cbranch_execz .LBB93_146
; %bb.145:
	s_waitcnt lgkmcnt(0)
	v_mul_f64 v[172:173], v[248:249], v[172:173]
	ds_read2_b64 v[192:195], v222 offset0:29 offset1:30
	s_waitcnt lgkmcnt(0)
	v_fma_f64 v[146:147], -v[172:173], v[192:193], v[146:147]
	v_fma_f64 v[170:171], -v[172:173], v[194:195], v[170:171]
	ds_read2_b64 v[192:195], v222 offset0:31 offset1:32
	s_waitcnt lgkmcnt(0)
	v_fma_f64 v[144:145], -v[172:173], v[192:193], v[144:145]
	v_fma_f64 v[168:169], -v[172:173], v[194:195], v[168:169]
	;; [unrolled: 4-line block ×9, first 2 shown]
.LBB93_146:
	s_or_b32 exec_lo, exec_lo, s1
	s_mov_b32 s1, exec_lo
	s_waitcnt lgkmcnt(0)
	s_barrier
	buffer_gl0_inv
	v_cmpx_eq_u32_e32 29, v0
	s_cbranch_execz .LBB93_149
; %bb.147:
	v_mov_b32_e32 v192, v170
	v_mov_b32_e32 v193, v171
	;; [unrolled: 1-line block ×4, first 2 shown]
	ds_write_b64 v1, v[146:147]
	ds_write2_b64 v222, v[192:193], v[194:195] offset0:30 offset1:31
	v_mov_b32_e32 v192, v168
	v_mov_b32_e32 v193, v169
	v_mov_b32_e32 v194, v142
	v_mov_b32_e32 v195, v143
	ds_write2_b64 v222, v[192:193], v[194:195] offset0:32 offset1:33
	v_mov_b32_e32 v192, v166
	v_mov_b32_e32 v193, v167
	v_mov_b32_e32 v194, v140
	v_mov_b32_e32 v195, v141
	;; [unrolled: 5-line block ×7, first 2 shown]
	ds_write2_b64 v222, v[192:193], v[194:195] offset0:44 offset1:45
	ds_write_b64 v222, v[190:191] offset:368
	ds_read_b64 v[192:193], v1
	s_waitcnt lgkmcnt(0)
	v_cmp_neq_f64_e32 vcc_lo, 0, v[192:193]
	s_and_b32 exec_lo, exec_lo, vcc_lo
	s_cbranch_execz .LBB93_149
; %bb.148:
	v_div_scale_f64 v[194:195], null, v[192:193], v[192:193], 1.0
	v_rcp_f64_e32 v[196:197], v[194:195]
	v_fma_f64 v[198:199], -v[194:195], v[196:197], 1.0
	v_fma_f64 v[196:197], v[196:197], v[198:199], v[196:197]
	v_fma_f64 v[198:199], -v[194:195], v[196:197], 1.0
	v_fma_f64 v[196:197], v[196:197], v[198:199], v[196:197]
	v_div_scale_f64 v[198:199], vcc_lo, 1.0, v[192:193], 1.0
	v_mul_f64 v[200:201], v[198:199], v[196:197]
	v_fma_f64 v[194:195], -v[194:195], v[200:201], v[198:199]
	v_div_fmas_f64 v[194:195], v[194:195], v[196:197], v[200:201]
	v_div_fixup_f64 v[192:193], v[194:195], v[192:193], 1.0
	ds_write_b64 v1, v[192:193]
.LBB93_149:
	s_or_b32 exec_lo, exec_lo, s1
	s_waitcnt lgkmcnt(0)
	s_barrier
	buffer_gl0_inv
	ds_read_b64 v[250:251], v1
	s_mov_b32 s1, exec_lo
	v_cmpx_lt_u32_e32 29, v0
	s_cbranch_execz .LBB93_151
; %bb.150:
	s_waitcnt lgkmcnt(0)
	v_mul_f64 v[146:147], v[250:251], v[146:147]
	ds_read2_b64 v[192:195], v222 offset0:30 offset1:31
	s_waitcnt lgkmcnt(0)
	v_fma_f64 v[170:171], -v[146:147], v[192:193], v[170:171]
	v_fma_f64 v[144:145], -v[146:147], v[194:195], v[144:145]
	ds_read2_b64 v[192:195], v222 offset0:32 offset1:33
	s_waitcnt lgkmcnt(0)
	v_fma_f64 v[168:169], -v[146:147], v[192:193], v[168:169]
	v_fma_f64 v[142:143], -v[146:147], v[194:195], v[142:143]
	;; [unrolled: 4-line block ×7, first 2 shown]
	ds_read2_b64 v[192:195], v222 offset0:44 offset1:45
	s_waitcnt lgkmcnt(0)
	v_fma_f64 v[156:157], -v[146:147], v[192:193], v[156:157]
	ds_read_b64 v[192:193], v222 offset:368
	v_fma_f64 v[130:131], -v[146:147], v[194:195], v[130:131]
	s_waitcnt lgkmcnt(0)
	v_fma_f64 v[190:191], -v[146:147], v[192:193], v[190:191]
.LBB93_151:
	s_or_b32 exec_lo, exec_lo, s1
	s_mov_b32 s1, exec_lo
	s_waitcnt lgkmcnt(0)
	s_barrier
	buffer_gl0_inv
	v_cmpx_eq_u32_e32 30, v0
	s_cbranch_execz .LBB93_154
; %bb.152:
	ds_write_b64 v1, v[170:171]
	ds_write2_b64 v222, v[144:145], v[168:169] offset0:31 offset1:32
	ds_write2_b64 v222, v[142:143], v[166:167] offset0:33 offset1:34
	;; [unrolled: 1-line block ×8, first 2 shown]
	ds_read_b64 v[192:193], v1
	s_waitcnt lgkmcnt(0)
	v_cmp_neq_f64_e32 vcc_lo, 0, v[192:193]
	s_and_b32 exec_lo, exec_lo, vcc_lo
	s_cbranch_execz .LBB93_154
; %bb.153:
	v_div_scale_f64 v[194:195], null, v[192:193], v[192:193], 1.0
	v_rcp_f64_e32 v[196:197], v[194:195]
	v_fma_f64 v[198:199], -v[194:195], v[196:197], 1.0
	v_fma_f64 v[196:197], v[196:197], v[198:199], v[196:197]
	v_fma_f64 v[198:199], -v[194:195], v[196:197], 1.0
	v_fma_f64 v[196:197], v[196:197], v[198:199], v[196:197]
	v_div_scale_f64 v[198:199], vcc_lo, 1.0, v[192:193], 1.0
	v_mul_f64 v[200:201], v[198:199], v[196:197]
	v_fma_f64 v[194:195], -v[194:195], v[200:201], v[198:199]
	v_div_fmas_f64 v[194:195], v[194:195], v[196:197], v[200:201]
	v_div_fixup_f64 v[192:193], v[194:195], v[192:193], 1.0
	ds_write_b64 v1, v[192:193]
.LBB93_154:
	s_or_b32 exec_lo, exec_lo, s1
	s_waitcnt lgkmcnt(0)
	s_barrier
	buffer_gl0_inv
	ds_read_b64 v[252:253], v1
	s_mov_b32 s1, exec_lo
	v_cmpx_lt_u32_e32 30, v0
	s_cbranch_execz .LBB93_156
; %bb.155:
	s_waitcnt lgkmcnt(0)
	v_mul_f64 v[170:171], v[252:253], v[170:171]
	ds_read2_b64 v[192:195], v222 offset0:31 offset1:32
	s_waitcnt lgkmcnt(0)
	v_fma_f64 v[144:145], -v[170:171], v[192:193], v[144:145]
	v_fma_f64 v[168:169], -v[170:171], v[194:195], v[168:169]
	ds_read2_b64 v[192:195], v222 offset0:33 offset1:34
	s_waitcnt lgkmcnt(0)
	v_fma_f64 v[142:143], -v[170:171], v[192:193], v[142:143]
	v_fma_f64 v[166:167], -v[170:171], v[194:195], v[166:167]
	;; [unrolled: 4-line block ×8, first 2 shown]
.LBB93_156:
	s_or_b32 exec_lo, exec_lo, s1
	s_mov_b32 s1, exec_lo
	s_waitcnt lgkmcnt(0)
	s_barrier
	buffer_gl0_inv
	v_cmpx_eq_u32_e32 31, v0
	s_cbranch_execz .LBB93_159
; %bb.157:
	v_mov_b32_e32 v192, v168
	v_mov_b32_e32 v193, v169
	;; [unrolled: 1-line block ×4, first 2 shown]
	ds_write_b64 v1, v[144:145]
	ds_write2_b64 v222, v[192:193], v[194:195] offset0:32 offset1:33
	v_mov_b32_e32 v192, v166
	v_mov_b32_e32 v193, v167
	v_mov_b32_e32 v194, v140
	v_mov_b32_e32 v195, v141
	ds_write2_b64 v222, v[192:193], v[194:195] offset0:34 offset1:35
	v_mov_b32_e32 v192, v164
	v_mov_b32_e32 v193, v165
	v_mov_b32_e32 v194, v138
	v_mov_b32_e32 v195, v139
	ds_write2_b64 v222, v[192:193], v[194:195] offset0:36 offset1:37
	v_mov_b32_e32 v192, v162
	v_mov_b32_e32 v193, v163
	v_mov_b32_e32 v194, v136
	v_mov_b32_e32 v195, v137
	ds_write2_b64 v222, v[192:193], v[194:195] offset0:38 offset1:39
	v_mov_b32_e32 v192, v160
	v_mov_b32_e32 v193, v161
	v_mov_b32_e32 v194, v134
	v_mov_b32_e32 v195, v135
	ds_write2_b64 v222, v[192:193], v[194:195] offset0:40 offset1:41
	v_mov_b32_e32 v192, v158
	v_mov_b32_e32 v193, v159
	v_mov_b32_e32 v194, v132
	v_mov_b32_e32 v195, v133
	ds_write2_b64 v222, v[192:193], v[194:195] offset0:42 offset1:43
	v_mov_b32_e32 v192, v156
	v_mov_b32_e32 v193, v157
	v_mov_b32_e32 v194, v130
	v_mov_b32_e32 v195, v131
	ds_write2_b64 v222, v[192:193], v[194:195] offset0:44 offset1:45
	ds_write_b64 v222, v[190:191] offset:368
	ds_read_b64 v[192:193], v1
	s_waitcnt lgkmcnt(0)
	v_cmp_neq_f64_e32 vcc_lo, 0, v[192:193]
	s_and_b32 exec_lo, exec_lo, vcc_lo
	s_cbranch_execz .LBB93_159
; %bb.158:
	v_div_scale_f64 v[194:195], null, v[192:193], v[192:193], 1.0
	v_rcp_f64_e32 v[196:197], v[194:195]
	v_fma_f64 v[198:199], -v[194:195], v[196:197], 1.0
	v_fma_f64 v[196:197], v[196:197], v[198:199], v[196:197]
	v_fma_f64 v[198:199], -v[194:195], v[196:197], 1.0
	v_fma_f64 v[196:197], v[196:197], v[198:199], v[196:197]
	v_div_scale_f64 v[198:199], vcc_lo, 1.0, v[192:193], 1.0
	v_mul_f64 v[200:201], v[198:199], v[196:197]
	v_fma_f64 v[194:195], -v[194:195], v[200:201], v[198:199]
	v_div_fmas_f64 v[194:195], v[194:195], v[196:197], v[200:201]
	v_div_fixup_f64 v[192:193], v[194:195], v[192:193], 1.0
	ds_write_b64 v1, v[192:193]
.LBB93_159:
	s_or_b32 exec_lo, exec_lo, s1
	s_waitcnt lgkmcnt(0)
	s_barrier
	buffer_gl0_inv
	ds_read_b64 v[254:255], v1
	s_mov_b32 s1, exec_lo
	v_cmpx_lt_u32_e32 31, v0
	s_cbranch_execz .LBB93_161
; %bb.160:
	s_waitcnt lgkmcnt(0)
	v_mul_f64 v[144:145], v[254:255], v[144:145]
	ds_read2_b64 v[192:195], v222 offset0:32 offset1:33
	s_waitcnt lgkmcnt(0)
	v_fma_f64 v[168:169], -v[144:145], v[192:193], v[168:169]
	v_fma_f64 v[142:143], -v[144:145], v[194:195], v[142:143]
	ds_read2_b64 v[192:195], v222 offset0:34 offset1:35
	s_waitcnt lgkmcnt(0)
	v_fma_f64 v[166:167], -v[144:145], v[192:193], v[166:167]
	v_fma_f64 v[140:141], -v[144:145], v[194:195], v[140:141]
	;; [unrolled: 4-line block ×6, first 2 shown]
	ds_read2_b64 v[192:195], v222 offset0:44 offset1:45
	s_waitcnt lgkmcnt(0)
	v_fma_f64 v[156:157], -v[144:145], v[192:193], v[156:157]
	ds_read_b64 v[192:193], v222 offset:368
	v_fma_f64 v[130:131], -v[144:145], v[194:195], v[130:131]
	s_waitcnt lgkmcnt(0)
	v_fma_f64 v[190:191], -v[144:145], v[192:193], v[190:191]
.LBB93_161:
	s_or_b32 exec_lo, exec_lo, s1
	s_mov_b32 s1, exec_lo
	s_waitcnt lgkmcnt(0)
	s_barrier
	buffer_gl0_inv
	v_cmpx_eq_u32_e32 32, v0
	s_cbranch_execz .LBB93_164
; %bb.162:
	ds_write_b64 v1, v[168:169]
	ds_write2_b64 v222, v[142:143], v[166:167] offset0:33 offset1:34
	ds_write2_b64 v222, v[140:141], v[164:165] offset0:35 offset1:36
	;; [unrolled: 1-line block ×7, first 2 shown]
	ds_read_b64 v[192:193], v1
	s_waitcnt lgkmcnt(0)
	v_cmp_neq_f64_e32 vcc_lo, 0, v[192:193]
	s_and_b32 exec_lo, exec_lo, vcc_lo
	s_cbranch_execz .LBB93_164
; %bb.163:
	v_div_scale_f64 v[194:195], null, v[192:193], v[192:193], 1.0
	v_rcp_f64_e32 v[196:197], v[194:195]
	v_fma_f64 v[198:199], -v[194:195], v[196:197], 1.0
	v_fma_f64 v[196:197], v[196:197], v[198:199], v[196:197]
	v_fma_f64 v[198:199], -v[194:195], v[196:197], 1.0
	v_fma_f64 v[196:197], v[196:197], v[198:199], v[196:197]
	v_div_scale_f64 v[198:199], vcc_lo, 1.0, v[192:193], 1.0
	v_mul_f64 v[200:201], v[198:199], v[196:197]
	v_fma_f64 v[194:195], -v[194:195], v[200:201], v[198:199]
	v_div_fmas_f64 v[194:195], v[194:195], v[196:197], v[200:201]
	v_div_fixup_f64 v[192:193], v[194:195], v[192:193], 1.0
	ds_write_b64 v1, v[192:193]
.LBB93_164:
	s_or_b32 exec_lo, exec_lo, s1
	s_waitcnt lgkmcnt(0)
	s_barrier
	buffer_gl0_inv
	ds_read_b64 v[192:193], v1
	s_mov_b32 s1, exec_lo
	v_cmpx_lt_u32_e32 32, v0
	s_cbranch_execz .LBB93_166
; %bb.165:
	s_waitcnt lgkmcnt(0)
	v_mul_f64 v[168:169], v[192:193], v[168:169]
	ds_read2_b64 v[194:197], v222 offset0:33 offset1:34
	s_waitcnt lgkmcnt(0)
	v_fma_f64 v[142:143], -v[168:169], v[194:195], v[142:143]
	v_fma_f64 v[166:167], -v[168:169], v[196:197], v[166:167]
	ds_read2_b64 v[194:197], v222 offset0:35 offset1:36
	s_waitcnt lgkmcnt(0)
	v_fma_f64 v[140:141], -v[168:169], v[194:195], v[140:141]
	v_fma_f64 v[164:165], -v[168:169], v[196:197], v[164:165]
	;; [unrolled: 4-line block ×7, first 2 shown]
.LBB93_166:
	s_or_b32 exec_lo, exec_lo, s1
	s_mov_b32 s1, exec_lo
	s_waitcnt lgkmcnt(0)
	s_barrier
	buffer_gl0_inv
	v_cmpx_eq_u32_e32 33, v0
	s_cbranch_execz .LBB93_169
; %bb.167:
	v_mov_b32_e32 v194, v166
	v_mov_b32_e32 v195, v167
	;; [unrolled: 1-line block ×4, first 2 shown]
	ds_write_b64 v1, v[142:143]
	ds_write2_b64 v222, v[194:195], v[196:197] offset0:34 offset1:35
	v_mov_b32_e32 v194, v164
	v_mov_b32_e32 v195, v165
	v_mov_b32_e32 v196, v138
	v_mov_b32_e32 v197, v139
	ds_write2_b64 v222, v[194:195], v[196:197] offset0:36 offset1:37
	v_mov_b32_e32 v194, v162
	v_mov_b32_e32 v195, v163
	v_mov_b32_e32 v196, v136
	v_mov_b32_e32 v197, v137
	;; [unrolled: 5-line block ×5, first 2 shown]
	ds_write2_b64 v222, v[194:195], v[196:197] offset0:44 offset1:45
	ds_write_b64 v222, v[190:191] offset:368
	ds_read_b64 v[194:195], v1
	s_waitcnt lgkmcnt(0)
	v_cmp_neq_f64_e32 vcc_lo, 0, v[194:195]
	s_and_b32 exec_lo, exec_lo, vcc_lo
	s_cbranch_execz .LBB93_169
; %bb.168:
	v_div_scale_f64 v[196:197], null, v[194:195], v[194:195], 1.0
	v_rcp_f64_e32 v[198:199], v[196:197]
	v_fma_f64 v[200:201], -v[196:197], v[198:199], 1.0
	v_fma_f64 v[198:199], v[198:199], v[200:201], v[198:199]
	v_fma_f64 v[200:201], -v[196:197], v[198:199], 1.0
	v_fma_f64 v[198:199], v[198:199], v[200:201], v[198:199]
	v_div_scale_f64 v[200:201], vcc_lo, 1.0, v[194:195], 1.0
	v_mul_f64 v[202:203], v[200:201], v[198:199]
	v_fma_f64 v[196:197], -v[196:197], v[202:203], v[200:201]
	v_div_fmas_f64 v[196:197], v[196:197], v[198:199], v[202:203]
	v_div_fixup_f64 v[194:195], v[196:197], v[194:195], 1.0
	ds_write_b64 v1, v[194:195]
.LBB93_169:
	s_or_b32 exec_lo, exec_lo, s1
	s_waitcnt lgkmcnt(0)
	s_barrier
	buffer_gl0_inv
	ds_read_b64 v[194:195], v1
	s_mov_b32 s1, exec_lo
	v_cmpx_lt_u32_e32 33, v0
	s_cbranch_execz .LBB93_171
; %bb.170:
	s_waitcnt lgkmcnt(0)
	v_mul_f64 v[142:143], v[194:195], v[142:143]
	ds_read2_b64 v[196:199], v222 offset0:34 offset1:35
	s_waitcnt lgkmcnt(0)
	v_fma_f64 v[166:167], -v[142:143], v[196:197], v[166:167]
	v_fma_f64 v[140:141], -v[142:143], v[198:199], v[140:141]
	ds_read2_b64 v[196:199], v222 offset0:36 offset1:37
	s_waitcnt lgkmcnt(0)
	v_fma_f64 v[164:165], -v[142:143], v[196:197], v[164:165]
	v_fma_f64 v[138:139], -v[142:143], v[198:199], v[138:139]
	;; [unrolled: 4-line block ×5, first 2 shown]
	ds_read2_b64 v[196:199], v222 offset0:44 offset1:45
	s_waitcnt lgkmcnt(0)
	v_fma_f64 v[156:157], -v[142:143], v[196:197], v[156:157]
	ds_read_b64 v[196:197], v222 offset:368
	v_fma_f64 v[130:131], -v[142:143], v[198:199], v[130:131]
	s_waitcnt lgkmcnt(0)
	v_fma_f64 v[190:191], -v[142:143], v[196:197], v[190:191]
.LBB93_171:
	s_or_b32 exec_lo, exec_lo, s1
	s_mov_b32 s1, exec_lo
	s_waitcnt lgkmcnt(0)
	s_barrier
	buffer_gl0_inv
	v_cmpx_eq_u32_e32 34, v0
	s_cbranch_execz .LBB93_174
; %bb.172:
	ds_write_b64 v1, v[166:167]
	ds_write2_b64 v222, v[140:141], v[164:165] offset0:35 offset1:36
	ds_write2_b64 v222, v[138:139], v[162:163] offset0:37 offset1:38
	;; [unrolled: 1-line block ×6, first 2 shown]
	ds_read_b64 v[196:197], v1
	s_waitcnt lgkmcnt(0)
	v_cmp_neq_f64_e32 vcc_lo, 0, v[196:197]
	s_and_b32 exec_lo, exec_lo, vcc_lo
	s_cbranch_execz .LBB93_174
; %bb.173:
	v_div_scale_f64 v[198:199], null, v[196:197], v[196:197], 1.0
	v_rcp_f64_e32 v[200:201], v[198:199]
	v_fma_f64 v[202:203], -v[198:199], v[200:201], 1.0
	v_fma_f64 v[200:201], v[200:201], v[202:203], v[200:201]
	v_fma_f64 v[202:203], -v[198:199], v[200:201], 1.0
	v_fma_f64 v[200:201], v[200:201], v[202:203], v[200:201]
	v_div_scale_f64 v[202:203], vcc_lo, 1.0, v[196:197], 1.0
	v_mul_f64 v[204:205], v[202:203], v[200:201]
	v_fma_f64 v[198:199], -v[198:199], v[204:205], v[202:203]
	v_div_fmas_f64 v[198:199], v[198:199], v[200:201], v[204:205]
	v_div_fixup_f64 v[196:197], v[198:199], v[196:197], 1.0
	ds_write_b64 v1, v[196:197]
.LBB93_174:
	s_or_b32 exec_lo, exec_lo, s1
	s_waitcnt lgkmcnt(0)
	s_barrier
	buffer_gl0_inv
	ds_read_b64 v[196:197], v1
	s_mov_b32 s1, exec_lo
	v_cmpx_lt_u32_e32 34, v0
	s_cbranch_execz .LBB93_176
; %bb.175:
	s_waitcnt lgkmcnt(0)
	v_mul_f64 v[166:167], v[196:197], v[166:167]
	ds_read2_b64 v[198:201], v222 offset0:35 offset1:36
	s_waitcnt lgkmcnt(0)
	v_fma_f64 v[140:141], -v[166:167], v[198:199], v[140:141]
	v_fma_f64 v[164:165], -v[166:167], v[200:201], v[164:165]
	ds_read2_b64 v[198:201], v222 offset0:37 offset1:38
	s_waitcnt lgkmcnt(0)
	v_fma_f64 v[138:139], -v[166:167], v[198:199], v[138:139]
	v_fma_f64 v[162:163], -v[166:167], v[200:201], v[162:163]
	;; [unrolled: 4-line block ×6, first 2 shown]
.LBB93_176:
	s_or_b32 exec_lo, exec_lo, s1
	s_mov_b32 s1, exec_lo
	s_waitcnt lgkmcnt(0)
	s_barrier
	buffer_gl0_inv
	v_cmpx_eq_u32_e32 35, v0
	s_cbranch_execz .LBB93_179
; %bb.177:
	v_mov_b32_e32 v198, v164
	v_mov_b32_e32 v199, v165
	;; [unrolled: 1-line block ×4, first 2 shown]
	ds_write_b64 v1, v[140:141]
	ds_write2_b64 v222, v[198:199], v[200:201] offset0:36 offset1:37
	v_mov_b32_e32 v198, v162
	v_mov_b32_e32 v199, v163
	v_mov_b32_e32 v200, v136
	v_mov_b32_e32 v201, v137
	ds_write2_b64 v222, v[198:199], v[200:201] offset0:38 offset1:39
	v_mov_b32_e32 v198, v160
	v_mov_b32_e32 v199, v161
	v_mov_b32_e32 v200, v134
	v_mov_b32_e32 v201, v135
	;; [unrolled: 5-line block ×4, first 2 shown]
	ds_write2_b64 v222, v[198:199], v[200:201] offset0:44 offset1:45
	ds_write_b64 v222, v[190:191] offset:368
	ds_read_b64 v[198:199], v1
	s_waitcnt lgkmcnt(0)
	v_cmp_neq_f64_e32 vcc_lo, 0, v[198:199]
	s_and_b32 exec_lo, exec_lo, vcc_lo
	s_cbranch_execz .LBB93_179
; %bb.178:
	v_div_scale_f64 v[200:201], null, v[198:199], v[198:199], 1.0
	v_rcp_f64_e32 v[202:203], v[200:201]
	v_fma_f64 v[204:205], -v[200:201], v[202:203], 1.0
	v_fma_f64 v[202:203], v[202:203], v[204:205], v[202:203]
	v_fma_f64 v[204:205], -v[200:201], v[202:203], 1.0
	v_fma_f64 v[202:203], v[202:203], v[204:205], v[202:203]
	v_div_scale_f64 v[204:205], vcc_lo, 1.0, v[198:199], 1.0
	v_mul_f64 v[206:207], v[204:205], v[202:203]
	v_fma_f64 v[200:201], -v[200:201], v[206:207], v[204:205]
	v_div_fmas_f64 v[200:201], v[200:201], v[202:203], v[206:207]
	v_div_fixup_f64 v[198:199], v[200:201], v[198:199], 1.0
	ds_write_b64 v1, v[198:199]
.LBB93_179:
	s_or_b32 exec_lo, exec_lo, s1
	s_waitcnt lgkmcnt(0)
	s_barrier
	buffer_gl0_inv
	ds_read_b64 v[198:199], v1
	s_mov_b32 s1, exec_lo
	v_cmpx_lt_u32_e32 35, v0
	s_cbranch_execz .LBB93_181
; %bb.180:
	s_waitcnt lgkmcnt(0)
	v_mul_f64 v[140:141], v[198:199], v[140:141]
	ds_read2_b64 v[200:203], v222 offset0:36 offset1:37
	s_waitcnt lgkmcnt(0)
	v_fma_f64 v[164:165], -v[140:141], v[200:201], v[164:165]
	v_fma_f64 v[138:139], -v[140:141], v[202:203], v[138:139]
	ds_read2_b64 v[200:203], v222 offset0:38 offset1:39
	s_waitcnt lgkmcnt(0)
	v_fma_f64 v[162:163], -v[140:141], v[200:201], v[162:163]
	v_fma_f64 v[136:137], -v[140:141], v[202:203], v[136:137]
	;; [unrolled: 4-line block ×4, first 2 shown]
	ds_read2_b64 v[200:203], v222 offset0:44 offset1:45
	s_waitcnt lgkmcnt(0)
	v_fma_f64 v[156:157], -v[140:141], v[200:201], v[156:157]
	ds_read_b64 v[200:201], v222 offset:368
	v_fma_f64 v[130:131], -v[140:141], v[202:203], v[130:131]
	s_waitcnt lgkmcnt(0)
	v_fma_f64 v[190:191], -v[140:141], v[200:201], v[190:191]
.LBB93_181:
	s_or_b32 exec_lo, exec_lo, s1
	s_mov_b32 s1, exec_lo
	s_waitcnt lgkmcnt(0)
	s_barrier
	buffer_gl0_inv
	v_cmpx_eq_u32_e32 36, v0
	s_cbranch_execz .LBB93_184
; %bb.182:
	ds_write_b64 v1, v[164:165]
	ds_write2_b64 v222, v[138:139], v[162:163] offset0:37 offset1:38
	ds_write2_b64 v222, v[136:137], v[160:161] offset0:39 offset1:40
	;; [unrolled: 1-line block ×5, first 2 shown]
	ds_read_b64 v[200:201], v1
	s_waitcnt lgkmcnt(0)
	v_cmp_neq_f64_e32 vcc_lo, 0, v[200:201]
	s_and_b32 exec_lo, exec_lo, vcc_lo
	s_cbranch_execz .LBB93_184
; %bb.183:
	v_div_scale_f64 v[202:203], null, v[200:201], v[200:201], 1.0
	v_rcp_f64_e32 v[204:205], v[202:203]
	v_fma_f64 v[206:207], -v[202:203], v[204:205], 1.0
	v_fma_f64 v[204:205], v[204:205], v[206:207], v[204:205]
	v_fma_f64 v[206:207], -v[202:203], v[204:205], 1.0
	v_fma_f64 v[204:205], v[204:205], v[206:207], v[204:205]
	v_div_scale_f64 v[206:207], vcc_lo, 1.0, v[200:201], 1.0
	v_mul_f64 v[208:209], v[206:207], v[204:205]
	v_fma_f64 v[202:203], -v[202:203], v[208:209], v[206:207]
	v_div_fmas_f64 v[202:203], v[202:203], v[204:205], v[208:209]
	v_div_fixup_f64 v[200:201], v[202:203], v[200:201], 1.0
	ds_write_b64 v1, v[200:201]
.LBB93_184:
	s_or_b32 exec_lo, exec_lo, s1
	s_waitcnt lgkmcnt(0)
	s_barrier
	buffer_gl0_inv
	ds_read_b64 v[200:201], v1
	s_mov_b32 s1, exec_lo
	v_cmpx_lt_u32_e32 36, v0
	s_cbranch_execz .LBB93_186
; %bb.185:
	s_waitcnt lgkmcnt(0)
	v_mul_f64 v[164:165], v[200:201], v[164:165]
	ds_read2_b64 v[202:205], v222 offset0:37 offset1:38
	s_waitcnt lgkmcnt(0)
	v_fma_f64 v[138:139], -v[164:165], v[202:203], v[138:139]
	v_fma_f64 v[162:163], -v[164:165], v[204:205], v[162:163]
	ds_read2_b64 v[202:205], v222 offset0:39 offset1:40
	s_waitcnt lgkmcnt(0)
	v_fma_f64 v[136:137], -v[164:165], v[202:203], v[136:137]
	v_fma_f64 v[160:161], -v[164:165], v[204:205], v[160:161]
	;; [unrolled: 4-line block ×5, first 2 shown]
.LBB93_186:
	s_or_b32 exec_lo, exec_lo, s1
	s_mov_b32 s1, exec_lo
	s_waitcnt lgkmcnt(0)
	s_barrier
	buffer_gl0_inv
	v_cmpx_eq_u32_e32 37, v0
	s_cbranch_execz .LBB93_189
; %bb.187:
	v_mov_b32_e32 v202, v162
	v_mov_b32_e32 v203, v163
	;; [unrolled: 1-line block ×4, first 2 shown]
	ds_write_b64 v1, v[138:139]
	ds_write2_b64 v222, v[202:203], v[204:205] offset0:38 offset1:39
	v_mov_b32_e32 v202, v160
	v_mov_b32_e32 v203, v161
	v_mov_b32_e32 v204, v134
	v_mov_b32_e32 v205, v135
	ds_write2_b64 v222, v[202:203], v[204:205] offset0:40 offset1:41
	v_mov_b32_e32 v202, v158
	v_mov_b32_e32 v203, v159
	v_mov_b32_e32 v204, v132
	v_mov_b32_e32 v205, v133
	ds_write2_b64 v222, v[202:203], v[204:205] offset0:42 offset1:43
	v_mov_b32_e32 v202, v156
	v_mov_b32_e32 v203, v157
	v_mov_b32_e32 v204, v130
	v_mov_b32_e32 v205, v131
	ds_write2_b64 v222, v[202:203], v[204:205] offset0:44 offset1:45
	ds_write_b64 v222, v[190:191] offset:368
	ds_read_b64 v[202:203], v1
	s_waitcnt lgkmcnt(0)
	v_cmp_neq_f64_e32 vcc_lo, 0, v[202:203]
	s_and_b32 exec_lo, exec_lo, vcc_lo
	s_cbranch_execz .LBB93_189
; %bb.188:
	v_div_scale_f64 v[204:205], null, v[202:203], v[202:203], 1.0
	v_rcp_f64_e32 v[206:207], v[204:205]
	v_fma_f64 v[208:209], -v[204:205], v[206:207], 1.0
	v_fma_f64 v[206:207], v[206:207], v[208:209], v[206:207]
	v_fma_f64 v[208:209], -v[204:205], v[206:207], 1.0
	v_fma_f64 v[206:207], v[206:207], v[208:209], v[206:207]
	v_div_scale_f64 v[208:209], vcc_lo, 1.0, v[202:203], 1.0
	v_mul_f64 v[210:211], v[208:209], v[206:207]
	v_fma_f64 v[204:205], -v[204:205], v[210:211], v[208:209]
	v_div_fmas_f64 v[204:205], v[204:205], v[206:207], v[210:211]
	v_div_fixup_f64 v[202:203], v[204:205], v[202:203], 1.0
	ds_write_b64 v1, v[202:203]
.LBB93_189:
	s_or_b32 exec_lo, exec_lo, s1
	s_waitcnt lgkmcnt(0)
	s_barrier
	buffer_gl0_inv
	ds_read_b64 v[202:203], v1
	s_mov_b32 s1, exec_lo
	v_cmpx_lt_u32_e32 37, v0
	s_cbranch_execz .LBB93_191
; %bb.190:
	s_waitcnt lgkmcnt(0)
	v_mul_f64 v[138:139], v[202:203], v[138:139]
	ds_read2_b64 v[204:207], v222 offset0:38 offset1:39
	s_waitcnt lgkmcnt(0)
	v_fma_f64 v[162:163], -v[138:139], v[204:205], v[162:163]
	v_fma_f64 v[136:137], -v[138:139], v[206:207], v[136:137]
	ds_read2_b64 v[204:207], v222 offset0:40 offset1:41
	s_waitcnt lgkmcnt(0)
	v_fma_f64 v[160:161], -v[138:139], v[204:205], v[160:161]
	v_fma_f64 v[134:135], -v[138:139], v[206:207], v[134:135]
	;; [unrolled: 4-line block ×3, first 2 shown]
	ds_read2_b64 v[204:207], v222 offset0:44 offset1:45
	s_waitcnt lgkmcnt(0)
	v_fma_f64 v[156:157], -v[138:139], v[204:205], v[156:157]
	ds_read_b64 v[204:205], v222 offset:368
	v_fma_f64 v[130:131], -v[138:139], v[206:207], v[130:131]
	s_waitcnt lgkmcnt(0)
	v_fma_f64 v[190:191], -v[138:139], v[204:205], v[190:191]
.LBB93_191:
	s_or_b32 exec_lo, exec_lo, s1
	s_mov_b32 s1, exec_lo
	s_waitcnt lgkmcnt(0)
	s_barrier
	buffer_gl0_inv
	v_cmpx_eq_u32_e32 38, v0
	s_cbranch_execz .LBB93_194
; %bb.192:
	ds_write_b64 v1, v[162:163]
	ds_write2_b64 v222, v[136:137], v[160:161] offset0:39 offset1:40
	ds_write2_b64 v222, v[134:135], v[158:159] offset0:41 offset1:42
	;; [unrolled: 1-line block ×4, first 2 shown]
	ds_read_b64 v[204:205], v1
	s_waitcnt lgkmcnt(0)
	v_cmp_neq_f64_e32 vcc_lo, 0, v[204:205]
	s_and_b32 exec_lo, exec_lo, vcc_lo
	s_cbranch_execz .LBB93_194
; %bb.193:
	v_div_scale_f64 v[206:207], null, v[204:205], v[204:205], 1.0
	v_rcp_f64_e32 v[208:209], v[206:207]
	v_fma_f64 v[210:211], -v[206:207], v[208:209], 1.0
	v_fma_f64 v[208:209], v[208:209], v[210:211], v[208:209]
	v_fma_f64 v[210:211], -v[206:207], v[208:209], 1.0
	v_fma_f64 v[208:209], v[208:209], v[210:211], v[208:209]
	v_div_scale_f64 v[210:211], vcc_lo, 1.0, v[204:205], 1.0
	v_mul_f64 v[212:213], v[210:211], v[208:209]
	v_fma_f64 v[206:207], -v[206:207], v[212:213], v[210:211]
	v_div_fmas_f64 v[206:207], v[206:207], v[208:209], v[212:213]
	v_div_fixup_f64 v[204:205], v[206:207], v[204:205], 1.0
	ds_write_b64 v1, v[204:205]
.LBB93_194:
	s_or_b32 exec_lo, exec_lo, s1
	s_waitcnt lgkmcnt(0)
	s_barrier
	buffer_gl0_inv
	ds_read_b64 v[204:205], v1
	s_mov_b32 s1, exec_lo
	v_cmpx_lt_u32_e32 38, v0
	s_cbranch_execz .LBB93_196
; %bb.195:
	s_waitcnt lgkmcnt(0)
	v_mul_f64 v[162:163], v[204:205], v[162:163]
	ds_read2_b64 v[206:209], v222 offset0:39 offset1:40
	s_waitcnt lgkmcnt(0)
	v_fma_f64 v[136:137], -v[162:163], v[206:207], v[136:137]
	v_fma_f64 v[160:161], -v[162:163], v[208:209], v[160:161]
	ds_read2_b64 v[206:209], v222 offset0:41 offset1:42
	s_waitcnt lgkmcnt(0)
	v_fma_f64 v[134:135], -v[162:163], v[206:207], v[134:135]
	v_fma_f64 v[158:159], -v[162:163], v[208:209], v[158:159]
	ds_read2_b64 v[206:209], v222 offset0:43 offset1:44
	s_waitcnt lgkmcnt(0)
	v_fma_f64 v[132:133], -v[162:163], v[206:207], v[132:133]
	v_fma_f64 v[156:157], -v[162:163], v[208:209], v[156:157]
	ds_read2_b64 v[206:209], v222 offset0:45 offset1:46
	s_waitcnt lgkmcnt(0)
	v_fma_f64 v[130:131], -v[162:163], v[206:207], v[130:131]
	v_fma_f64 v[190:191], -v[162:163], v[208:209], v[190:191]
.LBB93_196:
	s_or_b32 exec_lo, exec_lo, s1
	s_mov_b32 s1, exec_lo
	s_waitcnt lgkmcnt(0)
	s_barrier
	buffer_gl0_inv
	v_cmpx_eq_u32_e32 39, v0
	s_cbranch_execz .LBB93_199
; %bb.197:
	v_mov_b32_e32 v206, v160
	v_mov_b32_e32 v207, v161
	;; [unrolled: 1-line block ×4, first 2 shown]
	ds_write_b64 v1, v[136:137]
	ds_write2_b64 v222, v[206:207], v[208:209] offset0:40 offset1:41
	v_mov_b32_e32 v206, v158
	v_mov_b32_e32 v207, v159
	v_mov_b32_e32 v208, v132
	v_mov_b32_e32 v209, v133
	ds_write2_b64 v222, v[206:207], v[208:209] offset0:42 offset1:43
	v_mov_b32_e32 v206, v156
	v_mov_b32_e32 v207, v157
	;; [unrolled: 1-line block ×4, first 2 shown]
	ds_write2_b64 v222, v[206:207], v[208:209] offset0:44 offset1:45
	ds_write_b64 v222, v[190:191] offset:368
	ds_read_b64 v[206:207], v1
	s_waitcnt lgkmcnt(0)
	v_cmp_neq_f64_e32 vcc_lo, 0, v[206:207]
	s_and_b32 exec_lo, exec_lo, vcc_lo
	s_cbranch_execz .LBB93_199
; %bb.198:
	v_div_scale_f64 v[208:209], null, v[206:207], v[206:207], 1.0
	v_rcp_f64_e32 v[210:211], v[208:209]
	v_fma_f64 v[212:213], -v[208:209], v[210:211], 1.0
	v_fma_f64 v[210:211], v[210:211], v[212:213], v[210:211]
	v_fma_f64 v[212:213], -v[208:209], v[210:211], 1.0
	v_fma_f64 v[210:211], v[210:211], v[212:213], v[210:211]
	v_div_scale_f64 v[212:213], vcc_lo, 1.0, v[206:207], 1.0
	v_mul_f64 v[214:215], v[212:213], v[210:211]
	v_fma_f64 v[208:209], -v[208:209], v[214:215], v[212:213]
	v_div_fmas_f64 v[208:209], v[208:209], v[210:211], v[214:215]
	v_div_fixup_f64 v[206:207], v[208:209], v[206:207], 1.0
	ds_write_b64 v1, v[206:207]
.LBB93_199:
	s_or_b32 exec_lo, exec_lo, s1
	s_waitcnt lgkmcnt(0)
	s_barrier
	buffer_gl0_inv
	ds_read_b64 v[208:209], v1
	s_mov_b32 s1, exec_lo
	v_cmpx_lt_u32_e32 39, v0
	s_cbranch_execz .LBB93_201
; %bb.200:
	s_waitcnt lgkmcnt(0)
	v_mul_f64 v[136:137], v[208:209], v[136:137]
	ds_read2_b64 v[210:213], v222 offset0:40 offset1:41
	ds_read_b64 v[206:207], v222 offset:368
	s_waitcnt lgkmcnt(1)
	v_fma_f64 v[160:161], -v[136:137], v[210:211], v[160:161]
	v_fma_f64 v[134:135], -v[136:137], v[212:213], v[134:135]
	ds_read2_b64 v[210:213], v222 offset0:42 offset1:43
	s_waitcnt lgkmcnt(1)
	v_fma_f64 v[190:191], -v[136:137], v[206:207], v[190:191]
	s_waitcnt lgkmcnt(0)
	v_fma_f64 v[158:159], -v[136:137], v[210:211], v[158:159]
	v_fma_f64 v[132:133], -v[136:137], v[212:213], v[132:133]
	ds_read2_b64 v[210:213], v222 offset0:44 offset1:45
	s_waitcnt lgkmcnt(0)
	v_fma_f64 v[156:157], -v[136:137], v[210:211], v[156:157]
	v_fma_f64 v[130:131], -v[136:137], v[212:213], v[130:131]
.LBB93_201:
	s_or_b32 exec_lo, exec_lo, s1
	s_mov_b32 s1, exec_lo
	s_waitcnt lgkmcnt(0)
	s_barrier
	buffer_gl0_inv
	v_cmpx_eq_u32_e32 40, v0
	s_cbranch_execz .LBB93_204
; %bb.202:
	ds_write_b64 v1, v[160:161]
	ds_write2_b64 v222, v[134:135], v[158:159] offset0:41 offset1:42
	ds_write2_b64 v222, v[132:133], v[156:157] offset0:43 offset1:44
	;; [unrolled: 1-line block ×3, first 2 shown]
	ds_read_b64 v[206:207], v1
	s_waitcnt lgkmcnt(0)
	v_cmp_neq_f64_e32 vcc_lo, 0, v[206:207]
	s_and_b32 exec_lo, exec_lo, vcc_lo
	s_cbranch_execz .LBB93_204
; %bb.203:
	v_div_scale_f64 v[210:211], null, v[206:207], v[206:207], 1.0
	v_rcp_f64_e32 v[212:213], v[210:211]
	v_fma_f64 v[214:215], -v[210:211], v[212:213], 1.0
	v_fma_f64 v[212:213], v[212:213], v[214:215], v[212:213]
	v_fma_f64 v[214:215], -v[210:211], v[212:213], 1.0
	v_fma_f64 v[212:213], v[212:213], v[214:215], v[212:213]
	v_div_scale_f64 v[214:215], vcc_lo, 1.0, v[206:207], 1.0
	v_mul_f64 v[216:217], v[214:215], v[212:213]
	v_fma_f64 v[210:211], -v[210:211], v[216:217], v[214:215]
	v_div_fmas_f64 v[210:211], v[210:211], v[212:213], v[216:217]
	v_div_fixup_f64 v[206:207], v[210:211], v[206:207], 1.0
	ds_write_b64 v1, v[206:207]
.LBB93_204:
	s_or_b32 exec_lo, exec_lo, s1
	s_waitcnt lgkmcnt(0)
	s_barrier
	buffer_gl0_inv
	ds_read_b64 v[210:211], v1
	s_mov_b32 s1, exec_lo
	v_cmpx_lt_u32_e32 40, v0
	s_cbranch_execz .LBB93_206
; %bb.205:
	s_waitcnt lgkmcnt(0)
	v_mul_f64 v[160:161], v[210:211], v[160:161]
	ds_read2_b64 v[212:215], v222 offset0:41 offset1:42
	s_waitcnt lgkmcnt(0)
	v_fma_f64 v[134:135], -v[160:161], v[212:213], v[134:135]
	v_fma_f64 v[158:159], -v[160:161], v[214:215], v[158:159]
	ds_read2_b64 v[212:215], v222 offset0:43 offset1:44
	s_waitcnt lgkmcnt(0)
	v_fma_f64 v[132:133], -v[160:161], v[212:213], v[132:133]
	v_fma_f64 v[156:157], -v[160:161], v[214:215], v[156:157]
	;; [unrolled: 4-line block ×3, first 2 shown]
.LBB93_206:
	s_or_b32 exec_lo, exec_lo, s1
	s_mov_b32 s1, exec_lo
	s_waitcnt lgkmcnt(0)
	s_barrier
	buffer_gl0_inv
	v_cmpx_eq_u32_e32 41, v0
	s_cbranch_execz .LBB93_209
; %bb.207:
	v_mov_b32_e32 v206, v158
	v_mov_b32_e32 v207, v159
	;; [unrolled: 1-line block ×4, first 2 shown]
	ds_write_b64 v1, v[134:135]
	ds_write2_b64 v222, v[206:207], v[212:213] offset0:42 offset1:43
	v_mov_b32_e32 v206, v156
	v_mov_b32_e32 v207, v157
	;; [unrolled: 1-line block ×4, first 2 shown]
	ds_write2_b64 v222, v[206:207], v[212:213] offset0:44 offset1:45
	ds_write_b64 v222, v[190:191] offset:368
	ds_read_b64 v[206:207], v1
	s_waitcnt lgkmcnt(0)
	v_cmp_neq_f64_e32 vcc_lo, 0, v[206:207]
	s_and_b32 exec_lo, exec_lo, vcc_lo
	s_cbranch_execz .LBB93_209
; %bb.208:
	v_div_scale_f64 v[212:213], null, v[206:207], v[206:207], 1.0
	v_rcp_f64_e32 v[214:215], v[212:213]
	v_fma_f64 v[216:217], -v[212:213], v[214:215], 1.0
	v_fma_f64 v[214:215], v[214:215], v[216:217], v[214:215]
	v_fma_f64 v[216:217], -v[212:213], v[214:215], 1.0
	v_fma_f64 v[214:215], v[214:215], v[216:217], v[214:215]
	v_div_scale_f64 v[216:217], vcc_lo, 1.0, v[206:207], 1.0
	v_mul_f64 v[218:219], v[216:217], v[214:215]
	v_fma_f64 v[212:213], -v[212:213], v[218:219], v[216:217]
	v_div_fmas_f64 v[212:213], v[212:213], v[214:215], v[218:219]
	v_div_fixup_f64 v[206:207], v[212:213], v[206:207], 1.0
	ds_write_b64 v1, v[206:207]
.LBB93_209:
	s_or_b32 exec_lo, exec_lo, s1
	s_waitcnt lgkmcnt(0)
	s_barrier
	buffer_gl0_inv
	ds_read_b64 v[212:213], v1
	s_mov_b32 s1, exec_lo
	v_cmpx_lt_u32_e32 41, v0
	s_cbranch_execz .LBB93_211
; %bb.210:
	s_waitcnt lgkmcnt(0)
	v_mul_f64 v[134:135], v[212:213], v[134:135]
	ds_read2_b64 v[214:217], v222 offset0:42 offset1:43
	ds_read_b64 v[206:207], v222 offset:368
	s_waitcnt lgkmcnt(1)
	v_fma_f64 v[158:159], -v[134:135], v[214:215], v[158:159]
	v_fma_f64 v[132:133], -v[134:135], v[216:217], v[132:133]
	ds_read2_b64 v[214:217], v222 offset0:44 offset1:45
	s_waitcnt lgkmcnt(1)
	v_fma_f64 v[190:191], -v[134:135], v[206:207], v[190:191]
	s_waitcnt lgkmcnt(0)
	v_fma_f64 v[156:157], -v[134:135], v[214:215], v[156:157]
	v_fma_f64 v[130:131], -v[134:135], v[216:217], v[130:131]
.LBB93_211:
	s_or_b32 exec_lo, exec_lo, s1
	s_mov_b32 s1, exec_lo
	s_waitcnt lgkmcnt(0)
	s_barrier
	buffer_gl0_inv
	v_cmpx_eq_u32_e32 42, v0
	s_cbranch_execz .LBB93_214
; %bb.212:
	ds_write_b64 v1, v[158:159]
	ds_write2_b64 v222, v[132:133], v[156:157] offset0:43 offset1:44
	ds_write2_b64 v222, v[130:131], v[190:191] offset0:45 offset1:46
	ds_read_b64 v[206:207], v1
	s_waitcnt lgkmcnt(0)
	v_cmp_neq_f64_e32 vcc_lo, 0, v[206:207]
	s_and_b32 exec_lo, exec_lo, vcc_lo
	s_cbranch_execz .LBB93_214
; %bb.213:
	v_div_scale_f64 v[214:215], null, v[206:207], v[206:207], 1.0
	v_rcp_f64_e32 v[216:217], v[214:215]
	v_fma_f64 v[218:219], -v[214:215], v[216:217], 1.0
	v_fma_f64 v[216:217], v[216:217], v[218:219], v[216:217]
	v_fma_f64 v[218:219], -v[214:215], v[216:217], 1.0
	v_fma_f64 v[216:217], v[216:217], v[218:219], v[216:217]
	v_div_scale_f64 v[218:219], vcc_lo, 1.0, v[206:207], 1.0
	v_mul_f64 v[220:221], v[218:219], v[216:217]
	v_fma_f64 v[214:215], -v[214:215], v[220:221], v[218:219]
	v_div_fmas_f64 v[214:215], v[214:215], v[216:217], v[220:221]
	v_div_fixup_f64 v[206:207], v[214:215], v[206:207], 1.0
	ds_write_b64 v1, v[206:207]
.LBB93_214:
	s_or_b32 exec_lo, exec_lo, s1
	s_waitcnt lgkmcnt(0)
	s_barrier
	buffer_gl0_inv
	ds_read_b64 v[214:215], v1
	s_mov_b32 s1, exec_lo
	v_cmpx_lt_u32_e32 42, v0
	s_cbranch_execz .LBB93_216
; %bb.215:
	s_waitcnt lgkmcnt(0)
	v_mul_f64 v[158:159], v[214:215], v[158:159]
	ds_read2_b64 v[216:219], v222 offset0:43 offset1:44
	s_waitcnt lgkmcnt(0)
	v_fma_f64 v[132:133], -v[158:159], v[216:217], v[132:133]
	v_fma_f64 v[156:157], -v[158:159], v[218:219], v[156:157]
	ds_read2_b64 v[216:219], v222 offset0:45 offset1:46
	s_waitcnt lgkmcnt(0)
	v_fma_f64 v[130:131], -v[158:159], v[216:217], v[130:131]
	v_fma_f64 v[190:191], -v[158:159], v[218:219], v[190:191]
.LBB93_216:
	s_or_b32 exec_lo, exec_lo, s1
	s_mov_b32 s1, exec_lo
	s_waitcnt lgkmcnt(0)
	s_barrier
	buffer_gl0_inv
	v_cmpx_eq_u32_e32 43, v0
	s_cbranch_execz .LBB93_219
; %bb.217:
	v_mov_b32_e32 v206, v156
	v_mov_b32_e32 v207, v157
	v_mov_b32_e32 v216, v130
	v_mov_b32_e32 v217, v131
	ds_write_b64 v1, v[132:133]
	ds_write2_b64 v222, v[206:207], v[216:217] offset0:44 offset1:45
	ds_write_b64 v222, v[190:191] offset:368
	ds_read_b64 v[206:207], v1
	s_waitcnt lgkmcnt(0)
	v_cmp_neq_f64_e32 vcc_lo, 0, v[206:207]
	s_and_b32 exec_lo, exec_lo, vcc_lo
	s_cbranch_execz .LBB93_219
; %bb.218:
	v_div_scale_f64 v[216:217], null, v[206:207], v[206:207], 1.0
	v_rcp_f64_e32 v[218:219], v[216:217]
	v_fma_f64 v[220:221], -v[216:217], v[218:219], 1.0
	v_fma_f64 v[218:219], v[218:219], v[220:221], v[218:219]
	v_fma_f64 v[220:221], -v[216:217], v[218:219], 1.0
	v_fma_f64 v[218:219], v[218:219], v[220:221], v[218:219]
	v_div_scale_f64 v[220:221], vcc_lo, 1.0, v[206:207], 1.0
	v_mul_f64 v[223:224], v[220:221], v[218:219]
	v_fma_f64 v[216:217], -v[216:217], v[223:224], v[220:221]
	v_div_fmas_f64 v[216:217], v[216:217], v[218:219], v[223:224]
	v_div_fixup_f64 v[206:207], v[216:217], v[206:207], 1.0
	ds_write_b64 v1, v[206:207]
.LBB93_219:
	s_or_b32 exec_lo, exec_lo, s1
	s_waitcnt lgkmcnt(0)
	s_barrier
	buffer_gl0_inv
	ds_read_b64 v[216:217], v1
	s_mov_b32 s1, exec_lo
	v_cmpx_lt_u32_e32 43, v0
	s_cbranch_execz .LBB93_221
; %bb.220:
	s_waitcnt lgkmcnt(0)
	v_mul_f64 v[132:133], v[216:217], v[132:133]
	ds_read2_b64 v[218:221], v222 offset0:44 offset1:45
	ds_read_b64 v[206:207], v222 offset:368
	s_waitcnt lgkmcnt(1)
	v_fma_f64 v[156:157], -v[132:133], v[218:219], v[156:157]
	v_fma_f64 v[130:131], -v[132:133], v[220:221], v[130:131]
	s_waitcnt lgkmcnt(0)
	v_fma_f64 v[190:191], -v[132:133], v[206:207], v[190:191]
.LBB93_221:
	s_or_b32 exec_lo, exec_lo, s1
	s_mov_b32 s1, exec_lo
	s_waitcnt lgkmcnt(0)
	s_barrier
	buffer_gl0_inv
	v_cmpx_eq_u32_e32 44, v0
	s_cbranch_execz .LBB93_224
; %bb.222:
	ds_write_b64 v1, v[156:157]
	ds_write2_b64 v222, v[130:131], v[190:191] offset0:45 offset1:46
	ds_read_b64 v[206:207], v1
	s_waitcnt lgkmcnt(0)
	v_cmp_neq_f64_e32 vcc_lo, 0, v[206:207]
	s_and_b32 exec_lo, exec_lo, vcc_lo
	s_cbranch_execz .LBB93_224
; %bb.223:
	v_div_scale_f64 v[218:219], null, v[206:207], v[206:207], 1.0
	v_rcp_f64_e32 v[220:221], v[218:219]
	v_fma_f64 v[223:224], -v[218:219], v[220:221], 1.0
	v_fma_f64 v[220:221], v[220:221], v[223:224], v[220:221]
	v_fma_f64 v[223:224], -v[218:219], v[220:221], 1.0
	v_fma_f64 v[220:221], v[220:221], v[223:224], v[220:221]
	v_div_scale_f64 v[223:224], vcc_lo, 1.0, v[206:207], 1.0
	v_mul_f64 v[225:226], v[223:224], v[220:221]
	v_fma_f64 v[218:219], -v[218:219], v[225:226], v[223:224]
	v_div_fmas_f64 v[218:219], v[218:219], v[220:221], v[225:226]
	v_div_fixup_f64 v[206:207], v[218:219], v[206:207], 1.0
	ds_write_b64 v1, v[206:207]
.LBB93_224:
	s_or_b32 exec_lo, exec_lo, s1
	s_waitcnt lgkmcnt(0)
	s_barrier
	buffer_gl0_inv
	ds_read_b64 v[218:219], v1
	s_mov_b32 s1, exec_lo
	v_cmpx_lt_u32_e32 44, v0
	s_cbranch_execz .LBB93_226
; %bb.225:
	s_waitcnt lgkmcnt(0)
	v_mul_f64 v[156:157], v[218:219], v[156:157]
	ds_read2_b64 v[223:226], v222 offset0:45 offset1:46
	s_waitcnt lgkmcnt(0)
	v_fma_f64 v[130:131], -v[156:157], v[223:224], v[130:131]
	v_fma_f64 v[190:191], -v[156:157], v[225:226], v[190:191]
.LBB93_226:
	s_or_b32 exec_lo, exec_lo, s1
	s_mov_b32 s1, exec_lo
	s_waitcnt lgkmcnt(0)
	s_barrier
	buffer_gl0_inv
	v_cmpx_eq_u32_e32 45, v0
	s_cbranch_execz .LBB93_229
; %bb.227:
	ds_write_b64 v1, v[130:131]
	ds_write_b64 v222, v[190:191] offset:368
	ds_read_b64 v[206:207], v1
	s_waitcnt lgkmcnt(0)
	v_cmp_neq_f64_e32 vcc_lo, 0, v[206:207]
	s_and_b32 exec_lo, exec_lo, vcc_lo
	s_cbranch_execz .LBB93_229
; %bb.228:
	v_div_scale_f64 v[220:221], null, v[206:207], v[206:207], 1.0
	v_mov_b32_e32 v25, v23
	v_mov_b32_e32 v24, v22
	;; [unrolled: 1-line block ×20, first 2 shown]
	v_rcp_f64_e32 v[223:224], v[220:221]
	v_mov_b32_e32 v4, v232
	v_mov_b32_e32 v5, v233
	;; [unrolled: 1-line block ×23, first 2 shown]
	v_fma_f64 v[225:226], -v[220:221], v[223:224], 1.0
	v_mov_b32_e32 v80, v78
	v_mov_b32_e32 v79, v77
	;; [unrolled: 1-line block ×21, first 2 shown]
	v_fma_f64 v[223:224], v[223:224], v[225:226], v[223:224]
	v_mov_b32_e32 v59, v57
	v_mov_b32_e32 v58, v56
	;; [unrolled: 1-line block ×21, first 2 shown]
	v_fma_f64 v[225:226], -v[220:221], v[223:224], 1.0
	v_mov_b32_e32 v38, v36
	v_mov_b32_e32 v37, v35
	v_mov_b32_e32 v36, v34
	v_mov_b32_e32 v35, v33
	v_mov_b32_e32 v34, v32
	v_mov_b32_e32 v32, v34
	v_mov_b32_e32 v33, v35
	v_mov_b32_e32 v34, v36
	v_mov_b32_e32 v35, v37
	v_mov_b32_e32 v36, v38
	v_mov_b32_e32 v37, v39
	v_mov_b32_e32 v38, v40
	v_mov_b32_e32 v39, v41
	v_mov_b32_e32 v40, v42
	v_mov_b32_e32 v41, v43
	v_mov_b32_e32 v42, v44
	v_mov_b32_e32 v43, v45
	v_fma_f64 v[223:224], v[223:224], v[225:226], v[223:224]
	v_div_scale_f64 v[225:226], vcc_lo, 1.0, v[206:207], 1.0
	v_mov_b32_e32 v44, v46
	v_mov_b32_e32 v45, v47
	;; [unrolled: 1-line block ×20, first 2 shown]
	v_mul_f64 v[227:228], v[225:226], v[223:224]
	v_mov_b32_e32 v64, v66
	v_mov_b32_e32 v65, v67
	;; [unrolled: 1-line block ×21, first 2 shown]
	v_fma_f64 v[220:221], -v[220:221], v[227:228], v[225:226]
	v_mov_b32_e32 v85, v87
	v_mov_b32_e32 v86, v88
	;; [unrolled: 1-line block ×11, first 2 shown]
	v_div_fmas_f64 v[220:221], v[220:221], v[223:224], v[227:228]
	v_mov_b32_e32 v228, v229
	v_mov_b32_e32 v229, v230
	;; [unrolled: 1-line block ×21, first 2 shown]
	v_div_fixup_f64 v[206:207], v[220:221], v[206:207], 1.0
	v_mov_b32_e32 v19, v21
	v_mov_b32_e32 v20, v22
	;; [unrolled: 1-line block ×5, first 2 shown]
	ds_write_b64 v1, v[206:207]
.LBB93_229:
	s_or_b32 exec_lo, exec_lo, s1
	s_waitcnt lgkmcnt(0)
	s_barrier
	buffer_gl0_inv
	ds_read_b64 v[220:221], v1
	s_mov_b32 s1, exec_lo
	v_cmpx_lt_u32_e32 45, v0
	s_cbranch_execz .LBB93_231
; %bb.230:
	s_waitcnt lgkmcnt(0)
	v_mul_f64 v[130:131], v[220:221], v[130:131]
	ds_read_b64 v[206:207], v222 offset:368
	s_waitcnt lgkmcnt(0)
	v_fma_f64 v[190:191], -v[130:131], v[206:207], v[190:191]
.LBB93_231:
	s_or_b32 exec_lo, exec_lo, s1
	s_mov_b32 s1, exec_lo
	s_waitcnt lgkmcnt(0)
	s_barrier
	buffer_gl0_inv
	v_cmpx_eq_u32_e32 46, v0
	s_cbranch_execz .LBB93_234
; %bb.232:
	v_cmp_neq_f64_e32 vcc_lo, 0, v[190:191]
	ds_write_b64 v1, v[190:191]
	s_and_b32 exec_lo, exec_lo, vcc_lo
	s_cbranch_execz .LBB93_234
; %bb.233:
	v_div_scale_f64 v[206:207], null, v[190:191], v[190:191], 1.0
	v_rcp_f64_e32 v[222:223], v[206:207]
	v_fma_f64 v[224:225], -v[206:207], v[222:223], 1.0
	v_fma_f64 v[222:223], v[222:223], v[224:225], v[222:223]
	v_fma_f64 v[224:225], -v[206:207], v[222:223], 1.0
	v_fma_f64 v[222:223], v[222:223], v[224:225], v[222:223]
	v_div_scale_f64 v[224:225], vcc_lo, 1.0, v[190:191], 1.0
	v_mul_f64 v[226:227], v[224:225], v[222:223]
	v_fma_f64 v[206:207], -v[206:207], v[226:227], v[224:225]
	v_div_fmas_f64 v[206:207], v[206:207], v[222:223], v[226:227]
	v_div_fixup_f64 v[206:207], v[206:207], v[190:191], 1.0
	ds_write_b64 v1, v[206:207]
.LBB93_234:
	s_or_b32 exec_lo, exec_lo, s1
	s_waitcnt lgkmcnt(0)
	s_barrier
	buffer_gl0_inv
	ds_read_b64 v[206:207], v1
	s_waitcnt lgkmcnt(0)
	s_barrier
	buffer_gl0_inv
	s_and_saveexec_b32 s1, s0
	s_cbranch_execz .LBB93_237
; %bb.235:
	s_clause 0x1
	buffer_load_dword v222, off, s[12:15], 0
	buffer_load_dword v223, off, s[12:15], 0 offset:4
	s_load_dwordx2 s[2:3], s[4:5], 0x28
	s_waitcnt vmcnt(0)
	v_cmp_eq_f64_e32 vcc_lo, 0, v[222:223]
	s_clause 0x1
	buffer_load_dword v222, off, s[12:15], 0 offset:8
	buffer_load_dword v223, off, s[12:15], 0 offset:12
	v_cndmask_b32_e64 v1, 0, 1, vcc_lo
	s_waitcnt vmcnt(0)
	v_cmp_neq_f64_e64 s0, 0, v[222:223]
	s_clause 0x1
	buffer_load_dword v222, off, s[12:15], 0 offset:16
	buffer_load_dword v223, off, s[12:15], 0 offset:20
	s_or_b32 vcc_lo, s0, vcc_lo
	v_cndmask_b32_e32 v1, 2, v1, vcc_lo
	v_cmp_eq_u32_e64 s0, 0, v1
	s_waitcnt vmcnt(0)
	v_cmp_eq_f64_e32 vcc_lo, 0, v[222:223]
	s_clause 0x1
	buffer_load_dword v222, off, s[12:15], 0 offset:24
	buffer_load_dword v223, off, s[12:15], 0 offset:28
	s_and_b32 s0, vcc_lo, s0
	v_cndmask_b32_e64 v1, v1, 3, s0
	v_cmp_eq_u32_e64 s0, 0, v1
	s_waitcnt vmcnt(0)
	v_cmp_eq_f64_e32 vcc_lo, 0, v[222:223]
	s_clause 0x1
	buffer_load_dword v222, off, s[12:15], 0 offset:32
	buffer_load_dword v223, off, s[12:15], 0 offset:36
	s_and_b32 s0, vcc_lo, s0
	v_cndmask_b32_e64 v1, v1, 4, s0
	;; [unrolled: 8-line block ×4, first 2 shown]
	v_cmp_eq_u32_e64 s0, 0, v1
	s_waitcnt vmcnt(0)
	v_cmp_eq_f64_e32 vcc_lo, 0, v[222:223]
	s_clause 0x1
	buffer_load_dword v222, off, s[12:15], 0 offset:56
	buffer_load_dword v223, off, s[12:15], 0 offset:60
	s_and_b32 s0, vcc_lo, s0
	v_cmp_eq_f64_e32 vcc_lo, 0, v[228:229]
	v_cndmask_b32_e64 v1, v1, 7, s0
	v_cmp_eq_u32_e64 s0, 0, v1
	s_and_b32 s0, vcc_lo, s0
	v_cndmask_b32_e64 v1, v1, 8, s0
	v_cmp_eq_u32_e64 s0, 0, v1
	s_waitcnt vmcnt(0)
	v_cmp_eq_f64_e32 vcc_lo, 0, v[222:223]
	s_and_b32 s0, vcc_lo, s0
	v_cmp_eq_f64_e32 vcc_lo, 0, v[230:231]
	v_cndmask_b32_e64 v1, v1, 9, s0
	v_cmp_eq_u32_e64 s0, 0, v1
	s_and_b32 s0, vcc_lo, s0
	v_cmp_eq_f64_e32 vcc_lo, 0, v[232:233]
	v_cndmask_b32_e64 v1, v1, 10, s0
	v_cmp_eq_u32_e64 s0, 0, v1
	;; [unrolled: 4-line block ×38, first 2 shown]
	s_and_b32 s0, vcc_lo, s0
	v_cndmask_b32_e64 v192, v1, 47, s0
	v_lshlrev_b64 v[1:2], 2, v[2:3]
	v_cmp_ne_u32_e64 s0, 0, v192
	s_waitcnt lgkmcnt(0)
	v_add_co_u32 v1, vcc_lo, s2, v1
	v_add_co_ci_u32_e64 v2, null, s3, v2, vcc_lo
	global_load_dword v3, v[1:2], off
	s_waitcnt vmcnt(0)
	v_cmp_eq_u32_e32 vcc_lo, 0, v3
	s_and_b32 s0, vcc_lo, s0
	s_and_b32 exec_lo, exec_lo, s0
	s_cbranch_execz .LBB93_237
; %bb.236:
	v_add_nc_u32_e32 v3, s9, v192
	global_store_dword v[1:2], v3, off
.LBB93_237:
	s_or_b32 exec_lo, exec_lo, s1
	flat_store_dwordx2 v[94:95], v[182:183]
	flat_store_dwordx2 v[112:113], v[186:187]
	s_clause 0x1
	buffer_load_dword v3, off, s[12:15], 0 offset:64
	buffer_load_dword v4, off, s[12:15], 0 offset:68
	v_mul_f64 v[1:2], v[206:207], v[190:191]
	v_cmp_lt_u32_e32 vcc_lo, 46, v0
	v_cndmask_b32_e32 v2, v191, v2, vcc_lo
	v_cndmask_b32_e32 v1, v190, v1, vcc_lo
	s_waitcnt vmcnt(0)
	flat_store_dwordx2 v[3:4], v[188:189]
	s_clause 0x1
	buffer_load_dword v3, off, s[12:15], 0 offset:72
	buffer_load_dword v4, off, s[12:15], 0 offset:76
	s_waitcnt vmcnt(0)
	flat_store_dwordx2 v[3:4], v[184:185]
	s_clause 0x1
	buffer_load_dword v3, off, s[12:15], 0 offset:80
	buffer_load_dword v4, off, s[12:15], 0 offset:84
	;; [unrolled: 5-line block ×11, first 2 shown]
	s_waitcnt vmcnt(0)
	flat_store_dwordx2 v[3:4], v[120:121]
	flat_store_dwordx2 v[28:29], v[126:127]
	;; [unrolled: 1-line block ×34, first 2 shown]
.LBB93_238:
	s_endpgm
	.section	.rodata,"a",@progbits
	.p2align	6, 0x0
	.amdhsa_kernel _ZN9rocsolver6v33100L23getf2_npvt_small_kernelILi47EdiiPKPdEEvT1_T3_lS5_lPT2_S5_S5_
		.amdhsa_group_segment_fixed_size 0
		.amdhsa_private_segment_fixed_size 164
		.amdhsa_kernarg_size 312
		.amdhsa_user_sgpr_count 6
		.amdhsa_user_sgpr_private_segment_buffer 1
		.amdhsa_user_sgpr_dispatch_ptr 0
		.amdhsa_user_sgpr_queue_ptr 0
		.amdhsa_user_sgpr_kernarg_segment_ptr 1
		.amdhsa_user_sgpr_dispatch_id 0
		.amdhsa_user_sgpr_flat_scratch_init 0
		.amdhsa_user_sgpr_private_segment_size 0
		.amdhsa_wavefront_size32 1
		.amdhsa_uses_dynamic_stack 0
		.amdhsa_system_sgpr_private_segment_wavefront_offset 1
		.amdhsa_system_sgpr_workgroup_id_x 1
		.amdhsa_system_sgpr_workgroup_id_y 1
		.amdhsa_system_sgpr_workgroup_id_z 0
		.amdhsa_system_sgpr_workgroup_info 0
		.amdhsa_system_vgpr_workitem_id 1
		.amdhsa_next_free_vgpr 256
		.amdhsa_next_free_sgpr 16
		.amdhsa_reserve_vcc 1
		.amdhsa_reserve_flat_scratch 1
		.amdhsa_float_round_mode_32 0
		.amdhsa_float_round_mode_16_64 0
		.amdhsa_float_denorm_mode_32 3
		.amdhsa_float_denorm_mode_16_64 3
		.amdhsa_dx10_clamp 1
		.amdhsa_ieee_mode 1
		.amdhsa_fp16_overflow 0
		.amdhsa_workgroup_processor_mode 1
		.amdhsa_memory_ordered 1
		.amdhsa_forward_progress 1
		.amdhsa_shared_vgpr_count 0
		.amdhsa_exception_fp_ieee_invalid_op 0
		.amdhsa_exception_fp_denorm_src 0
		.amdhsa_exception_fp_ieee_div_zero 0
		.amdhsa_exception_fp_ieee_overflow 0
		.amdhsa_exception_fp_ieee_underflow 0
		.amdhsa_exception_fp_ieee_inexact 0
		.amdhsa_exception_int_div_zero 0
	.end_amdhsa_kernel
	.section	.text._ZN9rocsolver6v33100L23getf2_npvt_small_kernelILi47EdiiPKPdEEvT1_T3_lS5_lPT2_S5_S5_,"axG",@progbits,_ZN9rocsolver6v33100L23getf2_npvt_small_kernelILi47EdiiPKPdEEvT1_T3_lS5_lPT2_S5_S5_,comdat
.Lfunc_end93:
	.size	_ZN9rocsolver6v33100L23getf2_npvt_small_kernelILi47EdiiPKPdEEvT1_T3_lS5_lPT2_S5_S5_, .Lfunc_end93-_ZN9rocsolver6v33100L23getf2_npvt_small_kernelILi47EdiiPKPdEEvT1_T3_lS5_lPT2_S5_S5_
                                        ; -- End function
	.set _ZN9rocsolver6v33100L23getf2_npvt_small_kernelILi47EdiiPKPdEEvT1_T3_lS5_lPT2_S5_S5_.num_vgpr, 256
	.set _ZN9rocsolver6v33100L23getf2_npvt_small_kernelILi47EdiiPKPdEEvT1_T3_lS5_lPT2_S5_S5_.num_agpr, 0
	.set _ZN9rocsolver6v33100L23getf2_npvt_small_kernelILi47EdiiPKPdEEvT1_T3_lS5_lPT2_S5_S5_.numbered_sgpr, 16
	.set _ZN9rocsolver6v33100L23getf2_npvt_small_kernelILi47EdiiPKPdEEvT1_T3_lS5_lPT2_S5_S5_.num_named_barrier, 0
	.set _ZN9rocsolver6v33100L23getf2_npvt_small_kernelILi47EdiiPKPdEEvT1_T3_lS5_lPT2_S5_S5_.private_seg_size, 164
	.set _ZN9rocsolver6v33100L23getf2_npvt_small_kernelILi47EdiiPKPdEEvT1_T3_lS5_lPT2_S5_S5_.uses_vcc, 1
	.set _ZN9rocsolver6v33100L23getf2_npvt_small_kernelILi47EdiiPKPdEEvT1_T3_lS5_lPT2_S5_S5_.uses_flat_scratch, 1
	.set _ZN9rocsolver6v33100L23getf2_npvt_small_kernelILi47EdiiPKPdEEvT1_T3_lS5_lPT2_S5_S5_.has_dyn_sized_stack, 0
	.set _ZN9rocsolver6v33100L23getf2_npvt_small_kernelILi47EdiiPKPdEEvT1_T3_lS5_lPT2_S5_S5_.has_recursion, 0
	.set _ZN9rocsolver6v33100L23getf2_npvt_small_kernelILi47EdiiPKPdEEvT1_T3_lS5_lPT2_S5_S5_.has_indirect_call, 0
	.section	.AMDGPU.csdata,"",@progbits
; Kernel info:
; codeLenInByte = 38896
; TotalNumSgprs: 18
; NumVgprs: 256
; ScratchSize: 164
; MemoryBound: 0
; FloatMode: 240
; IeeeMode: 1
; LDSByteSize: 0 bytes/workgroup (compile time only)
; SGPRBlocks: 0
; VGPRBlocks: 31
; NumSGPRsForWavesPerEU: 18
; NumVGPRsForWavesPerEU: 256
; Occupancy: 4
; WaveLimiterHint : 1
; COMPUTE_PGM_RSRC2:SCRATCH_EN: 1
; COMPUTE_PGM_RSRC2:USER_SGPR: 6
; COMPUTE_PGM_RSRC2:TRAP_HANDLER: 0
; COMPUTE_PGM_RSRC2:TGID_X_EN: 1
; COMPUTE_PGM_RSRC2:TGID_Y_EN: 1
; COMPUTE_PGM_RSRC2:TGID_Z_EN: 0
; COMPUTE_PGM_RSRC2:TIDIG_COMP_CNT: 1
	.section	.text._ZN9rocsolver6v33100L18getf2_small_kernelILi48EdiiPKPdEEvT1_T3_lS5_lPS5_llPT2_S5_S5_S7_l,"axG",@progbits,_ZN9rocsolver6v33100L18getf2_small_kernelILi48EdiiPKPdEEvT1_T3_lS5_lPS5_llPT2_S5_S5_S7_l,comdat
	.globl	_ZN9rocsolver6v33100L18getf2_small_kernelILi48EdiiPKPdEEvT1_T3_lS5_lPS5_llPT2_S5_S5_S7_l ; -- Begin function _ZN9rocsolver6v33100L18getf2_small_kernelILi48EdiiPKPdEEvT1_T3_lS5_lPS5_llPT2_S5_S5_S7_l
	.p2align	8
	.type	_ZN9rocsolver6v33100L18getf2_small_kernelILi48EdiiPKPdEEvT1_T3_lS5_lPS5_llPT2_S5_S5_S7_l,@function
_ZN9rocsolver6v33100L18getf2_small_kernelILi48EdiiPKPdEEvT1_T3_lS5_lPS5_llPT2_S5_S5_S7_l: ; @_ZN9rocsolver6v33100L18getf2_small_kernelILi48EdiiPKPdEEvT1_T3_lS5_lPS5_llPT2_S5_S5_S7_l
; %bb.0:
	s_clause 0x1
	s_load_dword s0, s[4:5], 0x6c
	s_load_dwordx2 s[12:13], s[4:5], 0x48
	s_waitcnt lgkmcnt(0)
	s_lshr_b32 s0, s0, 16
	v_mad_u64_u32 v[2:3], null, s7, s0, v[1:2]
	s_mov_b32 s0, exec_lo
	v_cmpx_gt_i32_e64 s12, v2
	s_cbranch_execz .LBB94_813
; %bb.1:
	s_clause 0x1
	s_load_dwordx4 s[0:3], s[4:5], 0x8
	s_load_dwordx4 s[8:11], s[4:5], 0x50
	v_ashrrev_i32_e32 v3, 31, v2
	v_lshlrev_b64 v[4:5], 3, v[2:3]
	s_waitcnt lgkmcnt(0)
	v_add_co_u32 v4, vcc_lo, s0, v4
	v_add_co_ci_u32_e64 v5, null, s1, v5, vcc_lo
	s_cmp_eq_u64 s[8:9], 0
	s_cselect_b32 s6, -1, 0
	global_load_dwordx2 v[6:7], v[4:5], off
	v_mov_b32_e32 v4, 0
	v_mov_b32_e32 v5, 0
	s_and_b32 vcc_lo, exec_lo, s6
	s_cbranch_vccnz .LBB94_3
; %bb.2:
	v_mul_lo_u32 v8, s11, v2
	v_mul_lo_u32 v9, s10, v3
	v_mad_u64_u32 v[4:5], null, s10, v2, 0
	v_add3_u32 v5, v5, v9, v8
	v_lshlrev_b64 v[4:5], 2, v[4:5]
	v_add_co_u32 v4, vcc_lo, s8, v4
	v_add_co_ci_u32_e64 v5, null, s9, v5, vcc_lo
.LBB94_3:
	s_clause 0x1
	s_load_dword s8, s[4:5], 0x18
	s_load_dword s7, s[4:5], 0x0
	s_lshl_b64 s[0:1], s[2:3], 3
	v_lshlrev_b32_e32 v148, 3, v0
	s_waitcnt vmcnt(0)
	v_add_co_u32 v106, vcc_lo, v6, s0
	v_add_co_ci_u32_e64 v107, null, s1, v7, vcc_lo
	s_waitcnt lgkmcnt(0)
	v_add3_u32 v8, s8, s8, v0
	s_ashr_i32 s9, s8, 31
	s_max_i32 s0, s7, 48
	s_lshl_b64 s[10:11], s[8:9], 3
	v_mul_lo_u32 v1, s0, v1
	v_add_nc_u32_e32 v10, s8, v8
	v_ashrrev_i32_e32 v9, 31, v8
	s_cmp_lt_i32 s7, 2
	v_ashrrev_i32_e32 v11, 31, v10
	v_add_nc_u32_e32 v12, s8, v10
	v_lshlrev_b64 v[8:9], 3, v[8:9]
	v_lshlrev_b64 v[6:7], 3, v[10:11]
	v_add_nc_u32_e32 v10, s8, v12
	v_ashrrev_i32_e32 v13, 31, v12
	v_add_co_u32 v8, vcc_lo, v106, v8
	v_add_co_ci_u32_e64 v9, null, v107, v9, vcc_lo
	v_add_nc_u32_e32 v14, s8, v10
	v_ashrrev_i32_e32 v11, 31, v10
	v_lshlrev_b64 v[12:13], 3, v[12:13]
	v_add_co_u32 v6, vcc_lo, v106, v6
	v_add_nc_u32_e32 v16, s8, v14
	v_ashrrev_i32_e32 v15, 31, v14
	v_lshlrev_b64 v[10:11], 3, v[10:11]
	v_add_co_ci_u32_e64 v7, null, v107, v7, vcc_lo
	v_add_nc_u32_e32 v18, s8, v16
	v_ashrrev_i32_e32 v17, 31, v16
	v_lshlrev_b64 v[14:15], 3, v[14:15]
	v_add_co_u32 v12, vcc_lo, v106, v12
	v_add_nc_u32_e32 v20, s8, v18
	v_ashrrev_i32_e32 v19, 31, v18
	v_lshlrev_b64 v[16:17], 3, v[16:17]
	v_add_co_ci_u32_e64 v13, null, v107, v13, vcc_lo
	v_add_nc_u32_e32 v22, s8, v20
	v_ashrrev_i32_e32 v21, 31, v20
	v_add_co_u32 v10, vcc_lo, v106, v10
	v_lshlrev_b64 v[18:19], 3, v[18:19]
	v_add_nc_u32_e32 v24, s8, v22
	v_ashrrev_i32_e32 v23, 31, v22
	v_add_co_ci_u32_e64 v11, null, v107, v11, vcc_lo
	v_add_co_u32 v14, vcc_lo, v106, v14
	v_add_nc_u32_e32 v26, s8, v24
	v_ashrrev_i32_e32 v25, 31, v24
	v_lshlrev_b64 v[20:21], 3, v[20:21]
	v_add_co_ci_u32_e64 v15, null, v107, v15, vcc_lo
	v_add_nc_u32_e32 v28, s8, v26
	v_ashrrev_i32_e32 v27, 31, v26
	v_add_co_u32 v16, vcc_lo, v106, v16
	v_lshlrev_b64 v[22:23], 3, v[22:23]
	v_add_nc_u32_e32 v30, s8, v28
	v_ashrrev_i32_e32 v29, 31, v28
	v_add_co_ci_u32_e64 v17, null, v107, v17, vcc_lo
	v_add_co_u32 v18, vcc_lo, v106, v18
	v_add_nc_u32_e32 v32, s8, v30
	v_lshlrev_b64 v[24:25], 3, v[24:25]
	v_ashrrev_i32_e32 v31, 31, v30
	v_add_co_ci_u32_e64 v19, null, v107, v19, vcc_lo
	v_add_nc_u32_e32 v34, s8, v32
	v_add_co_u32 v20, vcc_lo, v106, v20
	v_lshlrev_b64 v[26:27], 3, v[26:27]
	v_ashrrev_i32_e32 v33, 31, v32
	v_add_nc_u32_e32 v36, s8, v34
	v_add_co_ci_u32_e64 v21, null, v107, v21, vcc_lo
	v_add_co_u32 v22, vcc_lo, v106, v22
	v_add_nc_u32_e32 v38, s8, v36
	v_lshlrev_b64 v[28:29], 3, v[28:29]
	v_ashrrev_i32_e32 v35, 31, v34
	v_add_co_ci_u32_e64 v23, null, v107, v23, vcc_lo
	v_add_nc_u32_e32 v40, s8, v38
	v_add_co_u32 v24, vcc_lo, v106, v24
	v_lshlrev_b64 v[30:31], 3, v[30:31]
	v_ashrrev_i32_e32 v37, 31, v36
	v_add_nc_u32_e32 v42, s8, v40
	;; [unrolled: 11-line block ×3, first 2 shown]
	v_add_co_ci_u32_e64 v29, null, v107, v29, vcc_lo
	v_add_co_u32 v30, vcc_lo, v106, v30
	v_add_nc_u32_e32 v50, s8, v48
	v_lshlrev_b64 v[36:37], 3, v[36:37]
	v_ashrrev_i32_e32 v43, 31, v42
	v_add_co_ci_u32_e64 v31, null, v107, v31, vcc_lo
	v_add_co_u32 v32, vcc_lo, v106, v32
	v_lshlrev_b64 v[38:39], 3, v[38:39]
	v_ashrrev_i32_e32 v45, 31, v44
	v_add_co_ci_u32_e64 v33, null, v107, v33, vcc_lo
	v_add_co_u32 v34, vcc_lo, v106, v34
	v_lshlrev_b64 v[40:41], 3, v[40:41]
	v_add_nc_u32_e32 v52, s8, v50
	v_ashrrev_i32_e32 v47, 31, v46
	v_add_co_ci_u32_e64 v35, null, v107, v35, vcc_lo
	v_add_co_u32 v36, vcc_lo, v106, v36
	v_lshlrev_b64 v[42:43], 3, v[42:43]
	v_ashrrev_i32_e32 v49, 31, v48
	v_add_co_ci_u32_e64 v37, null, v107, v37, vcc_lo
	v_add_co_u32 v38, vcc_lo, v106, v38
	v_lshlrev_b64 v[44:45], 3, v[44:45]
	v_ashrrev_i32_e32 v51, 31, v50
	v_add_nc_u32_e32 v54, s8, v52
	v_add_co_ci_u32_e64 v39, null, v107, v39, vcc_lo
	v_add_co_u32 v40, vcc_lo, v106, v40
	v_lshlrev_b64 v[46:47], 3, v[46:47]
	v_ashrrev_i32_e32 v53, 31, v52
	v_add_co_ci_u32_e64 v41, null, v107, v41, vcc_lo
	v_add_co_u32 v42, vcc_lo, v106, v42
	v_lshlrev_b64 v[48:49], 3, v[48:49]
	v_add_co_ci_u32_e64 v43, null, v107, v43, vcc_lo
	v_add_co_u32 v44, vcc_lo, v106, v44
	v_lshlrev_b64 v[50:51], 3, v[50:51]
	v_add_nc_u32_e32 v56, s8, v54
	v_add_co_ci_u32_e64 v45, null, v107, v45, vcc_lo
	v_add_co_u32 v46, vcc_lo, v106, v46
	v_lshlrev_b64 v[52:53], 3, v[52:53]
	v_ashrrev_i32_e32 v55, 31, v54
	v_add_co_ci_u32_e64 v47, null, v107, v47, vcc_lo
	v_add_co_u32 v48, vcc_lo, v106, v48
	v_ashrrev_i32_e32 v57, 31, v56
	v_add_nc_u32_e32 v58, s8, v56
	v_add_co_ci_u32_e64 v49, null, v107, v49, vcc_lo
	v_add_co_u32 v50, vcc_lo, v106, v50
	v_lshlrev_b64 v[54:55], 3, v[54:55]
	v_add_co_ci_u32_e64 v51, null, v107, v51, vcc_lo
	v_add_co_u32 v100, vcc_lo, v106, v52
	v_add_co_ci_u32_e64 v101, null, v107, v53, vcc_lo
	v_lshlrev_b64 v[52:53], 3, v[56:57]
	v_ashrrev_i32_e32 v59, 31, v58
	v_add_nc_u32_e32 v56, s8, v58
	v_add_co_u32 v102, vcc_lo, v106, v54
	v_add_co_ci_u32_e64 v103, null, v107, v55, vcc_lo
	v_lshlrev_b64 v[54:55], 3, v[58:59]
	v_ashrrev_i32_e32 v57, 31, v56
	v_add_nc_u32_e32 v58, s8, v56
	;; [unrolled: 5-line block ×17, first 2 shown]
	v_add_co_u32 v136, vcc_lo, v106, v54
	v_add_co_ci_u32_e64 v137, null, v107, v55, vcc_lo
	v_lshlrev_b64 v[54:55], 3, v[58:59]
	v_add_nc_u32_e32 v58, s8, v56
	v_ashrrev_i32_e32 v57, 31, v56
	v_add_co_u32 v138, vcc_lo, v106, v52
	v_add_co_ci_u32_e64 v139, null, v107, v53, vcc_lo
	v_ashrrev_i32_e32 v59, 31, v58
	v_lshlrev_b64 v[52:53], 3, v[56:57]
	v_add_co_u32 v140, vcc_lo, v106, v54
	v_add_co_ci_u32_e64 v141, null, v107, v55, vcc_lo
	v_lshlrev_b64 v[54:55], 3, v[58:59]
	v_add_nc_u32_e32 v56, s8, v58
	v_add_co_u32 v142, vcc_lo, v106, v52
	v_add_co_ci_u32_e64 v143, null, v107, v53, vcc_lo
	v_ashrrev_i32_e32 v57, 31, v56
	v_add_co_u32 v144, vcc_lo, v106, v54
	v_add_co_ci_u32_e64 v145, null, v107, v55, vcc_lo
	v_add_co_u32 v54, vcc_lo, v106, v148
	v_add_co_ci_u32_e64 v55, null, 0, v107, vcc_lo
	v_lshlrev_b64 v[52:53], 3, v[56:57]
	v_add_co_u32 v56, vcc_lo, v54, s10
	v_add_co_ci_u32_e64 v57, null, s11, v55, vcc_lo
	v_add_co_u32 v146, vcc_lo, v106, v52
	v_add_co_ci_u32_e64 v147, null, v107, v53, vcc_lo
	s_clause 0x2f
	flat_load_dwordx2 v[98:99], v[54:55]
	flat_load_dwordx2 v[94:95], v[56:57]
	;; [unrolled: 1-line block ×48, first 2 shown]
	v_lshl_add_u32 v108, v1, 3, 0
	v_lshlrev_b32_e32 v109, 3, v1
	v_mov_b32_e32 v104, 0
	v_add_nc_u32_e32 v102, v108, v148
	s_waitcnt vmcnt(47) lgkmcnt(47)
	ds_write_b64 v102, v[98:99]
	s_waitcnt vmcnt(0) lgkmcnt(0)
	s_barrier
	buffer_gl0_inv
	ds_read_b64 v[102:103], v108
	s_cbranch_scc1 .LBB94_6
; %bb.4:
	v_add3_u32 v1, v109, 0, 8
	v_mov_b32_e32 v104, 0
	s_mov_b32 s0, 1
.LBB94_5:                               ; =>This Inner Loop Header: Depth=1
	ds_read_b64 v[110:111], v1
	v_add_nc_u32_e32 v1, 8, v1
	s_waitcnt lgkmcnt(0)
	v_cmp_lt_f64_e64 vcc_lo, |v[102:103]|, |v[110:111]|
	v_cndmask_b32_e32 v103, v103, v111, vcc_lo
	v_cndmask_b32_e32 v102, v102, v110, vcc_lo
	v_cndmask_b32_e64 v104, v104, s0, vcc_lo
	s_add_i32 s0, s0, 1
	s_cmp_eq_u32 s7, s0
	s_cbranch_scc0 .LBB94_5
.LBB94_6:
	s_mov_b32 s0, exec_lo
                                        ; implicit-def: $vgpr111
	v_cmpx_ne_u32_e64 v0, v104
	s_xor_b32 s0, exec_lo, s0
	s_cbranch_execz .LBB94_12
; %bb.7:
	s_mov_b32 s1, exec_lo
	v_cmpx_eq_u32_e32 0, v0
	s_cbranch_execz .LBB94_11
; %bb.8:
	v_cmp_ne_u32_e32 vcc_lo, 0, v104
	s_xor_b32 s2, s6, -1
	s_and_b32 s3, s2, vcc_lo
	s_and_saveexec_b32 s2, s3
	s_cbranch_execz .LBB94_10
; %bb.9:
	v_ashrrev_i32_e32 v105, 31, v104
	v_lshlrev_b64 v[0:1], 2, v[104:105]
	v_add_co_u32 v0, vcc_lo, v4, v0
	v_add_co_ci_u32_e64 v1, null, v5, v1, vcc_lo
	s_clause 0x1
	global_load_dword v105, v[0:1], off
	global_load_dword v110, v[4:5], off
	s_waitcnt vmcnt(1)
	global_store_dword v[4:5], v105, off
	s_waitcnt vmcnt(0)
	global_store_dword v[0:1], v110, off
.LBB94_10:
	s_or_b32 exec_lo, exec_lo, s2
	v_mov_b32_e32 v0, v104
.LBB94_11:
	s_or_b32 exec_lo, exec_lo, s1
	v_mov_b32_e32 v111, v0
                                        ; implicit-def: $vgpr0
.LBB94_12:
	s_or_saveexec_b32 s0, s0
	v_mov_b32_e32 v110, v111
	s_xor_b32 exec_lo, exec_lo, s0
	s_cbranch_execz .LBB94_14
; %bb.13:
	v_mov_b32_e32 v111, 0
	v_mov_b32_e32 v110, v0
	ds_write2_b64 v108, v[94:95], v[96:97] offset0:1 offset1:2
	ds_write2_b64 v108, v[92:93], v[90:91] offset0:3 offset1:4
	;; [unrolled: 1-line block ×23, first 2 shown]
	ds_write_b64 v108, v[100:101] offset:376
.LBB94_14:
	s_or_b32 exec_lo, exec_lo, s0
	s_waitcnt lgkmcnt(0)
	v_cmp_eq_f64_e64 s0, 0, v[102:103]
	s_mov_b32 s1, exec_lo
	s_waitcnt_vscnt null, 0x0
	s_barrier
	buffer_gl0_inv
	v_cmpx_lt_i32_e32 0, v111
	s_cbranch_execz .LBB94_16
; %bb.15:
	v_div_scale_f64 v[0:1], null, v[102:103], v[102:103], 1.0
	v_div_scale_f64 v[114:115], vcc_lo, 1.0, v[102:103], 1.0
	v_rcp_f64_e32 v[104:105], v[0:1]
	v_fma_f64 v[112:113], -v[0:1], v[104:105], 1.0
	v_fma_f64 v[104:105], v[104:105], v[112:113], v[104:105]
	v_fma_f64 v[112:113], -v[0:1], v[104:105], 1.0
	v_fma_f64 v[104:105], v[104:105], v[112:113], v[104:105]
	v_mul_f64 v[112:113], v[114:115], v[104:105]
	v_fma_f64 v[0:1], -v[0:1], v[112:113], v[114:115]
	v_div_fmas_f64 v[0:1], v[0:1], v[104:105], v[112:113]
	v_div_fixup_f64 v[0:1], v[0:1], v[102:103], 1.0
	v_cndmask_b32_e64 v1, v1, v103, s0
	v_cndmask_b32_e64 v0, v0, v102, s0
	ds_read2_b64 v[102:105], v108 offset0:1 offset1:2
	ds_read2_b64 v[112:115], v108 offset0:3 offset1:4
	;; [unrolled: 1-line block ×22, first 2 shown]
	v_mul_f64 v[98:99], v[0:1], v[98:99]
	s_waitcnt lgkmcnt(21)
	v_fma_f64 v[94:95], -v[98:99], v[102:103], v[94:95]
	v_fma_f64 v[96:97], -v[98:99], v[104:105], v[96:97]
	ds_read2_b64 v[102:105], v108 offset0:45 offset1:46
	ds_read_b64 v[0:1], v108 offset:376
	s_waitcnt lgkmcnt(22)
	v_fma_f64 v[92:93], -v[98:99], v[112:113], v[92:93]
	v_fma_f64 v[90:91], -v[98:99], v[114:115], v[90:91]
	s_waitcnt lgkmcnt(21)
	v_fma_f64 v[88:89], -v[98:99], v[116:117], v[88:89]
	v_fma_f64 v[86:87], -v[98:99], v[118:119], v[86:87]
	;; [unrolled: 3-line block ×22, first 2 shown]
	s_waitcnt lgkmcnt(0)
	v_fma_f64 v[100:101], -v[98:99], v[0:1], v[100:101]
.LBB94_16:
	s_or_b32 exec_lo, exec_lo, s1
	v_lshl_add_u32 v0, v111, 3, v108
	s_barrier
	buffer_gl0_inv
	v_mov_b32_e32 v102, 1
	ds_write_b64 v0, v[94:95]
	s_waitcnt lgkmcnt(0)
	s_barrier
	buffer_gl0_inv
	ds_read_b64 v[0:1], v108 offset:8
	s_cmp_lt_i32 s7, 3
	s_cbranch_scc1 .LBB94_19
; %bb.17:
	v_add3_u32 v103, v109, 0, 16
	v_mov_b32_e32 v102, 1
	s_mov_b32 s1, 2
.LBB94_18:                              ; =>This Inner Loop Header: Depth=1
	ds_read_b64 v[104:105], v103
	v_add_nc_u32_e32 v103, 8, v103
	s_waitcnt lgkmcnt(0)
	v_cmp_lt_f64_e64 vcc_lo, |v[0:1]|, |v[104:105]|
	v_cndmask_b32_e32 v1, v1, v105, vcc_lo
	v_cndmask_b32_e32 v0, v0, v104, vcc_lo
	v_cndmask_b32_e64 v102, v102, s1, vcc_lo
	s_add_i32 s1, s1, 1
	s_cmp_lg_u32 s7, s1
	s_cbranch_scc1 .LBB94_18
.LBB94_19:
	s_mov_b32 s1, exec_lo
	v_cmpx_ne_u32_e64 v111, v102
	s_xor_b32 s1, exec_lo, s1
	s_cbranch_execz .LBB94_25
; %bb.20:
	s_mov_b32 s2, exec_lo
	v_cmpx_eq_u32_e32 1, v111
	s_cbranch_execz .LBB94_24
; %bb.21:
	v_cmp_ne_u32_e32 vcc_lo, 1, v102
	s_xor_b32 s3, s6, -1
	s_and_b32 s9, s3, vcc_lo
	s_and_saveexec_b32 s3, s9
	s_cbranch_execz .LBB94_23
; %bb.22:
	v_ashrrev_i32_e32 v103, 31, v102
	v_lshlrev_b64 v[103:104], 2, v[102:103]
	v_add_co_u32 v103, vcc_lo, v4, v103
	v_add_co_ci_u32_e64 v104, null, v5, v104, vcc_lo
	s_clause 0x1
	global_load_dword v105, v[103:104], off
	global_load_dword v110, v[4:5], off offset:4
	s_waitcnt vmcnt(1)
	global_store_dword v[4:5], v105, off offset:4
	s_waitcnt vmcnt(0)
	global_store_dword v[103:104], v110, off
.LBB94_23:
	s_or_b32 exec_lo, exec_lo, s3
	v_mov_b32_e32 v110, v102
	v_mov_b32_e32 v111, v102
.LBB94_24:
	s_or_b32 exec_lo, exec_lo, s2
.LBB94_25:
	s_andn2_saveexec_b32 s1, s1
	s_cbranch_execz .LBB94_27
; %bb.26:
	v_mov_b32_e32 v102, v96
	v_mov_b32_e32 v103, v97
	;; [unrolled: 1-line block ×16, first 2 shown]
	ds_write2_b64 v108, v[102:103], v[104:105] offset0:2 offset1:3
	ds_write2_b64 v108, v[111:112], v[113:114] offset0:4 offset1:5
	ds_write2_b64 v108, v[115:116], v[117:118] offset0:6 offset1:7
	ds_write2_b64 v108, v[119:120], v[121:122] offset0:8 offset1:9
	v_mov_b32_e32 v102, v80
	v_mov_b32_e32 v103, v81
	v_mov_b32_e32 v104, v74
	v_mov_b32_e32 v105, v75
	v_mov_b32_e32 v111, v76
	v_mov_b32_e32 v112, v77
	v_mov_b32_e32 v113, v72
	v_mov_b32_e32 v114, v73
	v_mov_b32_e32 v115, v70
	v_mov_b32_e32 v116, v71
	v_mov_b32_e32 v117, v68
	v_mov_b32_e32 v118, v69
	v_mov_b32_e32 v119, v66
	v_mov_b32_e32 v120, v67
	v_mov_b32_e32 v121, v64
	v_mov_b32_e32 v122, v65
	v_mov_b32_e32 v123, v62
	v_mov_b32_e32 v124, v63
	v_mov_b32_e32 v125, v58
	v_mov_b32_e32 v126, v59
	ds_write2_b64 v108, v[102:103], v[104:105] offset0:10 offset1:11
	ds_write2_b64 v108, v[111:112], v[113:114] offset0:12 offset1:13
	ds_write2_b64 v108, v[115:116], v[117:118] offset0:14 offset1:15
	ds_write2_b64 v108, v[119:120], v[121:122] offset0:16 offset1:17
	ds_write2_b64 v108, v[123:124], v[125:126] offset0:18 offset1:19
	v_mov_b32_e32 v102, v60
	v_mov_b32_e32 v103, v61
	v_mov_b32_e32 v104, v54
	v_mov_b32_e32 v105, v55
	v_mov_b32_e32 v111, v56
	v_mov_b32_e32 v112, v57
	v_mov_b32_e32 v113, v52
	v_mov_b32_e32 v114, v53
	v_mov_b32_e32 v115, v50
	v_mov_b32_e32 v116, v51
	v_mov_b32_e32 v117, v48
	v_mov_b32_e32 v118, v49
	v_mov_b32_e32 v119, v46
	v_mov_b32_e32 v120, v47
	v_mov_b32_e32 v121, v44
	v_mov_b32_e32 v122, v45
	v_mov_b32_e32 v123, v42
	v_mov_b32_e32 v124, v43
	v_mov_b32_e32 v125, v38
	v_mov_b32_e32 v126, v39
	ds_write2_b64 v108, v[102:103], v[104:105] offset0:20 offset1:21
	ds_write2_b64 v108, v[111:112], v[113:114] offset0:22 offset1:23
	ds_write2_b64 v108, v[115:116], v[117:118] offset0:24 offset1:25
	ds_write2_b64 v108, v[119:120], v[121:122] offset0:26 offset1:27
	ds_write2_b64 v108, v[123:124], v[125:126] offset0:28 offset1:29
	v_mov_b32_e32 v102, v40
	v_mov_b32_e32 v103, v41
	v_mov_b32_e32 v104, v34
	v_mov_b32_e32 v105, v35
	v_mov_b32_e32 v111, v36
	v_mov_b32_e32 v112, v37
	v_mov_b32_e32 v113, v32
	v_mov_b32_e32 v114, v33
	v_mov_b32_e32 v115, v30
	v_mov_b32_e32 v116, v31
	v_mov_b32_e32 v117, v28
	v_mov_b32_e32 v118, v29
	v_mov_b32_e32 v119, v26
	v_mov_b32_e32 v120, v27
	v_mov_b32_e32 v121, v24
	v_mov_b32_e32 v122, v25
	v_mov_b32_e32 v123, v22
	v_mov_b32_e32 v124, v23
	v_mov_b32_e32 v125, v18
	v_mov_b32_e32 v126, v19
	ds_write2_b64 v108, v[102:103], v[104:105] offset0:30 offset1:31
	ds_write2_b64 v108, v[111:112], v[113:114] offset0:32 offset1:33
	ds_write2_b64 v108, v[115:116], v[117:118] offset0:34 offset1:35
	;; [unrolled: 1-line block ×4, first 2 shown]
	v_mov_b32_e32 v102, v20
	v_mov_b32_e32 v103, v21
	;; [unrolled: 1-line block ×15, first 2 shown]
	ds_write2_b64 v108, v[102:103], v[104:105] offset0:40 offset1:41
	ds_write2_b64 v108, v[112:113], v[114:115] offset0:42 offset1:43
	;; [unrolled: 1-line block ×4, first 2 shown]
.LBB94_27:
	s_or_b32 exec_lo, exec_lo, s1
	s_waitcnt lgkmcnt(0)
	v_cmp_neq_f64_e64 s1, 0, v[0:1]
	s_mov_b32 s2, exec_lo
	s_waitcnt_vscnt null, 0x0
	s_barrier
	buffer_gl0_inv
	v_cmpx_lt_i32_e32 1, v111
	s_cbranch_execz .LBB94_29
; %bb.28:
	v_div_scale_f64 v[102:103], null, v[0:1], v[0:1], 1.0
	v_div_scale_f64 v[114:115], vcc_lo, 1.0, v[0:1], 1.0
	v_rcp_f64_e32 v[104:105], v[102:103]
	v_fma_f64 v[112:113], -v[102:103], v[104:105], 1.0
	v_fma_f64 v[104:105], v[104:105], v[112:113], v[104:105]
	v_fma_f64 v[112:113], -v[102:103], v[104:105], 1.0
	v_fma_f64 v[104:105], v[104:105], v[112:113], v[104:105]
	v_mul_f64 v[112:113], v[114:115], v[104:105]
	v_fma_f64 v[102:103], -v[102:103], v[112:113], v[114:115]
	v_div_fmas_f64 v[102:103], v[102:103], v[104:105], v[112:113]
	v_div_fixup_f64 v[102:103], v[102:103], v[0:1], 1.0
	v_cndmask_b32_e64 v1, v1, v103, s1
	v_cndmask_b32_e64 v0, v0, v102, s1
	ds_read2_b64 v[102:105], v108 offset0:2 offset1:3
	ds_read2_b64 v[112:115], v108 offset0:4 offset1:5
	;; [unrolled: 1-line block ×23, first 2 shown]
	v_mul_f64 v[94:95], v[0:1], v[94:95]
	s_waitcnt lgkmcnt(22)
	v_fma_f64 v[96:97], -v[94:95], v[102:103], v[96:97]
	v_fma_f64 v[92:93], -v[94:95], v[104:105], v[92:93]
	s_waitcnt lgkmcnt(21)
	v_fma_f64 v[90:91], -v[94:95], v[112:113], v[90:91]
	v_fma_f64 v[88:89], -v[94:95], v[114:115], v[88:89]
	;; [unrolled: 3-line block ×23, first 2 shown]
.LBB94_29:
	s_or_b32 exec_lo, exec_lo, s2
	v_lshl_add_u32 v0, v111, 3, v108
	s_barrier
	buffer_gl0_inv
	v_mov_b32_e32 v102, 2
	ds_write_b64 v0, v[96:97]
	s_waitcnt lgkmcnt(0)
	s_barrier
	buffer_gl0_inv
	ds_read_b64 v[0:1], v108 offset:16
	s_cmp_lt_i32 s7, 4
	s_mov_b32 s2, 3
	s_cbranch_scc1 .LBB94_32
; %bb.30:
	v_add3_u32 v103, v109, 0, 24
	v_mov_b32_e32 v102, 2
.LBB94_31:                              ; =>This Inner Loop Header: Depth=1
	ds_read_b64 v[104:105], v103
	v_add_nc_u32_e32 v103, 8, v103
	s_waitcnt lgkmcnt(0)
	v_cmp_lt_f64_e64 vcc_lo, |v[0:1]|, |v[104:105]|
	v_cndmask_b32_e32 v1, v1, v105, vcc_lo
	v_cndmask_b32_e32 v0, v0, v104, vcc_lo
	v_cndmask_b32_e64 v102, v102, s2, vcc_lo
	s_add_i32 s2, s2, 1
	s_cmp_lg_u32 s7, s2
	s_cbranch_scc1 .LBB94_31
.LBB94_32:
	v_cndmask_b32_e64 v103, 2, 1, s0
	v_cndmask_b32_e64 v104, 0, 1, s0
	s_mov_b32 s0, exec_lo
	v_cndmask_b32_e64 v105, v103, v104, s1
	s_waitcnt lgkmcnt(0)
	v_cmpx_eq_f64_e32 0, v[0:1]
	s_xor_b32 s0, exec_lo, s0
; %bb.33:
	v_cmp_ne_u32_e32 vcc_lo, 0, v105
	v_cndmask_b32_e32 v105, 3, v105, vcc_lo
; %bb.34:
	s_andn2_saveexec_b32 s0, s0
	s_cbranch_execz .LBB94_36
; %bb.35:
	v_div_scale_f64 v[103:104], null, v[0:1], v[0:1], 1.0
	v_rcp_f64_e32 v[112:113], v[103:104]
	v_fma_f64 v[114:115], -v[103:104], v[112:113], 1.0
	v_fma_f64 v[112:113], v[112:113], v[114:115], v[112:113]
	v_fma_f64 v[114:115], -v[103:104], v[112:113], 1.0
	v_fma_f64 v[112:113], v[112:113], v[114:115], v[112:113]
	v_div_scale_f64 v[114:115], vcc_lo, 1.0, v[0:1], 1.0
	v_mul_f64 v[116:117], v[114:115], v[112:113]
	v_fma_f64 v[103:104], -v[103:104], v[116:117], v[114:115]
	v_div_fmas_f64 v[103:104], v[103:104], v[112:113], v[116:117]
	v_div_fixup_f64 v[0:1], v[103:104], v[0:1], 1.0
.LBB94_36:
	s_or_b32 exec_lo, exec_lo, s0
	s_mov_b32 s0, exec_lo
	v_cmpx_ne_u32_e64 v111, v102
	s_xor_b32 s0, exec_lo, s0
	s_cbranch_execz .LBB94_42
; %bb.37:
	s_mov_b32 s1, exec_lo
	v_cmpx_eq_u32_e32 2, v111
	s_cbranch_execz .LBB94_41
; %bb.38:
	v_cmp_ne_u32_e32 vcc_lo, 2, v102
	s_xor_b32 s2, s6, -1
	s_and_b32 s3, s2, vcc_lo
	s_and_saveexec_b32 s2, s3
	s_cbranch_execz .LBB94_40
; %bb.39:
	v_ashrrev_i32_e32 v103, 31, v102
	v_lshlrev_b64 v[103:104], 2, v[102:103]
	v_add_co_u32 v103, vcc_lo, v4, v103
	v_add_co_ci_u32_e64 v104, null, v5, v104, vcc_lo
	s_clause 0x1
	global_load_dword v110, v[103:104], off
	global_load_dword v111, v[4:5], off offset:8
	s_waitcnt vmcnt(1)
	global_store_dword v[4:5], v110, off offset:8
	s_waitcnt vmcnt(0)
	global_store_dword v[103:104], v111, off
.LBB94_40:
	s_or_b32 exec_lo, exec_lo, s2
	v_mov_b32_e32 v110, v102
	v_mov_b32_e32 v111, v102
.LBB94_41:
	s_or_b32 exec_lo, exec_lo, s1
.LBB94_42:
	s_andn2_saveexec_b32 s0, s0
	s_cbranch_execz .LBB94_44
; %bb.43:
	v_mov_b32_e32 v111, 2
	ds_write2_b64 v108, v[92:93], v[90:91] offset0:3 offset1:4
	ds_write2_b64 v108, v[88:89], v[86:87] offset0:5 offset1:6
	;; [unrolled: 1-line block ×22, first 2 shown]
	ds_write_b64 v108, v[100:101] offset:376
.LBB94_44:
	s_or_b32 exec_lo, exec_lo, s0
	s_mov_b32 s0, exec_lo
	s_waitcnt lgkmcnt(0)
	s_waitcnt_vscnt null, 0x0
	s_barrier
	buffer_gl0_inv
	v_cmpx_lt_i32_e32 2, v111
	s_cbranch_execz .LBB94_46
; %bb.45:
	v_mul_f64 v[96:97], v[0:1], v[96:97]
	ds_read2_b64 v[112:115], v108 offset0:3 offset1:4
	ds_read2_b64 v[116:119], v108 offset0:5 offset1:6
	;; [unrolled: 1-line block ×11, first 2 shown]
	ds_read_b64 v[0:1], v108 offset:376
	s_waitcnt lgkmcnt(11)
	v_fma_f64 v[92:93], -v[96:97], v[112:113], v[92:93]
	v_fma_f64 v[90:91], -v[96:97], v[114:115], v[90:91]
	ds_read2_b64 v[112:115], v108 offset0:25 offset1:26
	s_waitcnt lgkmcnt(11)
	v_fma_f64 v[88:89], -v[96:97], v[116:117], v[88:89]
	v_fma_f64 v[86:87], -v[96:97], v[118:119], v[86:87]
	s_waitcnt lgkmcnt(10)
	v_fma_f64 v[84:85], -v[96:97], v[120:121], v[84:85]
	v_fma_f64 v[82:83], -v[96:97], v[122:123], v[82:83]
	;; [unrolled: 3-line block ×6, first 2 shown]
	ds_read2_b64 v[116:119], v108 offset0:27 offset1:28
	s_waitcnt lgkmcnt(6)
	v_fma_f64 v[64:65], -v[96:97], v[140:141], v[64:65]
	v_fma_f64 v[62:63], -v[96:97], v[142:143], v[62:63]
	ds_read2_b64 v[120:123], v108 offset0:29 offset1:30
	ds_read2_b64 v[124:127], v108 offset0:31 offset1:32
	s_waitcnt lgkmcnt(7)
	v_fma_f64 v[58:59], -v[96:97], v[144:145], v[58:59]
	v_fma_f64 v[60:61], -v[96:97], v[146:147], v[60:61]
	ds_read2_b64 v[128:131], v108 offset0:33 offset1:34
	;; [unrolled: 5-line block ×3, first 2 shown]
	ds_read2_b64 v[140:143], v108 offset0:39 offset1:40
	ds_read2_b64 v[144:147], v108 offset0:41 offset1:42
	;; [unrolled: 1-line block ×3, first 2 shown]
	s_waitcnt lgkmcnt(9)
	v_fma_f64 v[48:49], -v[96:97], v[112:113], v[48:49]
	v_fma_f64 v[46:47], -v[96:97], v[114:115], v[46:47]
	ds_read2_b64 v[112:115], v108 offset0:45 offset1:46
	v_fma_f64 v[52:53], -v[96:97], v[152:153], v[52:53]
	v_fma_f64 v[50:51], -v[96:97], v[154:155], v[50:51]
	s_waitcnt lgkmcnt(9)
	v_fma_f64 v[44:45], -v[96:97], v[116:117], v[44:45]
	v_fma_f64 v[42:43], -v[96:97], v[118:119], v[42:43]
	;; [unrolled: 1-line block ×3, first 2 shown]
	s_waitcnt lgkmcnt(8)
	v_fma_f64 v[38:39], -v[96:97], v[120:121], v[38:39]
	v_fma_f64 v[40:41], -v[96:97], v[122:123], v[40:41]
	s_waitcnt lgkmcnt(7)
	v_fma_f64 v[34:35], -v[96:97], v[124:125], v[34:35]
	v_fma_f64 v[36:37], -v[96:97], v[126:127], v[36:37]
	;; [unrolled: 3-line block ×9, first 2 shown]
.LBB94_46:
	s_or_b32 exec_lo, exec_lo, s0
	v_lshl_add_u32 v0, v111, 3, v108
	s_barrier
	buffer_gl0_inv
	v_mov_b32_e32 v102, 3
	ds_write_b64 v0, v[92:93]
	s_waitcnt lgkmcnt(0)
	s_barrier
	buffer_gl0_inv
	ds_read_b64 v[0:1], v108 offset:24
	s_cmp_lt_i32 s7, 5
	s_cbranch_scc1 .LBB94_49
; %bb.47:
	v_mov_b32_e32 v102, 3
	v_add3_u32 v103, v109, 0, 32
	s_mov_b32 s0, 4
.LBB94_48:                              ; =>This Inner Loop Header: Depth=1
	ds_read_b64 v[112:113], v103
	v_add_nc_u32_e32 v103, 8, v103
	s_waitcnt lgkmcnt(0)
	v_cmp_lt_f64_e64 vcc_lo, |v[0:1]|, |v[112:113]|
	v_cndmask_b32_e32 v1, v1, v113, vcc_lo
	v_cndmask_b32_e32 v0, v0, v112, vcc_lo
	v_cndmask_b32_e64 v102, v102, s0, vcc_lo
	s_add_i32 s0, s0, 1
	s_cmp_lg_u32 s7, s0
	s_cbranch_scc1 .LBB94_48
.LBB94_49:
	s_mov_b32 s0, exec_lo
	s_waitcnt lgkmcnt(0)
	v_cmpx_eq_f64_e32 0, v[0:1]
	s_xor_b32 s0, exec_lo, s0
; %bb.50:
	v_cmp_ne_u32_e32 vcc_lo, 0, v105
	v_cndmask_b32_e32 v105, 4, v105, vcc_lo
; %bb.51:
	s_andn2_saveexec_b32 s0, s0
	s_cbranch_execz .LBB94_53
; %bb.52:
	v_div_scale_f64 v[103:104], null, v[0:1], v[0:1], 1.0
	v_rcp_f64_e32 v[112:113], v[103:104]
	v_fma_f64 v[114:115], -v[103:104], v[112:113], 1.0
	v_fma_f64 v[112:113], v[112:113], v[114:115], v[112:113]
	v_fma_f64 v[114:115], -v[103:104], v[112:113], 1.0
	v_fma_f64 v[112:113], v[112:113], v[114:115], v[112:113]
	v_div_scale_f64 v[114:115], vcc_lo, 1.0, v[0:1], 1.0
	v_mul_f64 v[116:117], v[114:115], v[112:113]
	v_fma_f64 v[103:104], -v[103:104], v[116:117], v[114:115]
	v_div_fmas_f64 v[103:104], v[103:104], v[112:113], v[116:117]
	v_div_fixup_f64 v[0:1], v[103:104], v[0:1], 1.0
.LBB94_53:
	s_or_b32 exec_lo, exec_lo, s0
	s_mov_b32 s0, exec_lo
	v_cmpx_ne_u32_e64 v111, v102
	s_xor_b32 s0, exec_lo, s0
	s_cbranch_execz .LBB94_59
; %bb.54:
	s_mov_b32 s1, exec_lo
	v_cmpx_eq_u32_e32 3, v111
	s_cbranch_execz .LBB94_58
; %bb.55:
	v_cmp_ne_u32_e32 vcc_lo, 3, v102
	s_xor_b32 s2, s6, -1
	s_and_b32 s3, s2, vcc_lo
	s_and_saveexec_b32 s2, s3
	s_cbranch_execz .LBB94_57
; %bb.56:
	v_ashrrev_i32_e32 v103, 31, v102
	v_lshlrev_b64 v[103:104], 2, v[102:103]
	v_add_co_u32 v103, vcc_lo, v4, v103
	v_add_co_ci_u32_e64 v104, null, v5, v104, vcc_lo
	s_clause 0x1
	global_load_dword v110, v[103:104], off
	global_load_dword v111, v[4:5], off offset:12
	s_waitcnt vmcnt(1)
	global_store_dword v[4:5], v110, off offset:12
	s_waitcnt vmcnt(0)
	global_store_dword v[103:104], v111, off
.LBB94_57:
	s_or_b32 exec_lo, exec_lo, s2
	v_mov_b32_e32 v110, v102
	v_mov_b32_e32 v111, v102
.LBB94_58:
	s_or_b32 exec_lo, exec_lo, s1
.LBB94_59:
	s_andn2_saveexec_b32 s0, s0
	s_cbranch_execz .LBB94_61
; %bb.60:
	v_mov_b32_e32 v102, v90
	v_mov_b32_e32 v103, v91
	;; [unrolled: 1-line block ×12, first 2 shown]
	ds_write2_b64 v108, v[102:103], v[111:112] offset0:4 offset1:5
	ds_write2_b64 v108, v[113:114], v[115:116] offset0:6 offset1:7
	ds_write2_b64 v108, v[117:118], v[119:120] offset0:8 offset1:9
	v_mov_b32_e32 v102, v80
	v_mov_b32_e32 v103, v81
	v_mov_b32_e32 v111, v74
	v_mov_b32_e32 v112, v75
	v_mov_b32_e32 v113, v76
	v_mov_b32_e32 v114, v77
	v_mov_b32_e32 v115, v72
	v_mov_b32_e32 v116, v73
	v_mov_b32_e32 v117, v70
	v_mov_b32_e32 v118, v71
	v_mov_b32_e32 v119, v68
	v_mov_b32_e32 v120, v69
	v_mov_b32_e32 v121, v66
	v_mov_b32_e32 v122, v67
	v_mov_b32_e32 v123, v64
	v_mov_b32_e32 v124, v65
	v_mov_b32_e32 v125, v62
	v_mov_b32_e32 v126, v63
	v_mov_b32_e32 v127, v58
	v_mov_b32_e32 v128, v59
	ds_write2_b64 v108, v[102:103], v[111:112] offset0:10 offset1:11
	ds_write2_b64 v108, v[113:114], v[115:116] offset0:12 offset1:13
	ds_write2_b64 v108, v[117:118], v[119:120] offset0:14 offset1:15
	ds_write2_b64 v108, v[121:122], v[123:124] offset0:16 offset1:17
	ds_write2_b64 v108, v[125:126], v[127:128] offset0:18 offset1:19
	v_mov_b32_e32 v102, v60
	v_mov_b32_e32 v103, v61
	v_mov_b32_e32 v111, v54
	v_mov_b32_e32 v112, v55
	v_mov_b32_e32 v113, v56
	v_mov_b32_e32 v114, v57
	v_mov_b32_e32 v115, v52
	v_mov_b32_e32 v116, v53
	v_mov_b32_e32 v117, v50
	v_mov_b32_e32 v118, v51
	v_mov_b32_e32 v119, v48
	v_mov_b32_e32 v120, v49
	v_mov_b32_e32 v121, v46
	v_mov_b32_e32 v122, v47
	v_mov_b32_e32 v123, v44
	v_mov_b32_e32 v124, v45
	v_mov_b32_e32 v125, v42
	v_mov_b32_e32 v126, v43
	v_mov_b32_e32 v127, v38
	v_mov_b32_e32 v128, v39
	ds_write2_b64 v108, v[102:103], v[111:112] offset0:20 offset1:21
	ds_write2_b64 v108, v[113:114], v[115:116] offset0:22 offset1:23
	;; [unrolled: 25-line block ×3, first 2 shown]
	ds_write2_b64 v108, v[117:118], v[119:120] offset0:34 offset1:35
	ds_write2_b64 v108, v[121:122], v[123:124] offset0:36 offset1:37
	;; [unrolled: 1-line block ×3, first 2 shown]
	v_mov_b32_e32 v102, v20
	v_mov_b32_e32 v103, v21
	;; [unrolled: 1-line block ×15, first 2 shown]
	ds_write2_b64 v108, v[102:103], v[112:113] offset0:40 offset1:41
	ds_write2_b64 v108, v[114:115], v[116:117] offset0:42 offset1:43
	ds_write2_b64 v108, v[118:119], v[120:121] offset0:44 offset1:45
	ds_write2_b64 v108, v[122:123], v[100:101] offset0:46 offset1:47
.LBB94_61:
	s_or_b32 exec_lo, exec_lo, s0
	s_mov_b32 s0, exec_lo
	s_waitcnt lgkmcnt(0)
	s_waitcnt_vscnt null, 0x0
	s_barrier
	buffer_gl0_inv
	v_cmpx_lt_i32_e32 3, v111
	s_cbranch_execz .LBB94_63
; %bb.62:
	v_mul_f64 v[92:93], v[0:1], v[92:93]
	ds_read2_b64 v[112:115], v108 offset0:4 offset1:5
	ds_read2_b64 v[116:119], v108 offset0:6 offset1:7
	;; [unrolled: 1-line block ×11, first 2 shown]
	s_waitcnt lgkmcnt(10)
	v_fma_f64 v[90:91], -v[92:93], v[112:113], v[90:91]
	v_fma_f64 v[88:89], -v[92:93], v[114:115], v[88:89]
	s_waitcnt lgkmcnt(9)
	v_fma_f64 v[86:87], -v[92:93], v[116:117], v[86:87]
	v_fma_f64 v[84:85], -v[92:93], v[118:119], v[84:85]
	;; [unrolled: 3-line block ×6, first 2 shown]
	ds_read2_b64 v[112:115], v108 offset0:26 offset1:27
	ds_read2_b64 v[116:119], v108 offset0:28 offset1:29
	s_waitcnt lgkmcnt(6)
	v_fma_f64 v[66:67], -v[92:93], v[136:137], v[66:67]
	v_fma_f64 v[64:65], -v[92:93], v[138:139], v[64:65]
	s_waitcnt lgkmcnt(5)
	v_fma_f64 v[62:63], -v[92:93], v[140:141], v[62:63]
	ds_read2_b64 v[120:123], v108 offset0:30 offset1:31
	ds_read2_b64 v[124:127], v108 offset0:32 offset1:33
	v_fma_f64 v[58:59], -v[92:93], v[142:143], v[58:59]
	s_waitcnt lgkmcnt(6)
	v_fma_f64 v[60:61], -v[92:93], v[144:145], v[60:61]
	ds_read2_b64 v[128:131], v108 offset0:34 offset1:35
	ds_read2_b64 v[132:135], v108 offset0:36 offset1:37
	;; [unrolled: 5-line block ×4, first 2 shown]
	v_fma_f64 v[48:49], -v[92:93], v[154:155], v[48:49]
	ds_read2_b64 v[152:155], v108 offset0:46 offset1:47
	s_waitcnt lgkmcnt(10)
	v_fma_f64 v[46:47], -v[92:93], v[112:113], v[46:47]
	v_fma_f64 v[44:45], -v[92:93], v[114:115], v[44:45]
	s_waitcnt lgkmcnt(9)
	v_fma_f64 v[42:43], -v[92:93], v[116:117], v[42:43]
	v_fma_f64 v[38:39], -v[92:93], v[118:119], v[38:39]
	;; [unrolled: 3-line block ×11, first 2 shown]
.LBB94_63:
	s_or_b32 exec_lo, exec_lo, s0
	v_lshl_add_u32 v0, v111, 3, v108
	s_barrier
	buffer_gl0_inv
	v_mov_b32_e32 v102, 4
	ds_write_b64 v0, v[90:91]
	s_waitcnt lgkmcnt(0)
	s_barrier
	buffer_gl0_inv
	ds_read_b64 v[0:1], v108 offset:32
	s_cmp_lt_i32 s7, 6
	s_cbranch_scc1 .LBB94_66
; %bb.64:
	v_add3_u32 v103, v109, 0, 40
	v_mov_b32_e32 v102, 4
	s_mov_b32 s0, 5
.LBB94_65:                              ; =>This Inner Loop Header: Depth=1
	ds_read_b64 v[112:113], v103
	v_add_nc_u32_e32 v103, 8, v103
	s_waitcnt lgkmcnt(0)
	v_cmp_lt_f64_e64 vcc_lo, |v[0:1]|, |v[112:113]|
	v_cndmask_b32_e32 v1, v1, v113, vcc_lo
	v_cndmask_b32_e32 v0, v0, v112, vcc_lo
	v_cndmask_b32_e64 v102, v102, s0, vcc_lo
	s_add_i32 s0, s0, 1
	s_cmp_lg_u32 s7, s0
	s_cbranch_scc1 .LBB94_65
.LBB94_66:
	s_mov_b32 s0, exec_lo
	s_waitcnt lgkmcnt(0)
	v_cmpx_eq_f64_e32 0, v[0:1]
	s_xor_b32 s0, exec_lo, s0
; %bb.67:
	v_cmp_ne_u32_e32 vcc_lo, 0, v105
	v_cndmask_b32_e32 v105, 5, v105, vcc_lo
; %bb.68:
	s_andn2_saveexec_b32 s0, s0
	s_cbranch_execz .LBB94_70
; %bb.69:
	v_div_scale_f64 v[103:104], null, v[0:1], v[0:1], 1.0
	v_rcp_f64_e32 v[112:113], v[103:104]
	v_fma_f64 v[114:115], -v[103:104], v[112:113], 1.0
	v_fma_f64 v[112:113], v[112:113], v[114:115], v[112:113]
	v_fma_f64 v[114:115], -v[103:104], v[112:113], 1.0
	v_fma_f64 v[112:113], v[112:113], v[114:115], v[112:113]
	v_div_scale_f64 v[114:115], vcc_lo, 1.0, v[0:1], 1.0
	v_mul_f64 v[116:117], v[114:115], v[112:113]
	v_fma_f64 v[103:104], -v[103:104], v[116:117], v[114:115]
	v_div_fmas_f64 v[103:104], v[103:104], v[112:113], v[116:117]
	v_div_fixup_f64 v[0:1], v[103:104], v[0:1], 1.0
.LBB94_70:
	s_or_b32 exec_lo, exec_lo, s0
	s_mov_b32 s0, exec_lo
	v_cmpx_ne_u32_e64 v111, v102
	s_xor_b32 s0, exec_lo, s0
	s_cbranch_execz .LBB94_76
; %bb.71:
	s_mov_b32 s1, exec_lo
	v_cmpx_eq_u32_e32 4, v111
	s_cbranch_execz .LBB94_75
; %bb.72:
	v_cmp_ne_u32_e32 vcc_lo, 4, v102
	s_xor_b32 s2, s6, -1
	s_and_b32 s3, s2, vcc_lo
	s_and_saveexec_b32 s2, s3
	s_cbranch_execz .LBB94_74
; %bb.73:
	v_ashrrev_i32_e32 v103, 31, v102
	v_lshlrev_b64 v[103:104], 2, v[102:103]
	v_add_co_u32 v103, vcc_lo, v4, v103
	v_add_co_ci_u32_e64 v104, null, v5, v104, vcc_lo
	s_clause 0x1
	global_load_dword v110, v[103:104], off
	global_load_dword v111, v[4:5], off offset:16
	s_waitcnt vmcnt(1)
	global_store_dword v[4:5], v110, off offset:16
	s_waitcnt vmcnt(0)
	global_store_dword v[103:104], v111, off
.LBB94_74:
	s_or_b32 exec_lo, exec_lo, s2
	v_mov_b32_e32 v110, v102
	v_mov_b32_e32 v111, v102
.LBB94_75:
	s_or_b32 exec_lo, exec_lo, s1
.LBB94_76:
	s_andn2_saveexec_b32 s0, s0
	s_cbranch_execz .LBB94_78
; %bb.77:
	v_mov_b32_e32 v111, 4
	ds_write2_b64 v108, v[88:89], v[86:87] offset0:5 offset1:6
	ds_write2_b64 v108, v[84:85], v[82:83] offset0:7 offset1:8
	;; [unrolled: 1-line block ×21, first 2 shown]
	ds_write_b64 v108, v[100:101] offset:376
.LBB94_78:
	s_or_b32 exec_lo, exec_lo, s0
	s_mov_b32 s0, exec_lo
	s_waitcnt lgkmcnt(0)
	s_waitcnt_vscnt null, 0x0
	s_barrier
	buffer_gl0_inv
	v_cmpx_lt_i32_e32 4, v111
	s_cbranch_execz .LBB94_80
; %bb.79:
	v_mul_f64 v[90:91], v[0:1], v[90:91]
	ds_read2_b64 v[112:115], v108 offset0:5 offset1:6
	ds_read2_b64 v[116:119], v108 offset0:7 offset1:8
	;; [unrolled: 1-line block ×11, first 2 shown]
	ds_read_b64 v[0:1], v108 offset:376
	s_waitcnt lgkmcnt(11)
	v_fma_f64 v[88:89], -v[90:91], v[112:113], v[88:89]
	v_fma_f64 v[86:87], -v[90:91], v[114:115], v[86:87]
	s_waitcnt lgkmcnt(10)
	v_fma_f64 v[84:85], -v[90:91], v[116:117], v[84:85]
	v_fma_f64 v[82:83], -v[90:91], v[118:119], v[82:83]
	;; [unrolled: 3-line block ×6, first 2 shown]
	ds_read2_b64 v[112:115], v108 offset0:27 offset1:28
	ds_read2_b64 v[116:119], v108 offset0:29 offset1:30
	s_waitcnt lgkmcnt(7)
	v_fma_f64 v[64:65], -v[90:91], v[136:137], v[64:65]
	v_fma_f64 v[62:63], -v[90:91], v[138:139], v[62:63]
	s_waitcnt lgkmcnt(6)
	v_fma_f64 v[58:59], -v[90:91], v[140:141], v[58:59]
	ds_read2_b64 v[120:123], v108 offset0:31 offset1:32
	ds_read2_b64 v[124:127], v108 offset0:33 offset1:34
	v_fma_f64 v[60:61], -v[90:91], v[142:143], v[60:61]
	s_waitcnt lgkmcnt(7)
	v_fma_f64 v[54:55], -v[90:91], v[144:145], v[54:55]
	ds_read2_b64 v[128:131], v108 offset0:35 offset1:36
	ds_read2_b64 v[132:135], v108 offset0:37 offset1:38
	;; [unrolled: 5-line block ×3, first 2 shown]
	v_fma_f64 v[50:51], -v[90:91], v[150:151], v[50:51]
	ds_read2_b64 v[144:147], v108 offset0:43 offset1:44
	ds_read2_b64 v[148:151], v108 offset0:45 offset1:46
	s_waitcnt lgkmcnt(11)
	v_fma_f64 v[48:49], -v[90:91], v[152:153], v[48:49]
	v_fma_f64 v[46:47], -v[90:91], v[154:155], v[46:47]
	s_waitcnt lgkmcnt(9)
	v_fma_f64 v[44:45], -v[90:91], v[112:113], v[44:45]
	v_fma_f64 v[42:43], -v[90:91], v[114:115], v[42:43]
	s_waitcnt lgkmcnt(8)
	v_fma_f64 v[38:39], -v[90:91], v[116:117], v[38:39]
	v_fma_f64 v[40:41], -v[90:91], v[118:119], v[40:41]
	v_fma_f64 v[100:101], -v[90:91], v[0:1], v[100:101]
	s_waitcnt lgkmcnt(7)
	v_fma_f64 v[34:35], -v[90:91], v[120:121], v[34:35]
	v_fma_f64 v[36:37], -v[90:91], v[122:123], v[36:37]
	s_waitcnt lgkmcnt(6)
	v_fma_f64 v[32:33], -v[90:91], v[124:125], v[32:33]
	;; [unrolled: 3-line block ×8, first 2 shown]
	v_fma_f64 v[10:11], -v[90:91], v[150:151], v[10:11]
.LBB94_80:
	s_or_b32 exec_lo, exec_lo, s0
	v_lshl_add_u32 v0, v111, 3, v108
	s_barrier
	buffer_gl0_inv
	v_mov_b32_e32 v102, 5
	ds_write_b64 v0, v[88:89]
	s_waitcnt lgkmcnt(0)
	s_barrier
	buffer_gl0_inv
	ds_read_b64 v[0:1], v108 offset:40
	s_cmp_lt_i32 s7, 7
	s_cbranch_scc1 .LBB94_83
; %bb.81:
	v_add3_u32 v103, v109, 0, 48
	v_mov_b32_e32 v102, 5
	s_mov_b32 s0, 6
.LBB94_82:                              ; =>This Inner Loop Header: Depth=1
	ds_read_b64 v[112:113], v103
	v_add_nc_u32_e32 v103, 8, v103
	s_waitcnt lgkmcnt(0)
	v_cmp_lt_f64_e64 vcc_lo, |v[0:1]|, |v[112:113]|
	v_cndmask_b32_e32 v1, v1, v113, vcc_lo
	v_cndmask_b32_e32 v0, v0, v112, vcc_lo
	v_cndmask_b32_e64 v102, v102, s0, vcc_lo
	s_add_i32 s0, s0, 1
	s_cmp_lg_u32 s7, s0
	s_cbranch_scc1 .LBB94_82
.LBB94_83:
	s_mov_b32 s0, exec_lo
	s_waitcnt lgkmcnt(0)
	v_cmpx_eq_f64_e32 0, v[0:1]
	s_xor_b32 s0, exec_lo, s0
; %bb.84:
	v_cmp_ne_u32_e32 vcc_lo, 0, v105
	v_cndmask_b32_e32 v105, 6, v105, vcc_lo
; %bb.85:
	s_andn2_saveexec_b32 s0, s0
	s_cbranch_execz .LBB94_87
; %bb.86:
	v_div_scale_f64 v[103:104], null, v[0:1], v[0:1], 1.0
	v_rcp_f64_e32 v[112:113], v[103:104]
	v_fma_f64 v[114:115], -v[103:104], v[112:113], 1.0
	v_fma_f64 v[112:113], v[112:113], v[114:115], v[112:113]
	v_fma_f64 v[114:115], -v[103:104], v[112:113], 1.0
	v_fma_f64 v[112:113], v[112:113], v[114:115], v[112:113]
	v_div_scale_f64 v[114:115], vcc_lo, 1.0, v[0:1], 1.0
	v_mul_f64 v[116:117], v[114:115], v[112:113]
	v_fma_f64 v[103:104], -v[103:104], v[116:117], v[114:115]
	v_div_fmas_f64 v[103:104], v[103:104], v[112:113], v[116:117]
	v_div_fixup_f64 v[0:1], v[103:104], v[0:1], 1.0
.LBB94_87:
	s_or_b32 exec_lo, exec_lo, s0
	s_mov_b32 s0, exec_lo
	v_cmpx_ne_u32_e64 v111, v102
	s_xor_b32 s0, exec_lo, s0
	s_cbranch_execz .LBB94_93
; %bb.88:
	s_mov_b32 s1, exec_lo
	v_cmpx_eq_u32_e32 5, v111
	s_cbranch_execz .LBB94_92
; %bb.89:
	v_cmp_ne_u32_e32 vcc_lo, 5, v102
	s_xor_b32 s2, s6, -1
	s_and_b32 s3, s2, vcc_lo
	s_and_saveexec_b32 s2, s3
	s_cbranch_execz .LBB94_91
; %bb.90:
	v_ashrrev_i32_e32 v103, 31, v102
	v_lshlrev_b64 v[103:104], 2, v[102:103]
	v_add_co_u32 v103, vcc_lo, v4, v103
	v_add_co_ci_u32_e64 v104, null, v5, v104, vcc_lo
	s_clause 0x1
	global_load_dword v110, v[103:104], off
	global_load_dword v111, v[4:5], off offset:20
	s_waitcnt vmcnt(1)
	global_store_dword v[4:5], v110, off offset:20
	s_waitcnt vmcnt(0)
	global_store_dword v[103:104], v111, off
.LBB94_91:
	s_or_b32 exec_lo, exec_lo, s2
	v_mov_b32_e32 v110, v102
	v_mov_b32_e32 v111, v102
.LBB94_92:
	s_or_b32 exec_lo, exec_lo, s1
.LBB94_93:
	s_andn2_saveexec_b32 s0, s0
	s_cbranch_execz .LBB94_95
; %bb.94:
	v_mov_b32_e32 v102, v86
	v_mov_b32_e32 v103, v87
	;; [unrolled: 1-line block ×8, first 2 shown]
	ds_write2_b64 v108, v[102:103], v[111:112] offset0:6 offset1:7
	ds_write2_b64 v108, v[113:114], v[115:116] offset0:8 offset1:9
	v_mov_b32_e32 v102, v80
	v_mov_b32_e32 v103, v81
	v_mov_b32_e32 v111, v74
	v_mov_b32_e32 v112, v75
	v_mov_b32_e32 v113, v76
	v_mov_b32_e32 v114, v77
	v_mov_b32_e32 v115, v72
	v_mov_b32_e32 v116, v73
	v_mov_b32_e32 v117, v70
	v_mov_b32_e32 v118, v71
	v_mov_b32_e32 v119, v68
	v_mov_b32_e32 v120, v69
	v_mov_b32_e32 v121, v66
	v_mov_b32_e32 v122, v67
	v_mov_b32_e32 v123, v64
	v_mov_b32_e32 v124, v65
	v_mov_b32_e32 v125, v62
	v_mov_b32_e32 v126, v63
	v_mov_b32_e32 v127, v58
	v_mov_b32_e32 v128, v59
	ds_write2_b64 v108, v[102:103], v[111:112] offset0:10 offset1:11
	ds_write2_b64 v108, v[113:114], v[115:116] offset0:12 offset1:13
	ds_write2_b64 v108, v[117:118], v[119:120] offset0:14 offset1:15
	ds_write2_b64 v108, v[121:122], v[123:124] offset0:16 offset1:17
	ds_write2_b64 v108, v[125:126], v[127:128] offset0:18 offset1:19
	v_mov_b32_e32 v102, v60
	v_mov_b32_e32 v103, v61
	v_mov_b32_e32 v111, v54
	v_mov_b32_e32 v112, v55
	v_mov_b32_e32 v113, v56
	v_mov_b32_e32 v114, v57
	v_mov_b32_e32 v115, v52
	v_mov_b32_e32 v116, v53
	v_mov_b32_e32 v117, v50
	v_mov_b32_e32 v118, v51
	v_mov_b32_e32 v119, v48
	v_mov_b32_e32 v120, v49
	v_mov_b32_e32 v121, v46
	v_mov_b32_e32 v122, v47
	v_mov_b32_e32 v123, v44
	v_mov_b32_e32 v124, v45
	v_mov_b32_e32 v125, v42
	v_mov_b32_e32 v126, v43
	v_mov_b32_e32 v127, v38
	v_mov_b32_e32 v128, v39
	ds_write2_b64 v108, v[102:103], v[111:112] offset0:20 offset1:21
	ds_write2_b64 v108, v[113:114], v[115:116] offset0:22 offset1:23
	ds_write2_b64 v108, v[117:118], v[119:120] offset0:24 offset1:25
	;; [unrolled: 25-line block ×3, first 2 shown]
	ds_write2_b64 v108, v[121:122], v[123:124] offset0:36 offset1:37
	ds_write2_b64 v108, v[125:126], v[127:128] offset0:38 offset1:39
	v_mov_b32_e32 v102, v20
	v_mov_b32_e32 v103, v21
	;; [unrolled: 1-line block ×15, first 2 shown]
	ds_write2_b64 v108, v[102:103], v[112:113] offset0:40 offset1:41
	ds_write2_b64 v108, v[114:115], v[116:117] offset0:42 offset1:43
	;; [unrolled: 1-line block ×4, first 2 shown]
.LBB94_95:
	s_or_b32 exec_lo, exec_lo, s0
	s_mov_b32 s0, exec_lo
	s_waitcnt lgkmcnt(0)
	s_waitcnt_vscnt null, 0x0
	s_barrier
	buffer_gl0_inv
	v_cmpx_lt_i32_e32 5, v111
	s_cbranch_execz .LBB94_97
; %bb.96:
	v_mul_f64 v[88:89], v[0:1], v[88:89]
	ds_read2_b64 v[112:115], v108 offset0:6 offset1:7
	ds_read2_b64 v[116:119], v108 offset0:8 offset1:9
	;; [unrolled: 1-line block ×11, first 2 shown]
	s_waitcnt lgkmcnt(10)
	v_fma_f64 v[86:87], -v[88:89], v[112:113], v[86:87]
	v_fma_f64 v[84:85], -v[88:89], v[114:115], v[84:85]
	s_waitcnt lgkmcnt(9)
	v_fma_f64 v[82:83], -v[88:89], v[116:117], v[82:83]
	v_fma_f64 v[78:79], -v[88:89], v[118:119], v[78:79]
	;; [unrolled: 3-line block ×6, first 2 shown]
	ds_read2_b64 v[112:115], v108 offset0:28 offset1:29
	ds_read2_b64 v[116:119], v108 offset0:30 offset1:31
	s_waitcnt lgkmcnt(6)
	v_fma_f64 v[62:63], -v[88:89], v[136:137], v[62:63]
	v_fma_f64 v[58:59], -v[88:89], v[138:139], v[58:59]
	ds_read2_b64 v[120:123], v108 offset0:32 offset1:33
	ds_read2_b64 v[124:127], v108 offset0:34 offset1:35
	s_waitcnt lgkmcnt(7)
	v_fma_f64 v[60:61], -v[88:89], v[140:141], v[60:61]
	v_fma_f64 v[54:55], -v[88:89], v[142:143], v[54:55]
	;; [unrolled: 5-line block ×5, first 2 shown]
	s_waitcnt lgkmcnt(9)
	v_fma_f64 v[42:43], -v[88:89], v[112:113], v[42:43]
	v_fma_f64 v[38:39], -v[88:89], v[114:115], v[38:39]
	s_waitcnt lgkmcnt(8)
	v_fma_f64 v[40:41], -v[88:89], v[116:117], v[40:41]
	v_fma_f64 v[34:35], -v[88:89], v[118:119], v[34:35]
	;; [unrolled: 3-line block ×10, first 2 shown]
.LBB94_97:
	s_or_b32 exec_lo, exec_lo, s0
	v_lshl_add_u32 v0, v111, 3, v108
	s_barrier
	buffer_gl0_inv
	v_mov_b32_e32 v102, 6
	ds_write_b64 v0, v[86:87]
	s_waitcnt lgkmcnt(0)
	s_barrier
	buffer_gl0_inv
	ds_read_b64 v[0:1], v108 offset:48
	s_cmp_lt_i32 s7, 8
	s_cbranch_scc1 .LBB94_100
; %bb.98:
	v_add3_u32 v103, v109, 0, 56
	v_mov_b32_e32 v102, 6
	s_mov_b32 s0, 7
.LBB94_99:                              ; =>This Inner Loop Header: Depth=1
	ds_read_b64 v[112:113], v103
	v_add_nc_u32_e32 v103, 8, v103
	s_waitcnt lgkmcnt(0)
	v_cmp_lt_f64_e64 vcc_lo, |v[0:1]|, |v[112:113]|
	v_cndmask_b32_e32 v1, v1, v113, vcc_lo
	v_cndmask_b32_e32 v0, v0, v112, vcc_lo
	v_cndmask_b32_e64 v102, v102, s0, vcc_lo
	s_add_i32 s0, s0, 1
	s_cmp_lg_u32 s7, s0
	s_cbranch_scc1 .LBB94_99
.LBB94_100:
	s_mov_b32 s0, exec_lo
	s_waitcnt lgkmcnt(0)
	v_cmpx_eq_f64_e32 0, v[0:1]
	s_xor_b32 s0, exec_lo, s0
; %bb.101:
	v_cmp_ne_u32_e32 vcc_lo, 0, v105
	v_cndmask_b32_e32 v105, 7, v105, vcc_lo
; %bb.102:
	s_andn2_saveexec_b32 s0, s0
	s_cbranch_execz .LBB94_104
; %bb.103:
	v_div_scale_f64 v[103:104], null, v[0:1], v[0:1], 1.0
	v_rcp_f64_e32 v[112:113], v[103:104]
	v_fma_f64 v[114:115], -v[103:104], v[112:113], 1.0
	v_fma_f64 v[112:113], v[112:113], v[114:115], v[112:113]
	v_fma_f64 v[114:115], -v[103:104], v[112:113], 1.0
	v_fma_f64 v[112:113], v[112:113], v[114:115], v[112:113]
	v_div_scale_f64 v[114:115], vcc_lo, 1.0, v[0:1], 1.0
	v_mul_f64 v[116:117], v[114:115], v[112:113]
	v_fma_f64 v[103:104], -v[103:104], v[116:117], v[114:115]
	v_div_fmas_f64 v[103:104], v[103:104], v[112:113], v[116:117]
	v_div_fixup_f64 v[0:1], v[103:104], v[0:1], 1.0
.LBB94_104:
	s_or_b32 exec_lo, exec_lo, s0
	s_mov_b32 s0, exec_lo
	v_cmpx_ne_u32_e64 v111, v102
	s_xor_b32 s0, exec_lo, s0
	s_cbranch_execz .LBB94_110
; %bb.105:
	s_mov_b32 s1, exec_lo
	v_cmpx_eq_u32_e32 6, v111
	s_cbranch_execz .LBB94_109
; %bb.106:
	v_cmp_ne_u32_e32 vcc_lo, 6, v102
	s_xor_b32 s2, s6, -1
	s_and_b32 s3, s2, vcc_lo
	s_and_saveexec_b32 s2, s3
	s_cbranch_execz .LBB94_108
; %bb.107:
	v_ashrrev_i32_e32 v103, 31, v102
	v_lshlrev_b64 v[103:104], 2, v[102:103]
	v_add_co_u32 v103, vcc_lo, v4, v103
	v_add_co_ci_u32_e64 v104, null, v5, v104, vcc_lo
	s_clause 0x1
	global_load_dword v110, v[103:104], off
	global_load_dword v111, v[4:5], off offset:24
	s_waitcnt vmcnt(1)
	global_store_dword v[4:5], v110, off offset:24
	s_waitcnt vmcnt(0)
	global_store_dword v[103:104], v111, off
.LBB94_108:
	s_or_b32 exec_lo, exec_lo, s2
	v_mov_b32_e32 v110, v102
	v_mov_b32_e32 v111, v102
.LBB94_109:
	s_or_b32 exec_lo, exec_lo, s1
.LBB94_110:
	s_andn2_saveexec_b32 s0, s0
	s_cbranch_execz .LBB94_112
; %bb.111:
	v_mov_b32_e32 v111, 6
	ds_write2_b64 v108, v[84:85], v[82:83] offset0:7 offset1:8
	ds_write2_b64 v108, v[78:79], v[80:81] offset0:9 offset1:10
	;; [unrolled: 1-line block ×20, first 2 shown]
	ds_write_b64 v108, v[100:101] offset:376
.LBB94_112:
	s_or_b32 exec_lo, exec_lo, s0
	s_mov_b32 s0, exec_lo
	s_waitcnt lgkmcnt(0)
	s_waitcnt_vscnt null, 0x0
	s_barrier
	buffer_gl0_inv
	v_cmpx_lt_i32_e32 6, v111
	s_cbranch_execz .LBB94_114
; %bb.113:
	v_mul_f64 v[86:87], v[0:1], v[86:87]
	ds_read2_b64 v[112:115], v108 offset0:7 offset1:8
	ds_read2_b64 v[116:119], v108 offset0:9 offset1:10
	;; [unrolled: 1-line block ×11, first 2 shown]
	ds_read_b64 v[0:1], v108 offset:376
	s_waitcnt lgkmcnt(11)
	v_fma_f64 v[84:85], -v[86:87], v[112:113], v[84:85]
	v_fma_f64 v[82:83], -v[86:87], v[114:115], v[82:83]
	s_waitcnt lgkmcnt(10)
	v_fma_f64 v[78:79], -v[86:87], v[116:117], v[78:79]
	v_fma_f64 v[80:81], -v[86:87], v[118:119], v[80:81]
	;; [unrolled: 3-line block ×6, first 2 shown]
	ds_read2_b64 v[112:115], v108 offset0:29 offset1:30
	ds_read2_b64 v[116:119], v108 offset0:31 offset1:32
	s_waitcnt lgkmcnt(7)
	v_fma_f64 v[58:59], -v[86:87], v[136:137], v[58:59]
	v_fma_f64 v[60:61], -v[86:87], v[138:139], v[60:61]
	ds_read2_b64 v[120:123], v108 offset0:33 offset1:34
	ds_read2_b64 v[124:127], v108 offset0:35 offset1:36
	s_waitcnt lgkmcnt(8)
	v_fma_f64 v[54:55], -v[86:87], v[140:141], v[54:55]
	v_fma_f64 v[56:57], -v[86:87], v[142:143], v[56:57]
	;; [unrolled: 5-line block ×3, first 2 shown]
	ds_read2_b64 v[136:139], v108 offset0:41 offset1:42
	ds_read2_b64 v[140:143], v108 offset0:43 offset1:44
	;; [unrolled: 1-line block ×3, first 2 shown]
	s_waitcnt lgkmcnt(11)
	v_fma_f64 v[48:49], -v[86:87], v[148:149], v[48:49]
	v_fma_f64 v[46:47], -v[86:87], v[150:151], v[46:47]
	s_waitcnt lgkmcnt(10)
	v_fma_f64 v[44:45], -v[86:87], v[152:153], v[44:45]
	v_fma_f64 v[42:43], -v[86:87], v[154:155], v[42:43]
	s_waitcnt lgkmcnt(9)
	v_fma_f64 v[100:101], -v[86:87], v[0:1], v[100:101]
	s_waitcnt lgkmcnt(8)
	v_fma_f64 v[38:39], -v[86:87], v[112:113], v[38:39]
	v_fma_f64 v[40:41], -v[86:87], v[114:115], v[40:41]
	s_waitcnt lgkmcnt(7)
	v_fma_f64 v[34:35], -v[86:87], v[116:117], v[34:35]
	;; [unrolled: 3-line block ×9, first 2 shown]
	v_fma_f64 v[10:11], -v[86:87], v[146:147], v[10:11]
.LBB94_114:
	s_or_b32 exec_lo, exec_lo, s0
	v_lshl_add_u32 v0, v111, 3, v108
	s_barrier
	buffer_gl0_inv
	v_mov_b32_e32 v102, 7
	ds_write_b64 v0, v[84:85]
	s_waitcnt lgkmcnt(0)
	s_barrier
	buffer_gl0_inv
	ds_read_b64 v[0:1], v108 offset:56
	s_cmp_lt_i32 s7, 9
	s_cbranch_scc1 .LBB94_117
; %bb.115:
	v_add3_u32 v103, v109, 0, 64
	v_mov_b32_e32 v102, 7
	s_mov_b32 s0, 8
.LBB94_116:                             ; =>This Inner Loop Header: Depth=1
	ds_read_b64 v[112:113], v103
	v_add_nc_u32_e32 v103, 8, v103
	s_waitcnt lgkmcnt(0)
	v_cmp_lt_f64_e64 vcc_lo, |v[0:1]|, |v[112:113]|
	v_cndmask_b32_e32 v1, v1, v113, vcc_lo
	v_cndmask_b32_e32 v0, v0, v112, vcc_lo
	v_cndmask_b32_e64 v102, v102, s0, vcc_lo
	s_add_i32 s0, s0, 1
	s_cmp_lg_u32 s7, s0
	s_cbranch_scc1 .LBB94_116
.LBB94_117:
	s_mov_b32 s0, exec_lo
	s_waitcnt lgkmcnt(0)
	v_cmpx_eq_f64_e32 0, v[0:1]
	s_xor_b32 s0, exec_lo, s0
; %bb.118:
	v_cmp_ne_u32_e32 vcc_lo, 0, v105
	v_cndmask_b32_e32 v105, 8, v105, vcc_lo
; %bb.119:
	s_andn2_saveexec_b32 s0, s0
	s_cbranch_execz .LBB94_121
; %bb.120:
	v_div_scale_f64 v[103:104], null, v[0:1], v[0:1], 1.0
	v_rcp_f64_e32 v[112:113], v[103:104]
	v_fma_f64 v[114:115], -v[103:104], v[112:113], 1.0
	v_fma_f64 v[112:113], v[112:113], v[114:115], v[112:113]
	v_fma_f64 v[114:115], -v[103:104], v[112:113], 1.0
	v_fma_f64 v[112:113], v[112:113], v[114:115], v[112:113]
	v_div_scale_f64 v[114:115], vcc_lo, 1.0, v[0:1], 1.0
	v_mul_f64 v[116:117], v[114:115], v[112:113]
	v_fma_f64 v[103:104], -v[103:104], v[116:117], v[114:115]
	v_div_fmas_f64 v[103:104], v[103:104], v[112:113], v[116:117]
	v_div_fixup_f64 v[0:1], v[103:104], v[0:1], 1.0
.LBB94_121:
	s_or_b32 exec_lo, exec_lo, s0
	s_mov_b32 s0, exec_lo
	v_cmpx_ne_u32_e64 v111, v102
	s_xor_b32 s0, exec_lo, s0
	s_cbranch_execz .LBB94_127
; %bb.122:
	s_mov_b32 s1, exec_lo
	v_cmpx_eq_u32_e32 7, v111
	s_cbranch_execz .LBB94_126
; %bb.123:
	v_cmp_ne_u32_e32 vcc_lo, 7, v102
	s_xor_b32 s2, s6, -1
	s_and_b32 s3, s2, vcc_lo
	s_and_saveexec_b32 s2, s3
	s_cbranch_execz .LBB94_125
; %bb.124:
	v_ashrrev_i32_e32 v103, 31, v102
	v_lshlrev_b64 v[103:104], 2, v[102:103]
	v_add_co_u32 v103, vcc_lo, v4, v103
	v_add_co_ci_u32_e64 v104, null, v5, v104, vcc_lo
	s_clause 0x1
	global_load_dword v110, v[103:104], off
	global_load_dword v111, v[4:5], off offset:28
	s_waitcnt vmcnt(1)
	global_store_dword v[4:5], v110, off offset:28
	s_waitcnt vmcnt(0)
	global_store_dword v[103:104], v111, off
.LBB94_125:
	s_or_b32 exec_lo, exec_lo, s2
	v_mov_b32_e32 v110, v102
	v_mov_b32_e32 v111, v102
.LBB94_126:
	s_or_b32 exec_lo, exec_lo, s1
.LBB94_127:
	s_andn2_saveexec_b32 s0, s0
	s_cbranch_execz .LBB94_129
; %bb.128:
	v_mov_b32_e32 v102, v82
	v_mov_b32_e32 v103, v83
	;; [unrolled: 1-line block ×8, first 2 shown]
	ds_write2_b64 v108, v[102:103], v[111:112] offset0:8 offset1:9
	v_mov_b32_e32 v102, v74
	v_mov_b32_e32 v103, v75
	v_mov_b32_e32 v111, v76
	v_mov_b32_e32 v112, v77
	v_mov_b32_e32 v117, v70
	v_mov_b32_e32 v118, v71
	v_mov_b32_e32 v119, v68
	v_mov_b32_e32 v120, v69
	v_mov_b32_e32 v121, v66
	v_mov_b32_e32 v122, v67
	v_mov_b32_e32 v123, v64
	v_mov_b32_e32 v124, v65
	v_mov_b32_e32 v125, v62
	v_mov_b32_e32 v126, v63
	v_mov_b32_e32 v127, v58
	v_mov_b32_e32 v128, v59
	ds_write2_b64 v108, v[113:114], v[102:103] offset0:10 offset1:11
	ds_write2_b64 v108, v[111:112], v[115:116] offset0:12 offset1:13
	ds_write2_b64 v108, v[117:118], v[119:120] offset0:14 offset1:15
	ds_write2_b64 v108, v[121:122], v[123:124] offset0:16 offset1:17
	ds_write2_b64 v108, v[125:126], v[127:128] offset0:18 offset1:19
	v_mov_b32_e32 v102, v60
	v_mov_b32_e32 v103, v61
	v_mov_b32_e32 v111, v54
	v_mov_b32_e32 v112, v55
	v_mov_b32_e32 v113, v56
	v_mov_b32_e32 v114, v57
	v_mov_b32_e32 v115, v52
	v_mov_b32_e32 v116, v53
	v_mov_b32_e32 v117, v50
	v_mov_b32_e32 v118, v51
	v_mov_b32_e32 v119, v48
	v_mov_b32_e32 v120, v49
	v_mov_b32_e32 v121, v46
	v_mov_b32_e32 v122, v47
	v_mov_b32_e32 v123, v44
	v_mov_b32_e32 v124, v45
	v_mov_b32_e32 v125, v42
	v_mov_b32_e32 v126, v43
	v_mov_b32_e32 v127, v38
	v_mov_b32_e32 v128, v39
	ds_write2_b64 v108, v[102:103], v[111:112] offset0:20 offset1:21
	ds_write2_b64 v108, v[113:114], v[115:116] offset0:22 offset1:23
	ds_write2_b64 v108, v[117:118], v[119:120] offset0:24 offset1:25
	ds_write2_b64 v108, v[121:122], v[123:124] offset0:26 offset1:27
	ds_write2_b64 v108, v[125:126], v[127:128] offset0:28 offset1:29
	v_mov_b32_e32 v102, v40
	v_mov_b32_e32 v103, v41
	v_mov_b32_e32 v111, v34
	v_mov_b32_e32 v112, v35
	;; [unrolled: 25-line block ×3, first 2 shown]
	v_mov_b32_e32 v111, 7
	v_mov_b32_e32 v114, v14
	;; [unrolled: 1-line block ×11, first 2 shown]
	ds_write2_b64 v108, v[102:103], v[112:113] offset0:40 offset1:41
	ds_write2_b64 v108, v[114:115], v[116:117] offset0:42 offset1:43
	;; [unrolled: 1-line block ×4, first 2 shown]
.LBB94_129:
	s_or_b32 exec_lo, exec_lo, s0
	s_mov_b32 s0, exec_lo
	s_waitcnt lgkmcnt(0)
	s_waitcnt_vscnt null, 0x0
	s_barrier
	buffer_gl0_inv
	v_cmpx_lt_i32_e32 7, v111
	s_cbranch_execz .LBB94_131
; %bb.130:
	v_mul_f64 v[84:85], v[0:1], v[84:85]
	ds_read2_b64 v[112:115], v108 offset0:8 offset1:9
	ds_read2_b64 v[116:119], v108 offset0:10 offset1:11
	;; [unrolled: 1-line block ×11, first 2 shown]
	s_waitcnt lgkmcnt(10)
	v_fma_f64 v[82:83], -v[84:85], v[112:113], v[82:83]
	v_fma_f64 v[78:79], -v[84:85], v[114:115], v[78:79]
	s_waitcnt lgkmcnt(9)
	v_fma_f64 v[80:81], -v[84:85], v[116:117], v[80:81]
	v_fma_f64 v[74:75], -v[84:85], v[118:119], v[74:75]
	;; [unrolled: 3-line block ×5, first 2 shown]
	s_waitcnt lgkmcnt(5)
	v_fma_f64 v[62:63], -v[84:85], v[132:133], v[62:63]
	ds_read2_b64 v[112:115], v108 offset0:30 offset1:31
	ds_read2_b64 v[116:119], v108 offset0:32 offset1:33
	v_fma_f64 v[58:59], -v[84:85], v[134:135], v[58:59]
	s_waitcnt lgkmcnt(6)
	v_fma_f64 v[60:61], -v[84:85], v[136:137], v[60:61]
	ds_read2_b64 v[120:123], v108 offset0:34 offset1:35
	ds_read2_b64 v[124:127], v108 offset0:36 offset1:37
	v_fma_f64 v[54:55], -v[84:85], v[138:139], v[54:55]
	;; [unrolled: 5-line block ×4, first 2 shown]
	ds_read2_b64 v[144:147], v108 offset0:46 offset1:47
	s_waitcnt lgkmcnt(10)
	v_fma_f64 v[46:47], -v[84:85], v[148:149], v[46:47]
	v_fma_f64 v[44:45], -v[84:85], v[150:151], v[44:45]
	s_waitcnt lgkmcnt(9)
	v_fma_f64 v[42:43], -v[84:85], v[152:153], v[42:43]
	v_fma_f64 v[38:39], -v[84:85], v[154:155], v[38:39]
	;; [unrolled: 3-line block ×11, first 2 shown]
.LBB94_131:
	s_or_b32 exec_lo, exec_lo, s0
	v_lshl_add_u32 v0, v111, 3, v108
	s_barrier
	buffer_gl0_inv
	v_mov_b32_e32 v102, 8
	ds_write_b64 v0, v[82:83]
	s_waitcnt lgkmcnt(0)
	s_barrier
	buffer_gl0_inv
	ds_read_b64 v[0:1], v108 offset:64
	s_cmp_lt_i32 s7, 10
	s_cbranch_scc1 .LBB94_134
; %bb.132:
	v_add3_u32 v103, v109, 0, 0x48
	v_mov_b32_e32 v102, 8
	s_mov_b32 s0, 9
.LBB94_133:                             ; =>This Inner Loop Header: Depth=1
	ds_read_b64 v[112:113], v103
	v_add_nc_u32_e32 v103, 8, v103
	s_waitcnt lgkmcnt(0)
	v_cmp_lt_f64_e64 vcc_lo, |v[0:1]|, |v[112:113]|
	v_cndmask_b32_e32 v1, v1, v113, vcc_lo
	v_cndmask_b32_e32 v0, v0, v112, vcc_lo
	v_cndmask_b32_e64 v102, v102, s0, vcc_lo
	s_add_i32 s0, s0, 1
	s_cmp_lg_u32 s7, s0
	s_cbranch_scc1 .LBB94_133
.LBB94_134:
	s_mov_b32 s0, exec_lo
	s_waitcnt lgkmcnt(0)
	v_cmpx_eq_f64_e32 0, v[0:1]
	s_xor_b32 s0, exec_lo, s0
; %bb.135:
	v_cmp_ne_u32_e32 vcc_lo, 0, v105
	v_cndmask_b32_e32 v105, 9, v105, vcc_lo
; %bb.136:
	s_andn2_saveexec_b32 s0, s0
	s_cbranch_execz .LBB94_138
; %bb.137:
	v_div_scale_f64 v[103:104], null, v[0:1], v[0:1], 1.0
	v_rcp_f64_e32 v[112:113], v[103:104]
	v_fma_f64 v[114:115], -v[103:104], v[112:113], 1.0
	v_fma_f64 v[112:113], v[112:113], v[114:115], v[112:113]
	v_fma_f64 v[114:115], -v[103:104], v[112:113], 1.0
	v_fma_f64 v[112:113], v[112:113], v[114:115], v[112:113]
	v_div_scale_f64 v[114:115], vcc_lo, 1.0, v[0:1], 1.0
	v_mul_f64 v[116:117], v[114:115], v[112:113]
	v_fma_f64 v[103:104], -v[103:104], v[116:117], v[114:115]
	v_div_fmas_f64 v[103:104], v[103:104], v[112:113], v[116:117]
	v_div_fixup_f64 v[0:1], v[103:104], v[0:1], 1.0
.LBB94_138:
	s_or_b32 exec_lo, exec_lo, s0
	s_mov_b32 s0, exec_lo
	v_cmpx_ne_u32_e64 v111, v102
	s_xor_b32 s0, exec_lo, s0
	s_cbranch_execz .LBB94_144
; %bb.139:
	s_mov_b32 s1, exec_lo
	v_cmpx_eq_u32_e32 8, v111
	s_cbranch_execz .LBB94_143
; %bb.140:
	v_cmp_ne_u32_e32 vcc_lo, 8, v102
	s_xor_b32 s2, s6, -1
	s_and_b32 s3, s2, vcc_lo
	s_and_saveexec_b32 s2, s3
	s_cbranch_execz .LBB94_142
; %bb.141:
	v_ashrrev_i32_e32 v103, 31, v102
	v_lshlrev_b64 v[103:104], 2, v[102:103]
	v_add_co_u32 v103, vcc_lo, v4, v103
	v_add_co_ci_u32_e64 v104, null, v5, v104, vcc_lo
	s_clause 0x1
	global_load_dword v110, v[103:104], off
	global_load_dword v111, v[4:5], off offset:32
	s_waitcnt vmcnt(1)
	global_store_dword v[4:5], v110, off offset:32
	s_waitcnt vmcnt(0)
	global_store_dword v[103:104], v111, off
.LBB94_142:
	s_or_b32 exec_lo, exec_lo, s2
	v_mov_b32_e32 v110, v102
	v_mov_b32_e32 v111, v102
.LBB94_143:
	s_or_b32 exec_lo, exec_lo, s1
.LBB94_144:
	s_andn2_saveexec_b32 s0, s0
	s_cbranch_execz .LBB94_146
; %bb.145:
	v_mov_b32_e32 v111, 8
	ds_write2_b64 v108, v[78:79], v[80:81] offset0:9 offset1:10
	ds_write2_b64 v108, v[74:75], v[76:77] offset0:11 offset1:12
	;; [unrolled: 1-line block ×19, first 2 shown]
	ds_write_b64 v108, v[100:101] offset:376
.LBB94_146:
	s_or_b32 exec_lo, exec_lo, s0
	s_mov_b32 s0, exec_lo
	s_waitcnt lgkmcnt(0)
	s_waitcnt_vscnt null, 0x0
	s_barrier
	buffer_gl0_inv
	v_cmpx_lt_i32_e32 8, v111
	s_cbranch_execz .LBB94_148
; %bb.147:
	v_mul_f64 v[82:83], v[0:1], v[82:83]
	ds_read2_b64 v[112:115], v108 offset0:9 offset1:10
	ds_read2_b64 v[116:119], v108 offset0:11 offset1:12
	;; [unrolled: 1-line block ×11, first 2 shown]
	ds_read_b64 v[0:1], v108 offset:376
	s_waitcnt lgkmcnt(11)
	v_fma_f64 v[78:79], -v[82:83], v[112:113], v[78:79]
	v_fma_f64 v[80:81], -v[82:83], v[114:115], v[80:81]
	s_waitcnt lgkmcnt(10)
	v_fma_f64 v[74:75], -v[82:83], v[116:117], v[74:75]
	v_fma_f64 v[76:77], -v[82:83], v[118:119], v[76:77]
	;; [unrolled: 3-line block ×5, first 2 shown]
	s_waitcnt lgkmcnt(6)
	v_fma_f64 v[58:59], -v[82:83], v[132:133], v[58:59]
	ds_read2_b64 v[112:115], v108 offset0:31 offset1:32
	ds_read2_b64 v[116:119], v108 offset0:33 offset1:34
	v_fma_f64 v[60:61], -v[82:83], v[134:135], v[60:61]
	s_waitcnt lgkmcnt(7)
	v_fma_f64 v[54:55], -v[82:83], v[136:137], v[54:55]
	ds_read2_b64 v[120:123], v108 offset0:35 offset1:36
	ds_read2_b64 v[124:127], v108 offset0:37 offset1:38
	v_fma_f64 v[56:57], -v[82:83], v[138:139], v[56:57]
	;; [unrolled: 5-line block ×3, first 2 shown]
	ds_read2_b64 v[136:139], v108 offset0:43 offset1:44
	ds_read2_b64 v[140:143], v108 offset0:45 offset1:46
	s_waitcnt lgkmcnt(11)
	v_fma_f64 v[48:49], -v[82:83], v[144:145], v[48:49]
	v_fma_f64 v[46:47], -v[82:83], v[146:147], v[46:47]
	s_waitcnt lgkmcnt(10)
	v_fma_f64 v[44:45], -v[82:83], v[148:149], v[44:45]
	v_fma_f64 v[42:43], -v[82:83], v[150:151], v[42:43]
	;; [unrolled: 3-line block ×3, first 2 shown]
	s_waitcnt lgkmcnt(8)
	v_fma_f64 v[100:101], -v[82:83], v[0:1], v[100:101]
	s_waitcnt lgkmcnt(7)
	v_fma_f64 v[34:35], -v[82:83], v[112:113], v[34:35]
	v_fma_f64 v[36:37], -v[82:83], v[114:115], v[36:37]
	s_waitcnt lgkmcnt(6)
	v_fma_f64 v[32:33], -v[82:83], v[116:117], v[32:33]
	;; [unrolled: 3-line block ×8, first 2 shown]
	v_fma_f64 v[10:11], -v[82:83], v[142:143], v[10:11]
.LBB94_148:
	s_or_b32 exec_lo, exec_lo, s0
	v_lshl_add_u32 v0, v111, 3, v108
	s_barrier
	buffer_gl0_inv
	v_mov_b32_e32 v102, 9
	ds_write_b64 v0, v[78:79]
	s_waitcnt lgkmcnt(0)
	s_barrier
	buffer_gl0_inv
	ds_read_b64 v[0:1], v108 offset:72
	s_cmp_lt_i32 s7, 11
	s_cbranch_scc1 .LBB94_151
; %bb.149:
	v_add3_u32 v103, v109, 0, 0x50
	v_mov_b32_e32 v102, 9
	s_mov_b32 s0, 10
.LBB94_150:                             ; =>This Inner Loop Header: Depth=1
	ds_read_b64 v[112:113], v103
	v_add_nc_u32_e32 v103, 8, v103
	s_waitcnt lgkmcnt(0)
	v_cmp_lt_f64_e64 vcc_lo, |v[0:1]|, |v[112:113]|
	v_cndmask_b32_e32 v1, v1, v113, vcc_lo
	v_cndmask_b32_e32 v0, v0, v112, vcc_lo
	v_cndmask_b32_e64 v102, v102, s0, vcc_lo
	s_add_i32 s0, s0, 1
	s_cmp_lg_u32 s7, s0
	s_cbranch_scc1 .LBB94_150
.LBB94_151:
	s_mov_b32 s0, exec_lo
	s_waitcnt lgkmcnt(0)
	v_cmpx_eq_f64_e32 0, v[0:1]
	s_xor_b32 s0, exec_lo, s0
; %bb.152:
	v_cmp_ne_u32_e32 vcc_lo, 0, v105
	v_cndmask_b32_e32 v105, 10, v105, vcc_lo
; %bb.153:
	s_andn2_saveexec_b32 s0, s0
	s_cbranch_execz .LBB94_155
; %bb.154:
	v_div_scale_f64 v[103:104], null, v[0:1], v[0:1], 1.0
	v_rcp_f64_e32 v[112:113], v[103:104]
	v_fma_f64 v[114:115], -v[103:104], v[112:113], 1.0
	v_fma_f64 v[112:113], v[112:113], v[114:115], v[112:113]
	v_fma_f64 v[114:115], -v[103:104], v[112:113], 1.0
	v_fma_f64 v[112:113], v[112:113], v[114:115], v[112:113]
	v_div_scale_f64 v[114:115], vcc_lo, 1.0, v[0:1], 1.0
	v_mul_f64 v[116:117], v[114:115], v[112:113]
	v_fma_f64 v[103:104], -v[103:104], v[116:117], v[114:115]
	v_div_fmas_f64 v[103:104], v[103:104], v[112:113], v[116:117]
	v_div_fixup_f64 v[0:1], v[103:104], v[0:1], 1.0
.LBB94_155:
	s_or_b32 exec_lo, exec_lo, s0
	s_mov_b32 s0, exec_lo
	v_cmpx_ne_u32_e64 v111, v102
	s_xor_b32 s0, exec_lo, s0
	s_cbranch_execz .LBB94_161
; %bb.156:
	s_mov_b32 s1, exec_lo
	v_cmpx_eq_u32_e32 9, v111
	s_cbranch_execz .LBB94_160
; %bb.157:
	v_cmp_ne_u32_e32 vcc_lo, 9, v102
	s_xor_b32 s2, s6, -1
	s_and_b32 s3, s2, vcc_lo
	s_and_saveexec_b32 s2, s3
	s_cbranch_execz .LBB94_159
; %bb.158:
	v_ashrrev_i32_e32 v103, 31, v102
	v_lshlrev_b64 v[103:104], 2, v[102:103]
	v_add_co_u32 v103, vcc_lo, v4, v103
	v_add_co_ci_u32_e64 v104, null, v5, v104, vcc_lo
	s_clause 0x1
	global_load_dword v110, v[103:104], off
	global_load_dword v111, v[4:5], off offset:36
	s_waitcnt vmcnt(1)
	global_store_dword v[4:5], v110, off offset:36
	s_waitcnt vmcnt(0)
	global_store_dword v[103:104], v111, off
.LBB94_159:
	s_or_b32 exec_lo, exec_lo, s2
	v_mov_b32_e32 v110, v102
	v_mov_b32_e32 v111, v102
.LBB94_160:
	s_or_b32 exec_lo, exec_lo, s1
.LBB94_161:
	s_andn2_saveexec_b32 s0, s0
	s_cbranch_execz .LBB94_163
; %bb.162:
	v_mov_b32_e32 v102, v80
	v_mov_b32_e32 v103, v81
	v_mov_b32_e32 v111, v74
	v_mov_b32_e32 v112, v75
	v_mov_b32_e32 v113, v76
	v_mov_b32_e32 v114, v77
	v_mov_b32_e32 v115, v72
	v_mov_b32_e32 v116, v73
	v_mov_b32_e32 v117, v70
	v_mov_b32_e32 v118, v71
	v_mov_b32_e32 v119, v68
	v_mov_b32_e32 v120, v69
	v_mov_b32_e32 v121, v66
	v_mov_b32_e32 v122, v67
	v_mov_b32_e32 v123, v64
	v_mov_b32_e32 v124, v65
	v_mov_b32_e32 v125, v62
	v_mov_b32_e32 v126, v63
	v_mov_b32_e32 v127, v58
	v_mov_b32_e32 v128, v59
	ds_write2_b64 v108, v[102:103], v[111:112] offset0:10 offset1:11
	ds_write2_b64 v108, v[113:114], v[115:116] offset0:12 offset1:13
	ds_write2_b64 v108, v[117:118], v[119:120] offset0:14 offset1:15
	ds_write2_b64 v108, v[121:122], v[123:124] offset0:16 offset1:17
	ds_write2_b64 v108, v[125:126], v[127:128] offset0:18 offset1:19
	v_mov_b32_e32 v102, v60
	v_mov_b32_e32 v103, v61
	v_mov_b32_e32 v111, v54
	v_mov_b32_e32 v112, v55
	v_mov_b32_e32 v113, v56
	v_mov_b32_e32 v114, v57
	v_mov_b32_e32 v115, v52
	v_mov_b32_e32 v116, v53
	v_mov_b32_e32 v117, v50
	v_mov_b32_e32 v118, v51
	v_mov_b32_e32 v119, v48
	v_mov_b32_e32 v120, v49
	v_mov_b32_e32 v121, v46
	v_mov_b32_e32 v122, v47
	v_mov_b32_e32 v123, v44
	v_mov_b32_e32 v124, v45
	v_mov_b32_e32 v125, v42
	v_mov_b32_e32 v126, v43
	v_mov_b32_e32 v127, v38
	v_mov_b32_e32 v128, v39
	ds_write2_b64 v108, v[102:103], v[111:112] offset0:20 offset1:21
	ds_write2_b64 v108, v[113:114], v[115:116] offset0:22 offset1:23
	ds_write2_b64 v108, v[117:118], v[119:120] offset0:24 offset1:25
	ds_write2_b64 v108, v[121:122], v[123:124] offset0:26 offset1:27
	ds_write2_b64 v108, v[125:126], v[127:128] offset0:28 offset1:29
	;; [unrolled: 25-line block ×3, first 2 shown]
	v_mov_b32_e32 v102, v20
	v_mov_b32_e32 v103, v21
	;; [unrolled: 1-line block ×15, first 2 shown]
	ds_write2_b64 v108, v[102:103], v[112:113] offset0:40 offset1:41
	ds_write2_b64 v108, v[114:115], v[116:117] offset0:42 offset1:43
	;; [unrolled: 1-line block ×4, first 2 shown]
.LBB94_163:
	s_or_b32 exec_lo, exec_lo, s0
	s_mov_b32 s0, exec_lo
	s_waitcnt lgkmcnt(0)
	s_waitcnt_vscnt null, 0x0
	s_barrier
	buffer_gl0_inv
	v_cmpx_lt_i32_e32 9, v111
	s_cbranch_execz .LBB94_165
; %bb.164:
	v_mul_f64 v[78:79], v[0:1], v[78:79]
	ds_read2_b64 v[112:115], v108 offset0:10 offset1:11
	ds_read2_b64 v[116:119], v108 offset0:12 offset1:13
	;; [unrolled: 1-line block ×12, first 2 shown]
	s_waitcnt lgkmcnt(11)
	v_fma_f64 v[80:81], -v[78:79], v[112:113], v[80:81]
	v_fma_f64 v[74:75], -v[78:79], v[114:115], v[74:75]
	s_waitcnt lgkmcnt(10)
	v_fma_f64 v[76:77], -v[78:79], v[116:117], v[76:77]
	v_fma_f64 v[72:73], -v[78:79], v[118:119], v[72:73]
	;; [unrolled: 3-line block ×5, first 2 shown]
	s_waitcnt lgkmcnt(6)
	v_fma_f64 v[60:61], -v[78:79], v[132:133], v[60:61]
	ds_read2_b64 v[112:115], v108 offset0:34 offset1:35
	ds_read2_b64 v[116:119], v108 offset0:36 offset1:37
	v_fma_f64 v[54:55], -v[78:79], v[134:135], v[54:55]
	s_waitcnt lgkmcnt(7)
	v_fma_f64 v[56:57], -v[78:79], v[136:137], v[56:57]
	ds_read2_b64 v[120:123], v108 offset0:38 offset1:39
	ds_read2_b64 v[124:127], v108 offset0:40 offset1:41
	v_fma_f64 v[52:53], -v[78:79], v[138:139], v[52:53]
	ds_read2_b64 v[128:131], v108 offset0:42 offset1:43
	ds_read2_b64 v[132:135], v108 offset0:44 offset1:45
	;; [unrolled: 1-line block ×3, first 2 shown]
	s_waitcnt lgkmcnt(11)
	v_fma_f64 v[50:51], -v[78:79], v[140:141], v[50:51]
	v_fma_f64 v[48:49], -v[78:79], v[142:143], v[48:49]
	s_waitcnt lgkmcnt(10)
	v_fma_f64 v[46:47], -v[78:79], v[144:145], v[46:47]
	v_fma_f64 v[44:45], -v[78:79], v[146:147], v[44:45]
	;; [unrolled: 3-line block ×12, first 2 shown]
.LBB94_165:
	s_or_b32 exec_lo, exec_lo, s0
	v_lshl_add_u32 v0, v111, 3, v108
	s_barrier
	buffer_gl0_inv
	v_mov_b32_e32 v102, 10
	ds_write_b64 v0, v[80:81]
	s_waitcnt lgkmcnt(0)
	s_barrier
	buffer_gl0_inv
	ds_read_b64 v[0:1], v108 offset:80
	s_cmp_lt_i32 s7, 12
	s_cbranch_scc1 .LBB94_168
; %bb.166:
	v_add3_u32 v103, v109, 0, 0x58
	v_mov_b32_e32 v102, 10
	s_mov_b32 s0, 11
.LBB94_167:                             ; =>This Inner Loop Header: Depth=1
	ds_read_b64 v[112:113], v103
	v_add_nc_u32_e32 v103, 8, v103
	s_waitcnt lgkmcnt(0)
	v_cmp_lt_f64_e64 vcc_lo, |v[0:1]|, |v[112:113]|
	v_cndmask_b32_e32 v1, v1, v113, vcc_lo
	v_cndmask_b32_e32 v0, v0, v112, vcc_lo
	v_cndmask_b32_e64 v102, v102, s0, vcc_lo
	s_add_i32 s0, s0, 1
	s_cmp_lg_u32 s7, s0
	s_cbranch_scc1 .LBB94_167
.LBB94_168:
	s_mov_b32 s0, exec_lo
	s_waitcnt lgkmcnt(0)
	v_cmpx_eq_f64_e32 0, v[0:1]
	s_xor_b32 s0, exec_lo, s0
; %bb.169:
	v_cmp_ne_u32_e32 vcc_lo, 0, v105
	v_cndmask_b32_e32 v105, 11, v105, vcc_lo
; %bb.170:
	s_andn2_saveexec_b32 s0, s0
	s_cbranch_execz .LBB94_172
; %bb.171:
	v_div_scale_f64 v[103:104], null, v[0:1], v[0:1], 1.0
	v_rcp_f64_e32 v[112:113], v[103:104]
	v_fma_f64 v[114:115], -v[103:104], v[112:113], 1.0
	v_fma_f64 v[112:113], v[112:113], v[114:115], v[112:113]
	v_fma_f64 v[114:115], -v[103:104], v[112:113], 1.0
	v_fma_f64 v[112:113], v[112:113], v[114:115], v[112:113]
	v_div_scale_f64 v[114:115], vcc_lo, 1.0, v[0:1], 1.0
	v_mul_f64 v[116:117], v[114:115], v[112:113]
	v_fma_f64 v[103:104], -v[103:104], v[116:117], v[114:115]
	v_div_fmas_f64 v[103:104], v[103:104], v[112:113], v[116:117]
	v_div_fixup_f64 v[0:1], v[103:104], v[0:1], 1.0
.LBB94_172:
	s_or_b32 exec_lo, exec_lo, s0
	s_mov_b32 s0, exec_lo
	v_cmpx_ne_u32_e64 v111, v102
	s_xor_b32 s0, exec_lo, s0
	s_cbranch_execz .LBB94_178
; %bb.173:
	s_mov_b32 s1, exec_lo
	v_cmpx_eq_u32_e32 10, v111
	s_cbranch_execz .LBB94_177
; %bb.174:
	v_cmp_ne_u32_e32 vcc_lo, 10, v102
	s_xor_b32 s2, s6, -1
	s_and_b32 s3, s2, vcc_lo
	s_and_saveexec_b32 s2, s3
	s_cbranch_execz .LBB94_176
; %bb.175:
	v_ashrrev_i32_e32 v103, 31, v102
	v_lshlrev_b64 v[103:104], 2, v[102:103]
	v_add_co_u32 v103, vcc_lo, v4, v103
	v_add_co_ci_u32_e64 v104, null, v5, v104, vcc_lo
	s_clause 0x1
	global_load_dword v110, v[103:104], off
	global_load_dword v111, v[4:5], off offset:40
	s_waitcnt vmcnt(1)
	global_store_dword v[4:5], v110, off offset:40
	s_waitcnt vmcnt(0)
	global_store_dword v[103:104], v111, off
.LBB94_176:
	s_or_b32 exec_lo, exec_lo, s2
	v_mov_b32_e32 v110, v102
	v_mov_b32_e32 v111, v102
.LBB94_177:
	s_or_b32 exec_lo, exec_lo, s1
.LBB94_178:
	s_andn2_saveexec_b32 s0, s0
	s_cbranch_execz .LBB94_180
; %bb.179:
	v_mov_b32_e32 v111, 10
	ds_write2_b64 v108, v[74:75], v[76:77] offset0:11 offset1:12
	ds_write2_b64 v108, v[72:73], v[70:71] offset0:13 offset1:14
	;; [unrolled: 1-line block ×18, first 2 shown]
	ds_write_b64 v108, v[100:101] offset:376
.LBB94_180:
	s_or_b32 exec_lo, exec_lo, s0
	s_mov_b32 s0, exec_lo
	s_waitcnt lgkmcnt(0)
	s_waitcnt_vscnt null, 0x0
	s_barrier
	buffer_gl0_inv
	v_cmpx_lt_i32_e32 10, v111
	s_cbranch_execz .LBB94_182
; %bb.181:
	v_mul_f64 v[80:81], v[0:1], v[80:81]
	ds_read2_b64 v[112:115], v108 offset0:11 offset1:12
	ds_read2_b64 v[116:119], v108 offset0:13 offset1:14
	;; [unrolled: 1-line block ×12, first 2 shown]
	ds_read_b64 v[0:1], v108 offset:376
	s_waitcnt lgkmcnt(12)
	v_fma_f64 v[74:75], -v[80:81], v[112:113], v[74:75]
	v_fma_f64 v[76:77], -v[80:81], v[114:115], v[76:77]
	s_waitcnt lgkmcnt(11)
	v_fma_f64 v[72:73], -v[80:81], v[116:117], v[72:73]
	v_fma_f64 v[70:71], -v[80:81], v[118:119], v[70:71]
	;; [unrolled: 3-line block ×5, first 2 shown]
	s_waitcnt lgkmcnt(7)
	v_fma_f64 v[54:55], -v[80:81], v[132:133], v[54:55]
	ds_read2_b64 v[112:115], v108 offset0:35 offset1:36
	ds_read2_b64 v[116:119], v108 offset0:37 offset1:38
	v_fma_f64 v[56:57], -v[80:81], v[134:135], v[56:57]
	ds_read2_b64 v[120:123], v108 offset0:39 offset1:40
	ds_read2_b64 v[124:127], v108 offset0:41 offset1:42
	;; [unrolled: 1-line block ×4, first 2 shown]
	s_waitcnt lgkmcnt(12)
	v_fma_f64 v[52:53], -v[80:81], v[136:137], v[52:53]
	v_fma_f64 v[50:51], -v[80:81], v[138:139], v[50:51]
	s_waitcnt lgkmcnt(11)
	v_fma_f64 v[48:49], -v[80:81], v[140:141], v[48:49]
	v_fma_f64 v[46:47], -v[80:81], v[142:143], v[46:47]
	;; [unrolled: 3-line block ×6, first 2 shown]
	s_waitcnt lgkmcnt(6)
	v_fma_f64 v[100:101], -v[80:81], v[0:1], v[100:101]
	s_waitcnt lgkmcnt(5)
	v_fma_f64 v[28:29], -v[80:81], v[112:113], v[28:29]
	v_fma_f64 v[26:27], -v[80:81], v[114:115], v[26:27]
	s_waitcnt lgkmcnt(4)
	v_fma_f64 v[24:25], -v[80:81], v[116:117], v[24:25]
	;; [unrolled: 3-line block ×6, first 2 shown]
	v_fma_f64 v[10:11], -v[80:81], v[134:135], v[10:11]
.LBB94_182:
	s_or_b32 exec_lo, exec_lo, s0
	v_lshl_add_u32 v0, v111, 3, v108
	s_barrier
	buffer_gl0_inv
	v_mov_b32_e32 v102, 11
	ds_write_b64 v0, v[74:75]
	s_waitcnt lgkmcnt(0)
	s_barrier
	buffer_gl0_inv
	ds_read_b64 v[0:1], v108 offset:88
	s_cmp_lt_i32 s7, 13
	s_cbranch_scc1 .LBB94_185
; %bb.183:
	v_add3_u32 v103, v109, 0, 0x60
	v_mov_b32_e32 v102, 11
	s_mov_b32 s0, 12
.LBB94_184:                             ; =>This Inner Loop Header: Depth=1
	ds_read_b64 v[112:113], v103
	v_add_nc_u32_e32 v103, 8, v103
	s_waitcnt lgkmcnt(0)
	v_cmp_lt_f64_e64 vcc_lo, |v[0:1]|, |v[112:113]|
	v_cndmask_b32_e32 v1, v1, v113, vcc_lo
	v_cndmask_b32_e32 v0, v0, v112, vcc_lo
	v_cndmask_b32_e64 v102, v102, s0, vcc_lo
	s_add_i32 s0, s0, 1
	s_cmp_lg_u32 s7, s0
	s_cbranch_scc1 .LBB94_184
.LBB94_185:
	s_mov_b32 s0, exec_lo
	s_waitcnt lgkmcnt(0)
	v_cmpx_eq_f64_e32 0, v[0:1]
	s_xor_b32 s0, exec_lo, s0
; %bb.186:
	v_cmp_ne_u32_e32 vcc_lo, 0, v105
	v_cndmask_b32_e32 v105, 12, v105, vcc_lo
; %bb.187:
	s_andn2_saveexec_b32 s0, s0
	s_cbranch_execz .LBB94_189
; %bb.188:
	v_div_scale_f64 v[103:104], null, v[0:1], v[0:1], 1.0
	v_rcp_f64_e32 v[112:113], v[103:104]
	v_fma_f64 v[114:115], -v[103:104], v[112:113], 1.0
	v_fma_f64 v[112:113], v[112:113], v[114:115], v[112:113]
	v_fma_f64 v[114:115], -v[103:104], v[112:113], 1.0
	v_fma_f64 v[112:113], v[112:113], v[114:115], v[112:113]
	v_div_scale_f64 v[114:115], vcc_lo, 1.0, v[0:1], 1.0
	v_mul_f64 v[116:117], v[114:115], v[112:113]
	v_fma_f64 v[103:104], -v[103:104], v[116:117], v[114:115]
	v_div_fmas_f64 v[103:104], v[103:104], v[112:113], v[116:117]
	v_div_fixup_f64 v[0:1], v[103:104], v[0:1], 1.0
.LBB94_189:
	s_or_b32 exec_lo, exec_lo, s0
	s_mov_b32 s0, exec_lo
	v_cmpx_ne_u32_e64 v111, v102
	s_xor_b32 s0, exec_lo, s0
	s_cbranch_execz .LBB94_195
; %bb.190:
	s_mov_b32 s1, exec_lo
	v_cmpx_eq_u32_e32 11, v111
	s_cbranch_execz .LBB94_194
; %bb.191:
	v_cmp_ne_u32_e32 vcc_lo, 11, v102
	s_xor_b32 s2, s6, -1
	s_and_b32 s3, s2, vcc_lo
	s_and_saveexec_b32 s2, s3
	s_cbranch_execz .LBB94_193
; %bb.192:
	v_ashrrev_i32_e32 v103, 31, v102
	v_lshlrev_b64 v[103:104], 2, v[102:103]
	v_add_co_u32 v103, vcc_lo, v4, v103
	v_add_co_ci_u32_e64 v104, null, v5, v104, vcc_lo
	s_clause 0x1
	global_load_dword v110, v[103:104], off
	global_load_dword v111, v[4:5], off offset:44
	s_waitcnt vmcnt(1)
	global_store_dword v[4:5], v110, off offset:44
	s_waitcnt vmcnt(0)
	global_store_dword v[103:104], v111, off
.LBB94_193:
	s_or_b32 exec_lo, exec_lo, s2
	v_mov_b32_e32 v110, v102
	v_mov_b32_e32 v111, v102
.LBB94_194:
	s_or_b32 exec_lo, exec_lo, s1
.LBB94_195:
	s_andn2_saveexec_b32 s0, s0
	s_cbranch_execz .LBB94_197
; %bb.196:
	v_mov_b32_e32 v102, v76
	v_mov_b32_e32 v103, v77
	v_mov_b32_e32 v111, v72
	v_mov_b32_e32 v112, v73
	v_mov_b32_e32 v113, v70
	v_mov_b32_e32 v114, v71
	v_mov_b32_e32 v115, v68
	v_mov_b32_e32 v116, v69
	v_mov_b32_e32 v117, v66
	v_mov_b32_e32 v118, v67
	v_mov_b32_e32 v119, v64
	v_mov_b32_e32 v120, v65
	v_mov_b32_e32 v121, v62
	v_mov_b32_e32 v122, v63
	v_mov_b32_e32 v123, v58
	v_mov_b32_e32 v124, v59
	ds_write2_b64 v108, v[102:103], v[111:112] offset0:12 offset1:13
	ds_write2_b64 v108, v[113:114], v[115:116] offset0:14 offset1:15
	;; [unrolled: 1-line block ×4, first 2 shown]
	v_mov_b32_e32 v102, v60
	v_mov_b32_e32 v103, v61
	;; [unrolled: 1-line block ×20, first 2 shown]
	ds_write2_b64 v108, v[102:103], v[111:112] offset0:20 offset1:21
	ds_write2_b64 v108, v[113:114], v[115:116] offset0:22 offset1:23
	;; [unrolled: 1-line block ×5, first 2 shown]
	v_mov_b32_e32 v102, v40
	v_mov_b32_e32 v103, v41
	;; [unrolled: 1-line block ×20, first 2 shown]
	ds_write2_b64 v108, v[102:103], v[111:112] offset0:30 offset1:31
	ds_write2_b64 v108, v[113:114], v[115:116] offset0:32 offset1:33
	ds_write2_b64 v108, v[117:118], v[119:120] offset0:34 offset1:35
	ds_write2_b64 v108, v[121:122], v[123:124] offset0:36 offset1:37
	ds_write2_b64 v108, v[125:126], v[127:128] offset0:38 offset1:39
	v_mov_b32_e32 v102, v20
	v_mov_b32_e32 v103, v21
	;; [unrolled: 1-line block ×15, first 2 shown]
	ds_write2_b64 v108, v[102:103], v[112:113] offset0:40 offset1:41
	ds_write2_b64 v108, v[114:115], v[116:117] offset0:42 offset1:43
	;; [unrolled: 1-line block ×4, first 2 shown]
.LBB94_197:
	s_or_b32 exec_lo, exec_lo, s0
	s_mov_b32 s0, exec_lo
	s_waitcnt lgkmcnt(0)
	s_waitcnt_vscnt null, 0x0
	s_barrier
	buffer_gl0_inv
	v_cmpx_lt_i32_e32 11, v111
	s_cbranch_execz .LBB94_199
; %bb.198:
	v_mul_f64 v[74:75], v[0:1], v[74:75]
	ds_read2_b64 v[112:115], v108 offset0:12 offset1:13
	ds_read2_b64 v[116:119], v108 offset0:14 offset1:15
	;; [unrolled: 1-line block ×12, first 2 shown]
	s_waitcnt lgkmcnt(11)
	v_fma_f64 v[76:77], -v[74:75], v[112:113], v[76:77]
	v_fma_f64 v[72:73], -v[74:75], v[114:115], v[72:73]
	s_waitcnt lgkmcnt(10)
	v_fma_f64 v[70:71], -v[74:75], v[116:117], v[70:71]
	v_fma_f64 v[68:69], -v[74:75], v[118:119], v[68:69]
	;; [unrolled: 3-line block ×5, first 2 shown]
	ds_read2_b64 v[112:115], v108 offset0:36 offset1:37
	ds_read2_b64 v[116:119], v108 offset0:38 offset1:39
	s_waitcnt lgkmcnt(8)
	v_fma_f64 v[56:57], -v[74:75], v[132:133], v[56:57]
	v_fma_f64 v[52:53], -v[74:75], v[134:135], v[52:53]
	ds_read2_b64 v[120:123], v108 offset0:40 offset1:41
	ds_read2_b64 v[124:127], v108 offset0:42 offset1:43
	;; [unrolled: 1-line block ×4, first 2 shown]
	s_waitcnt lgkmcnt(11)
	v_fma_f64 v[50:51], -v[74:75], v[136:137], v[50:51]
	v_fma_f64 v[48:49], -v[74:75], v[138:139], v[48:49]
	s_waitcnt lgkmcnt(10)
	v_fma_f64 v[46:47], -v[74:75], v[140:141], v[46:47]
	v_fma_f64 v[44:45], -v[74:75], v[142:143], v[44:45]
	;; [unrolled: 3-line block ×12, first 2 shown]
.LBB94_199:
	s_or_b32 exec_lo, exec_lo, s0
	v_lshl_add_u32 v0, v111, 3, v108
	s_barrier
	buffer_gl0_inv
	v_mov_b32_e32 v102, 12
	ds_write_b64 v0, v[76:77]
	s_waitcnt lgkmcnt(0)
	s_barrier
	buffer_gl0_inv
	ds_read_b64 v[0:1], v108 offset:96
	s_cmp_lt_i32 s7, 14
	s_cbranch_scc1 .LBB94_202
; %bb.200:
	v_add3_u32 v103, v109, 0, 0x68
	v_mov_b32_e32 v102, 12
	s_mov_b32 s0, 13
.LBB94_201:                             ; =>This Inner Loop Header: Depth=1
	ds_read_b64 v[112:113], v103
	v_add_nc_u32_e32 v103, 8, v103
	s_waitcnt lgkmcnt(0)
	v_cmp_lt_f64_e64 vcc_lo, |v[0:1]|, |v[112:113]|
	v_cndmask_b32_e32 v1, v1, v113, vcc_lo
	v_cndmask_b32_e32 v0, v0, v112, vcc_lo
	v_cndmask_b32_e64 v102, v102, s0, vcc_lo
	s_add_i32 s0, s0, 1
	s_cmp_lg_u32 s7, s0
	s_cbranch_scc1 .LBB94_201
.LBB94_202:
	s_mov_b32 s0, exec_lo
	s_waitcnt lgkmcnt(0)
	v_cmpx_eq_f64_e32 0, v[0:1]
	s_xor_b32 s0, exec_lo, s0
; %bb.203:
	v_cmp_ne_u32_e32 vcc_lo, 0, v105
	v_cndmask_b32_e32 v105, 13, v105, vcc_lo
; %bb.204:
	s_andn2_saveexec_b32 s0, s0
	s_cbranch_execz .LBB94_206
; %bb.205:
	v_div_scale_f64 v[103:104], null, v[0:1], v[0:1], 1.0
	v_rcp_f64_e32 v[112:113], v[103:104]
	v_fma_f64 v[114:115], -v[103:104], v[112:113], 1.0
	v_fma_f64 v[112:113], v[112:113], v[114:115], v[112:113]
	v_fma_f64 v[114:115], -v[103:104], v[112:113], 1.0
	v_fma_f64 v[112:113], v[112:113], v[114:115], v[112:113]
	v_div_scale_f64 v[114:115], vcc_lo, 1.0, v[0:1], 1.0
	v_mul_f64 v[116:117], v[114:115], v[112:113]
	v_fma_f64 v[103:104], -v[103:104], v[116:117], v[114:115]
	v_div_fmas_f64 v[103:104], v[103:104], v[112:113], v[116:117]
	v_div_fixup_f64 v[0:1], v[103:104], v[0:1], 1.0
.LBB94_206:
	s_or_b32 exec_lo, exec_lo, s0
	s_mov_b32 s0, exec_lo
	v_cmpx_ne_u32_e64 v111, v102
	s_xor_b32 s0, exec_lo, s0
	s_cbranch_execz .LBB94_212
; %bb.207:
	s_mov_b32 s1, exec_lo
	v_cmpx_eq_u32_e32 12, v111
	s_cbranch_execz .LBB94_211
; %bb.208:
	v_cmp_ne_u32_e32 vcc_lo, 12, v102
	s_xor_b32 s2, s6, -1
	s_and_b32 s3, s2, vcc_lo
	s_and_saveexec_b32 s2, s3
	s_cbranch_execz .LBB94_210
; %bb.209:
	v_ashrrev_i32_e32 v103, 31, v102
	v_lshlrev_b64 v[103:104], 2, v[102:103]
	v_add_co_u32 v103, vcc_lo, v4, v103
	v_add_co_ci_u32_e64 v104, null, v5, v104, vcc_lo
	s_clause 0x1
	global_load_dword v110, v[103:104], off
	global_load_dword v111, v[4:5], off offset:48
	s_waitcnt vmcnt(1)
	global_store_dword v[4:5], v110, off offset:48
	s_waitcnt vmcnt(0)
	global_store_dword v[103:104], v111, off
.LBB94_210:
	s_or_b32 exec_lo, exec_lo, s2
	v_mov_b32_e32 v110, v102
	v_mov_b32_e32 v111, v102
.LBB94_211:
	s_or_b32 exec_lo, exec_lo, s1
.LBB94_212:
	s_andn2_saveexec_b32 s0, s0
	s_cbranch_execz .LBB94_214
; %bb.213:
	v_mov_b32_e32 v111, 12
	ds_write2_b64 v108, v[72:73], v[70:71] offset0:13 offset1:14
	ds_write2_b64 v108, v[68:69], v[66:67] offset0:15 offset1:16
	;; [unrolled: 1-line block ×17, first 2 shown]
	ds_write_b64 v108, v[100:101] offset:376
.LBB94_214:
	s_or_b32 exec_lo, exec_lo, s0
	s_mov_b32 s0, exec_lo
	s_waitcnt lgkmcnt(0)
	s_waitcnt_vscnt null, 0x0
	s_barrier
	buffer_gl0_inv
	v_cmpx_lt_i32_e32 12, v111
	s_cbranch_execz .LBB94_216
; %bb.215:
	v_mul_f64 v[76:77], v[0:1], v[76:77]
	ds_read2_b64 v[112:115], v108 offset0:13 offset1:14
	ds_read2_b64 v[116:119], v108 offset0:15 offset1:16
	;; [unrolled: 1-line block ×12, first 2 shown]
	ds_read_b64 v[0:1], v108 offset:376
	s_waitcnt lgkmcnt(12)
	v_fma_f64 v[72:73], -v[76:77], v[112:113], v[72:73]
	v_fma_f64 v[70:71], -v[76:77], v[114:115], v[70:71]
	s_waitcnt lgkmcnt(11)
	v_fma_f64 v[68:69], -v[76:77], v[116:117], v[68:69]
	v_fma_f64 v[66:67], -v[76:77], v[118:119], v[66:67]
	;; [unrolled: 3-line block ×5, first 2 shown]
	ds_read2_b64 v[112:115], v108 offset0:37 offset1:38
	ds_read2_b64 v[116:119], v108 offset0:39 offset1:40
	;; [unrolled: 1-line block ×5, first 2 shown]
	s_waitcnt lgkmcnt(12)
	v_fma_f64 v[52:53], -v[76:77], v[132:133], v[52:53]
	v_fma_f64 v[50:51], -v[76:77], v[134:135], v[50:51]
	s_waitcnt lgkmcnt(11)
	v_fma_f64 v[48:49], -v[76:77], v[136:137], v[48:49]
	v_fma_f64 v[46:47], -v[76:77], v[138:139], v[46:47]
	;; [unrolled: 3-line block ×7, first 2 shown]
	s_waitcnt lgkmcnt(5)
	v_fma_f64 v[100:101], -v[76:77], v[0:1], v[100:101]
	s_waitcnt lgkmcnt(4)
	v_fma_f64 v[24:25], -v[76:77], v[112:113], v[24:25]
	v_fma_f64 v[22:23], -v[76:77], v[114:115], v[22:23]
	s_waitcnt lgkmcnt(3)
	v_fma_f64 v[18:19], -v[76:77], v[116:117], v[18:19]
	;; [unrolled: 3-line block ×5, first 2 shown]
	v_fma_f64 v[10:11], -v[76:77], v[130:131], v[10:11]
.LBB94_216:
	s_or_b32 exec_lo, exec_lo, s0
	v_lshl_add_u32 v0, v111, 3, v108
	s_barrier
	buffer_gl0_inv
	v_mov_b32_e32 v102, 13
	ds_write_b64 v0, v[72:73]
	s_waitcnt lgkmcnt(0)
	s_barrier
	buffer_gl0_inv
	ds_read_b64 v[0:1], v108 offset:104
	s_cmp_lt_i32 s7, 15
	s_cbranch_scc1 .LBB94_219
; %bb.217:
	v_add3_u32 v103, v109, 0, 0x70
	v_mov_b32_e32 v102, 13
	s_mov_b32 s0, 14
.LBB94_218:                             ; =>This Inner Loop Header: Depth=1
	ds_read_b64 v[112:113], v103
	v_add_nc_u32_e32 v103, 8, v103
	s_waitcnt lgkmcnt(0)
	v_cmp_lt_f64_e64 vcc_lo, |v[0:1]|, |v[112:113]|
	v_cndmask_b32_e32 v1, v1, v113, vcc_lo
	v_cndmask_b32_e32 v0, v0, v112, vcc_lo
	v_cndmask_b32_e64 v102, v102, s0, vcc_lo
	s_add_i32 s0, s0, 1
	s_cmp_lg_u32 s7, s0
	s_cbranch_scc1 .LBB94_218
.LBB94_219:
	s_mov_b32 s0, exec_lo
	s_waitcnt lgkmcnt(0)
	v_cmpx_eq_f64_e32 0, v[0:1]
	s_xor_b32 s0, exec_lo, s0
; %bb.220:
	v_cmp_ne_u32_e32 vcc_lo, 0, v105
	v_cndmask_b32_e32 v105, 14, v105, vcc_lo
; %bb.221:
	s_andn2_saveexec_b32 s0, s0
	s_cbranch_execz .LBB94_223
; %bb.222:
	v_div_scale_f64 v[103:104], null, v[0:1], v[0:1], 1.0
	v_rcp_f64_e32 v[112:113], v[103:104]
	v_fma_f64 v[114:115], -v[103:104], v[112:113], 1.0
	v_fma_f64 v[112:113], v[112:113], v[114:115], v[112:113]
	v_fma_f64 v[114:115], -v[103:104], v[112:113], 1.0
	v_fma_f64 v[112:113], v[112:113], v[114:115], v[112:113]
	v_div_scale_f64 v[114:115], vcc_lo, 1.0, v[0:1], 1.0
	v_mul_f64 v[116:117], v[114:115], v[112:113]
	v_fma_f64 v[103:104], -v[103:104], v[116:117], v[114:115]
	v_div_fmas_f64 v[103:104], v[103:104], v[112:113], v[116:117]
	v_div_fixup_f64 v[0:1], v[103:104], v[0:1], 1.0
.LBB94_223:
	s_or_b32 exec_lo, exec_lo, s0
	s_mov_b32 s0, exec_lo
	v_cmpx_ne_u32_e64 v111, v102
	s_xor_b32 s0, exec_lo, s0
	s_cbranch_execz .LBB94_229
; %bb.224:
	s_mov_b32 s1, exec_lo
	v_cmpx_eq_u32_e32 13, v111
	s_cbranch_execz .LBB94_228
; %bb.225:
	v_cmp_ne_u32_e32 vcc_lo, 13, v102
	s_xor_b32 s2, s6, -1
	s_and_b32 s3, s2, vcc_lo
	s_and_saveexec_b32 s2, s3
	s_cbranch_execz .LBB94_227
; %bb.226:
	v_ashrrev_i32_e32 v103, 31, v102
	v_lshlrev_b64 v[103:104], 2, v[102:103]
	v_add_co_u32 v103, vcc_lo, v4, v103
	v_add_co_ci_u32_e64 v104, null, v5, v104, vcc_lo
	s_clause 0x1
	global_load_dword v110, v[103:104], off
	global_load_dword v111, v[4:5], off offset:52
	s_waitcnt vmcnt(1)
	global_store_dword v[4:5], v110, off offset:52
	s_waitcnt vmcnt(0)
	global_store_dword v[103:104], v111, off
.LBB94_227:
	s_or_b32 exec_lo, exec_lo, s2
	v_mov_b32_e32 v110, v102
	v_mov_b32_e32 v111, v102
.LBB94_228:
	s_or_b32 exec_lo, exec_lo, s1
.LBB94_229:
	s_andn2_saveexec_b32 s0, s0
	s_cbranch_execz .LBB94_231
; %bb.230:
	v_mov_b32_e32 v102, v70
	v_mov_b32_e32 v103, v71
	v_mov_b32_e32 v111, v68
	v_mov_b32_e32 v112, v69
	v_mov_b32_e32 v113, v66
	v_mov_b32_e32 v114, v67
	v_mov_b32_e32 v115, v64
	v_mov_b32_e32 v116, v65
	v_mov_b32_e32 v117, v62
	v_mov_b32_e32 v118, v63
	v_mov_b32_e32 v119, v58
	v_mov_b32_e32 v120, v59
	ds_write2_b64 v108, v[102:103], v[111:112] offset0:14 offset1:15
	ds_write2_b64 v108, v[113:114], v[115:116] offset0:16 offset1:17
	;; [unrolled: 1-line block ×3, first 2 shown]
	v_mov_b32_e32 v102, v60
	v_mov_b32_e32 v103, v61
	v_mov_b32_e32 v111, v54
	v_mov_b32_e32 v112, v55
	v_mov_b32_e32 v113, v56
	v_mov_b32_e32 v114, v57
	v_mov_b32_e32 v115, v52
	v_mov_b32_e32 v116, v53
	v_mov_b32_e32 v117, v50
	v_mov_b32_e32 v118, v51
	v_mov_b32_e32 v119, v48
	v_mov_b32_e32 v120, v49
	v_mov_b32_e32 v121, v46
	v_mov_b32_e32 v122, v47
	v_mov_b32_e32 v123, v44
	v_mov_b32_e32 v124, v45
	v_mov_b32_e32 v125, v42
	v_mov_b32_e32 v126, v43
	v_mov_b32_e32 v127, v38
	v_mov_b32_e32 v128, v39
	ds_write2_b64 v108, v[102:103], v[111:112] offset0:20 offset1:21
	ds_write2_b64 v108, v[113:114], v[115:116] offset0:22 offset1:23
	;; [unrolled: 1-line block ×5, first 2 shown]
	v_mov_b32_e32 v102, v40
	v_mov_b32_e32 v103, v41
	v_mov_b32_e32 v111, v34
	v_mov_b32_e32 v112, v35
	v_mov_b32_e32 v113, v36
	v_mov_b32_e32 v114, v37
	v_mov_b32_e32 v115, v32
	v_mov_b32_e32 v116, v33
	v_mov_b32_e32 v117, v30
	v_mov_b32_e32 v118, v31
	v_mov_b32_e32 v119, v28
	v_mov_b32_e32 v120, v29
	v_mov_b32_e32 v121, v26
	v_mov_b32_e32 v122, v27
	v_mov_b32_e32 v123, v24
	v_mov_b32_e32 v124, v25
	v_mov_b32_e32 v125, v22
	v_mov_b32_e32 v126, v23
	v_mov_b32_e32 v127, v18
	v_mov_b32_e32 v128, v19
	ds_write2_b64 v108, v[102:103], v[111:112] offset0:30 offset1:31
	ds_write2_b64 v108, v[113:114], v[115:116] offset0:32 offset1:33
	;; [unrolled: 1-line block ×5, first 2 shown]
	v_mov_b32_e32 v102, v20
	v_mov_b32_e32 v103, v21
	;; [unrolled: 1-line block ×15, first 2 shown]
	ds_write2_b64 v108, v[102:103], v[112:113] offset0:40 offset1:41
	ds_write2_b64 v108, v[114:115], v[116:117] offset0:42 offset1:43
	;; [unrolled: 1-line block ×4, first 2 shown]
.LBB94_231:
	s_or_b32 exec_lo, exec_lo, s0
	s_mov_b32 s0, exec_lo
	s_waitcnt lgkmcnt(0)
	s_waitcnt_vscnt null, 0x0
	s_barrier
	buffer_gl0_inv
	v_cmpx_lt_i32_e32 13, v111
	s_cbranch_execz .LBB94_233
; %bb.232:
	v_mul_f64 v[72:73], v[0:1], v[72:73]
	ds_read2_b64 v[112:115], v108 offset0:14 offset1:15
	ds_read2_b64 v[116:119], v108 offset0:16 offset1:17
	;; [unrolled: 1-line block ×13, first 2 shown]
	s_waitcnt lgkmcnt(12)
	v_fma_f64 v[70:71], -v[72:73], v[112:113], v[70:71]
	v_fma_f64 v[68:69], -v[72:73], v[114:115], v[68:69]
	s_waitcnt lgkmcnt(11)
	v_fma_f64 v[66:67], -v[72:73], v[116:117], v[66:67]
	v_fma_f64 v[64:65], -v[72:73], v[118:119], v[64:65]
	;; [unrolled: 3-line block ×4, first 2 shown]
	ds_read2_b64 v[112:115], v108 offset0:40 offset1:41
	ds_read2_b64 v[116:119], v108 offset0:42 offset1:43
	;; [unrolled: 1-line block ×4, first 2 shown]
	s_waitcnt lgkmcnt(12)
	v_fma_f64 v[56:57], -v[72:73], v[128:129], v[56:57]
	v_fma_f64 v[52:53], -v[72:73], v[130:131], v[52:53]
	s_waitcnt lgkmcnt(11)
	v_fma_f64 v[50:51], -v[72:73], v[132:133], v[50:51]
	v_fma_f64 v[48:49], -v[72:73], v[134:135], v[48:49]
	;; [unrolled: 3-line block ×13, first 2 shown]
.LBB94_233:
	s_or_b32 exec_lo, exec_lo, s0
	v_lshl_add_u32 v0, v111, 3, v108
	s_barrier
	buffer_gl0_inv
	v_mov_b32_e32 v102, 14
	ds_write_b64 v0, v[70:71]
	s_waitcnt lgkmcnt(0)
	s_barrier
	buffer_gl0_inv
	ds_read_b64 v[0:1], v108 offset:112
	s_cmp_lt_i32 s7, 16
	s_cbranch_scc1 .LBB94_236
; %bb.234:
	v_add3_u32 v103, v109, 0, 0x78
	v_mov_b32_e32 v102, 14
	s_mov_b32 s0, 15
.LBB94_235:                             ; =>This Inner Loop Header: Depth=1
	ds_read_b64 v[112:113], v103
	v_add_nc_u32_e32 v103, 8, v103
	s_waitcnt lgkmcnt(0)
	v_cmp_lt_f64_e64 vcc_lo, |v[0:1]|, |v[112:113]|
	v_cndmask_b32_e32 v1, v1, v113, vcc_lo
	v_cndmask_b32_e32 v0, v0, v112, vcc_lo
	v_cndmask_b32_e64 v102, v102, s0, vcc_lo
	s_add_i32 s0, s0, 1
	s_cmp_lg_u32 s7, s0
	s_cbranch_scc1 .LBB94_235
.LBB94_236:
	s_mov_b32 s0, exec_lo
	s_waitcnt lgkmcnt(0)
	v_cmpx_eq_f64_e32 0, v[0:1]
	s_xor_b32 s0, exec_lo, s0
; %bb.237:
	v_cmp_ne_u32_e32 vcc_lo, 0, v105
	v_cndmask_b32_e32 v105, 15, v105, vcc_lo
; %bb.238:
	s_andn2_saveexec_b32 s0, s0
	s_cbranch_execz .LBB94_240
; %bb.239:
	v_div_scale_f64 v[103:104], null, v[0:1], v[0:1], 1.0
	v_rcp_f64_e32 v[112:113], v[103:104]
	v_fma_f64 v[114:115], -v[103:104], v[112:113], 1.0
	v_fma_f64 v[112:113], v[112:113], v[114:115], v[112:113]
	v_fma_f64 v[114:115], -v[103:104], v[112:113], 1.0
	v_fma_f64 v[112:113], v[112:113], v[114:115], v[112:113]
	v_div_scale_f64 v[114:115], vcc_lo, 1.0, v[0:1], 1.0
	v_mul_f64 v[116:117], v[114:115], v[112:113]
	v_fma_f64 v[103:104], -v[103:104], v[116:117], v[114:115]
	v_div_fmas_f64 v[103:104], v[103:104], v[112:113], v[116:117]
	v_div_fixup_f64 v[0:1], v[103:104], v[0:1], 1.0
.LBB94_240:
	s_or_b32 exec_lo, exec_lo, s0
	s_mov_b32 s0, exec_lo
	v_cmpx_ne_u32_e64 v111, v102
	s_xor_b32 s0, exec_lo, s0
	s_cbranch_execz .LBB94_246
; %bb.241:
	s_mov_b32 s1, exec_lo
	v_cmpx_eq_u32_e32 14, v111
	s_cbranch_execz .LBB94_245
; %bb.242:
	v_cmp_ne_u32_e32 vcc_lo, 14, v102
	s_xor_b32 s2, s6, -1
	s_and_b32 s3, s2, vcc_lo
	s_and_saveexec_b32 s2, s3
	s_cbranch_execz .LBB94_244
; %bb.243:
	v_ashrrev_i32_e32 v103, 31, v102
	v_lshlrev_b64 v[103:104], 2, v[102:103]
	v_add_co_u32 v103, vcc_lo, v4, v103
	v_add_co_ci_u32_e64 v104, null, v5, v104, vcc_lo
	s_clause 0x1
	global_load_dword v110, v[103:104], off
	global_load_dword v111, v[4:5], off offset:56
	s_waitcnt vmcnt(1)
	global_store_dword v[4:5], v110, off offset:56
	s_waitcnt vmcnt(0)
	global_store_dword v[103:104], v111, off
.LBB94_244:
	s_or_b32 exec_lo, exec_lo, s2
	v_mov_b32_e32 v110, v102
	v_mov_b32_e32 v111, v102
.LBB94_245:
	s_or_b32 exec_lo, exec_lo, s1
.LBB94_246:
	s_andn2_saveexec_b32 s0, s0
	s_cbranch_execz .LBB94_248
; %bb.247:
	v_mov_b32_e32 v111, 14
	ds_write2_b64 v108, v[68:69], v[66:67] offset0:15 offset1:16
	ds_write2_b64 v108, v[64:65], v[62:63] offset0:17 offset1:18
	;; [unrolled: 1-line block ×16, first 2 shown]
	ds_write_b64 v108, v[100:101] offset:376
.LBB94_248:
	s_or_b32 exec_lo, exec_lo, s0
	s_mov_b32 s0, exec_lo
	s_waitcnt lgkmcnt(0)
	s_waitcnt_vscnt null, 0x0
	s_barrier
	buffer_gl0_inv
	v_cmpx_lt_i32_e32 14, v111
	s_cbranch_execz .LBB94_250
; %bb.249:
	v_mul_f64 v[70:71], v[0:1], v[70:71]
	ds_read2_b64 v[112:115], v108 offset0:15 offset1:16
	ds_read2_b64 v[116:119], v108 offset0:17 offset1:18
	;; [unrolled: 1-line block ×13, first 2 shown]
	ds_read_b64 v[0:1], v108 offset:376
	s_waitcnt lgkmcnt(13)
	v_fma_f64 v[68:69], -v[70:71], v[112:113], v[68:69]
	v_fma_f64 v[66:67], -v[70:71], v[114:115], v[66:67]
	s_waitcnt lgkmcnt(12)
	v_fma_f64 v[64:65], -v[70:71], v[116:117], v[64:65]
	v_fma_f64 v[62:63], -v[70:71], v[118:119], v[62:63]
	;; [unrolled: 3-line block ×3, first 2 shown]
	ds_read2_b64 v[112:115], v108 offset0:41 offset1:42
	ds_read2_b64 v[116:119], v108 offset0:43 offset1:44
	;; [unrolled: 1-line block ×3, first 2 shown]
	s_waitcnt lgkmcnt(13)
	v_fma_f64 v[54:55], -v[70:71], v[124:125], v[54:55]
	v_fma_f64 v[56:57], -v[70:71], v[126:127], v[56:57]
	s_waitcnt lgkmcnt(12)
	v_fma_f64 v[52:53], -v[70:71], v[128:129], v[52:53]
	v_fma_f64 v[50:51], -v[70:71], v[130:131], v[50:51]
	;; [unrolled: 3-line block ×13, first 2 shown]
	v_fma_f64 v[100:101], -v[70:71], v[0:1], v[100:101]
.LBB94_250:
	s_or_b32 exec_lo, exec_lo, s0
	v_lshl_add_u32 v0, v111, 3, v108
	s_barrier
	buffer_gl0_inv
	v_mov_b32_e32 v102, 15
	ds_write_b64 v0, v[68:69]
	s_waitcnt lgkmcnt(0)
	s_barrier
	buffer_gl0_inv
	ds_read_b64 v[0:1], v108 offset:120
	s_cmp_lt_i32 s7, 17
	s_cbranch_scc1 .LBB94_253
; %bb.251:
	v_add3_u32 v103, v109, 0, 0x80
	v_mov_b32_e32 v102, 15
	s_mov_b32 s0, 16
.LBB94_252:                             ; =>This Inner Loop Header: Depth=1
	ds_read_b64 v[112:113], v103
	v_add_nc_u32_e32 v103, 8, v103
	s_waitcnt lgkmcnt(0)
	v_cmp_lt_f64_e64 vcc_lo, |v[0:1]|, |v[112:113]|
	v_cndmask_b32_e32 v1, v1, v113, vcc_lo
	v_cndmask_b32_e32 v0, v0, v112, vcc_lo
	v_cndmask_b32_e64 v102, v102, s0, vcc_lo
	s_add_i32 s0, s0, 1
	s_cmp_lg_u32 s7, s0
	s_cbranch_scc1 .LBB94_252
.LBB94_253:
	s_mov_b32 s0, exec_lo
	s_waitcnt lgkmcnt(0)
	v_cmpx_eq_f64_e32 0, v[0:1]
	s_xor_b32 s0, exec_lo, s0
; %bb.254:
	v_cmp_ne_u32_e32 vcc_lo, 0, v105
	v_cndmask_b32_e32 v105, 16, v105, vcc_lo
; %bb.255:
	s_andn2_saveexec_b32 s0, s0
	s_cbranch_execz .LBB94_257
; %bb.256:
	v_div_scale_f64 v[103:104], null, v[0:1], v[0:1], 1.0
	v_rcp_f64_e32 v[112:113], v[103:104]
	v_fma_f64 v[114:115], -v[103:104], v[112:113], 1.0
	v_fma_f64 v[112:113], v[112:113], v[114:115], v[112:113]
	v_fma_f64 v[114:115], -v[103:104], v[112:113], 1.0
	v_fma_f64 v[112:113], v[112:113], v[114:115], v[112:113]
	v_div_scale_f64 v[114:115], vcc_lo, 1.0, v[0:1], 1.0
	v_mul_f64 v[116:117], v[114:115], v[112:113]
	v_fma_f64 v[103:104], -v[103:104], v[116:117], v[114:115]
	v_div_fmas_f64 v[103:104], v[103:104], v[112:113], v[116:117]
	v_div_fixup_f64 v[0:1], v[103:104], v[0:1], 1.0
.LBB94_257:
	s_or_b32 exec_lo, exec_lo, s0
	s_mov_b32 s0, exec_lo
	v_cmpx_ne_u32_e64 v111, v102
	s_xor_b32 s0, exec_lo, s0
	s_cbranch_execz .LBB94_263
; %bb.258:
	s_mov_b32 s1, exec_lo
	v_cmpx_eq_u32_e32 15, v111
	s_cbranch_execz .LBB94_262
; %bb.259:
	v_cmp_ne_u32_e32 vcc_lo, 15, v102
	s_xor_b32 s2, s6, -1
	s_and_b32 s3, s2, vcc_lo
	s_and_saveexec_b32 s2, s3
	s_cbranch_execz .LBB94_261
; %bb.260:
	v_ashrrev_i32_e32 v103, 31, v102
	v_lshlrev_b64 v[103:104], 2, v[102:103]
	v_add_co_u32 v103, vcc_lo, v4, v103
	v_add_co_ci_u32_e64 v104, null, v5, v104, vcc_lo
	s_clause 0x1
	global_load_dword v110, v[103:104], off
	global_load_dword v111, v[4:5], off offset:60
	s_waitcnt vmcnt(1)
	global_store_dword v[4:5], v110, off offset:60
	s_waitcnt vmcnt(0)
	global_store_dword v[103:104], v111, off
.LBB94_261:
	s_or_b32 exec_lo, exec_lo, s2
	v_mov_b32_e32 v110, v102
	v_mov_b32_e32 v111, v102
.LBB94_262:
	s_or_b32 exec_lo, exec_lo, s1
.LBB94_263:
	s_andn2_saveexec_b32 s0, s0
	s_cbranch_execz .LBB94_265
; %bb.264:
	v_mov_b32_e32 v102, v66
	v_mov_b32_e32 v103, v67
	;; [unrolled: 1-line block ×8, first 2 shown]
	ds_write2_b64 v108, v[102:103], v[111:112] offset0:16 offset1:17
	ds_write2_b64 v108, v[113:114], v[115:116] offset0:18 offset1:19
	v_mov_b32_e32 v102, v60
	v_mov_b32_e32 v103, v61
	;; [unrolled: 1-line block ×20, first 2 shown]
	ds_write2_b64 v108, v[102:103], v[111:112] offset0:20 offset1:21
	ds_write2_b64 v108, v[113:114], v[115:116] offset0:22 offset1:23
	;; [unrolled: 1-line block ×5, first 2 shown]
	v_mov_b32_e32 v102, v40
	v_mov_b32_e32 v103, v41
	;; [unrolled: 1-line block ×20, first 2 shown]
	ds_write2_b64 v108, v[102:103], v[111:112] offset0:30 offset1:31
	ds_write2_b64 v108, v[113:114], v[115:116] offset0:32 offset1:33
	ds_write2_b64 v108, v[117:118], v[119:120] offset0:34 offset1:35
	ds_write2_b64 v108, v[121:122], v[123:124] offset0:36 offset1:37
	ds_write2_b64 v108, v[125:126], v[127:128] offset0:38 offset1:39
	v_mov_b32_e32 v102, v20
	v_mov_b32_e32 v103, v21
	;; [unrolled: 1-line block ×15, first 2 shown]
	ds_write2_b64 v108, v[102:103], v[112:113] offset0:40 offset1:41
	ds_write2_b64 v108, v[114:115], v[116:117] offset0:42 offset1:43
	;; [unrolled: 1-line block ×4, first 2 shown]
.LBB94_265:
	s_or_b32 exec_lo, exec_lo, s0
	s_mov_b32 s0, exec_lo
	s_waitcnt lgkmcnt(0)
	s_waitcnt_vscnt null, 0x0
	s_barrier
	buffer_gl0_inv
	v_cmpx_lt_i32_e32 15, v111
	s_cbranch_execz .LBB94_267
; %bb.266:
	v_mul_f64 v[68:69], v[0:1], v[68:69]
	ds_read2_b64 v[112:115], v108 offset0:16 offset1:17
	ds_read2_b64 v[116:119], v108 offset0:18 offset1:19
	;; [unrolled: 1-line block ×13, first 2 shown]
	s_waitcnt lgkmcnt(12)
	v_fma_f64 v[66:67], -v[68:69], v[112:113], v[66:67]
	v_fma_f64 v[64:65], -v[68:69], v[114:115], v[64:65]
	s_waitcnt lgkmcnt(11)
	v_fma_f64 v[62:63], -v[68:69], v[116:117], v[62:63]
	v_fma_f64 v[58:59], -v[68:69], v[118:119], v[58:59]
	;; [unrolled: 3-line block ×3, first 2 shown]
	ds_read2_b64 v[112:115], v108 offset0:42 offset1:43
	ds_read2_b64 v[116:119], v108 offset0:44 offset1:45
	;; [unrolled: 1-line block ×3, first 2 shown]
	s_waitcnt lgkmcnt(12)
	v_fma_f64 v[56:57], -v[68:69], v[124:125], v[56:57]
	v_fma_f64 v[52:53], -v[68:69], v[126:127], v[52:53]
	s_waitcnt lgkmcnt(11)
	v_fma_f64 v[50:51], -v[68:69], v[128:129], v[50:51]
	v_fma_f64 v[48:49], -v[68:69], v[130:131], v[48:49]
	;; [unrolled: 3-line block ×13, first 2 shown]
.LBB94_267:
	s_or_b32 exec_lo, exec_lo, s0
	v_lshl_add_u32 v0, v111, 3, v108
	s_barrier
	buffer_gl0_inv
	v_mov_b32_e32 v102, 16
	ds_write_b64 v0, v[66:67]
	s_waitcnt lgkmcnt(0)
	s_barrier
	buffer_gl0_inv
	ds_read_b64 v[0:1], v108 offset:128
	s_cmp_lt_i32 s7, 18
	s_cbranch_scc1 .LBB94_270
; %bb.268:
	v_add3_u32 v103, v109, 0, 0x88
	v_mov_b32_e32 v102, 16
	s_mov_b32 s0, 17
.LBB94_269:                             ; =>This Inner Loop Header: Depth=1
	ds_read_b64 v[112:113], v103
	v_add_nc_u32_e32 v103, 8, v103
	s_waitcnt lgkmcnt(0)
	v_cmp_lt_f64_e64 vcc_lo, |v[0:1]|, |v[112:113]|
	v_cndmask_b32_e32 v1, v1, v113, vcc_lo
	v_cndmask_b32_e32 v0, v0, v112, vcc_lo
	v_cndmask_b32_e64 v102, v102, s0, vcc_lo
	s_add_i32 s0, s0, 1
	s_cmp_lg_u32 s7, s0
	s_cbranch_scc1 .LBB94_269
.LBB94_270:
	s_mov_b32 s0, exec_lo
	s_waitcnt lgkmcnt(0)
	v_cmpx_eq_f64_e32 0, v[0:1]
	s_xor_b32 s0, exec_lo, s0
; %bb.271:
	v_cmp_ne_u32_e32 vcc_lo, 0, v105
	v_cndmask_b32_e32 v105, 17, v105, vcc_lo
; %bb.272:
	s_andn2_saveexec_b32 s0, s0
	s_cbranch_execz .LBB94_274
; %bb.273:
	v_div_scale_f64 v[103:104], null, v[0:1], v[0:1], 1.0
	v_rcp_f64_e32 v[112:113], v[103:104]
	v_fma_f64 v[114:115], -v[103:104], v[112:113], 1.0
	v_fma_f64 v[112:113], v[112:113], v[114:115], v[112:113]
	v_fma_f64 v[114:115], -v[103:104], v[112:113], 1.0
	v_fma_f64 v[112:113], v[112:113], v[114:115], v[112:113]
	v_div_scale_f64 v[114:115], vcc_lo, 1.0, v[0:1], 1.0
	v_mul_f64 v[116:117], v[114:115], v[112:113]
	v_fma_f64 v[103:104], -v[103:104], v[116:117], v[114:115]
	v_div_fmas_f64 v[103:104], v[103:104], v[112:113], v[116:117]
	v_div_fixup_f64 v[0:1], v[103:104], v[0:1], 1.0
.LBB94_274:
	s_or_b32 exec_lo, exec_lo, s0
	s_mov_b32 s0, exec_lo
	v_cmpx_ne_u32_e64 v111, v102
	s_xor_b32 s0, exec_lo, s0
	s_cbranch_execz .LBB94_280
; %bb.275:
	s_mov_b32 s1, exec_lo
	v_cmpx_eq_u32_e32 16, v111
	s_cbranch_execz .LBB94_279
; %bb.276:
	v_cmp_ne_u32_e32 vcc_lo, 16, v102
	s_xor_b32 s2, s6, -1
	s_and_b32 s3, s2, vcc_lo
	s_and_saveexec_b32 s2, s3
	s_cbranch_execz .LBB94_278
; %bb.277:
	v_ashrrev_i32_e32 v103, 31, v102
	v_lshlrev_b64 v[103:104], 2, v[102:103]
	v_add_co_u32 v103, vcc_lo, v4, v103
	v_add_co_ci_u32_e64 v104, null, v5, v104, vcc_lo
	s_clause 0x1
	global_load_dword v110, v[103:104], off
	global_load_dword v111, v[4:5], off offset:64
	s_waitcnt vmcnt(1)
	global_store_dword v[4:5], v110, off offset:64
	s_waitcnt vmcnt(0)
	global_store_dword v[103:104], v111, off
.LBB94_278:
	s_or_b32 exec_lo, exec_lo, s2
	v_mov_b32_e32 v110, v102
	v_mov_b32_e32 v111, v102
.LBB94_279:
	s_or_b32 exec_lo, exec_lo, s1
.LBB94_280:
	s_andn2_saveexec_b32 s0, s0
	s_cbranch_execz .LBB94_282
; %bb.281:
	v_mov_b32_e32 v111, 16
	ds_write2_b64 v108, v[64:65], v[62:63] offset0:17 offset1:18
	ds_write2_b64 v108, v[58:59], v[60:61] offset0:19 offset1:20
	;; [unrolled: 1-line block ×15, first 2 shown]
	ds_write_b64 v108, v[100:101] offset:376
.LBB94_282:
	s_or_b32 exec_lo, exec_lo, s0
	s_mov_b32 s0, exec_lo
	s_waitcnt lgkmcnt(0)
	s_waitcnt_vscnt null, 0x0
	s_barrier
	buffer_gl0_inv
	v_cmpx_lt_i32_e32 16, v111
	s_cbranch_execz .LBB94_284
; %bb.283:
	v_mul_f64 v[66:67], v[0:1], v[66:67]
	ds_read2_b64 v[112:115], v108 offset0:17 offset1:18
	ds_read2_b64 v[116:119], v108 offset0:19 offset1:20
	;; [unrolled: 1-line block ×13, first 2 shown]
	ds_read_b64 v[0:1], v108 offset:376
	s_waitcnt lgkmcnt(13)
	v_fma_f64 v[64:65], -v[66:67], v[112:113], v[64:65]
	v_fma_f64 v[62:63], -v[66:67], v[114:115], v[62:63]
	s_waitcnt lgkmcnt(12)
	v_fma_f64 v[58:59], -v[66:67], v[116:117], v[58:59]
	v_fma_f64 v[60:61], -v[66:67], v[118:119], v[60:61]
	ds_read2_b64 v[112:115], v108 offset0:43 offset1:44
	ds_read2_b64 v[116:119], v108 offset0:45 offset1:46
	s_waitcnt lgkmcnt(13)
	v_fma_f64 v[54:55], -v[66:67], v[120:121], v[54:55]
	v_fma_f64 v[56:57], -v[66:67], v[122:123], v[56:57]
	s_waitcnt lgkmcnt(12)
	v_fma_f64 v[52:53], -v[66:67], v[124:125], v[52:53]
	v_fma_f64 v[50:51], -v[66:67], v[126:127], v[50:51]
	;; [unrolled: 3-line block ×13, first 2 shown]
	v_fma_f64 v[100:101], -v[66:67], v[0:1], v[100:101]
.LBB94_284:
	s_or_b32 exec_lo, exec_lo, s0
	v_lshl_add_u32 v0, v111, 3, v108
	s_barrier
	buffer_gl0_inv
	v_mov_b32_e32 v102, 17
	ds_write_b64 v0, v[64:65]
	s_waitcnt lgkmcnt(0)
	s_barrier
	buffer_gl0_inv
	ds_read_b64 v[0:1], v108 offset:136
	s_cmp_lt_i32 s7, 19
	s_cbranch_scc1 .LBB94_287
; %bb.285:
	v_add3_u32 v103, v109, 0, 0x90
	v_mov_b32_e32 v102, 17
	s_mov_b32 s0, 18
.LBB94_286:                             ; =>This Inner Loop Header: Depth=1
	ds_read_b64 v[112:113], v103
	v_add_nc_u32_e32 v103, 8, v103
	s_waitcnt lgkmcnt(0)
	v_cmp_lt_f64_e64 vcc_lo, |v[0:1]|, |v[112:113]|
	v_cndmask_b32_e32 v1, v1, v113, vcc_lo
	v_cndmask_b32_e32 v0, v0, v112, vcc_lo
	v_cndmask_b32_e64 v102, v102, s0, vcc_lo
	s_add_i32 s0, s0, 1
	s_cmp_lg_u32 s7, s0
	s_cbranch_scc1 .LBB94_286
.LBB94_287:
	s_mov_b32 s0, exec_lo
	s_waitcnt lgkmcnt(0)
	v_cmpx_eq_f64_e32 0, v[0:1]
	s_xor_b32 s0, exec_lo, s0
; %bb.288:
	v_cmp_ne_u32_e32 vcc_lo, 0, v105
	v_cndmask_b32_e32 v105, 18, v105, vcc_lo
; %bb.289:
	s_andn2_saveexec_b32 s0, s0
	s_cbranch_execz .LBB94_291
; %bb.290:
	v_div_scale_f64 v[103:104], null, v[0:1], v[0:1], 1.0
	v_rcp_f64_e32 v[112:113], v[103:104]
	v_fma_f64 v[114:115], -v[103:104], v[112:113], 1.0
	v_fma_f64 v[112:113], v[112:113], v[114:115], v[112:113]
	v_fma_f64 v[114:115], -v[103:104], v[112:113], 1.0
	v_fma_f64 v[112:113], v[112:113], v[114:115], v[112:113]
	v_div_scale_f64 v[114:115], vcc_lo, 1.0, v[0:1], 1.0
	v_mul_f64 v[116:117], v[114:115], v[112:113]
	v_fma_f64 v[103:104], -v[103:104], v[116:117], v[114:115]
	v_div_fmas_f64 v[103:104], v[103:104], v[112:113], v[116:117]
	v_div_fixup_f64 v[0:1], v[103:104], v[0:1], 1.0
.LBB94_291:
	s_or_b32 exec_lo, exec_lo, s0
	s_mov_b32 s0, exec_lo
	v_cmpx_ne_u32_e64 v111, v102
	s_xor_b32 s0, exec_lo, s0
	s_cbranch_execz .LBB94_297
; %bb.292:
	s_mov_b32 s1, exec_lo
	v_cmpx_eq_u32_e32 17, v111
	s_cbranch_execz .LBB94_296
; %bb.293:
	v_cmp_ne_u32_e32 vcc_lo, 17, v102
	s_xor_b32 s2, s6, -1
	s_and_b32 s3, s2, vcc_lo
	s_and_saveexec_b32 s2, s3
	s_cbranch_execz .LBB94_295
; %bb.294:
	v_ashrrev_i32_e32 v103, 31, v102
	v_lshlrev_b64 v[103:104], 2, v[102:103]
	v_add_co_u32 v103, vcc_lo, v4, v103
	v_add_co_ci_u32_e64 v104, null, v5, v104, vcc_lo
	s_clause 0x1
	global_load_dword v110, v[103:104], off
	global_load_dword v111, v[4:5], off offset:68
	s_waitcnt vmcnt(1)
	global_store_dword v[4:5], v110, off offset:68
	s_waitcnt vmcnt(0)
	global_store_dword v[103:104], v111, off
.LBB94_295:
	s_or_b32 exec_lo, exec_lo, s2
	v_mov_b32_e32 v110, v102
	v_mov_b32_e32 v111, v102
.LBB94_296:
	s_or_b32 exec_lo, exec_lo, s1
.LBB94_297:
	s_andn2_saveexec_b32 s0, s0
	s_cbranch_execz .LBB94_299
; %bb.298:
	v_mov_b32_e32 v102, v62
	v_mov_b32_e32 v103, v63
	;; [unrolled: 1-line block ×8, first 2 shown]
	ds_write2_b64 v108, v[102:103], v[111:112] offset0:18 offset1:19
	v_mov_b32_e32 v102, v54
	v_mov_b32_e32 v103, v55
	;; [unrolled: 1-line block ×16, first 2 shown]
	ds_write2_b64 v108, v[113:114], v[102:103] offset0:20 offset1:21
	ds_write2_b64 v108, v[111:112], v[115:116] offset0:22 offset1:23
	;; [unrolled: 1-line block ×5, first 2 shown]
	v_mov_b32_e32 v102, v40
	v_mov_b32_e32 v103, v41
	;; [unrolled: 1-line block ×20, first 2 shown]
	ds_write2_b64 v108, v[102:103], v[111:112] offset0:30 offset1:31
	ds_write2_b64 v108, v[113:114], v[115:116] offset0:32 offset1:33
	;; [unrolled: 1-line block ×5, first 2 shown]
	v_mov_b32_e32 v102, v20
	v_mov_b32_e32 v103, v21
	;; [unrolled: 1-line block ×15, first 2 shown]
	ds_write2_b64 v108, v[102:103], v[112:113] offset0:40 offset1:41
	ds_write2_b64 v108, v[114:115], v[116:117] offset0:42 offset1:43
	;; [unrolled: 1-line block ×4, first 2 shown]
.LBB94_299:
	s_or_b32 exec_lo, exec_lo, s0
	s_mov_b32 s0, exec_lo
	s_waitcnt lgkmcnt(0)
	s_waitcnt_vscnt null, 0x0
	s_barrier
	buffer_gl0_inv
	v_cmpx_lt_i32_e32 17, v111
	s_cbranch_execz .LBB94_301
; %bb.300:
	v_mul_f64 v[64:65], v[0:1], v[64:65]
	ds_read2_b64 v[112:115], v108 offset0:18 offset1:19
	ds_read2_b64 v[116:119], v108 offset0:20 offset1:21
	;; [unrolled: 1-line block ×14, first 2 shown]
	s_waitcnt lgkmcnt(13)
	v_fma_f64 v[62:63], -v[64:65], v[112:113], v[62:63]
	v_fma_f64 v[58:59], -v[64:65], v[114:115], v[58:59]
	ds_read2_b64 v[112:115], v108 offset0:46 offset1:47
	s_waitcnt lgkmcnt(13)
	v_fma_f64 v[60:61], -v[64:65], v[116:117], v[60:61]
	v_fma_f64 v[54:55], -v[64:65], v[118:119], v[54:55]
	s_waitcnt lgkmcnt(12)
	v_fma_f64 v[56:57], -v[64:65], v[120:121], v[56:57]
	v_fma_f64 v[52:53], -v[64:65], v[122:123], v[52:53]
	;; [unrolled: 3-line block ×14, first 2 shown]
.LBB94_301:
	s_or_b32 exec_lo, exec_lo, s0
	v_lshl_add_u32 v0, v111, 3, v108
	s_barrier
	buffer_gl0_inv
	v_mov_b32_e32 v102, 18
	ds_write_b64 v0, v[62:63]
	s_waitcnt lgkmcnt(0)
	s_barrier
	buffer_gl0_inv
	ds_read_b64 v[0:1], v108 offset:144
	s_cmp_lt_i32 s7, 20
	s_cbranch_scc1 .LBB94_304
; %bb.302:
	v_add3_u32 v103, v109, 0, 0x98
	v_mov_b32_e32 v102, 18
	s_mov_b32 s0, 19
.LBB94_303:                             ; =>This Inner Loop Header: Depth=1
	ds_read_b64 v[112:113], v103
	v_add_nc_u32_e32 v103, 8, v103
	s_waitcnt lgkmcnt(0)
	v_cmp_lt_f64_e64 vcc_lo, |v[0:1]|, |v[112:113]|
	v_cndmask_b32_e32 v1, v1, v113, vcc_lo
	v_cndmask_b32_e32 v0, v0, v112, vcc_lo
	v_cndmask_b32_e64 v102, v102, s0, vcc_lo
	s_add_i32 s0, s0, 1
	s_cmp_lg_u32 s7, s0
	s_cbranch_scc1 .LBB94_303
.LBB94_304:
	s_mov_b32 s0, exec_lo
	s_waitcnt lgkmcnt(0)
	v_cmpx_eq_f64_e32 0, v[0:1]
	s_xor_b32 s0, exec_lo, s0
; %bb.305:
	v_cmp_ne_u32_e32 vcc_lo, 0, v105
	v_cndmask_b32_e32 v105, 19, v105, vcc_lo
; %bb.306:
	s_andn2_saveexec_b32 s0, s0
	s_cbranch_execz .LBB94_308
; %bb.307:
	v_div_scale_f64 v[103:104], null, v[0:1], v[0:1], 1.0
	v_rcp_f64_e32 v[112:113], v[103:104]
	v_fma_f64 v[114:115], -v[103:104], v[112:113], 1.0
	v_fma_f64 v[112:113], v[112:113], v[114:115], v[112:113]
	v_fma_f64 v[114:115], -v[103:104], v[112:113], 1.0
	v_fma_f64 v[112:113], v[112:113], v[114:115], v[112:113]
	v_div_scale_f64 v[114:115], vcc_lo, 1.0, v[0:1], 1.0
	v_mul_f64 v[116:117], v[114:115], v[112:113]
	v_fma_f64 v[103:104], -v[103:104], v[116:117], v[114:115]
	v_div_fmas_f64 v[103:104], v[103:104], v[112:113], v[116:117]
	v_div_fixup_f64 v[0:1], v[103:104], v[0:1], 1.0
.LBB94_308:
	s_or_b32 exec_lo, exec_lo, s0
	s_mov_b32 s0, exec_lo
	v_cmpx_ne_u32_e64 v111, v102
	s_xor_b32 s0, exec_lo, s0
	s_cbranch_execz .LBB94_314
; %bb.309:
	s_mov_b32 s1, exec_lo
	v_cmpx_eq_u32_e32 18, v111
	s_cbranch_execz .LBB94_313
; %bb.310:
	v_cmp_ne_u32_e32 vcc_lo, 18, v102
	s_xor_b32 s2, s6, -1
	s_and_b32 s3, s2, vcc_lo
	s_and_saveexec_b32 s2, s3
	s_cbranch_execz .LBB94_312
; %bb.311:
	v_ashrrev_i32_e32 v103, 31, v102
	v_lshlrev_b64 v[103:104], 2, v[102:103]
	v_add_co_u32 v103, vcc_lo, v4, v103
	v_add_co_ci_u32_e64 v104, null, v5, v104, vcc_lo
	s_clause 0x1
	global_load_dword v110, v[103:104], off
	global_load_dword v111, v[4:5], off offset:72
	s_waitcnt vmcnt(1)
	global_store_dword v[4:5], v110, off offset:72
	s_waitcnt vmcnt(0)
	global_store_dword v[103:104], v111, off
.LBB94_312:
	s_or_b32 exec_lo, exec_lo, s2
	v_mov_b32_e32 v110, v102
	v_mov_b32_e32 v111, v102
.LBB94_313:
	s_or_b32 exec_lo, exec_lo, s1
.LBB94_314:
	s_andn2_saveexec_b32 s0, s0
	s_cbranch_execz .LBB94_316
; %bb.315:
	v_mov_b32_e32 v111, 18
	ds_write2_b64 v108, v[58:59], v[60:61] offset0:19 offset1:20
	ds_write2_b64 v108, v[54:55], v[56:57] offset0:21 offset1:22
	;; [unrolled: 1-line block ×14, first 2 shown]
	ds_write_b64 v108, v[100:101] offset:376
.LBB94_316:
	s_or_b32 exec_lo, exec_lo, s0
	s_mov_b32 s0, exec_lo
	s_waitcnt lgkmcnt(0)
	s_waitcnt_vscnt null, 0x0
	s_barrier
	buffer_gl0_inv
	v_cmpx_lt_i32_e32 18, v111
	s_cbranch_execz .LBB94_318
; %bb.317:
	v_mul_f64 v[62:63], v[0:1], v[62:63]
	ds_read2_b64 v[112:115], v108 offset0:19 offset1:20
	ds_read2_b64 v[116:119], v108 offset0:21 offset1:22
	;; [unrolled: 1-line block ×14, first 2 shown]
	ds_read_b64 v[0:1], v108 offset:376
	s_waitcnt lgkmcnt(14)
	v_fma_f64 v[58:59], -v[62:63], v[112:113], v[58:59]
	v_fma_f64 v[60:61], -v[62:63], v[114:115], v[60:61]
	s_waitcnt lgkmcnt(13)
	v_fma_f64 v[54:55], -v[62:63], v[116:117], v[54:55]
	v_fma_f64 v[56:57], -v[62:63], v[118:119], v[56:57]
	;; [unrolled: 3-line block ×14, first 2 shown]
	s_waitcnt lgkmcnt(0)
	v_fma_f64 v[100:101], -v[62:63], v[0:1], v[100:101]
.LBB94_318:
	s_or_b32 exec_lo, exec_lo, s0
	v_lshl_add_u32 v0, v111, 3, v108
	s_barrier
	buffer_gl0_inv
	v_mov_b32_e32 v102, 19
	ds_write_b64 v0, v[58:59]
	s_waitcnt lgkmcnt(0)
	s_barrier
	buffer_gl0_inv
	ds_read_b64 v[0:1], v108 offset:152
	s_cmp_lt_i32 s7, 21
	s_cbranch_scc1 .LBB94_321
; %bb.319:
	v_add3_u32 v103, v109, 0, 0xa0
	v_mov_b32_e32 v102, 19
	s_mov_b32 s0, 20
.LBB94_320:                             ; =>This Inner Loop Header: Depth=1
	ds_read_b64 v[112:113], v103
	v_add_nc_u32_e32 v103, 8, v103
	s_waitcnt lgkmcnt(0)
	v_cmp_lt_f64_e64 vcc_lo, |v[0:1]|, |v[112:113]|
	v_cndmask_b32_e32 v1, v1, v113, vcc_lo
	v_cndmask_b32_e32 v0, v0, v112, vcc_lo
	v_cndmask_b32_e64 v102, v102, s0, vcc_lo
	s_add_i32 s0, s0, 1
	s_cmp_lg_u32 s7, s0
	s_cbranch_scc1 .LBB94_320
.LBB94_321:
	s_mov_b32 s0, exec_lo
	s_waitcnt lgkmcnt(0)
	v_cmpx_eq_f64_e32 0, v[0:1]
	s_xor_b32 s0, exec_lo, s0
; %bb.322:
	v_cmp_ne_u32_e32 vcc_lo, 0, v105
	v_cndmask_b32_e32 v105, 20, v105, vcc_lo
; %bb.323:
	s_andn2_saveexec_b32 s0, s0
	s_cbranch_execz .LBB94_325
; %bb.324:
	v_div_scale_f64 v[103:104], null, v[0:1], v[0:1], 1.0
	v_rcp_f64_e32 v[112:113], v[103:104]
	v_fma_f64 v[114:115], -v[103:104], v[112:113], 1.0
	v_fma_f64 v[112:113], v[112:113], v[114:115], v[112:113]
	v_fma_f64 v[114:115], -v[103:104], v[112:113], 1.0
	v_fma_f64 v[112:113], v[112:113], v[114:115], v[112:113]
	v_div_scale_f64 v[114:115], vcc_lo, 1.0, v[0:1], 1.0
	v_mul_f64 v[116:117], v[114:115], v[112:113]
	v_fma_f64 v[103:104], -v[103:104], v[116:117], v[114:115]
	v_div_fmas_f64 v[103:104], v[103:104], v[112:113], v[116:117]
	v_div_fixup_f64 v[0:1], v[103:104], v[0:1], 1.0
.LBB94_325:
	s_or_b32 exec_lo, exec_lo, s0
	s_mov_b32 s0, exec_lo
	v_cmpx_ne_u32_e64 v111, v102
	s_xor_b32 s0, exec_lo, s0
	s_cbranch_execz .LBB94_331
; %bb.326:
	s_mov_b32 s1, exec_lo
	v_cmpx_eq_u32_e32 19, v111
	s_cbranch_execz .LBB94_330
; %bb.327:
	v_cmp_ne_u32_e32 vcc_lo, 19, v102
	s_xor_b32 s2, s6, -1
	s_and_b32 s3, s2, vcc_lo
	s_and_saveexec_b32 s2, s3
	s_cbranch_execz .LBB94_329
; %bb.328:
	v_ashrrev_i32_e32 v103, 31, v102
	v_lshlrev_b64 v[103:104], 2, v[102:103]
	v_add_co_u32 v103, vcc_lo, v4, v103
	v_add_co_ci_u32_e64 v104, null, v5, v104, vcc_lo
	s_clause 0x1
	global_load_dword v110, v[103:104], off
	global_load_dword v111, v[4:5], off offset:76
	s_waitcnt vmcnt(1)
	global_store_dword v[4:5], v110, off offset:76
	s_waitcnt vmcnt(0)
	global_store_dword v[103:104], v111, off
.LBB94_329:
	s_or_b32 exec_lo, exec_lo, s2
	v_mov_b32_e32 v110, v102
	v_mov_b32_e32 v111, v102
.LBB94_330:
	s_or_b32 exec_lo, exec_lo, s1
.LBB94_331:
	s_andn2_saveexec_b32 s0, s0
	s_cbranch_execz .LBB94_333
; %bb.332:
	v_mov_b32_e32 v102, v60
	v_mov_b32_e32 v103, v61
	v_mov_b32_e32 v111, v54
	v_mov_b32_e32 v112, v55
	v_mov_b32_e32 v113, v56
	v_mov_b32_e32 v114, v57
	v_mov_b32_e32 v115, v52
	v_mov_b32_e32 v116, v53
	v_mov_b32_e32 v117, v50
	v_mov_b32_e32 v118, v51
	v_mov_b32_e32 v119, v48
	v_mov_b32_e32 v120, v49
	v_mov_b32_e32 v121, v46
	v_mov_b32_e32 v122, v47
	v_mov_b32_e32 v123, v44
	v_mov_b32_e32 v124, v45
	v_mov_b32_e32 v125, v42
	v_mov_b32_e32 v126, v43
	v_mov_b32_e32 v127, v38
	v_mov_b32_e32 v128, v39
	ds_write2_b64 v108, v[102:103], v[111:112] offset0:20 offset1:21
	ds_write2_b64 v108, v[113:114], v[115:116] offset0:22 offset1:23
	ds_write2_b64 v108, v[117:118], v[119:120] offset0:24 offset1:25
	ds_write2_b64 v108, v[121:122], v[123:124] offset0:26 offset1:27
	ds_write2_b64 v108, v[125:126], v[127:128] offset0:28 offset1:29
	v_mov_b32_e32 v102, v40
	v_mov_b32_e32 v103, v41
	;; [unrolled: 1-line block ×20, first 2 shown]
	ds_write2_b64 v108, v[102:103], v[111:112] offset0:30 offset1:31
	ds_write2_b64 v108, v[113:114], v[115:116] offset0:32 offset1:33
	;; [unrolled: 1-line block ×5, first 2 shown]
	v_mov_b32_e32 v102, v20
	v_mov_b32_e32 v103, v21
	;; [unrolled: 1-line block ×15, first 2 shown]
	ds_write2_b64 v108, v[102:103], v[112:113] offset0:40 offset1:41
	ds_write2_b64 v108, v[114:115], v[116:117] offset0:42 offset1:43
	;; [unrolled: 1-line block ×4, first 2 shown]
.LBB94_333:
	s_or_b32 exec_lo, exec_lo, s0
	s_mov_b32 s0, exec_lo
	s_waitcnt lgkmcnt(0)
	s_waitcnt_vscnt null, 0x0
	s_barrier
	buffer_gl0_inv
	v_cmpx_lt_i32_e32 19, v111
	s_cbranch_execz .LBB94_335
; %bb.334:
	v_mul_f64 v[58:59], v[0:1], v[58:59]
	ds_read2_b64 v[112:115], v108 offset0:20 offset1:21
	ds_read2_b64 v[116:119], v108 offset0:22 offset1:23
	;; [unrolled: 1-line block ×14, first 2 shown]
	s_waitcnt lgkmcnt(13)
	v_fma_f64 v[60:61], -v[58:59], v[112:113], v[60:61]
	v_fma_f64 v[54:55], -v[58:59], v[114:115], v[54:55]
	s_waitcnt lgkmcnt(12)
	v_fma_f64 v[56:57], -v[58:59], v[116:117], v[56:57]
	v_fma_f64 v[52:53], -v[58:59], v[118:119], v[52:53]
	;; [unrolled: 3-line block ×14, first 2 shown]
.LBB94_335:
	s_or_b32 exec_lo, exec_lo, s0
	v_lshl_add_u32 v0, v111, 3, v108
	s_barrier
	buffer_gl0_inv
	v_mov_b32_e32 v102, 20
	ds_write_b64 v0, v[60:61]
	s_waitcnt lgkmcnt(0)
	s_barrier
	buffer_gl0_inv
	ds_read_b64 v[0:1], v108 offset:160
	s_cmp_lt_i32 s7, 22
	s_cbranch_scc1 .LBB94_338
; %bb.336:
	v_add3_u32 v103, v109, 0, 0xa8
	v_mov_b32_e32 v102, 20
	s_mov_b32 s0, 21
.LBB94_337:                             ; =>This Inner Loop Header: Depth=1
	ds_read_b64 v[112:113], v103
	v_add_nc_u32_e32 v103, 8, v103
	s_waitcnt lgkmcnt(0)
	v_cmp_lt_f64_e64 vcc_lo, |v[0:1]|, |v[112:113]|
	v_cndmask_b32_e32 v1, v1, v113, vcc_lo
	v_cndmask_b32_e32 v0, v0, v112, vcc_lo
	v_cndmask_b32_e64 v102, v102, s0, vcc_lo
	s_add_i32 s0, s0, 1
	s_cmp_lg_u32 s7, s0
	s_cbranch_scc1 .LBB94_337
.LBB94_338:
	s_mov_b32 s0, exec_lo
	s_waitcnt lgkmcnt(0)
	v_cmpx_eq_f64_e32 0, v[0:1]
	s_xor_b32 s0, exec_lo, s0
; %bb.339:
	v_cmp_ne_u32_e32 vcc_lo, 0, v105
	v_cndmask_b32_e32 v105, 21, v105, vcc_lo
; %bb.340:
	s_andn2_saveexec_b32 s0, s0
	s_cbranch_execz .LBB94_342
; %bb.341:
	v_div_scale_f64 v[103:104], null, v[0:1], v[0:1], 1.0
	v_rcp_f64_e32 v[112:113], v[103:104]
	v_fma_f64 v[114:115], -v[103:104], v[112:113], 1.0
	v_fma_f64 v[112:113], v[112:113], v[114:115], v[112:113]
	v_fma_f64 v[114:115], -v[103:104], v[112:113], 1.0
	v_fma_f64 v[112:113], v[112:113], v[114:115], v[112:113]
	v_div_scale_f64 v[114:115], vcc_lo, 1.0, v[0:1], 1.0
	v_mul_f64 v[116:117], v[114:115], v[112:113]
	v_fma_f64 v[103:104], -v[103:104], v[116:117], v[114:115]
	v_div_fmas_f64 v[103:104], v[103:104], v[112:113], v[116:117]
	v_div_fixup_f64 v[0:1], v[103:104], v[0:1], 1.0
.LBB94_342:
	s_or_b32 exec_lo, exec_lo, s0
	s_mov_b32 s0, exec_lo
	v_cmpx_ne_u32_e64 v111, v102
	s_xor_b32 s0, exec_lo, s0
	s_cbranch_execz .LBB94_348
; %bb.343:
	s_mov_b32 s1, exec_lo
	v_cmpx_eq_u32_e32 20, v111
	s_cbranch_execz .LBB94_347
; %bb.344:
	v_cmp_ne_u32_e32 vcc_lo, 20, v102
	s_xor_b32 s2, s6, -1
	s_and_b32 s3, s2, vcc_lo
	s_and_saveexec_b32 s2, s3
	s_cbranch_execz .LBB94_346
; %bb.345:
	v_ashrrev_i32_e32 v103, 31, v102
	v_lshlrev_b64 v[103:104], 2, v[102:103]
	v_add_co_u32 v103, vcc_lo, v4, v103
	v_add_co_ci_u32_e64 v104, null, v5, v104, vcc_lo
	s_clause 0x1
	global_load_dword v110, v[103:104], off
	global_load_dword v111, v[4:5], off offset:80
	s_waitcnt vmcnt(1)
	global_store_dword v[4:5], v110, off offset:80
	s_waitcnt vmcnt(0)
	global_store_dword v[103:104], v111, off
.LBB94_346:
	s_or_b32 exec_lo, exec_lo, s2
	v_mov_b32_e32 v110, v102
	v_mov_b32_e32 v111, v102
.LBB94_347:
	s_or_b32 exec_lo, exec_lo, s1
.LBB94_348:
	s_andn2_saveexec_b32 s0, s0
	s_cbranch_execz .LBB94_350
; %bb.349:
	v_mov_b32_e32 v111, 20
	ds_write2_b64 v108, v[54:55], v[56:57] offset0:21 offset1:22
	ds_write2_b64 v108, v[52:53], v[50:51] offset0:23 offset1:24
	;; [unrolled: 1-line block ×13, first 2 shown]
	ds_write_b64 v108, v[100:101] offset:376
.LBB94_350:
	s_or_b32 exec_lo, exec_lo, s0
	s_mov_b32 s0, exec_lo
	s_waitcnt lgkmcnt(0)
	s_waitcnt_vscnt null, 0x0
	s_barrier
	buffer_gl0_inv
	v_cmpx_lt_i32_e32 20, v111
	s_cbranch_execz .LBB94_352
; %bb.351:
	v_mul_f64 v[60:61], v[0:1], v[60:61]
	ds_read2_b64 v[112:115], v108 offset0:21 offset1:22
	ds_read2_b64 v[116:119], v108 offset0:23 offset1:24
	;; [unrolled: 1-line block ×13, first 2 shown]
	ds_read_b64 v[0:1], v108 offset:376
	s_waitcnt lgkmcnt(13)
	v_fma_f64 v[54:55], -v[60:61], v[112:113], v[54:55]
	v_fma_f64 v[56:57], -v[60:61], v[114:115], v[56:57]
	s_waitcnt lgkmcnt(12)
	v_fma_f64 v[52:53], -v[60:61], v[116:117], v[52:53]
	v_fma_f64 v[50:51], -v[60:61], v[118:119], v[50:51]
	;; [unrolled: 3-line block ×13, first 2 shown]
	s_waitcnt lgkmcnt(0)
	v_fma_f64 v[100:101], -v[60:61], v[0:1], v[100:101]
.LBB94_352:
	s_or_b32 exec_lo, exec_lo, s0
	v_lshl_add_u32 v0, v111, 3, v108
	s_barrier
	buffer_gl0_inv
	v_mov_b32_e32 v102, 21
	ds_write_b64 v0, v[54:55]
	s_waitcnt lgkmcnt(0)
	s_barrier
	buffer_gl0_inv
	ds_read_b64 v[0:1], v108 offset:168
	s_cmp_lt_i32 s7, 23
	s_cbranch_scc1 .LBB94_355
; %bb.353:
	v_add3_u32 v103, v109, 0, 0xb0
	v_mov_b32_e32 v102, 21
	s_mov_b32 s0, 22
.LBB94_354:                             ; =>This Inner Loop Header: Depth=1
	ds_read_b64 v[112:113], v103
	v_add_nc_u32_e32 v103, 8, v103
	s_waitcnt lgkmcnt(0)
	v_cmp_lt_f64_e64 vcc_lo, |v[0:1]|, |v[112:113]|
	v_cndmask_b32_e32 v1, v1, v113, vcc_lo
	v_cndmask_b32_e32 v0, v0, v112, vcc_lo
	v_cndmask_b32_e64 v102, v102, s0, vcc_lo
	s_add_i32 s0, s0, 1
	s_cmp_lg_u32 s7, s0
	s_cbranch_scc1 .LBB94_354
.LBB94_355:
	s_mov_b32 s0, exec_lo
	s_waitcnt lgkmcnt(0)
	v_cmpx_eq_f64_e32 0, v[0:1]
	s_xor_b32 s0, exec_lo, s0
; %bb.356:
	v_cmp_ne_u32_e32 vcc_lo, 0, v105
	v_cndmask_b32_e32 v105, 22, v105, vcc_lo
; %bb.357:
	s_andn2_saveexec_b32 s0, s0
	s_cbranch_execz .LBB94_359
; %bb.358:
	v_div_scale_f64 v[103:104], null, v[0:1], v[0:1], 1.0
	v_rcp_f64_e32 v[112:113], v[103:104]
	v_fma_f64 v[114:115], -v[103:104], v[112:113], 1.0
	v_fma_f64 v[112:113], v[112:113], v[114:115], v[112:113]
	v_fma_f64 v[114:115], -v[103:104], v[112:113], 1.0
	v_fma_f64 v[112:113], v[112:113], v[114:115], v[112:113]
	v_div_scale_f64 v[114:115], vcc_lo, 1.0, v[0:1], 1.0
	v_mul_f64 v[116:117], v[114:115], v[112:113]
	v_fma_f64 v[103:104], -v[103:104], v[116:117], v[114:115]
	v_div_fmas_f64 v[103:104], v[103:104], v[112:113], v[116:117]
	v_div_fixup_f64 v[0:1], v[103:104], v[0:1], 1.0
.LBB94_359:
	s_or_b32 exec_lo, exec_lo, s0
	s_mov_b32 s0, exec_lo
	v_cmpx_ne_u32_e64 v111, v102
	s_xor_b32 s0, exec_lo, s0
	s_cbranch_execz .LBB94_365
; %bb.360:
	s_mov_b32 s1, exec_lo
	v_cmpx_eq_u32_e32 21, v111
	s_cbranch_execz .LBB94_364
; %bb.361:
	v_cmp_ne_u32_e32 vcc_lo, 21, v102
	s_xor_b32 s2, s6, -1
	s_and_b32 s3, s2, vcc_lo
	s_and_saveexec_b32 s2, s3
	s_cbranch_execz .LBB94_363
; %bb.362:
	v_ashrrev_i32_e32 v103, 31, v102
	v_lshlrev_b64 v[103:104], 2, v[102:103]
	v_add_co_u32 v103, vcc_lo, v4, v103
	v_add_co_ci_u32_e64 v104, null, v5, v104, vcc_lo
	s_clause 0x1
	global_load_dword v110, v[103:104], off
	global_load_dword v111, v[4:5], off offset:84
	s_waitcnt vmcnt(1)
	global_store_dword v[4:5], v110, off offset:84
	s_waitcnt vmcnt(0)
	global_store_dword v[103:104], v111, off
.LBB94_363:
	s_or_b32 exec_lo, exec_lo, s2
	v_mov_b32_e32 v110, v102
	v_mov_b32_e32 v111, v102
.LBB94_364:
	s_or_b32 exec_lo, exec_lo, s1
.LBB94_365:
	s_andn2_saveexec_b32 s0, s0
	s_cbranch_execz .LBB94_367
; %bb.366:
	v_mov_b32_e32 v102, v56
	v_mov_b32_e32 v103, v57
	;; [unrolled: 1-line block ×16, first 2 shown]
	ds_write2_b64 v108, v[102:103], v[111:112] offset0:22 offset1:23
	ds_write2_b64 v108, v[113:114], v[115:116] offset0:24 offset1:25
	;; [unrolled: 1-line block ×4, first 2 shown]
	v_mov_b32_e32 v102, v40
	v_mov_b32_e32 v103, v41
	;; [unrolled: 1-line block ×20, first 2 shown]
	ds_write2_b64 v108, v[102:103], v[111:112] offset0:30 offset1:31
	ds_write2_b64 v108, v[113:114], v[115:116] offset0:32 offset1:33
	;; [unrolled: 1-line block ×5, first 2 shown]
	v_mov_b32_e32 v102, v20
	v_mov_b32_e32 v103, v21
	;; [unrolled: 1-line block ×15, first 2 shown]
	ds_write2_b64 v108, v[102:103], v[112:113] offset0:40 offset1:41
	ds_write2_b64 v108, v[114:115], v[116:117] offset0:42 offset1:43
	;; [unrolled: 1-line block ×4, first 2 shown]
.LBB94_367:
	s_or_b32 exec_lo, exec_lo, s0
	s_mov_b32 s0, exec_lo
	s_waitcnt lgkmcnt(0)
	s_waitcnt_vscnt null, 0x0
	s_barrier
	buffer_gl0_inv
	v_cmpx_lt_i32_e32 21, v111
	s_cbranch_execz .LBB94_369
; %bb.368:
	v_mul_f64 v[54:55], v[0:1], v[54:55]
	ds_read2_b64 v[112:115], v108 offset0:22 offset1:23
	ds_read2_b64 v[116:119], v108 offset0:24 offset1:25
	ds_read2_b64 v[120:123], v108 offset0:26 offset1:27
	ds_read2_b64 v[124:127], v108 offset0:28 offset1:29
	ds_read2_b64 v[128:131], v108 offset0:30 offset1:31
	ds_read2_b64 v[132:135], v108 offset0:32 offset1:33
	ds_read2_b64 v[136:139], v108 offset0:34 offset1:35
	ds_read2_b64 v[140:143], v108 offset0:36 offset1:37
	ds_read2_b64 v[144:147], v108 offset0:38 offset1:39
	ds_read2_b64 v[148:151], v108 offset0:40 offset1:41
	ds_read2_b64 v[152:155], v108 offset0:42 offset1:43
	ds_read2_b64 v[156:159], v108 offset0:44 offset1:45
	ds_read2_b64 v[160:163], v108 offset0:46 offset1:47
	s_waitcnt lgkmcnt(12)
	v_fma_f64 v[56:57], -v[54:55], v[112:113], v[56:57]
	v_fma_f64 v[52:53], -v[54:55], v[114:115], v[52:53]
	s_waitcnt lgkmcnt(11)
	v_fma_f64 v[50:51], -v[54:55], v[116:117], v[50:51]
	v_fma_f64 v[48:49], -v[54:55], v[118:119], v[48:49]
	;; [unrolled: 3-line block ×13, first 2 shown]
.LBB94_369:
	s_or_b32 exec_lo, exec_lo, s0
	v_lshl_add_u32 v0, v111, 3, v108
	s_barrier
	buffer_gl0_inv
	v_mov_b32_e32 v102, 22
	ds_write_b64 v0, v[56:57]
	s_waitcnt lgkmcnt(0)
	s_barrier
	buffer_gl0_inv
	ds_read_b64 v[0:1], v108 offset:176
	s_cmp_lt_i32 s7, 24
	s_cbranch_scc1 .LBB94_372
; %bb.370:
	v_add3_u32 v103, v109, 0, 0xb8
	v_mov_b32_e32 v102, 22
	s_mov_b32 s0, 23
.LBB94_371:                             ; =>This Inner Loop Header: Depth=1
	ds_read_b64 v[112:113], v103
	v_add_nc_u32_e32 v103, 8, v103
	s_waitcnt lgkmcnt(0)
	v_cmp_lt_f64_e64 vcc_lo, |v[0:1]|, |v[112:113]|
	v_cndmask_b32_e32 v1, v1, v113, vcc_lo
	v_cndmask_b32_e32 v0, v0, v112, vcc_lo
	v_cndmask_b32_e64 v102, v102, s0, vcc_lo
	s_add_i32 s0, s0, 1
	s_cmp_lg_u32 s7, s0
	s_cbranch_scc1 .LBB94_371
.LBB94_372:
	s_mov_b32 s0, exec_lo
	s_waitcnt lgkmcnt(0)
	v_cmpx_eq_f64_e32 0, v[0:1]
	s_xor_b32 s0, exec_lo, s0
; %bb.373:
	v_cmp_ne_u32_e32 vcc_lo, 0, v105
	v_cndmask_b32_e32 v105, 23, v105, vcc_lo
; %bb.374:
	s_andn2_saveexec_b32 s0, s0
	s_cbranch_execz .LBB94_376
; %bb.375:
	v_div_scale_f64 v[103:104], null, v[0:1], v[0:1], 1.0
	v_rcp_f64_e32 v[112:113], v[103:104]
	v_fma_f64 v[114:115], -v[103:104], v[112:113], 1.0
	v_fma_f64 v[112:113], v[112:113], v[114:115], v[112:113]
	v_fma_f64 v[114:115], -v[103:104], v[112:113], 1.0
	v_fma_f64 v[112:113], v[112:113], v[114:115], v[112:113]
	v_div_scale_f64 v[114:115], vcc_lo, 1.0, v[0:1], 1.0
	v_mul_f64 v[116:117], v[114:115], v[112:113]
	v_fma_f64 v[103:104], -v[103:104], v[116:117], v[114:115]
	v_div_fmas_f64 v[103:104], v[103:104], v[112:113], v[116:117]
	v_div_fixup_f64 v[0:1], v[103:104], v[0:1], 1.0
.LBB94_376:
	s_or_b32 exec_lo, exec_lo, s0
	s_mov_b32 s0, exec_lo
	v_cmpx_ne_u32_e64 v111, v102
	s_xor_b32 s0, exec_lo, s0
	s_cbranch_execz .LBB94_382
; %bb.377:
	s_mov_b32 s1, exec_lo
	v_cmpx_eq_u32_e32 22, v111
	s_cbranch_execz .LBB94_381
; %bb.378:
	v_cmp_ne_u32_e32 vcc_lo, 22, v102
	s_xor_b32 s2, s6, -1
	s_and_b32 s3, s2, vcc_lo
	s_and_saveexec_b32 s2, s3
	s_cbranch_execz .LBB94_380
; %bb.379:
	v_ashrrev_i32_e32 v103, 31, v102
	v_lshlrev_b64 v[103:104], 2, v[102:103]
	v_add_co_u32 v103, vcc_lo, v4, v103
	v_add_co_ci_u32_e64 v104, null, v5, v104, vcc_lo
	s_clause 0x1
	global_load_dword v110, v[103:104], off
	global_load_dword v111, v[4:5], off offset:88
	s_waitcnt vmcnt(1)
	global_store_dword v[4:5], v110, off offset:88
	s_waitcnt vmcnt(0)
	global_store_dword v[103:104], v111, off
.LBB94_380:
	s_or_b32 exec_lo, exec_lo, s2
	v_mov_b32_e32 v110, v102
	v_mov_b32_e32 v111, v102
.LBB94_381:
	s_or_b32 exec_lo, exec_lo, s1
.LBB94_382:
	s_andn2_saveexec_b32 s0, s0
	s_cbranch_execz .LBB94_384
; %bb.383:
	v_mov_b32_e32 v111, 22
	ds_write2_b64 v108, v[52:53], v[50:51] offset0:23 offset1:24
	ds_write2_b64 v108, v[48:49], v[46:47] offset0:25 offset1:26
	;; [unrolled: 1-line block ×12, first 2 shown]
	ds_write_b64 v108, v[100:101] offset:376
.LBB94_384:
	s_or_b32 exec_lo, exec_lo, s0
	s_mov_b32 s0, exec_lo
	s_waitcnt lgkmcnt(0)
	s_waitcnt_vscnt null, 0x0
	s_barrier
	buffer_gl0_inv
	v_cmpx_lt_i32_e32 22, v111
	s_cbranch_execz .LBB94_386
; %bb.385:
	v_mul_f64 v[56:57], v[0:1], v[56:57]
	ds_read2_b64 v[112:115], v108 offset0:23 offset1:24
	ds_read2_b64 v[116:119], v108 offset0:25 offset1:26
	;; [unrolled: 1-line block ×12, first 2 shown]
	ds_read_b64 v[0:1], v108 offset:376
	s_waitcnt lgkmcnt(12)
	v_fma_f64 v[52:53], -v[56:57], v[112:113], v[52:53]
	v_fma_f64 v[50:51], -v[56:57], v[114:115], v[50:51]
	s_waitcnt lgkmcnt(11)
	v_fma_f64 v[48:49], -v[56:57], v[116:117], v[48:49]
	v_fma_f64 v[46:47], -v[56:57], v[118:119], v[46:47]
	;; [unrolled: 3-line block ×12, first 2 shown]
	s_waitcnt lgkmcnt(0)
	v_fma_f64 v[100:101], -v[56:57], v[0:1], v[100:101]
.LBB94_386:
	s_or_b32 exec_lo, exec_lo, s0
	v_lshl_add_u32 v0, v111, 3, v108
	s_barrier
	buffer_gl0_inv
	v_mov_b32_e32 v102, 23
	ds_write_b64 v0, v[52:53]
	s_waitcnt lgkmcnt(0)
	s_barrier
	buffer_gl0_inv
	ds_read_b64 v[0:1], v108 offset:184
	s_cmp_lt_i32 s7, 25
	s_cbranch_scc1 .LBB94_389
; %bb.387:
	v_add3_u32 v103, v109, 0, 0xc0
	v_mov_b32_e32 v102, 23
	s_mov_b32 s0, 24
.LBB94_388:                             ; =>This Inner Loop Header: Depth=1
	ds_read_b64 v[112:113], v103
	v_add_nc_u32_e32 v103, 8, v103
	s_waitcnt lgkmcnt(0)
	v_cmp_lt_f64_e64 vcc_lo, |v[0:1]|, |v[112:113]|
	v_cndmask_b32_e32 v1, v1, v113, vcc_lo
	v_cndmask_b32_e32 v0, v0, v112, vcc_lo
	v_cndmask_b32_e64 v102, v102, s0, vcc_lo
	s_add_i32 s0, s0, 1
	s_cmp_lg_u32 s7, s0
	s_cbranch_scc1 .LBB94_388
.LBB94_389:
	s_mov_b32 s0, exec_lo
	s_waitcnt lgkmcnt(0)
	v_cmpx_eq_f64_e32 0, v[0:1]
	s_xor_b32 s0, exec_lo, s0
; %bb.390:
	v_cmp_ne_u32_e32 vcc_lo, 0, v105
	v_cndmask_b32_e32 v105, 24, v105, vcc_lo
; %bb.391:
	s_andn2_saveexec_b32 s0, s0
	s_cbranch_execz .LBB94_393
; %bb.392:
	v_div_scale_f64 v[103:104], null, v[0:1], v[0:1], 1.0
	v_rcp_f64_e32 v[112:113], v[103:104]
	v_fma_f64 v[114:115], -v[103:104], v[112:113], 1.0
	v_fma_f64 v[112:113], v[112:113], v[114:115], v[112:113]
	v_fma_f64 v[114:115], -v[103:104], v[112:113], 1.0
	v_fma_f64 v[112:113], v[112:113], v[114:115], v[112:113]
	v_div_scale_f64 v[114:115], vcc_lo, 1.0, v[0:1], 1.0
	v_mul_f64 v[116:117], v[114:115], v[112:113]
	v_fma_f64 v[103:104], -v[103:104], v[116:117], v[114:115]
	v_div_fmas_f64 v[103:104], v[103:104], v[112:113], v[116:117]
	v_div_fixup_f64 v[0:1], v[103:104], v[0:1], 1.0
.LBB94_393:
	s_or_b32 exec_lo, exec_lo, s0
	s_mov_b32 s0, exec_lo
	v_cmpx_ne_u32_e64 v111, v102
	s_xor_b32 s0, exec_lo, s0
	s_cbranch_execz .LBB94_399
; %bb.394:
	s_mov_b32 s1, exec_lo
	v_cmpx_eq_u32_e32 23, v111
	s_cbranch_execz .LBB94_398
; %bb.395:
	v_cmp_ne_u32_e32 vcc_lo, 23, v102
	s_xor_b32 s2, s6, -1
	s_and_b32 s3, s2, vcc_lo
	s_and_saveexec_b32 s2, s3
	s_cbranch_execz .LBB94_397
; %bb.396:
	v_ashrrev_i32_e32 v103, 31, v102
	v_lshlrev_b64 v[103:104], 2, v[102:103]
	v_add_co_u32 v103, vcc_lo, v4, v103
	v_add_co_ci_u32_e64 v104, null, v5, v104, vcc_lo
	s_clause 0x1
	global_load_dword v110, v[103:104], off
	global_load_dword v111, v[4:5], off offset:92
	s_waitcnt vmcnt(1)
	global_store_dword v[4:5], v110, off offset:92
	s_waitcnt vmcnt(0)
	global_store_dword v[103:104], v111, off
.LBB94_397:
	s_or_b32 exec_lo, exec_lo, s2
	v_mov_b32_e32 v110, v102
	v_mov_b32_e32 v111, v102
.LBB94_398:
	s_or_b32 exec_lo, exec_lo, s1
.LBB94_399:
	s_andn2_saveexec_b32 s0, s0
	s_cbranch_execz .LBB94_401
; %bb.400:
	v_mov_b32_e32 v102, v50
	v_mov_b32_e32 v103, v51
	;; [unrolled: 1-line block ×12, first 2 shown]
	ds_write2_b64 v108, v[102:103], v[111:112] offset0:24 offset1:25
	ds_write2_b64 v108, v[113:114], v[115:116] offset0:26 offset1:27
	;; [unrolled: 1-line block ×3, first 2 shown]
	v_mov_b32_e32 v102, v40
	v_mov_b32_e32 v103, v41
	;; [unrolled: 1-line block ×20, first 2 shown]
	ds_write2_b64 v108, v[102:103], v[111:112] offset0:30 offset1:31
	ds_write2_b64 v108, v[113:114], v[115:116] offset0:32 offset1:33
	;; [unrolled: 1-line block ×5, first 2 shown]
	v_mov_b32_e32 v102, v20
	v_mov_b32_e32 v103, v21
	;; [unrolled: 1-line block ×15, first 2 shown]
	ds_write2_b64 v108, v[102:103], v[112:113] offset0:40 offset1:41
	ds_write2_b64 v108, v[114:115], v[116:117] offset0:42 offset1:43
	;; [unrolled: 1-line block ×4, first 2 shown]
.LBB94_401:
	s_or_b32 exec_lo, exec_lo, s0
	s_mov_b32 s0, exec_lo
	s_waitcnt lgkmcnt(0)
	s_waitcnt_vscnt null, 0x0
	s_barrier
	buffer_gl0_inv
	v_cmpx_lt_i32_e32 23, v111
	s_cbranch_execz .LBB94_403
; %bb.402:
	v_mul_f64 v[52:53], v[0:1], v[52:53]
	ds_read2_b64 v[112:115], v108 offset0:24 offset1:25
	ds_read2_b64 v[116:119], v108 offset0:26 offset1:27
	;; [unrolled: 1-line block ×12, first 2 shown]
	s_waitcnt lgkmcnt(11)
	v_fma_f64 v[50:51], -v[52:53], v[112:113], v[50:51]
	v_fma_f64 v[48:49], -v[52:53], v[114:115], v[48:49]
	s_waitcnt lgkmcnt(10)
	v_fma_f64 v[46:47], -v[52:53], v[116:117], v[46:47]
	v_fma_f64 v[44:45], -v[52:53], v[118:119], v[44:45]
	;; [unrolled: 3-line block ×12, first 2 shown]
.LBB94_403:
	s_or_b32 exec_lo, exec_lo, s0
	v_lshl_add_u32 v0, v111, 3, v108
	s_barrier
	buffer_gl0_inv
	v_mov_b32_e32 v102, 24
	ds_write_b64 v0, v[50:51]
	s_waitcnt lgkmcnt(0)
	s_barrier
	buffer_gl0_inv
	ds_read_b64 v[0:1], v108 offset:192
	s_cmp_lt_i32 s7, 26
	s_cbranch_scc1 .LBB94_406
; %bb.404:
	v_add3_u32 v103, v109, 0, 0xc8
	v_mov_b32_e32 v102, 24
	s_mov_b32 s0, 25
.LBB94_405:                             ; =>This Inner Loop Header: Depth=1
	ds_read_b64 v[112:113], v103
	v_add_nc_u32_e32 v103, 8, v103
	s_waitcnt lgkmcnt(0)
	v_cmp_lt_f64_e64 vcc_lo, |v[0:1]|, |v[112:113]|
	v_cndmask_b32_e32 v1, v1, v113, vcc_lo
	v_cndmask_b32_e32 v0, v0, v112, vcc_lo
	v_cndmask_b32_e64 v102, v102, s0, vcc_lo
	s_add_i32 s0, s0, 1
	s_cmp_lg_u32 s7, s0
	s_cbranch_scc1 .LBB94_405
.LBB94_406:
	s_mov_b32 s0, exec_lo
	s_waitcnt lgkmcnt(0)
	v_cmpx_eq_f64_e32 0, v[0:1]
	s_xor_b32 s0, exec_lo, s0
; %bb.407:
	v_cmp_ne_u32_e32 vcc_lo, 0, v105
	v_cndmask_b32_e32 v105, 25, v105, vcc_lo
; %bb.408:
	s_andn2_saveexec_b32 s0, s0
	s_cbranch_execz .LBB94_410
; %bb.409:
	v_div_scale_f64 v[103:104], null, v[0:1], v[0:1], 1.0
	v_rcp_f64_e32 v[112:113], v[103:104]
	v_fma_f64 v[114:115], -v[103:104], v[112:113], 1.0
	v_fma_f64 v[112:113], v[112:113], v[114:115], v[112:113]
	v_fma_f64 v[114:115], -v[103:104], v[112:113], 1.0
	v_fma_f64 v[112:113], v[112:113], v[114:115], v[112:113]
	v_div_scale_f64 v[114:115], vcc_lo, 1.0, v[0:1], 1.0
	v_mul_f64 v[116:117], v[114:115], v[112:113]
	v_fma_f64 v[103:104], -v[103:104], v[116:117], v[114:115]
	v_div_fmas_f64 v[103:104], v[103:104], v[112:113], v[116:117]
	v_div_fixup_f64 v[0:1], v[103:104], v[0:1], 1.0
.LBB94_410:
	s_or_b32 exec_lo, exec_lo, s0
	s_mov_b32 s0, exec_lo
	v_cmpx_ne_u32_e64 v111, v102
	s_xor_b32 s0, exec_lo, s0
	s_cbranch_execz .LBB94_416
; %bb.411:
	s_mov_b32 s1, exec_lo
	v_cmpx_eq_u32_e32 24, v111
	s_cbranch_execz .LBB94_415
; %bb.412:
	v_cmp_ne_u32_e32 vcc_lo, 24, v102
	s_xor_b32 s2, s6, -1
	s_and_b32 s3, s2, vcc_lo
	s_and_saveexec_b32 s2, s3
	s_cbranch_execz .LBB94_414
; %bb.413:
	v_ashrrev_i32_e32 v103, 31, v102
	v_lshlrev_b64 v[103:104], 2, v[102:103]
	v_add_co_u32 v103, vcc_lo, v4, v103
	v_add_co_ci_u32_e64 v104, null, v5, v104, vcc_lo
	s_clause 0x1
	global_load_dword v110, v[103:104], off
	global_load_dword v111, v[4:5], off offset:96
	s_waitcnt vmcnt(1)
	global_store_dword v[4:5], v110, off offset:96
	s_waitcnt vmcnt(0)
	global_store_dword v[103:104], v111, off
.LBB94_414:
	s_or_b32 exec_lo, exec_lo, s2
	v_mov_b32_e32 v110, v102
	v_mov_b32_e32 v111, v102
.LBB94_415:
	s_or_b32 exec_lo, exec_lo, s1
.LBB94_416:
	s_andn2_saveexec_b32 s0, s0
	s_cbranch_execz .LBB94_418
; %bb.417:
	v_mov_b32_e32 v111, 24
	ds_write2_b64 v108, v[48:49], v[46:47] offset0:25 offset1:26
	ds_write2_b64 v108, v[44:45], v[42:43] offset0:27 offset1:28
	;; [unrolled: 1-line block ×11, first 2 shown]
	ds_write_b64 v108, v[100:101] offset:376
.LBB94_418:
	s_or_b32 exec_lo, exec_lo, s0
	s_mov_b32 s0, exec_lo
	s_waitcnt lgkmcnt(0)
	s_waitcnt_vscnt null, 0x0
	s_barrier
	buffer_gl0_inv
	v_cmpx_lt_i32_e32 24, v111
	s_cbranch_execz .LBB94_420
; %bb.419:
	v_mul_f64 v[50:51], v[0:1], v[50:51]
	ds_read2_b64 v[112:115], v108 offset0:25 offset1:26
	ds_read2_b64 v[116:119], v108 offset0:27 offset1:28
	;; [unrolled: 1-line block ×11, first 2 shown]
	ds_read_b64 v[0:1], v108 offset:376
	s_waitcnt lgkmcnt(11)
	v_fma_f64 v[48:49], -v[50:51], v[112:113], v[48:49]
	v_fma_f64 v[46:47], -v[50:51], v[114:115], v[46:47]
	s_waitcnt lgkmcnt(10)
	v_fma_f64 v[44:45], -v[50:51], v[116:117], v[44:45]
	v_fma_f64 v[42:43], -v[50:51], v[118:119], v[42:43]
	;; [unrolled: 3-line block ×11, first 2 shown]
	s_waitcnt lgkmcnt(0)
	v_fma_f64 v[100:101], -v[50:51], v[0:1], v[100:101]
.LBB94_420:
	s_or_b32 exec_lo, exec_lo, s0
	v_lshl_add_u32 v0, v111, 3, v108
	s_barrier
	buffer_gl0_inv
	v_mov_b32_e32 v102, 25
	ds_write_b64 v0, v[48:49]
	s_waitcnt lgkmcnt(0)
	s_barrier
	buffer_gl0_inv
	ds_read_b64 v[0:1], v108 offset:200
	s_cmp_lt_i32 s7, 27
	s_cbranch_scc1 .LBB94_423
; %bb.421:
	v_add3_u32 v103, v109, 0, 0xd0
	v_mov_b32_e32 v102, 25
	s_mov_b32 s0, 26
.LBB94_422:                             ; =>This Inner Loop Header: Depth=1
	ds_read_b64 v[112:113], v103
	v_add_nc_u32_e32 v103, 8, v103
	s_waitcnt lgkmcnt(0)
	v_cmp_lt_f64_e64 vcc_lo, |v[0:1]|, |v[112:113]|
	v_cndmask_b32_e32 v1, v1, v113, vcc_lo
	v_cndmask_b32_e32 v0, v0, v112, vcc_lo
	v_cndmask_b32_e64 v102, v102, s0, vcc_lo
	s_add_i32 s0, s0, 1
	s_cmp_lg_u32 s7, s0
	s_cbranch_scc1 .LBB94_422
.LBB94_423:
	s_mov_b32 s0, exec_lo
	s_waitcnt lgkmcnt(0)
	v_cmpx_eq_f64_e32 0, v[0:1]
	s_xor_b32 s0, exec_lo, s0
; %bb.424:
	v_cmp_ne_u32_e32 vcc_lo, 0, v105
	v_cndmask_b32_e32 v105, 26, v105, vcc_lo
; %bb.425:
	s_andn2_saveexec_b32 s0, s0
	s_cbranch_execz .LBB94_427
; %bb.426:
	v_div_scale_f64 v[103:104], null, v[0:1], v[0:1], 1.0
	v_rcp_f64_e32 v[112:113], v[103:104]
	v_fma_f64 v[114:115], -v[103:104], v[112:113], 1.0
	v_fma_f64 v[112:113], v[112:113], v[114:115], v[112:113]
	v_fma_f64 v[114:115], -v[103:104], v[112:113], 1.0
	v_fma_f64 v[112:113], v[112:113], v[114:115], v[112:113]
	v_div_scale_f64 v[114:115], vcc_lo, 1.0, v[0:1], 1.0
	v_mul_f64 v[116:117], v[114:115], v[112:113]
	v_fma_f64 v[103:104], -v[103:104], v[116:117], v[114:115]
	v_div_fmas_f64 v[103:104], v[103:104], v[112:113], v[116:117]
	v_div_fixup_f64 v[0:1], v[103:104], v[0:1], 1.0
.LBB94_427:
	s_or_b32 exec_lo, exec_lo, s0
	s_mov_b32 s0, exec_lo
	v_cmpx_ne_u32_e64 v111, v102
	s_xor_b32 s0, exec_lo, s0
	s_cbranch_execz .LBB94_433
; %bb.428:
	s_mov_b32 s1, exec_lo
	v_cmpx_eq_u32_e32 25, v111
	s_cbranch_execz .LBB94_432
; %bb.429:
	v_cmp_ne_u32_e32 vcc_lo, 25, v102
	s_xor_b32 s2, s6, -1
	s_and_b32 s3, s2, vcc_lo
	s_and_saveexec_b32 s2, s3
	s_cbranch_execz .LBB94_431
; %bb.430:
	v_ashrrev_i32_e32 v103, 31, v102
	v_lshlrev_b64 v[103:104], 2, v[102:103]
	v_add_co_u32 v103, vcc_lo, v4, v103
	v_add_co_ci_u32_e64 v104, null, v5, v104, vcc_lo
	s_clause 0x1
	global_load_dword v110, v[103:104], off
	global_load_dword v111, v[4:5], off offset:100
	s_waitcnt vmcnt(1)
	global_store_dword v[4:5], v110, off offset:100
	s_waitcnt vmcnt(0)
	global_store_dword v[103:104], v111, off
.LBB94_431:
	s_or_b32 exec_lo, exec_lo, s2
	v_mov_b32_e32 v110, v102
	v_mov_b32_e32 v111, v102
.LBB94_432:
	s_or_b32 exec_lo, exec_lo, s1
.LBB94_433:
	s_andn2_saveexec_b32 s0, s0
	s_cbranch_execz .LBB94_435
; %bb.434:
	v_mov_b32_e32 v102, v46
	v_mov_b32_e32 v103, v47
	;; [unrolled: 1-line block ×8, first 2 shown]
	ds_write2_b64 v108, v[102:103], v[111:112] offset0:26 offset1:27
	ds_write2_b64 v108, v[113:114], v[115:116] offset0:28 offset1:29
	v_mov_b32_e32 v102, v40
	v_mov_b32_e32 v103, v41
	;; [unrolled: 1-line block ×20, first 2 shown]
	ds_write2_b64 v108, v[102:103], v[111:112] offset0:30 offset1:31
	ds_write2_b64 v108, v[113:114], v[115:116] offset0:32 offset1:33
	;; [unrolled: 1-line block ×5, first 2 shown]
	v_mov_b32_e32 v102, v20
	v_mov_b32_e32 v103, v21
	;; [unrolled: 1-line block ×15, first 2 shown]
	ds_write2_b64 v108, v[102:103], v[112:113] offset0:40 offset1:41
	ds_write2_b64 v108, v[114:115], v[116:117] offset0:42 offset1:43
	;; [unrolled: 1-line block ×4, first 2 shown]
.LBB94_435:
	s_or_b32 exec_lo, exec_lo, s0
	s_mov_b32 s0, exec_lo
	s_waitcnt lgkmcnt(0)
	s_waitcnt_vscnt null, 0x0
	s_barrier
	buffer_gl0_inv
	v_cmpx_lt_i32_e32 25, v111
	s_cbranch_execz .LBB94_437
; %bb.436:
	v_mul_f64 v[48:49], v[0:1], v[48:49]
	ds_read2_b64 v[112:115], v108 offset0:26 offset1:27
	ds_read2_b64 v[116:119], v108 offset0:28 offset1:29
	;; [unrolled: 1-line block ×11, first 2 shown]
	s_waitcnt lgkmcnt(10)
	v_fma_f64 v[46:47], -v[48:49], v[112:113], v[46:47]
	v_fma_f64 v[44:45], -v[48:49], v[114:115], v[44:45]
	s_waitcnt lgkmcnt(9)
	v_fma_f64 v[42:43], -v[48:49], v[116:117], v[42:43]
	v_fma_f64 v[38:39], -v[48:49], v[118:119], v[38:39]
	;; [unrolled: 3-line block ×11, first 2 shown]
.LBB94_437:
	s_or_b32 exec_lo, exec_lo, s0
	v_lshl_add_u32 v0, v111, 3, v108
	s_barrier
	buffer_gl0_inv
	v_mov_b32_e32 v102, 26
	ds_write_b64 v0, v[46:47]
	s_waitcnt lgkmcnt(0)
	s_barrier
	buffer_gl0_inv
	ds_read_b64 v[0:1], v108 offset:208
	s_cmp_lt_i32 s7, 28
	s_cbranch_scc1 .LBB94_440
; %bb.438:
	v_add3_u32 v103, v109, 0, 0xd8
	v_mov_b32_e32 v102, 26
	s_mov_b32 s0, 27
.LBB94_439:                             ; =>This Inner Loop Header: Depth=1
	ds_read_b64 v[112:113], v103
	v_add_nc_u32_e32 v103, 8, v103
	s_waitcnt lgkmcnt(0)
	v_cmp_lt_f64_e64 vcc_lo, |v[0:1]|, |v[112:113]|
	v_cndmask_b32_e32 v1, v1, v113, vcc_lo
	v_cndmask_b32_e32 v0, v0, v112, vcc_lo
	v_cndmask_b32_e64 v102, v102, s0, vcc_lo
	s_add_i32 s0, s0, 1
	s_cmp_lg_u32 s7, s0
	s_cbranch_scc1 .LBB94_439
.LBB94_440:
	s_mov_b32 s0, exec_lo
	s_waitcnt lgkmcnt(0)
	v_cmpx_eq_f64_e32 0, v[0:1]
	s_xor_b32 s0, exec_lo, s0
; %bb.441:
	v_cmp_ne_u32_e32 vcc_lo, 0, v105
	v_cndmask_b32_e32 v105, 27, v105, vcc_lo
; %bb.442:
	s_andn2_saveexec_b32 s0, s0
	s_cbranch_execz .LBB94_444
; %bb.443:
	v_div_scale_f64 v[103:104], null, v[0:1], v[0:1], 1.0
	v_rcp_f64_e32 v[112:113], v[103:104]
	v_fma_f64 v[114:115], -v[103:104], v[112:113], 1.0
	v_fma_f64 v[112:113], v[112:113], v[114:115], v[112:113]
	v_fma_f64 v[114:115], -v[103:104], v[112:113], 1.0
	v_fma_f64 v[112:113], v[112:113], v[114:115], v[112:113]
	v_div_scale_f64 v[114:115], vcc_lo, 1.0, v[0:1], 1.0
	v_mul_f64 v[116:117], v[114:115], v[112:113]
	v_fma_f64 v[103:104], -v[103:104], v[116:117], v[114:115]
	v_div_fmas_f64 v[103:104], v[103:104], v[112:113], v[116:117]
	v_div_fixup_f64 v[0:1], v[103:104], v[0:1], 1.0
.LBB94_444:
	s_or_b32 exec_lo, exec_lo, s0
	s_mov_b32 s0, exec_lo
	v_cmpx_ne_u32_e64 v111, v102
	s_xor_b32 s0, exec_lo, s0
	s_cbranch_execz .LBB94_450
; %bb.445:
	s_mov_b32 s1, exec_lo
	v_cmpx_eq_u32_e32 26, v111
	s_cbranch_execz .LBB94_449
; %bb.446:
	v_cmp_ne_u32_e32 vcc_lo, 26, v102
	s_xor_b32 s2, s6, -1
	s_and_b32 s3, s2, vcc_lo
	s_and_saveexec_b32 s2, s3
	s_cbranch_execz .LBB94_448
; %bb.447:
	v_ashrrev_i32_e32 v103, 31, v102
	v_lshlrev_b64 v[103:104], 2, v[102:103]
	v_add_co_u32 v103, vcc_lo, v4, v103
	v_add_co_ci_u32_e64 v104, null, v5, v104, vcc_lo
	s_clause 0x1
	global_load_dword v110, v[103:104], off
	global_load_dword v111, v[4:5], off offset:104
	s_waitcnt vmcnt(1)
	global_store_dword v[4:5], v110, off offset:104
	s_waitcnt vmcnt(0)
	global_store_dword v[103:104], v111, off
.LBB94_448:
	s_or_b32 exec_lo, exec_lo, s2
	v_mov_b32_e32 v110, v102
	v_mov_b32_e32 v111, v102
.LBB94_449:
	s_or_b32 exec_lo, exec_lo, s1
.LBB94_450:
	s_andn2_saveexec_b32 s0, s0
	s_cbranch_execz .LBB94_452
; %bb.451:
	v_mov_b32_e32 v111, 26
	ds_write2_b64 v108, v[44:45], v[42:43] offset0:27 offset1:28
	ds_write2_b64 v108, v[38:39], v[40:41] offset0:29 offset1:30
	;; [unrolled: 1-line block ×10, first 2 shown]
	ds_write_b64 v108, v[100:101] offset:376
.LBB94_452:
	s_or_b32 exec_lo, exec_lo, s0
	s_mov_b32 s0, exec_lo
	s_waitcnt lgkmcnt(0)
	s_waitcnt_vscnt null, 0x0
	s_barrier
	buffer_gl0_inv
	v_cmpx_lt_i32_e32 26, v111
	s_cbranch_execz .LBB94_454
; %bb.453:
	v_mul_f64 v[46:47], v[0:1], v[46:47]
	ds_read2_b64 v[112:115], v108 offset0:27 offset1:28
	ds_read2_b64 v[116:119], v108 offset0:29 offset1:30
	;; [unrolled: 1-line block ×10, first 2 shown]
	ds_read_b64 v[0:1], v108 offset:376
	s_waitcnt lgkmcnt(10)
	v_fma_f64 v[44:45], -v[46:47], v[112:113], v[44:45]
	v_fma_f64 v[42:43], -v[46:47], v[114:115], v[42:43]
	s_waitcnt lgkmcnt(9)
	v_fma_f64 v[38:39], -v[46:47], v[116:117], v[38:39]
	v_fma_f64 v[40:41], -v[46:47], v[118:119], v[40:41]
	;; [unrolled: 3-line block ×10, first 2 shown]
	s_waitcnt lgkmcnt(0)
	v_fma_f64 v[100:101], -v[46:47], v[0:1], v[100:101]
.LBB94_454:
	s_or_b32 exec_lo, exec_lo, s0
	v_lshl_add_u32 v0, v111, 3, v108
	s_barrier
	buffer_gl0_inv
	v_mov_b32_e32 v102, 27
	ds_write_b64 v0, v[44:45]
	s_waitcnt lgkmcnt(0)
	s_barrier
	buffer_gl0_inv
	ds_read_b64 v[0:1], v108 offset:216
	s_cmp_lt_i32 s7, 29
	s_cbranch_scc1 .LBB94_457
; %bb.455:
	v_add3_u32 v103, v109, 0, 0xe0
	v_mov_b32_e32 v102, 27
	s_mov_b32 s0, 28
.LBB94_456:                             ; =>This Inner Loop Header: Depth=1
	ds_read_b64 v[112:113], v103
	v_add_nc_u32_e32 v103, 8, v103
	s_waitcnt lgkmcnt(0)
	v_cmp_lt_f64_e64 vcc_lo, |v[0:1]|, |v[112:113]|
	v_cndmask_b32_e32 v1, v1, v113, vcc_lo
	v_cndmask_b32_e32 v0, v0, v112, vcc_lo
	v_cndmask_b32_e64 v102, v102, s0, vcc_lo
	s_add_i32 s0, s0, 1
	s_cmp_lg_u32 s7, s0
	s_cbranch_scc1 .LBB94_456
.LBB94_457:
	s_mov_b32 s0, exec_lo
	s_waitcnt lgkmcnt(0)
	v_cmpx_eq_f64_e32 0, v[0:1]
	s_xor_b32 s0, exec_lo, s0
; %bb.458:
	v_cmp_ne_u32_e32 vcc_lo, 0, v105
	v_cndmask_b32_e32 v105, 28, v105, vcc_lo
; %bb.459:
	s_andn2_saveexec_b32 s0, s0
	s_cbranch_execz .LBB94_461
; %bb.460:
	v_div_scale_f64 v[103:104], null, v[0:1], v[0:1], 1.0
	v_rcp_f64_e32 v[112:113], v[103:104]
	v_fma_f64 v[114:115], -v[103:104], v[112:113], 1.0
	v_fma_f64 v[112:113], v[112:113], v[114:115], v[112:113]
	v_fma_f64 v[114:115], -v[103:104], v[112:113], 1.0
	v_fma_f64 v[112:113], v[112:113], v[114:115], v[112:113]
	v_div_scale_f64 v[114:115], vcc_lo, 1.0, v[0:1], 1.0
	v_mul_f64 v[116:117], v[114:115], v[112:113]
	v_fma_f64 v[103:104], -v[103:104], v[116:117], v[114:115]
	v_div_fmas_f64 v[103:104], v[103:104], v[112:113], v[116:117]
	v_div_fixup_f64 v[0:1], v[103:104], v[0:1], 1.0
.LBB94_461:
	s_or_b32 exec_lo, exec_lo, s0
	s_mov_b32 s0, exec_lo
	v_cmpx_ne_u32_e64 v111, v102
	s_xor_b32 s0, exec_lo, s0
	s_cbranch_execz .LBB94_467
; %bb.462:
	s_mov_b32 s1, exec_lo
	v_cmpx_eq_u32_e32 27, v111
	s_cbranch_execz .LBB94_466
; %bb.463:
	v_cmp_ne_u32_e32 vcc_lo, 27, v102
	s_xor_b32 s2, s6, -1
	s_and_b32 s3, s2, vcc_lo
	s_and_saveexec_b32 s2, s3
	s_cbranch_execz .LBB94_465
; %bb.464:
	v_ashrrev_i32_e32 v103, 31, v102
	v_lshlrev_b64 v[103:104], 2, v[102:103]
	v_add_co_u32 v103, vcc_lo, v4, v103
	v_add_co_ci_u32_e64 v104, null, v5, v104, vcc_lo
	s_clause 0x1
	global_load_dword v110, v[103:104], off
	global_load_dword v111, v[4:5], off offset:108
	s_waitcnt vmcnt(1)
	global_store_dword v[4:5], v110, off offset:108
	s_waitcnt vmcnt(0)
	global_store_dword v[103:104], v111, off
.LBB94_465:
	s_or_b32 exec_lo, exec_lo, s2
	v_mov_b32_e32 v110, v102
	v_mov_b32_e32 v111, v102
.LBB94_466:
	s_or_b32 exec_lo, exec_lo, s1
.LBB94_467:
	s_andn2_saveexec_b32 s0, s0
	s_cbranch_execz .LBB94_469
; %bb.468:
	v_mov_b32_e32 v102, v42
	v_mov_b32_e32 v103, v43
	;; [unrolled: 1-line block ×8, first 2 shown]
	ds_write2_b64 v108, v[102:103], v[111:112] offset0:28 offset1:29
	v_mov_b32_e32 v102, v34
	v_mov_b32_e32 v103, v35
	;; [unrolled: 1-line block ×16, first 2 shown]
	ds_write2_b64 v108, v[113:114], v[102:103] offset0:30 offset1:31
	ds_write2_b64 v108, v[111:112], v[115:116] offset0:32 offset1:33
	;; [unrolled: 1-line block ×5, first 2 shown]
	v_mov_b32_e32 v102, v20
	v_mov_b32_e32 v103, v21
	;; [unrolled: 1-line block ×15, first 2 shown]
	ds_write2_b64 v108, v[102:103], v[112:113] offset0:40 offset1:41
	ds_write2_b64 v108, v[114:115], v[116:117] offset0:42 offset1:43
	;; [unrolled: 1-line block ×4, first 2 shown]
.LBB94_469:
	s_or_b32 exec_lo, exec_lo, s0
	s_mov_b32 s0, exec_lo
	s_waitcnt lgkmcnt(0)
	s_waitcnt_vscnt null, 0x0
	s_barrier
	buffer_gl0_inv
	v_cmpx_lt_i32_e32 27, v111
	s_cbranch_execz .LBB94_471
; %bb.470:
	v_mul_f64 v[44:45], v[0:1], v[44:45]
	ds_read2_b64 v[112:115], v108 offset0:28 offset1:29
	ds_read2_b64 v[116:119], v108 offset0:30 offset1:31
	ds_read2_b64 v[120:123], v108 offset0:32 offset1:33
	ds_read2_b64 v[124:127], v108 offset0:34 offset1:35
	ds_read2_b64 v[128:131], v108 offset0:36 offset1:37
	ds_read2_b64 v[132:135], v108 offset0:38 offset1:39
	ds_read2_b64 v[136:139], v108 offset0:40 offset1:41
	ds_read2_b64 v[140:143], v108 offset0:42 offset1:43
	ds_read2_b64 v[144:147], v108 offset0:44 offset1:45
	ds_read2_b64 v[148:151], v108 offset0:46 offset1:47
	s_waitcnt lgkmcnt(9)
	v_fma_f64 v[42:43], -v[44:45], v[112:113], v[42:43]
	v_fma_f64 v[38:39], -v[44:45], v[114:115], v[38:39]
	s_waitcnt lgkmcnt(8)
	v_fma_f64 v[40:41], -v[44:45], v[116:117], v[40:41]
	v_fma_f64 v[34:35], -v[44:45], v[118:119], v[34:35]
	;; [unrolled: 3-line block ×10, first 2 shown]
.LBB94_471:
	s_or_b32 exec_lo, exec_lo, s0
	v_lshl_add_u32 v0, v111, 3, v108
	s_barrier
	buffer_gl0_inv
	v_mov_b32_e32 v102, 28
	ds_write_b64 v0, v[42:43]
	s_waitcnt lgkmcnt(0)
	s_barrier
	buffer_gl0_inv
	ds_read_b64 v[0:1], v108 offset:224
	s_cmp_lt_i32 s7, 30
	s_cbranch_scc1 .LBB94_474
; %bb.472:
	v_add3_u32 v103, v109, 0, 0xe8
	v_mov_b32_e32 v102, 28
	s_mov_b32 s0, 29
.LBB94_473:                             ; =>This Inner Loop Header: Depth=1
	ds_read_b64 v[112:113], v103
	v_add_nc_u32_e32 v103, 8, v103
	s_waitcnt lgkmcnt(0)
	v_cmp_lt_f64_e64 vcc_lo, |v[0:1]|, |v[112:113]|
	v_cndmask_b32_e32 v1, v1, v113, vcc_lo
	v_cndmask_b32_e32 v0, v0, v112, vcc_lo
	v_cndmask_b32_e64 v102, v102, s0, vcc_lo
	s_add_i32 s0, s0, 1
	s_cmp_lg_u32 s7, s0
	s_cbranch_scc1 .LBB94_473
.LBB94_474:
	s_mov_b32 s0, exec_lo
	s_waitcnt lgkmcnt(0)
	v_cmpx_eq_f64_e32 0, v[0:1]
	s_xor_b32 s0, exec_lo, s0
; %bb.475:
	v_cmp_ne_u32_e32 vcc_lo, 0, v105
	v_cndmask_b32_e32 v105, 29, v105, vcc_lo
; %bb.476:
	s_andn2_saveexec_b32 s0, s0
	s_cbranch_execz .LBB94_478
; %bb.477:
	v_div_scale_f64 v[103:104], null, v[0:1], v[0:1], 1.0
	v_rcp_f64_e32 v[112:113], v[103:104]
	v_fma_f64 v[114:115], -v[103:104], v[112:113], 1.0
	v_fma_f64 v[112:113], v[112:113], v[114:115], v[112:113]
	v_fma_f64 v[114:115], -v[103:104], v[112:113], 1.0
	v_fma_f64 v[112:113], v[112:113], v[114:115], v[112:113]
	v_div_scale_f64 v[114:115], vcc_lo, 1.0, v[0:1], 1.0
	v_mul_f64 v[116:117], v[114:115], v[112:113]
	v_fma_f64 v[103:104], -v[103:104], v[116:117], v[114:115]
	v_div_fmas_f64 v[103:104], v[103:104], v[112:113], v[116:117]
	v_div_fixup_f64 v[0:1], v[103:104], v[0:1], 1.0
.LBB94_478:
	s_or_b32 exec_lo, exec_lo, s0
	s_mov_b32 s0, exec_lo
	v_cmpx_ne_u32_e64 v111, v102
	s_xor_b32 s0, exec_lo, s0
	s_cbranch_execz .LBB94_484
; %bb.479:
	s_mov_b32 s1, exec_lo
	v_cmpx_eq_u32_e32 28, v111
	s_cbranch_execz .LBB94_483
; %bb.480:
	v_cmp_ne_u32_e32 vcc_lo, 28, v102
	s_xor_b32 s2, s6, -1
	s_and_b32 s3, s2, vcc_lo
	s_and_saveexec_b32 s2, s3
	s_cbranch_execz .LBB94_482
; %bb.481:
	v_ashrrev_i32_e32 v103, 31, v102
	v_lshlrev_b64 v[103:104], 2, v[102:103]
	v_add_co_u32 v103, vcc_lo, v4, v103
	v_add_co_ci_u32_e64 v104, null, v5, v104, vcc_lo
	s_clause 0x1
	global_load_dword v110, v[103:104], off
	global_load_dword v111, v[4:5], off offset:112
	s_waitcnt vmcnt(1)
	global_store_dword v[4:5], v110, off offset:112
	s_waitcnt vmcnt(0)
	global_store_dword v[103:104], v111, off
.LBB94_482:
	s_or_b32 exec_lo, exec_lo, s2
	v_mov_b32_e32 v110, v102
	v_mov_b32_e32 v111, v102
.LBB94_483:
	s_or_b32 exec_lo, exec_lo, s1
.LBB94_484:
	s_andn2_saveexec_b32 s0, s0
	s_cbranch_execz .LBB94_486
; %bb.485:
	v_mov_b32_e32 v111, 28
	ds_write2_b64 v108, v[38:39], v[40:41] offset0:29 offset1:30
	ds_write2_b64 v108, v[34:35], v[36:37] offset0:31 offset1:32
	;; [unrolled: 1-line block ×9, first 2 shown]
	ds_write_b64 v108, v[100:101] offset:376
.LBB94_486:
	s_or_b32 exec_lo, exec_lo, s0
	s_mov_b32 s0, exec_lo
	s_waitcnt lgkmcnt(0)
	s_waitcnt_vscnt null, 0x0
	s_barrier
	buffer_gl0_inv
	v_cmpx_lt_i32_e32 28, v111
	s_cbranch_execz .LBB94_488
; %bb.487:
	v_mul_f64 v[42:43], v[0:1], v[42:43]
	ds_read2_b64 v[112:115], v108 offset0:29 offset1:30
	ds_read2_b64 v[116:119], v108 offset0:31 offset1:32
	;; [unrolled: 1-line block ×9, first 2 shown]
	ds_read_b64 v[0:1], v108 offset:376
	s_waitcnt lgkmcnt(9)
	v_fma_f64 v[38:39], -v[42:43], v[112:113], v[38:39]
	v_fma_f64 v[40:41], -v[42:43], v[114:115], v[40:41]
	s_waitcnt lgkmcnt(8)
	v_fma_f64 v[34:35], -v[42:43], v[116:117], v[34:35]
	v_fma_f64 v[36:37], -v[42:43], v[118:119], v[36:37]
	;; [unrolled: 3-line block ×9, first 2 shown]
	s_waitcnt lgkmcnt(0)
	v_fma_f64 v[100:101], -v[42:43], v[0:1], v[100:101]
.LBB94_488:
	s_or_b32 exec_lo, exec_lo, s0
	v_lshl_add_u32 v0, v111, 3, v108
	s_barrier
	buffer_gl0_inv
	v_mov_b32_e32 v102, 29
	ds_write_b64 v0, v[38:39]
	s_waitcnt lgkmcnt(0)
	s_barrier
	buffer_gl0_inv
	ds_read_b64 v[0:1], v108 offset:232
	s_cmp_lt_i32 s7, 31
	s_cbranch_scc1 .LBB94_491
; %bb.489:
	v_add3_u32 v103, v109, 0, 0xf0
	v_mov_b32_e32 v102, 29
	s_mov_b32 s0, 30
.LBB94_490:                             ; =>This Inner Loop Header: Depth=1
	ds_read_b64 v[112:113], v103
	v_add_nc_u32_e32 v103, 8, v103
	s_waitcnt lgkmcnt(0)
	v_cmp_lt_f64_e64 vcc_lo, |v[0:1]|, |v[112:113]|
	v_cndmask_b32_e32 v1, v1, v113, vcc_lo
	v_cndmask_b32_e32 v0, v0, v112, vcc_lo
	v_cndmask_b32_e64 v102, v102, s0, vcc_lo
	s_add_i32 s0, s0, 1
	s_cmp_lg_u32 s7, s0
	s_cbranch_scc1 .LBB94_490
.LBB94_491:
	s_mov_b32 s0, exec_lo
	s_waitcnt lgkmcnt(0)
	v_cmpx_eq_f64_e32 0, v[0:1]
	s_xor_b32 s0, exec_lo, s0
; %bb.492:
	v_cmp_ne_u32_e32 vcc_lo, 0, v105
	v_cndmask_b32_e32 v105, 30, v105, vcc_lo
; %bb.493:
	s_andn2_saveexec_b32 s0, s0
	s_cbranch_execz .LBB94_495
; %bb.494:
	v_div_scale_f64 v[103:104], null, v[0:1], v[0:1], 1.0
	v_rcp_f64_e32 v[112:113], v[103:104]
	v_fma_f64 v[114:115], -v[103:104], v[112:113], 1.0
	v_fma_f64 v[112:113], v[112:113], v[114:115], v[112:113]
	v_fma_f64 v[114:115], -v[103:104], v[112:113], 1.0
	v_fma_f64 v[112:113], v[112:113], v[114:115], v[112:113]
	v_div_scale_f64 v[114:115], vcc_lo, 1.0, v[0:1], 1.0
	v_mul_f64 v[116:117], v[114:115], v[112:113]
	v_fma_f64 v[103:104], -v[103:104], v[116:117], v[114:115]
	v_div_fmas_f64 v[103:104], v[103:104], v[112:113], v[116:117]
	v_div_fixup_f64 v[0:1], v[103:104], v[0:1], 1.0
.LBB94_495:
	s_or_b32 exec_lo, exec_lo, s0
	s_mov_b32 s0, exec_lo
	v_cmpx_ne_u32_e64 v111, v102
	s_xor_b32 s0, exec_lo, s0
	s_cbranch_execz .LBB94_501
; %bb.496:
	s_mov_b32 s1, exec_lo
	v_cmpx_eq_u32_e32 29, v111
	s_cbranch_execz .LBB94_500
; %bb.497:
	v_cmp_ne_u32_e32 vcc_lo, 29, v102
	s_xor_b32 s2, s6, -1
	s_and_b32 s3, s2, vcc_lo
	s_and_saveexec_b32 s2, s3
	s_cbranch_execz .LBB94_499
; %bb.498:
	v_ashrrev_i32_e32 v103, 31, v102
	v_lshlrev_b64 v[103:104], 2, v[102:103]
	v_add_co_u32 v103, vcc_lo, v4, v103
	v_add_co_ci_u32_e64 v104, null, v5, v104, vcc_lo
	s_clause 0x1
	global_load_dword v110, v[103:104], off
	global_load_dword v111, v[4:5], off offset:116
	s_waitcnt vmcnt(1)
	global_store_dword v[4:5], v110, off offset:116
	s_waitcnt vmcnt(0)
	global_store_dword v[103:104], v111, off
.LBB94_499:
	s_or_b32 exec_lo, exec_lo, s2
	v_mov_b32_e32 v110, v102
	v_mov_b32_e32 v111, v102
.LBB94_500:
	s_or_b32 exec_lo, exec_lo, s1
.LBB94_501:
	s_andn2_saveexec_b32 s0, s0
	s_cbranch_execz .LBB94_503
; %bb.502:
	v_mov_b32_e32 v102, v40
	v_mov_b32_e32 v103, v41
	;; [unrolled: 1-line block ×20, first 2 shown]
	ds_write2_b64 v108, v[102:103], v[111:112] offset0:30 offset1:31
	ds_write2_b64 v108, v[113:114], v[115:116] offset0:32 offset1:33
	;; [unrolled: 1-line block ×5, first 2 shown]
	v_mov_b32_e32 v102, v20
	v_mov_b32_e32 v103, v21
	v_mov_b32_e32 v112, v16
	v_mov_b32_e32 v113, v17
	v_mov_b32_e32 v111, 29
	v_mov_b32_e32 v114, v14
	v_mov_b32_e32 v115, v15
	v_mov_b32_e32 v116, v8
	v_mov_b32_e32 v117, v9
	v_mov_b32_e32 v118, v12
	v_mov_b32_e32 v119, v13
	v_mov_b32_e32 v120, v6
	v_mov_b32_e32 v121, v7
	v_mov_b32_e32 v122, v10
	v_mov_b32_e32 v123, v11
	ds_write2_b64 v108, v[102:103], v[112:113] offset0:40 offset1:41
	ds_write2_b64 v108, v[114:115], v[116:117] offset0:42 offset1:43
	;; [unrolled: 1-line block ×4, first 2 shown]
.LBB94_503:
	s_or_b32 exec_lo, exec_lo, s0
	s_mov_b32 s0, exec_lo
	s_waitcnt lgkmcnt(0)
	s_waitcnt_vscnt null, 0x0
	s_barrier
	buffer_gl0_inv
	v_cmpx_lt_i32_e32 29, v111
	s_cbranch_execz .LBB94_505
; %bb.504:
	v_mul_f64 v[38:39], v[0:1], v[38:39]
	ds_read2_b64 v[112:115], v108 offset0:30 offset1:31
	ds_read2_b64 v[116:119], v108 offset0:32 offset1:33
	;; [unrolled: 1-line block ×9, first 2 shown]
	s_waitcnt lgkmcnt(8)
	v_fma_f64 v[40:41], -v[38:39], v[112:113], v[40:41]
	v_fma_f64 v[34:35], -v[38:39], v[114:115], v[34:35]
	s_waitcnt lgkmcnt(7)
	v_fma_f64 v[36:37], -v[38:39], v[116:117], v[36:37]
	v_fma_f64 v[32:33], -v[38:39], v[118:119], v[32:33]
	;; [unrolled: 3-line block ×9, first 2 shown]
.LBB94_505:
	s_or_b32 exec_lo, exec_lo, s0
	v_lshl_add_u32 v0, v111, 3, v108
	s_barrier
	buffer_gl0_inv
	v_mov_b32_e32 v102, 30
	ds_write_b64 v0, v[40:41]
	s_waitcnt lgkmcnt(0)
	s_barrier
	buffer_gl0_inv
	ds_read_b64 v[0:1], v108 offset:240
	s_cmp_lt_i32 s7, 32
	s_cbranch_scc1 .LBB94_508
; %bb.506:
	v_add3_u32 v103, v109, 0, 0xf8
	v_mov_b32_e32 v102, 30
	s_mov_b32 s0, 31
.LBB94_507:                             ; =>This Inner Loop Header: Depth=1
	ds_read_b64 v[112:113], v103
	v_add_nc_u32_e32 v103, 8, v103
	s_waitcnt lgkmcnt(0)
	v_cmp_lt_f64_e64 vcc_lo, |v[0:1]|, |v[112:113]|
	v_cndmask_b32_e32 v1, v1, v113, vcc_lo
	v_cndmask_b32_e32 v0, v0, v112, vcc_lo
	v_cndmask_b32_e64 v102, v102, s0, vcc_lo
	s_add_i32 s0, s0, 1
	s_cmp_lg_u32 s7, s0
	s_cbranch_scc1 .LBB94_507
.LBB94_508:
	s_mov_b32 s0, exec_lo
	s_waitcnt lgkmcnt(0)
	v_cmpx_eq_f64_e32 0, v[0:1]
	s_xor_b32 s0, exec_lo, s0
; %bb.509:
	v_cmp_ne_u32_e32 vcc_lo, 0, v105
	v_cndmask_b32_e32 v105, 31, v105, vcc_lo
; %bb.510:
	s_andn2_saveexec_b32 s0, s0
	s_cbranch_execz .LBB94_512
; %bb.511:
	v_div_scale_f64 v[103:104], null, v[0:1], v[0:1], 1.0
	v_rcp_f64_e32 v[112:113], v[103:104]
	v_fma_f64 v[114:115], -v[103:104], v[112:113], 1.0
	v_fma_f64 v[112:113], v[112:113], v[114:115], v[112:113]
	v_fma_f64 v[114:115], -v[103:104], v[112:113], 1.0
	v_fma_f64 v[112:113], v[112:113], v[114:115], v[112:113]
	v_div_scale_f64 v[114:115], vcc_lo, 1.0, v[0:1], 1.0
	v_mul_f64 v[116:117], v[114:115], v[112:113]
	v_fma_f64 v[103:104], -v[103:104], v[116:117], v[114:115]
	v_div_fmas_f64 v[103:104], v[103:104], v[112:113], v[116:117]
	v_div_fixup_f64 v[0:1], v[103:104], v[0:1], 1.0
.LBB94_512:
	s_or_b32 exec_lo, exec_lo, s0
	s_mov_b32 s0, exec_lo
	v_cmpx_ne_u32_e64 v111, v102
	s_xor_b32 s0, exec_lo, s0
	s_cbranch_execz .LBB94_518
; %bb.513:
	s_mov_b32 s1, exec_lo
	v_cmpx_eq_u32_e32 30, v111
	s_cbranch_execz .LBB94_517
; %bb.514:
	v_cmp_ne_u32_e32 vcc_lo, 30, v102
	s_xor_b32 s2, s6, -1
	s_and_b32 s3, s2, vcc_lo
	s_and_saveexec_b32 s2, s3
	s_cbranch_execz .LBB94_516
; %bb.515:
	v_ashrrev_i32_e32 v103, 31, v102
	v_lshlrev_b64 v[103:104], 2, v[102:103]
	v_add_co_u32 v103, vcc_lo, v4, v103
	v_add_co_ci_u32_e64 v104, null, v5, v104, vcc_lo
	s_clause 0x1
	global_load_dword v110, v[103:104], off
	global_load_dword v111, v[4:5], off offset:120
	s_waitcnt vmcnt(1)
	global_store_dword v[4:5], v110, off offset:120
	s_waitcnt vmcnt(0)
	global_store_dword v[103:104], v111, off
.LBB94_516:
	s_or_b32 exec_lo, exec_lo, s2
	v_mov_b32_e32 v110, v102
	v_mov_b32_e32 v111, v102
.LBB94_517:
	s_or_b32 exec_lo, exec_lo, s1
.LBB94_518:
	s_andn2_saveexec_b32 s0, s0
	s_cbranch_execz .LBB94_520
; %bb.519:
	v_mov_b32_e32 v111, 30
	ds_write2_b64 v108, v[34:35], v[36:37] offset0:31 offset1:32
	ds_write2_b64 v108, v[32:33], v[30:31] offset0:33 offset1:34
	;; [unrolled: 1-line block ×8, first 2 shown]
	ds_write_b64 v108, v[100:101] offset:376
.LBB94_520:
	s_or_b32 exec_lo, exec_lo, s0
	s_mov_b32 s0, exec_lo
	s_waitcnt lgkmcnt(0)
	s_waitcnt_vscnt null, 0x0
	s_barrier
	buffer_gl0_inv
	v_cmpx_lt_i32_e32 30, v111
	s_cbranch_execz .LBB94_522
; %bb.521:
	v_mul_f64 v[40:41], v[0:1], v[40:41]
	ds_read2_b64 v[112:115], v108 offset0:31 offset1:32
	ds_read2_b64 v[116:119], v108 offset0:33 offset1:34
	;; [unrolled: 1-line block ×8, first 2 shown]
	ds_read_b64 v[0:1], v108 offset:376
	s_waitcnt lgkmcnt(8)
	v_fma_f64 v[34:35], -v[40:41], v[112:113], v[34:35]
	v_fma_f64 v[36:37], -v[40:41], v[114:115], v[36:37]
	s_waitcnt lgkmcnt(7)
	v_fma_f64 v[32:33], -v[40:41], v[116:117], v[32:33]
	v_fma_f64 v[30:31], -v[40:41], v[118:119], v[30:31]
	;; [unrolled: 3-line block ×8, first 2 shown]
	s_waitcnt lgkmcnt(0)
	v_fma_f64 v[100:101], -v[40:41], v[0:1], v[100:101]
.LBB94_522:
	s_or_b32 exec_lo, exec_lo, s0
	v_lshl_add_u32 v0, v111, 3, v108
	s_barrier
	buffer_gl0_inv
	v_mov_b32_e32 v102, 31
	ds_write_b64 v0, v[34:35]
	s_waitcnt lgkmcnt(0)
	s_barrier
	buffer_gl0_inv
	ds_read_b64 v[0:1], v108 offset:248
	s_cmp_lt_i32 s7, 33
	s_cbranch_scc1 .LBB94_525
; %bb.523:
	v_add3_u32 v103, v109, 0, 0x100
	v_mov_b32_e32 v102, 31
	s_mov_b32 s0, 32
.LBB94_524:                             ; =>This Inner Loop Header: Depth=1
	ds_read_b64 v[112:113], v103
	v_add_nc_u32_e32 v103, 8, v103
	s_waitcnt lgkmcnt(0)
	v_cmp_lt_f64_e64 vcc_lo, |v[0:1]|, |v[112:113]|
	v_cndmask_b32_e32 v1, v1, v113, vcc_lo
	v_cndmask_b32_e32 v0, v0, v112, vcc_lo
	v_cndmask_b32_e64 v102, v102, s0, vcc_lo
	s_add_i32 s0, s0, 1
	s_cmp_lg_u32 s7, s0
	s_cbranch_scc1 .LBB94_524
.LBB94_525:
	s_mov_b32 s0, exec_lo
	s_waitcnt lgkmcnt(0)
	v_cmpx_eq_f64_e32 0, v[0:1]
	s_xor_b32 s0, exec_lo, s0
; %bb.526:
	v_cmp_ne_u32_e32 vcc_lo, 0, v105
	v_cndmask_b32_e32 v105, 32, v105, vcc_lo
; %bb.527:
	s_andn2_saveexec_b32 s0, s0
	s_cbranch_execz .LBB94_529
; %bb.528:
	v_div_scale_f64 v[103:104], null, v[0:1], v[0:1], 1.0
	v_rcp_f64_e32 v[112:113], v[103:104]
	v_fma_f64 v[114:115], -v[103:104], v[112:113], 1.0
	v_fma_f64 v[112:113], v[112:113], v[114:115], v[112:113]
	v_fma_f64 v[114:115], -v[103:104], v[112:113], 1.0
	v_fma_f64 v[112:113], v[112:113], v[114:115], v[112:113]
	v_div_scale_f64 v[114:115], vcc_lo, 1.0, v[0:1], 1.0
	v_mul_f64 v[116:117], v[114:115], v[112:113]
	v_fma_f64 v[103:104], -v[103:104], v[116:117], v[114:115]
	v_div_fmas_f64 v[103:104], v[103:104], v[112:113], v[116:117]
	v_div_fixup_f64 v[0:1], v[103:104], v[0:1], 1.0
.LBB94_529:
	s_or_b32 exec_lo, exec_lo, s0
	s_mov_b32 s0, exec_lo
	v_cmpx_ne_u32_e64 v111, v102
	s_xor_b32 s0, exec_lo, s0
	s_cbranch_execz .LBB94_535
; %bb.530:
	s_mov_b32 s1, exec_lo
	v_cmpx_eq_u32_e32 31, v111
	s_cbranch_execz .LBB94_534
; %bb.531:
	v_cmp_ne_u32_e32 vcc_lo, 31, v102
	s_xor_b32 s2, s6, -1
	s_and_b32 s3, s2, vcc_lo
	s_and_saveexec_b32 s2, s3
	s_cbranch_execz .LBB94_533
; %bb.532:
	v_ashrrev_i32_e32 v103, 31, v102
	v_lshlrev_b64 v[103:104], 2, v[102:103]
	v_add_co_u32 v103, vcc_lo, v4, v103
	v_add_co_ci_u32_e64 v104, null, v5, v104, vcc_lo
	s_clause 0x1
	global_load_dword v110, v[103:104], off
	global_load_dword v111, v[4:5], off offset:124
	s_waitcnt vmcnt(1)
	global_store_dword v[4:5], v110, off offset:124
	s_waitcnt vmcnt(0)
	global_store_dword v[103:104], v111, off
.LBB94_533:
	s_or_b32 exec_lo, exec_lo, s2
	v_mov_b32_e32 v110, v102
	v_mov_b32_e32 v111, v102
.LBB94_534:
	s_or_b32 exec_lo, exec_lo, s1
.LBB94_535:
	s_andn2_saveexec_b32 s0, s0
	s_cbranch_execz .LBB94_537
; %bb.536:
	v_mov_b32_e32 v102, v36
	v_mov_b32_e32 v103, v37
	;; [unrolled: 1-line block ×16, first 2 shown]
	ds_write2_b64 v108, v[102:103], v[111:112] offset0:32 offset1:33
	ds_write2_b64 v108, v[113:114], v[115:116] offset0:34 offset1:35
	ds_write2_b64 v108, v[117:118], v[119:120] offset0:36 offset1:37
	ds_write2_b64 v108, v[121:122], v[123:124] offset0:38 offset1:39
	v_mov_b32_e32 v102, v20
	v_mov_b32_e32 v103, v21
	;; [unrolled: 1-line block ×15, first 2 shown]
	ds_write2_b64 v108, v[102:103], v[112:113] offset0:40 offset1:41
	ds_write2_b64 v108, v[114:115], v[116:117] offset0:42 offset1:43
	;; [unrolled: 1-line block ×4, first 2 shown]
.LBB94_537:
	s_or_b32 exec_lo, exec_lo, s0
	s_mov_b32 s0, exec_lo
	s_waitcnt lgkmcnt(0)
	s_waitcnt_vscnt null, 0x0
	s_barrier
	buffer_gl0_inv
	v_cmpx_lt_i32_e32 31, v111
	s_cbranch_execz .LBB94_539
; %bb.538:
	v_mul_f64 v[34:35], v[0:1], v[34:35]
	ds_read2_b64 v[112:115], v108 offset0:32 offset1:33
	ds_read2_b64 v[116:119], v108 offset0:34 offset1:35
	;; [unrolled: 1-line block ×8, first 2 shown]
	s_waitcnt lgkmcnt(7)
	v_fma_f64 v[36:37], -v[34:35], v[112:113], v[36:37]
	v_fma_f64 v[32:33], -v[34:35], v[114:115], v[32:33]
	s_waitcnt lgkmcnt(6)
	v_fma_f64 v[30:31], -v[34:35], v[116:117], v[30:31]
	v_fma_f64 v[28:29], -v[34:35], v[118:119], v[28:29]
	;; [unrolled: 3-line block ×8, first 2 shown]
.LBB94_539:
	s_or_b32 exec_lo, exec_lo, s0
	v_lshl_add_u32 v0, v111, 3, v108
	s_barrier
	buffer_gl0_inv
	v_mov_b32_e32 v102, 32
	ds_write_b64 v0, v[36:37]
	s_waitcnt lgkmcnt(0)
	s_barrier
	buffer_gl0_inv
	ds_read_b64 v[0:1], v108 offset:256
	s_cmp_lt_i32 s7, 34
	s_cbranch_scc1 .LBB94_542
; %bb.540:
	v_add3_u32 v103, v109, 0, 0x108
	v_mov_b32_e32 v102, 32
	s_mov_b32 s0, 33
.LBB94_541:                             ; =>This Inner Loop Header: Depth=1
	ds_read_b64 v[112:113], v103
	v_add_nc_u32_e32 v103, 8, v103
	s_waitcnt lgkmcnt(0)
	v_cmp_lt_f64_e64 vcc_lo, |v[0:1]|, |v[112:113]|
	v_cndmask_b32_e32 v1, v1, v113, vcc_lo
	v_cndmask_b32_e32 v0, v0, v112, vcc_lo
	v_cndmask_b32_e64 v102, v102, s0, vcc_lo
	s_add_i32 s0, s0, 1
	s_cmp_lg_u32 s7, s0
	s_cbranch_scc1 .LBB94_541
.LBB94_542:
	s_mov_b32 s0, exec_lo
	s_waitcnt lgkmcnt(0)
	v_cmpx_eq_f64_e32 0, v[0:1]
	s_xor_b32 s0, exec_lo, s0
; %bb.543:
	v_cmp_ne_u32_e32 vcc_lo, 0, v105
	v_cndmask_b32_e32 v105, 33, v105, vcc_lo
; %bb.544:
	s_andn2_saveexec_b32 s0, s0
	s_cbranch_execz .LBB94_546
; %bb.545:
	v_div_scale_f64 v[103:104], null, v[0:1], v[0:1], 1.0
	v_rcp_f64_e32 v[112:113], v[103:104]
	v_fma_f64 v[114:115], -v[103:104], v[112:113], 1.0
	v_fma_f64 v[112:113], v[112:113], v[114:115], v[112:113]
	v_fma_f64 v[114:115], -v[103:104], v[112:113], 1.0
	v_fma_f64 v[112:113], v[112:113], v[114:115], v[112:113]
	v_div_scale_f64 v[114:115], vcc_lo, 1.0, v[0:1], 1.0
	v_mul_f64 v[116:117], v[114:115], v[112:113]
	v_fma_f64 v[103:104], -v[103:104], v[116:117], v[114:115]
	v_div_fmas_f64 v[103:104], v[103:104], v[112:113], v[116:117]
	v_div_fixup_f64 v[0:1], v[103:104], v[0:1], 1.0
.LBB94_546:
	s_or_b32 exec_lo, exec_lo, s0
	s_mov_b32 s0, exec_lo
	v_cmpx_ne_u32_e64 v111, v102
	s_xor_b32 s0, exec_lo, s0
	s_cbranch_execz .LBB94_552
; %bb.547:
	s_mov_b32 s1, exec_lo
	v_cmpx_eq_u32_e32 32, v111
	s_cbranch_execz .LBB94_551
; %bb.548:
	v_cmp_ne_u32_e32 vcc_lo, 32, v102
	s_xor_b32 s2, s6, -1
	s_and_b32 s3, s2, vcc_lo
	s_and_saveexec_b32 s2, s3
	s_cbranch_execz .LBB94_550
; %bb.549:
	v_ashrrev_i32_e32 v103, 31, v102
	v_lshlrev_b64 v[103:104], 2, v[102:103]
	v_add_co_u32 v103, vcc_lo, v4, v103
	v_add_co_ci_u32_e64 v104, null, v5, v104, vcc_lo
	s_clause 0x1
	global_load_dword v110, v[103:104], off
	global_load_dword v111, v[4:5], off offset:128
	s_waitcnt vmcnt(1)
	global_store_dword v[4:5], v110, off offset:128
	s_waitcnt vmcnt(0)
	global_store_dword v[103:104], v111, off
.LBB94_550:
	s_or_b32 exec_lo, exec_lo, s2
	v_mov_b32_e32 v110, v102
	v_mov_b32_e32 v111, v102
.LBB94_551:
	s_or_b32 exec_lo, exec_lo, s1
.LBB94_552:
	s_andn2_saveexec_b32 s0, s0
	s_cbranch_execz .LBB94_554
; %bb.553:
	v_mov_b32_e32 v111, 32
	ds_write2_b64 v108, v[32:33], v[30:31] offset0:33 offset1:34
	ds_write2_b64 v108, v[28:29], v[26:27] offset0:35 offset1:36
	ds_write2_b64 v108, v[24:25], v[22:23] offset0:37 offset1:38
	ds_write2_b64 v108, v[18:19], v[20:21] offset0:39 offset1:40
	ds_write2_b64 v108, v[16:17], v[14:15] offset0:41 offset1:42
	ds_write2_b64 v108, v[8:9], v[12:13] offset0:43 offset1:44
	ds_write2_b64 v108, v[6:7], v[10:11] offset0:45 offset1:46
	ds_write_b64 v108, v[100:101] offset:376
.LBB94_554:
	s_or_b32 exec_lo, exec_lo, s0
	s_mov_b32 s0, exec_lo
	s_waitcnt lgkmcnt(0)
	s_waitcnt_vscnt null, 0x0
	s_barrier
	buffer_gl0_inv
	v_cmpx_lt_i32_e32 32, v111
	s_cbranch_execz .LBB94_556
; %bb.555:
	v_mul_f64 v[36:37], v[0:1], v[36:37]
	ds_read2_b64 v[112:115], v108 offset0:33 offset1:34
	ds_read2_b64 v[116:119], v108 offset0:35 offset1:36
	ds_read2_b64 v[120:123], v108 offset0:37 offset1:38
	ds_read2_b64 v[124:127], v108 offset0:39 offset1:40
	ds_read2_b64 v[128:131], v108 offset0:41 offset1:42
	ds_read2_b64 v[132:135], v108 offset0:43 offset1:44
	ds_read2_b64 v[136:139], v108 offset0:45 offset1:46
	ds_read_b64 v[0:1], v108 offset:376
	s_waitcnt lgkmcnt(7)
	v_fma_f64 v[32:33], -v[36:37], v[112:113], v[32:33]
	v_fma_f64 v[30:31], -v[36:37], v[114:115], v[30:31]
	s_waitcnt lgkmcnt(6)
	v_fma_f64 v[28:29], -v[36:37], v[116:117], v[28:29]
	v_fma_f64 v[26:27], -v[36:37], v[118:119], v[26:27]
	;; [unrolled: 3-line block ×7, first 2 shown]
	s_waitcnt lgkmcnt(0)
	v_fma_f64 v[100:101], -v[36:37], v[0:1], v[100:101]
.LBB94_556:
	s_or_b32 exec_lo, exec_lo, s0
	v_lshl_add_u32 v0, v111, 3, v108
	s_barrier
	buffer_gl0_inv
	v_mov_b32_e32 v102, 33
	ds_write_b64 v0, v[32:33]
	s_waitcnt lgkmcnt(0)
	s_barrier
	buffer_gl0_inv
	ds_read_b64 v[0:1], v108 offset:264
	s_cmp_lt_i32 s7, 35
	s_cbranch_scc1 .LBB94_559
; %bb.557:
	v_add3_u32 v103, v109, 0, 0x110
	v_mov_b32_e32 v102, 33
	s_mov_b32 s0, 34
.LBB94_558:                             ; =>This Inner Loop Header: Depth=1
	ds_read_b64 v[112:113], v103
	v_add_nc_u32_e32 v103, 8, v103
	s_waitcnt lgkmcnt(0)
	v_cmp_lt_f64_e64 vcc_lo, |v[0:1]|, |v[112:113]|
	v_cndmask_b32_e32 v1, v1, v113, vcc_lo
	v_cndmask_b32_e32 v0, v0, v112, vcc_lo
	v_cndmask_b32_e64 v102, v102, s0, vcc_lo
	s_add_i32 s0, s0, 1
	s_cmp_lg_u32 s7, s0
	s_cbranch_scc1 .LBB94_558
.LBB94_559:
	s_mov_b32 s0, exec_lo
	s_waitcnt lgkmcnt(0)
	v_cmpx_eq_f64_e32 0, v[0:1]
	s_xor_b32 s0, exec_lo, s0
; %bb.560:
	v_cmp_ne_u32_e32 vcc_lo, 0, v105
	v_cndmask_b32_e32 v105, 34, v105, vcc_lo
; %bb.561:
	s_andn2_saveexec_b32 s0, s0
	s_cbranch_execz .LBB94_563
; %bb.562:
	v_div_scale_f64 v[103:104], null, v[0:1], v[0:1], 1.0
	v_rcp_f64_e32 v[112:113], v[103:104]
	v_fma_f64 v[114:115], -v[103:104], v[112:113], 1.0
	v_fma_f64 v[112:113], v[112:113], v[114:115], v[112:113]
	v_fma_f64 v[114:115], -v[103:104], v[112:113], 1.0
	v_fma_f64 v[112:113], v[112:113], v[114:115], v[112:113]
	v_div_scale_f64 v[114:115], vcc_lo, 1.0, v[0:1], 1.0
	v_mul_f64 v[116:117], v[114:115], v[112:113]
	v_fma_f64 v[103:104], -v[103:104], v[116:117], v[114:115]
	v_div_fmas_f64 v[103:104], v[103:104], v[112:113], v[116:117]
	v_div_fixup_f64 v[0:1], v[103:104], v[0:1], 1.0
.LBB94_563:
	s_or_b32 exec_lo, exec_lo, s0
	s_mov_b32 s0, exec_lo
	v_cmpx_ne_u32_e64 v111, v102
	s_xor_b32 s0, exec_lo, s0
	s_cbranch_execz .LBB94_569
; %bb.564:
	s_mov_b32 s1, exec_lo
	v_cmpx_eq_u32_e32 33, v111
	s_cbranch_execz .LBB94_568
; %bb.565:
	v_cmp_ne_u32_e32 vcc_lo, 33, v102
	s_xor_b32 s2, s6, -1
	s_and_b32 s3, s2, vcc_lo
	s_and_saveexec_b32 s2, s3
	s_cbranch_execz .LBB94_567
; %bb.566:
	v_ashrrev_i32_e32 v103, 31, v102
	v_lshlrev_b64 v[103:104], 2, v[102:103]
	v_add_co_u32 v103, vcc_lo, v4, v103
	v_add_co_ci_u32_e64 v104, null, v5, v104, vcc_lo
	s_clause 0x1
	global_load_dword v110, v[103:104], off
	global_load_dword v111, v[4:5], off offset:132
	s_waitcnt vmcnt(1)
	global_store_dword v[4:5], v110, off offset:132
	s_waitcnt vmcnt(0)
	global_store_dword v[103:104], v111, off
.LBB94_567:
	s_or_b32 exec_lo, exec_lo, s2
	v_mov_b32_e32 v110, v102
	v_mov_b32_e32 v111, v102
.LBB94_568:
	s_or_b32 exec_lo, exec_lo, s1
.LBB94_569:
	s_andn2_saveexec_b32 s0, s0
	s_cbranch_execz .LBB94_571
; %bb.570:
	v_mov_b32_e32 v102, v30
	v_mov_b32_e32 v103, v31
	;; [unrolled: 1-line block ×12, first 2 shown]
	ds_write2_b64 v108, v[102:103], v[111:112] offset0:34 offset1:35
	ds_write2_b64 v108, v[113:114], v[115:116] offset0:36 offset1:37
	;; [unrolled: 1-line block ×3, first 2 shown]
	v_mov_b32_e32 v102, v20
	v_mov_b32_e32 v103, v21
	;; [unrolled: 1-line block ×15, first 2 shown]
	ds_write2_b64 v108, v[102:103], v[112:113] offset0:40 offset1:41
	ds_write2_b64 v108, v[114:115], v[116:117] offset0:42 offset1:43
	;; [unrolled: 1-line block ×4, first 2 shown]
.LBB94_571:
	s_or_b32 exec_lo, exec_lo, s0
	s_mov_b32 s0, exec_lo
	s_waitcnt lgkmcnt(0)
	s_waitcnt_vscnt null, 0x0
	s_barrier
	buffer_gl0_inv
	v_cmpx_lt_i32_e32 33, v111
	s_cbranch_execz .LBB94_573
; %bb.572:
	v_mul_f64 v[32:33], v[0:1], v[32:33]
	ds_read2_b64 v[112:115], v108 offset0:34 offset1:35
	ds_read2_b64 v[116:119], v108 offset0:36 offset1:37
	;; [unrolled: 1-line block ×7, first 2 shown]
	s_waitcnt lgkmcnt(6)
	v_fma_f64 v[30:31], -v[32:33], v[112:113], v[30:31]
	v_fma_f64 v[28:29], -v[32:33], v[114:115], v[28:29]
	s_waitcnt lgkmcnt(5)
	v_fma_f64 v[26:27], -v[32:33], v[116:117], v[26:27]
	v_fma_f64 v[24:25], -v[32:33], v[118:119], v[24:25]
	;; [unrolled: 3-line block ×7, first 2 shown]
.LBB94_573:
	s_or_b32 exec_lo, exec_lo, s0
	v_lshl_add_u32 v0, v111, 3, v108
	s_barrier
	buffer_gl0_inv
	v_mov_b32_e32 v102, 34
	ds_write_b64 v0, v[30:31]
	s_waitcnt lgkmcnt(0)
	s_barrier
	buffer_gl0_inv
	ds_read_b64 v[0:1], v108 offset:272
	s_cmp_lt_i32 s7, 36
	s_cbranch_scc1 .LBB94_576
; %bb.574:
	v_add3_u32 v103, v109, 0, 0x118
	v_mov_b32_e32 v102, 34
	s_mov_b32 s0, 35
.LBB94_575:                             ; =>This Inner Loop Header: Depth=1
	ds_read_b64 v[112:113], v103
	v_add_nc_u32_e32 v103, 8, v103
	s_waitcnt lgkmcnt(0)
	v_cmp_lt_f64_e64 vcc_lo, |v[0:1]|, |v[112:113]|
	v_cndmask_b32_e32 v1, v1, v113, vcc_lo
	v_cndmask_b32_e32 v0, v0, v112, vcc_lo
	v_cndmask_b32_e64 v102, v102, s0, vcc_lo
	s_add_i32 s0, s0, 1
	s_cmp_lg_u32 s7, s0
	s_cbranch_scc1 .LBB94_575
.LBB94_576:
	s_mov_b32 s0, exec_lo
	s_waitcnt lgkmcnt(0)
	v_cmpx_eq_f64_e32 0, v[0:1]
	s_xor_b32 s0, exec_lo, s0
; %bb.577:
	v_cmp_ne_u32_e32 vcc_lo, 0, v105
	v_cndmask_b32_e32 v105, 35, v105, vcc_lo
; %bb.578:
	s_andn2_saveexec_b32 s0, s0
	s_cbranch_execz .LBB94_580
; %bb.579:
	v_div_scale_f64 v[103:104], null, v[0:1], v[0:1], 1.0
	v_rcp_f64_e32 v[112:113], v[103:104]
	v_fma_f64 v[114:115], -v[103:104], v[112:113], 1.0
	v_fma_f64 v[112:113], v[112:113], v[114:115], v[112:113]
	v_fma_f64 v[114:115], -v[103:104], v[112:113], 1.0
	v_fma_f64 v[112:113], v[112:113], v[114:115], v[112:113]
	v_div_scale_f64 v[114:115], vcc_lo, 1.0, v[0:1], 1.0
	v_mul_f64 v[116:117], v[114:115], v[112:113]
	v_fma_f64 v[103:104], -v[103:104], v[116:117], v[114:115]
	v_div_fmas_f64 v[103:104], v[103:104], v[112:113], v[116:117]
	v_div_fixup_f64 v[0:1], v[103:104], v[0:1], 1.0
.LBB94_580:
	s_or_b32 exec_lo, exec_lo, s0
	s_mov_b32 s0, exec_lo
	v_cmpx_ne_u32_e64 v111, v102
	s_xor_b32 s0, exec_lo, s0
	s_cbranch_execz .LBB94_586
; %bb.581:
	s_mov_b32 s1, exec_lo
	v_cmpx_eq_u32_e32 34, v111
	s_cbranch_execz .LBB94_585
; %bb.582:
	v_cmp_ne_u32_e32 vcc_lo, 34, v102
	s_xor_b32 s2, s6, -1
	s_and_b32 s3, s2, vcc_lo
	s_and_saveexec_b32 s2, s3
	s_cbranch_execz .LBB94_584
; %bb.583:
	v_ashrrev_i32_e32 v103, 31, v102
	v_lshlrev_b64 v[103:104], 2, v[102:103]
	v_add_co_u32 v103, vcc_lo, v4, v103
	v_add_co_ci_u32_e64 v104, null, v5, v104, vcc_lo
	s_clause 0x1
	global_load_dword v110, v[103:104], off
	global_load_dword v111, v[4:5], off offset:136
	s_waitcnt vmcnt(1)
	global_store_dword v[4:5], v110, off offset:136
	s_waitcnt vmcnt(0)
	global_store_dword v[103:104], v111, off
.LBB94_584:
	s_or_b32 exec_lo, exec_lo, s2
	v_mov_b32_e32 v110, v102
	v_mov_b32_e32 v111, v102
.LBB94_585:
	s_or_b32 exec_lo, exec_lo, s1
.LBB94_586:
	s_andn2_saveexec_b32 s0, s0
	s_cbranch_execz .LBB94_588
; %bb.587:
	v_mov_b32_e32 v111, 34
	ds_write2_b64 v108, v[28:29], v[26:27] offset0:35 offset1:36
	ds_write2_b64 v108, v[24:25], v[22:23] offset0:37 offset1:38
	;; [unrolled: 1-line block ×6, first 2 shown]
	ds_write_b64 v108, v[100:101] offset:376
.LBB94_588:
	s_or_b32 exec_lo, exec_lo, s0
	s_mov_b32 s0, exec_lo
	s_waitcnt lgkmcnt(0)
	s_waitcnt_vscnt null, 0x0
	s_barrier
	buffer_gl0_inv
	v_cmpx_lt_i32_e32 34, v111
	s_cbranch_execz .LBB94_590
; %bb.589:
	v_mul_f64 v[30:31], v[0:1], v[30:31]
	ds_read2_b64 v[112:115], v108 offset0:35 offset1:36
	ds_read2_b64 v[116:119], v108 offset0:37 offset1:38
	ds_read2_b64 v[120:123], v108 offset0:39 offset1:40
	ds_read2_b64 v[124:127], v108 offset0:41 offset1:42
	ds_read2_b64 v[128:131], v108 offset0:43 offset1:44
	ds_read2_b64 v[132:135], v108 offset0:45 offset1:46
	ds_read_b64 v[0:1], v108 offset:376
	s_waitcnt lgkmcnt(6)
	v_fma_f64 v[28:29], -v[30:31], v[112:113], v[28:29]
	v_fma_f64 v[26:27], -v[30:31], v[114:115], v[26:27]
	s_waitcnt lgkmcnt(5)
	v_fma_f64 v[24:25], -v[30:31], v[116:117], v[24:25]
	v_fma_f64 v[22:23], -v[30:31], v[118:119], v[22:23]
	;; [unrolled: 3-line block ×6, first 2 shown]
	s_waitcnt lgkmcnt(0)
	v_fma_f64 v[100:101], -v[30:31], v[0:1], v[100:101]
.LBB94_590:
	s_or_b32 exec_lo, exec_lo, s0
	v_lshl_add_u32 v0, v111, 3, v108
	s_barrier
	buffer_gl0_inv
	v_mov_b32_e32 v102, 35
	ds_write_b64 v0, v[28:29]
	s_waitcnt lgkmcnt(0)
	s_barrier
	buffer_gl0_inv
	ds_read_b64 v[0:1], v108 offset:280
	s_cmp_lt_i32 s7, 37
	s_cbranch_scc1 .LBB94_593
; %bb.591:
	v_add3_u32 v103, v109, 0, 0x120
	v_mov_b32_e32 v102, 35
	s_mov_b32 s0, 36
.LBB94_592:                             ; =>This Inner Loop Header: Depth=1
	ds_read_b64 v[112:113], v103
	v_add_nc_u32_e32 v103, 8, v103
	s_waitcnt lgkmcnt(0)
	v_cmp_lt_f64_e64 vcc_lo, |v[0:1]|, |v[112:113]|
	v_cndmask_b32_e32 v1, v1, v113, vcc_lo
	v_cndmask_b32_e32 v0, v0, v112, vcc_lo
	v_cndmask_b32_e64 v102, v102, s0, vcc_lo
	s_add_i32 s0, s0, 1
	s_cmp_lg_u32 s7, s0
	s_cbranch_scc1 .LBB94_592
.LBB94_593:
	s_mov_b32 s0, exec_lo
	s_waitcnt lgkmcnt(0)
	v_cmpx_eq_f64_e32 0, v[0:1]
	s_xor_b32 s0, exec_lo, s0
; %bb.594:
	v_cmp_ne_u32_e32 vcc_lo, 0, v105
	v_cndmask_b32_e32 v105, 36, v105, vcc_lo
; %bb.595:
	s_andn2_saveexec_b32 s0, s0
	s_cbranch_execz .LBB94_597
; %bb.596:
	v_div_scale_f64 v[103:104], null, v[0:1], v[0:1], 1.0
	v_rcp_f64_e32 v[112:113], v[103:104]
	v_fma_f64 v[114:115], -v[103:104], v[112:113], 1.0
	v_fma_f64 v[112:113], v[112:113], v[114:115], v[112:113]
	v_fma_f64 v[114:115], -v[103:104], v[112:113], 1.0
	v_fma_f64 v[112:113], v[112:113], v[114:115], v[112:113]
	v_div_scale_f64 v[114:115], vcc_lo, 1.0, v[0:1], 1.0
	v_mul_f64 v[116:117], v[114:115], v[112:113]
	v_fma_f64 v[103:104], -v[103:104], v[116:117], v[114:115]
	v_div_fmas_f64 v[103:104], v[103:104], v[112:113], v[116:117]
	v_div_fixup_f64 v[0:1], v[103:104], v[0:1], 1.0
.LBB94_597:
	s_or_b32 exec_lo, exec_lo, s0
	s_mov_b32 s0, exec_lo
	v_cmpx_ne_u32_e64 v111, v102
	s_xor_b32 s0, exec_lo, s0
	s_cbranch_execz .LBB94_603
; %bb.598:
	s_mov_b32 s1, exec_lo
	v_cmpx_eq_u32_e32 35, v111
	s_cbranch_execz .LBB94_602
; %bb.599:
	v_cmp_ne_u32_e32 vcc_lo, 35, v102
	s_xor_b32 s2, s6, -1
	s_and_b32 s3, s2, vcc_lo
	s_and_saveexec_b32 s2, s3
	s_cbranch_execz .LBB94_601
; %bb.600:
	v_ashrrev_i32_e32 v103, 31, v102
	v_lshlrev_b64 v[103:104], 2, v[102:103]
	v_add_co_u32 v103, vcc_lo, v4, v103
	v_add_co_ci_u32_e64 v104, null, v5, v104, vcc_lo
	s_clause 0x1
	global_load_dword v110, v[103:104], off
	global_load_dword v111, v[4:5], off offset:140
	s_waitcnt vmcnt(1)
	global_store_dword v[4:5], v110, off offset:140
	s_waitcnt vmcnt(0)
	global_store_dword v[103:104], v111, off
.LBB94_601:
	s_or_b32 exec_lo, exec_lo, s2
	v_mov_b32_e32 v110, v102
	v_mov_b32_e32 v111, v102
.LBB94_602:
	s_or_b32 exec_lo, exec_lo, s1
.LBB94_603:
	s_andn2_saveexec_b32 s0, s0
	s_cbranch_execz .LBB94_605
; %bb.604:
	v_mov_b32_e32 v102, v26
	v_mov_b32_e32 v103, v27
	v_mov_b32_e32 v111, v24
	v_mov_b32_e32 v112, v25
	v_mov_b32_e32 v113, v22
	v_mov_b32_e32 v114, v23
	v_mov_b32_e32 v115, v18
	v_mov_b32_e32 v116, v19
	ds_write2_b64 v108, v[102:103], v[111:112] offset0:36 offset1:37
	ds_write2_b64 v108, v[113:114], v[115:116] offset0:38 offset1:39
	v_mov_b32_e32 v102, v20
	v_mov_b32_e32 v103, v21
	;; [unrolled: 1-line block ×15, first 2 shown]
	ds_write2_b64 v108, v[102:103], v[112:113] offset0:40 offset1:41
	ds_write2_b64 v108, v[114:115], v[116:117] offset0:42 offset1:43
	;; [unrolled: 1-line block ×4, first 2 shown]
.LBB94_605:
	s_or_b32 exec_lo, exec_lo, s0
	s_mov_b32 s0, exec_lo
	s_waitcnt lgkmcnt(0)
	s_waitcnt_vscnt null, 0x0
	s_barrier
	buffer_gl0_inv
	v_cmpx_lt_i32_e32 35, v111
	s_cbranch_execz .LBB94_607
; %bb.606:
	v_mul_f64 v[28:29], v[0:1], v[28:29]
	ds_read2_b64 v[112:115], v108 offset0:36 offset1:37
	ds_read2_b64 v[116:119], v108 offset0:38 offset1:39
	;; [unrolled: 1-line block ×6, first 2 shown]
	s_waitcnt lgkmcnt(5)
	v_fma_f64 v[26:27], -v[28:29], v[112:113], v[26:27]
	v_fma_f64 v[24:25], -v[28:29], v[114:115], v[24:25]
	s_waitcnt lgkmcnt(4)
	v_fma_f64 v[22:23], -v[28:29], v[116:117], v[22:23]
	v_fma_f64 v[18:19], -v[28:29], v[118:119], v[18:19]
	;; [unrolled: 3-line block ×6, first 2 shown]
.LBB94_607:
	s_or_b32 exec_lo, exec_lo, s0
	v_lshl_add_u32 v0, v111, 3, v108
	s_barrier
	buffer_gl0_inv
	v_mov_b32_e32 v102, 36
	ds_write_b64 v0, v[26:27]
	s_waitcnt lgkmcnt(0)
	s_barrier
	buffer_gl0_inv
	ds_read_b64 v[0:1], v108 offset:288
	s_cmp_lt_i32 s7, 38
	s_cbranch_scc1 .LBB94_610
; %bb.608:
	v_add3_u32 v103, v109, 0, 0x128
	v_mov_b32_e32 v102, 36
	s_mov_b32 s0, 37
.LBB94_609:                             ; =>This Inner Loop Header: Depth=1
	ds_read_b64 v[112:113], v103
	v_add_nc_u32_e32 v103, 8, v103
	s_waitcnt lgkmcnt(0)
	v_cmp_lt_f64_e64 vcc_lo, |v[0:1]|, |v[112:113]|
	v_cndmask_b32_e32 v1, v1, v113, vcc_lo
	v_cndmask_b32_e32 v0, v0, v112, vcc_lo
	v_cndmask_b32_e64 v102, v102, s0, vcc_lo
	s_add_i32 s0, s0, 1
	s_cmp_lg_u32 s7, s0
	s_cbranch_scc1 .LBB94_609
.LBB94_610:
	s_mov_b32 s0, exec_lo
	s_waitcnt lgkmcnt(0)
	v_cmpx_eq_f64_e32 0, v[0:1]
	s_xor_b32 s0, exec_lo, s0
; %bb.611:
	v_cmp_ne_u32_e32 vcc_lo, 0, v105
	v_cndmask_b32_e32 v105, 37, v105, vcc_lo
; %bb.612:
	s_andn2_saveexec_b32 s0, s0
	s_cbranch_execz .LBB94_614
; %bb.613:
	v_div_scale_f64 v[103:104], null, v[0:1], v[0:1], 1.0
	v_rcp_f64_e32 v[112:113], v[103:104]
	v_fma_f64 v[114:115], -v[103:104], v[112:113], 1.0
	v_fma_f64 v[112:113], v[112:113], v[114:115], v[112:113]
	v_fma_f64 v[114:115], -v[103:104], v[112:113], 1.0
	v_fma_f64 v[112:113], v[112:113], v[114:115], v[112:113]
	v_div_scale_f64 v[114:115], vcc_lo, 1.0, v[0:1], 1.0
	v_mul_f64 v[116:117], v[114:115], v[112:113]
	v_fma_f64 v[103:104], -v[103:104], v[116:117], v[114:115]
	v_div_fmas_f64 v[103:104], v[103:104], v[112:113], v[116:117]
	v_div_fixup_f64 v[0:1], v[103:104], v[0:1], 1.0
.LBB94_614:
	s_or_b32 exec_lo, exec_lo, s0
	s_mov_b32 s0, exec_lo
	v_cmpx_ne_u32_e64 v111, v102
	s_xor_b32 s0, exec_lo, s0
	s_cbranch_execz .LBB94_620
; %bb.615:
	s_mov_b32 s1, exec_lo
	v_cmpx_eq_u32_e32 36, v111
	s_cbranch_execz .LBB94_619
; %bb.616:
	v_cmp_ne_u32_e32 vcc_lo, 36, v102
	s_xor_b32 s2, s6, -1
	s_and_b32 s3, s2, vcc_lo
	s_and_saveexec_b32 s2, s3
	s_cbranch_execz .LBB94_618
; %bb.617:
	v_ashrrev_i32_e32 v103, 31, v102
	v_lshlrev_b64 v[103:104], 2, v[102:103]
	v_add_co_u32 v103, vcc_lo, v4, v103
	v_add_co_ci_u32_e64 v104, null, v5, v104, vcc_lo
	s_clause 0x1
	global_load_dword v110, v[103:104], off
	global_load_dword v111, v[4:5], off offset:144
	s_waitcnt vmcnt(1)
	global_store_dword v[4:5], v110, off offset:144
	s_waitcnt vmcnt(0)
	global_store_dword v[103:104], v111, off
.LBB94_618:
	s_or_b32 exec_lo, exec_lo, s2
	v_mov_b32_e32 v110, v102
	v_mov_b32_e32 v111, v102
.LBB94_619:
	s_or_b32 exec_lo, exec_lo, s1
.LBB94_620:
	s_andn2_saveexec_b32 s0, s0
	s_cbranch_execz .LBB94_622
; %bb.621:
	v_mov_b32_e32 v111, 36
	ds_write2_b64 v108, v[24:25], v[22:23] offset0:37 offset1:38
	ds_write2_b64 v108, v[18:19], v[20:21] offset0:39 offset1:40
	;; [unrolled: 1-line block ×5, first 2 shown]
	ds_write_b64 v108, v[100:101] offset:376
.LBB94_622:
	s_or_b32 exec_lo, exec_lo, s0
	s_mov_b32 s0, exec_lo
	s_waitcnt lgkmcnt(0)
	s_waitcnt_vscnt null, 0x0
	s_barrier
	buffer_gl0_inv
	v_cmpx_lt_i32_e32 36, v111
	s_cbranch_execz .LBB94_624
; %bb.623:
	v_mul_f64 v[26:27], v[0:1], v[26:27]
	ds_read2_b64 v[112:115], v108 offset0:37 offset1:38
	ds_read2_b64 v[116:119], v108 offset0:39 offset1:40
	;; [unrolled: 1-line block ×5, first 2 shown]
	ds_read_b64 v[0:1], v108 offset:376
	s_waitcnt lgkmcnt(5)
	v_fma_f64 v[24:25], -v[26:27], v[112:113], v[24:25]
	v_fma_f64 v[22:23], -v[26:27], v[114:115], v[22:23]
	s_waitcnt lgkmcnt(4)
	v_fma_f64 v[18:19], -v[26:27], v[116:117], v[18:19]
	v_fma_f64 v[20:21], -v[26:27], v[118:119], v[20:21]
	;; [unrolled: 3-line block ×5, first 2 shown]
	s_waitcnt lgkmcnt(0)
	v_fma_f64 v[100:101], -v[26:27], v[0:1], v[100:101]
.LBB94_624:
	s_or_b32 exec_lo, exec_lo, s0
	v_lshl_add_u32 v0, v111, 3, v108
	s_barrier
	buffer_gl0_inv
	v_mov_b32_e32 v102, 37
	ds_write_b64 v0, v[24:25]
	s_waitcnt lgkmcnt(0)
	s_barrier
	buffer_gl0_inv
	ds_read_b64 v[0:1], v108 offset:296
	s_cmp_lt_i32 s7, 39
	s_cbranch_scc1 .LBB94_627
; %bb.625:
	v_add3_u32 v103, v109, 0, 0x130
	v_mov_b32_e32 v102, 37
	s_mov_b32 s0, 38
.LBB94_626:                             ; =>This Inner Loop Header: Depth=1
	ds_read_b64 v[112:113], v103
	v_add_nc_u32_e32 v103, 8, v103
	s_waitcnt lgkmcnt(0)
	v_cmp_lt_f64_e64 vcc_lo, |v[0:1]|, |v[112:113]|
	v_cndmask_b32_e32 v1, v1, v113, vcc_lo
	v_cndmask_b32_e32 v0, v0, v112, vcc_lo
	v_cndmask_b32_e64 v102, v102, s0, vcc_lo
	s_add_i32 s0, s0, 1
	s_cmp_lg_u32 s7, s0
	s_cbranch_scc1 .LBB94_626
.LBB94_627:
	s_mov_b32 s0, exec_lo
	s_waitcnt lgkmcnt(0)
	v_cmpx_eq_f64_e32 0, v[0:1]
	s_xor_b32 s0, exec_lo, s0
; %bb.628:
	v_cmp_ne_u32_e32 vcc_lo, 0, v105
	v_cndmask_b32_e32 v105, 38, v105, vcc_lo
; %bb.629:
	s_andn2_saveexec_b32 s0, s0
	s_cbranch_execz .LBB94_631
; %bb.630:
	v_div_scale_f64 v[103:104], null, v[0:1], v[0:1], 1.0
	v_rcp_f64_e32 v[112:113], v[103:104]
	v_fma_f64 v[114:115], -v[103:104], v[112:113], 1.0
	v_fma_f64 v[112:113], v[112:113], v[114:115], v[112:113]
	v_fma_f64 v[114:115], -v[103:104], v[112:113], 1.0
	v_fma_f64 v[112:113], v[112:113], v[114:115], v[112:113]
	v_div_scale_f64 v[114:115], vcc_lo, 1.0, v[0:1], 1.0
	v_mul_f64 v[116:117], v[114:115], v[112:113]
	v_fma_f64 v[103:104], -v[103:104], v[116:117], v[114:115]
	v_div_fmas_f64 v[103:104], v[103:104], v[112:113], v[116:117]
	v_div_fixup_f64 v[0:1], v[103:104], v[0:1], 1.0
.LBB94_631:
	s_or_b32 exec_lo, exec_lo, s0
	s_mov_b32 s0, exec_lo
	v_cmpx_ne_u32_e64 v111, v102
	s_xor_b32 s0, exec_lo, s0
	s_cbranch_execz .LBB94_637
; %bb.632:
	s_mov_b32 s1, exec_lo
	v_cmpx_eq_u32_e32 37, v111
	s_cbranch_execz .LBB94_636
; %bb.633:
	v_cmp_ne_u32_e32 vcc_lo, 37, v102
	s_xor_b32 s2, s6, -1
	s_and_b32 s3, s2, vcc_lo
	s_and_saveexec_b32 s2, s3
	s_cbranch_execz .LBB94_635
; %bb.634:
	v_ashrrev_i32_e32 v103, 31, v102
	v_lshlrev_b64 v[103:104], 2, v[102:103]
	v_add_co_u32 v103, vcc_lo, v4, v103
	v_add_co_ci_u32_e64 v104, null, v5, v104, vcc_lo
	s_clause 0x1
	global_load_dword v110, v[103:104], off
	global_load_dword v111, v[4:5], off offset:148
	s_waitcnt vmcnt(1)
	global_store_dword v[4:5], v110, off offset:148
	s_waitcnt vmcnt(0)
	global_store_dword v[103:104], v111, off
.LBB94_635:
	s_or_b32 exec_lo, exec_lo, s2
	v_mov_b32_e32 v110, v102
	v_mov_b32_e32 v111, v102
.LBB94_636:
	s_or_b32 exec_lo, exec_lo, s1
.LBB94_637:
	s_andn2_saveexec_b32 s0, s0
	s_cbranch_execz .LBB94_639
; %bb.638:
	v_mov_b32_e32 v102, v22
	v_mov_b32_e32 v103, v23
	;; [unrolled: 1-line block ×8, first 2 shown]
	ds_write2_b64 v108, v[102:103], v[111:112] offset0:38 offset1:39
	v_mov_b32_e32 v102, v16
	v_mov_b32_e32 v103, v17
	;; [unrolled: 1-line block ×11, first 2 shown]
	ds_write2_b64 v108, v[113:114], v[102:103] offset0:40 offset1:41
	ds_write2_b64 v108, v[115:116], v[117:118] offset0:42 offset1:43
	ds_write2_b64 v108, v[119:120], v[121:122] offset0:44 offset1:45
	ds_write2_b64 v108, v[123:124], v[100:101] offset0:46 offset1:47
.LBB94_639:
	s_or_b32 exec_lo, exec_lo, s0
	s_mov_b32 s0, exec_lo
	s_waitcnt lgkmcnt(0)
	s_waitcnt_vscnt null, 0x0
	s_barrier
	buffer_gl0_inv
	v_cmpx_lt_i32_e32 37, v111
	s_cbranch_execz .LBB94_641
; %bb.640:
	v_mul_f64 v[24:25], v[0:1], v[24:25]
	ds_read2_b64 v[112:115], v108 offset0:38 offset1:39
	ds_read2_b64 v[116:119], v108 offset0:40 offset1:41
	;; [unrolled: 1-line block ×5, first 2 shown]
	s_waitcnt lgkmcnt(4)
	v_fma_f64 v[22:23], -v[24:25], v[112:113], v[22:23]
	v_fma_f64 v[18:19], -v[24:25], v[114:115], v[18:19]
	s_waitcnt lgkmcnt(3)
	v_fma_f64 v[20:21], -v[24:25], v[116:117], v[20:21]
	v_fma_f64 v[16:17], -v[24:25], v[118:119], v[16:17]
	;; [unrolled: 3-line block ×5, first 2 shown]
.LBB94_641:
	s_or_b32 exec_lo, exec_lo, s0
	v_lshl_add_u32 v0, v111, 3, v108
	s_barrier
	buffer_gl0_inv
	v_mov_b32_e32 v102, 38
	ds_write_b64 v0, v[22:23]
	s_waitcnt lgkmcnt(0)
	s_barrier
	buffer_gl0_inv
	ds_read_b64 v[0:1], v108 offset:304
	s_cmp_lt_i32 s7, 40
	s_cbranch_scc1 .LBB94_644
; %bb.642:
	v_add3_u32 v103, v109, 0, 0x138
	v_mov_b32_e32 v102, 38
	s_mov_b32 s0, 39
.LBB94_643:                             ; =>This Inner Loop Header: Depth=1
	ds_read_b64 v[112:113], v103
	v_add_nc_u32_e32 v103, 8, v103
	s_waitcnt lgkmcnt(0)
	v_cmp_lt_f64_e64 vcc_lo, |v[0:1]|, |v[112:113]|
	v_cndmask_b32_e32 v1, v1, v113, vcc_lo
	v_cndmask_b32_e32 v0, v0, v112, vcc_lo
	v_cndmask_b32_e64 v102, v102, s0, vcc_lo
	s_add_i32 s0, s0, 1
	s_cmp_lg_u32 s7, s0
	s_cbranch_scc1 .LBB94_643
.LBB94_644:
	s_mov_b32 s0, exec_lo
	s_waitcnt lgkmcnt(0)
	v_cmpx_eq_f64_e32 0, v[0:1]
	s_xor_b32 s0, exec_lo, s0
; %bb.645:
	v_cmp_ne_u32_e32 vcc_lo, 0, v105
	v_cndmask_b32_e32 v105, 39, v105, vcc_lo
; %bb.646:
	s_andn2_saveexec_b32 s0, s0
	s_cbranch_execz .LBB94_648
; %bb.647:
	v_div_scale_f64 v[103:104], null, v[0:1], v[0:1], 1.0
	v_rcp_f64_e32 v[112:113], v[103:104]
	v_fma_f64 v[114:115], -v[103:104], v[112:113], 1.0
	v_fma_f64 v[112:113], v[112:113], v[114:115], v[112:113]
	v_fma_f64 v[114:115], -v[103:104], v[112:113], 1.0
	v_fma_f64 v[112:113], v[112:113], v[114:115], v[112:113]
	v_div_scale_f64 v[114:115], vcc_lo, 1.0, v[0:1], 1.0
	v_mul_f64 v[116:117], v[114:115], v[112:113]
	v_fma_f64 v[103:104], -v[103:104], v[116:117], v[114:115]
	v_div_fmas_f64 v[103:104], v[103:104], v[112:113], v[116:117]
	v_div_fixup_f64 v[0:1], v[103:104], v[0:1], 1.0
.LBB94_648:
	s_or_b32 exec_lo, exec_lo, s0
	s_mov_b32 s0, exec_lo
	v_cmpx_ne_u32_e64 v111, v102
	s_xor_b32 s0, exec_lo, s0
	s_cbranch_execz .LBB94_654
; %bb.649:
	s_mov_b32 s1, exec_lo
	v_cmpx_eq_u32_e32 38, v111
	s_cbranch_execz .LBB94_653
; %bb.650:
	v_cmp_ne_u32_e32 vcc_lo, 38, v102
	s_xor_b32 s2, s6, -1
	s_and_b32 s3, s2, vcc_lo
	s_and_saveexec_b32 s2, s3
	s_cbranch_execz .LBB94_652
; %bb.651:
	v_ashrrev_i32_e32 v103, 31, v102
	v_lshlrev_b64 v[103:104], 2, v[102:103]
	v_add_co_u32 v103, vcc_lo, v4, v103
	v_add_co_ci_u32_e64 v104, null, v5, v104, vcc_lo
	s_clause 0x1
	global_load_dword v110, v[103:104], off
	global_load_dword v111, v[4:5], off offset:152
	s_waitcnt vmcnt(1)
	global_store_dword v[4:5], v110, off offset:152
	s_waitcnt vmcnt(0)
	global_store_dword v[103:104], v111, off
.LBB94_652:
	s_or_b32 exec_lo, exec_lo, s2
	v_mov_b32_e32 v110, v102
	v_mov_b32_e32 v111, v102
.LBB94_653:
	s_or_b32 exec_lo, exec_lo, s1
.LBB94_654:
	s_andn2_saveexec_b32 s0, s0
	s_cbranch_execz .LBB94_656
; %bb.655:
	v_mov_b32_e32 v111, 38
	ds_write2_b64 v108, v[18:19], v[20:21] offset0:39 offset1:40
	ds_write2_b64 v108, v[16:17], v[14:15] offset0:41 offset1:42
	;; [unrolled: 1-line block ×4, first 2 shown]
	ds_write_b64 v108, v[100:101] offset:376
.LBB94_656:
	s_or_b32 exec_lo, exec_lo, s0
	s_mov_b32 s0, exec_lo
	s_waitcnt lgkmcnt(0)
	s_waitcnt_vscnt null, 0x0
	s_barrier
	buffer_gl0_inv
	v_cmpx_lt_i32_e32 38, v111
	s_cbranch_execz .LBB94_658
; %bb.657:
	v_mul_f64 v[22:23], v[0:1], v[22:23]
	ds_read2_b64 v[112:115], v108 offset0:39 offset1:40
	ds_read2_b64 v[116:119], v108 offset0:41 offset1:42
	;; [unrolled: 1-line block ×4, first 2 shown]
	ds_read_b64 v[0:1], v108 offset:376
	s_waitcnt lgkmcnt(4)
	v_fma_f64 v[18:19], -v[22:23], v[112:113], v[18:19]
	v_fma_f64 v[20:21], -v[22:23], v[114:115], v[20:21]
	s_waitcnt lgkmcnt(3)
	v_fma_f64 v[16:17], -v[22:23], v[116:117], v[16:17]
	v_fma_f64 v[14:15], -v[22:23], v[118:119], v[14:15]
	;; [unrolled: 3-line block ×4, first 2 shown]
	s_waitcnt lgkmcnt(0)
	v_fma_f64 v[100:101], -v[22:23], v[0:1], v[100:101]
.LBB94_658:
	s_or_b32 exec_lo, exec_lo, s0
	v_lshl_add_u32 v0, v111, 3, v108
	s_barrier
	buffer_gl0_inv
	v_mov_b32_e32 v102, 39
	ds_write_b64 v0, v[18:19]
	s_waitcnt lgkmcnt(0)
	s_barrier
	buffer_gl0_inv
	ds_read_b64 v[0:1], v108 offset:312
	s_cmp_lt_i32 s7, 41
	s_cbranch_scc1 .LBB94_661
; %bb.659:
	v_add3_u32 v103, v109, 0, 0x140
	v_mov_b32_e32 v102, 39
	s_mov_b32 s0, 40
.LBB94_660:                             ; =>This Inner Loop Header: Depth=1
	ds_read_b64 v[112:113], v103
	v_add_nc_u32_e32 v103, 8, v103
	s_waitcnt lgkmcnt(0)
	v_cmp_lt_f64_e64 vcc_lo, |v[0:1]|, |v[112:113]|
	v_cndmask_b32_e32 v1, v1, v113, vcc_lo
	v_cndmask_b32_e32 v0, v0, v112, vcc_lo
	v_cndmask_b32_e64 v102, v102, s0, vcc_lo
	s_add_i32 s0, s0, 1
	s_cmp_lg_u32 s7, s0
	s_cbranch_scc1 .LBB94_660
.LBB94_661:
	s_mov_b32 s0, exec_lo
	s_waitcnt lgkmcnt(0)
	v_cmpx_eq_f64_e32 0, v[0:1]
	s_xor_b32 s0, exec_lo, s0
; %bb.662:
	v_cmp_ne_u32_e32 vcc_lo, 0, v105
	v_cndmask_b32_e32 v105, 40, v105, vcc_lo
; %bb.663:
	s_andn2_saveexec_b32 s0, s0
	s_cbranch_execz .LBB94_665
; %bb.664:
	v_div_scale_f64 v[103:104], null, v[0:1], v[0:1], 1.0
	v_rcp_f64_e32 v[112:113], v[103:104]
	v_fma_f64 v[114:115], -v[103:104], v[112:113], 1.0
	v_fma_f64 v[112:113], v[112:113], v[114:115], v[112:113]
	v_fma_f64 v[114:115], -v[103:104], v[112:113], 1.0
	v_fma_f64 v[112:113], v[112:113], v[114:115], v[112:113]
	v_div_scale_f64 v[114:115], vcc_lo, 1.0, v[0:1], 1.0
	v_mul_f64 v[116:117], v[114:115], v[112:113]
	v_fma_f64 v[103:104], -v[103:104], v[116:117], v[114:115]
	v_div_fmas_f64 v[103:104], v[103:104], v[112:113], v[116:117]
	v_div_fixup_f64 v[0:1], v[103:104], v[0:1], 1.0
.LBB94_665:
	s_or_b32 exec_lo, exec_lo, s0
	s_mov_b32 s0, exec_lo
	v_cmpx_ne_u32_e64 v111, v102
	s_xor_b32 s0, exec_lo, s0
	s_cbranch_execz .LBB94_671
; %bb.666:
	s_mov_b32 s1, exec_lo
	v_cmpx_eq_u32_e32 39, v111
	s_cbranch_execz .LBB94_670
; %bb.667:
	v_cmp_ne_u32_e32 vcc_lo, 39, v102
	s_xor_b32 s2, s6, -1
	s_and_b32 s3, s2, vcc_lo
	s_and_saveexec_b32 s2, s3
	s_cbranch_execz .LBB94_669
; %bb.668:
	v_ashrrev_i32_e32 v103, 31, v102
	v_lshlrev_b64 v[103:104], 2, v[102:103]
	v_add_co_u32 v103, vcc_lo, v4, v103
	v_add_co_ci_u32_e64 v104, null, v5, v104, vcc_lo
	s_clause 0x1
	global_load_dword v110, v[103:104], off
	global_load_dword v111, v[4:5], off offset:156
	s_waitcnt vmcnt(1)
	global_store_dword v[4:5], v110, off offset:156
	s_waitcnt vmcnt(0)
	global_store_dword v[103:104], v111, off
.LBB94_669:
	s_or_b32 exec_lo, exec_lo, s2
	v_mov_b32_e32 v110, v102
	v_mov_b32_e32 v111, v102
.LBB94_670:
	s_or_b32 exec_lo, exec_lo, s1
.LBB94_671:
	s_andn2_saveexec_b32 s0, s0
	s_cbranch_execz .LBB94_673
; %bb.672:
	v_mov_b32_e32 v102, v20
	v_mov_b32_e32 v103, v21
	;; [unrolled: 1-line block ×15, first 2 shown]
	ds_write2_b64 v108, v[102:103], v[112:113] offset0:40 offset1:41
	ds_write2_b64 v108, v[114:115], v[116:117] offset0:42 offset1:43
	;; [unrolled: 1-line block ×4, first 2 shown]
.LBB94_673:
	s_or_b32 exec_lo, exec_lo, s0
	s_mov_b32 s0, exec_lo
	s_waitcnt lgkmcnt(0)
	s_waitcnt_vscnt null, 0x0
	s_barrier
	buffer_gl0_inv
	v_cmpx_lt_i32_e32 39, v111
	s_cbranch_execz .LBB94_675
; %bb.674:
	v_mul_f64 v[18:19], v[0:1], v[18:19]
	ds_read2_b64 v[112:115], v108 offset0:40 offset1:41
	ds_read2_b64 v[116:119], v108 offset0:42 offset1:43
	;; [unrolled: 1-line block ×4, first 2 shown]
	s_waitcnt lgkmcnt(3)
	v_fma_f64 v[20:21], -v[18:19], v[112:113], v[20:21]
	v_fma_f64 v[16:17], -v[18:19], v[114:115], v[16:17]
	s_waitcnt lgkmcnt(2)
	v_fma_f64 v[14:15], -v[18:19], v[116:117], v[14:15]
	v_fma_f64 v[8:9], -v[18:19], v[118:119], v[8:9]
	;; [unrolled: 3-line block ×4, first 2 shown]
.LBB94_675:
	s_or_b32 exec_lo, exec_lo, s0
	v_lshl_add_u32 v0, v111, 3, v108
	s_barrier
	buffer_gl0_inv
	v_mov_b32_e32 v102, 40
	ds_write_b64 v0, v[20:21]
	s_waitcnt lgkmcnt(0)
	s_barrier
	buffer_gl0_inv
	ds_read_b64 v[0:1], v108 offset:320
	s_cmp_lt_i32 s7, 42
	s_cbranch_scc1 .LBB94_678
; %bb.676:
	v_add3_u32 v103, v109, 0, 0x148
	v_mov_b32_e32 v102, 40
	s_mov_b32 s0, 41
.LBB94_677:                             ; =>This Inner Loop Header: Depth=1
	ds_read_b64 v[112:113], v103
	v_add_nc_u32_e32 v103, 8, v103
	s_waitcnt lgkmcnt(0)
	v_cmp_lt_f64_e64 vcc_lo, |v[0:1]|, |v[112:113]|
	v_cndmask_b32_e32 v1, v1, v113, vcc_lo
	v_cndmask_b32_e32 v0, v0, v112, vcc_lo
	v_cndmask_b32_e64 v102, v102, s0, vcc_lo
	s_add_i32 s0, s0, 1
	s_cmp_lg_u32 s7, s0
	s_cbranch_scc1 .LBB94_677
.LBB94_678:
	s_mov_b32 s0, exec_lo
	s_waitcnt lgkmcnt(0)
	v_cmpx_eq_f64_e32 0, v[0:1]
	s_xor_b32 s0, exec_lo, s0
; %bb.679:
	v_cmp_ne_u32_e32 vcc_lo, 0, v105
	v_cndmask_b32_e32 v105, 41, v105, vcc_lo
; %bb.680:
	s_andn2_saveexec_b32 s0, s0
	s_cbranch_execz .LBB94_682
; %bb.681:
	v_div_scale_f64 v[103:104], null, v[0:1], v[0:1], 1.0
	v_rcp_f64_e32 v[112:113], v[103:104]
	v_fma_f64 v[114:115], -v[103:104], v[112:113], 1.0
	v_fma_f64 v[112:113], v[112:113], v[114:115], v[112:113]
	v_fma_f64 v[114:115], -v[103:104], v[112:113], 1.0
	v_fma_f64 v[112:113], v[112:113], v[114:115], v[112:113]
	v_div_scale_f64 v[114:115], vcc_lo, 1.0, v[0:1], 1.0
	v_mul_f64 v[116:117], v[114:115], v[112:113]
	v_fma_f64 v[103:104], -v[103:104], v[116:117], v[114:115]
	v_div_fmas_f64 v[103:104], v[103:104], v[112:113], v[116:117]
	v_div_fixup_f64 v[0:1], v[103:104], v[0:1], 1.0
.LBB94_682:
	s_or_b32 exec_lo, exec_lo, s0
	s_mov_b32 s0, exec_lo
	v_cmpx_ne_u32_e64 v111, v102
	s_xor_b32 s0, exec_lo, s0
	s_cbranch_execz .LBB94_688
; %bb.683:
	s_mov_b32 s1, exec_lo
	v_cmpx_eq_u32_e32 40, v111
	s_cbranch_execz .LBB94_687
; %bb.684:
	v_cmp_ne_u32_e32 vcc_lo, 40, v102
	s_xor_b32 s2, s6, -1
	s_and_b32 s3, s2, vcc_lo
	s_and_saveexec_b32 s2, s3
	s_cbranch_execz .LBB94_686
; %bb.685:
	v_ashrrev_i32_e32 v103, 31, v102
	v_lshlrev_b64 v[103:104], 2, v[102:103]
	v_add_co_u32 v103, vcc_lo, v4, v103
	v_add_co_ci_u32_e64 v104, null, v5, v104, vcc_lo
	s_clause 0x1
	global_load_dword v110, v[103:104], off
	global_load_dword v111, v[4:5], off offset:160
	s_waitcnt vmcnt(1)
	global_store_dword v[4:5], v110, off offset:160
	s_waitcnt vmcnt(0)
	global_store_dword v[103:104], v111, off
.LBB94_686:
	s_or_b32 exec_lo, exec_lo, s2
	v_mov_b32_e32 v110, v102
	v_mov_b32_e32 v111, v102
.LBB94_687:
	s_or_b32 exec_lo, exec_lo, s1
.LBB94_688:
	s_andn2_saveexec_b32 s0, s0
	s_cbranch_execz .LBB94_690
; %bb.689:
	v_mov_b32_e32 v111, 40
	ds_write2_b64 v108, v[16:17], v[14:15] offset0:41 offset1:42
	ds_write2_b64 v108, v[8:9], v[12:13] offset0:43 offset1:44
	;; [unrolled: 1-line block ×3, first 2 shown]
	ds_write_b64 v108, v[100:101] offset:376
.LBB94_690:
	s_or_b32 exec_lo, exec_lo, s0
	s_mov_b32 s0, exec_lo
	s_waitcnt lgkmcnt(0)
	s_waitcnt_vscnt null, 0x0
	s_barrier
	buffer_gl0_inv
	v_cmpx_lt_i32_e32 40, v111
	s_cbranch_execz .LBB94_692
; %bb.691:
	v_mul_f64 v[20:21], v[0:1], v[20:21]
	ds_read2_b64 v[112:115], v108 offset0:41 offset1:42
	ds_read2_b64 v[116:119], v108 offset0:43 offset1:44
	;; [unrolled: 1-line block ×3, first 2 shown]
	ds_read_b64 v[0:1], v108 offset:376
	s_waitcnt lgkmcnt(3)
	v_fma_f64 v[16:17], -v[20:21], v[112:113], v[16:17]
	v_fma_f64 v[14:15], -v[20:21], v[114:115], v[14:15]
	s_waitcnt lgkmcnt(2)
	v_fma_f64 v[8:9], -v[20:21], v[116:117], v[8:9]
	v_fma_f64 v[12:13], -v[20:21], v[118:119], v[12:13]
	;; [unrolled: 3-line block ×3, first 2 shown]
	s_waitcnt lgkmcnt(0)
	v_fma_f64 v[100:101], -v[20:21], v[0:1], v[100:101]
.LBB94_692:
	s_or_b32 exec_lo, exec_lo, s0
	v_lshl_add_u32 v0, v111, 3, v108
	s_barrier
	buffer_gl0_inv
	v_mov_b32_e32 v102, 41
	ds_write_b64 v0, v[16:17]
	s_waitcnt lgkmcnt(0)
	s_barrier
	buffer_gl0_inv
	ds_read_b64 v[0:1], v108 offset:328
	s_cmp_lt_i32 s7, 43
	s_cbranch_scc1 .LBB94_695
; %bb.693:
	v_add3_u32 v103, v109, 0, 0x150
	v_mov_b32_e32 v102, 41
	s_mov_b32 s0, 42
.LBB94_694:                             ; =>This Inner Loop Header: Depth=1
	ds_read_b64 v[112:113], v103
	v_add_nc_u32_e32 v103, 8, v103
	s_waitcnt lgkmcnt(0)
	v_cmp_lt_f64_e64 vcc_lo, |v[0:1]|, |v[112:113]|
	v_cndmask_b32_e32 v1, v1, v113, vcc_lo
	v_cndmask_b32_e32 v0, v0, v112, vcc_lo
	v_cndmask_b32_e64 v102, v102, s0, vcc_lo
	s_add_i32 s0, s0, 1
	s_cmp_lg_u32 s7, s0
	s_cbranch_scc1 .LBB94_694
.LBB94_695:
	s_mov_b32 s0, exec_lo
	s_waitcnt lgkmcnt(0)
	v_cmpx_eq_f64_e32 0, v[0:1]
	s_xor_b32 s0, exec_lo, s0
; %bb.696:
	v_cmp_ne_u32_e32 vcc_lo, 0, v105
	v_cndmask_b32_e32 v105, 42, v105, vcc_lo
; %bb.697:
	s_andn2_saveexec_b32 s0, s0
	s_cbranch_execz .LBB94_699
; %bb.698:
	v_div_scale_f64 v[103:104], null, v[0:1], v[0:1], 1.0
	v_rcp_f64_e32 v[112:113], v[103:104]
	v_fma_f64 v[114:115], -v[103:104], v[112:113], 1.0
	v_fma_f64 v[112:113], v[112:113], v[114:115], v[112:113]
	v_fma_f64 v[114:115], -v[103:104], v[112:113], 1.0
	v_fma_f64 v[112:113], v[112:113], v[114:115], v[112:113]
	v_div_scale_f64 v[114:115], vcc_lo, 1.0, v[0:1], 1.0
	v_mul_f64 v[116:117], v[114:115], v[112:113]
	v_fma_f64 v[103:104], -v[103:104], v[116:117], v[114:115]
	v_div_fmas_f64 v[103:104], v[103:104], v[112:113], v[116:117]
	v_div_fixup_f64 v[0:1], v[103:104], v[0:1], 1.0
.LBB94_699:
	s_or_b32 exec_lo, exec_lo, s0
	s_mov_b32 s0, exec_lo
	v_cmpx_ne_u32_e64 v111, v102
	s_xor_b32 s0, exec_lo, s0
	s_cbranch_execz .LBB94_705
; %bb.700:
	s_mov_b32 s1, exec_lo
	v_cmpx_eq_u32_e32 41, v111
	s_cbranch_execz .LBB94_704
; %bb.701:
	v_cmp_ne_u32_e32 vcc_lo, 41, v102
	s_xor_b32 s2, s6, -1
	s_and_b32 s3, s2, vcc_lo
	s_and_saveexec_b32 s2, s3
	s_cbranch_execz .LBB94_703
; %bb.702:
	v_ashrrev_i32_e32 v103, 31, v102
	v_lshlrev_b64 v[103:104], 2, v[102:103]
	v_add_co_u32 v103, vcc_lo, v4, v103
	v_add_co_ci_u32_e64 v104, null, v5, v104, vcc_lo
	s_clause 0x1
	global_load_dword v110, v[103:104], off
	global_load_dword v111, v[4:5], off offset:164
	s_waitcnt vmcnt(1)
	global_store_dword v[4:5], v110, off offset:164
	s_waitcnt vmcnt(0)
	global_store_dword v[103:104], v111, off
.LBB94_703:
	s_or_b32 exec_lo, exec_lo, s2
	v_mov_b32_e32 v110, v102
	v_mov_b32_e32 v111, v102
.LBB94_704:
	s_or_b32 exec_lo, exec_lo, s1
.LBB94_705:
	s_andn2_saveexec_b32 s0, s0
	s_cbranch_execz .LBB94_707
; %bb.706:
	v_mov_b32_e32 v102, v14
	v_mov_b32_e32 v103, v15
	;; [unrolled: 1-line block ×11, first 2 shown]
	ds_write2_b64 v108, v[102:103], v[112:113] offset0:42 offset1:43
	ds_write2_b64 v108, v[114:115], v[116:117] offset0:44 offset1:45
	;; [unrolled: 1-line block ×3, first 2 shown]
.LBB94_707:
	s_or_b32 exec_lo, exec_lo, s0
	s_mov_b32 s0, exec_lo
	s_waitcnt lgkmcnt(0)
	s_waitcnt_vscnt null, 0x0
	s_barrier
	buffer_gl0_inv
	v_cmpx_lt_i32_e32 41, v111
	s_cbranch_execz .LBB94_709
; %bb.708:
	v_mul_f64 v[16:17], v[0:1], v[16:17]
	ds_read2_b64 v[112:115], v108 offset0:42 offset1:43
	ds_read2_b64 v[116:119], v108 offset0:44 offset1:45
	;; [unrolled: 1-line block ×3, first 2 shown]
	s_waitcnt lgkmcnt(2)
	v_fma_f64 v[14:15], -v[16:17], v[112:113], v[14:15]
	v_fma_f64 v[8:9], -v[16:17], v[114:115], v[8:9]
	s_waitcnt lgkmcnt(1)
	v_fma_f64 v[12:13], -v[16:17], v[116:117], v[12:13]
	v_fma_f64 v[6:7], -v[16:17], v[118:119], v[6:7]
	;; [unrolled: 3-line block ×3, first 2 shown]
.LBB94_709:
	s_or_b32 exec_lo, exec_lo, s0
	v_lshl_add_u32 v0, v111, 3, v108
	s_barrier
	buffer_gl0_inv
	v_mov_b32_e32 v102, 42
	ds_write_b64 v0, v[14:15]
	s_waitcnt lgkmcnt(0)
	s_barrier
	buffer_gl0_inv
	ds_read_b64 v[0:1], v108 offset:336
	s_cmp_lt_i32 s7, 44
	s_cbranch_scc1 .LBB94_712
; %bb.710:
	v_add3_u32 v103, v109, 0, 0x158
	v_mov_b32_e32 v102, 42
	s_mov_b32 s0, 43
.LBB94_711:                             ; =>This Inner Loop Header: Depth=1
	ds_read_b64 v[112:113], v103
	v_add_nc_u32_e32 v103, 8, v103
	s_waitcnt lgkmcnt(0)
	v_cmp_lt_f64_e64 vcc_lo, |v[0:1]|, |v[112:113]|
	v_cndmask_b32_e32 v1, v1, v113, vcc_lo
	v_cndmask_b32_e32 v0, v0, v112, vcc_lo
	v_cndmask_b32_e64 v102, v102, s0, vcc_lo
	s_add_i32 s0, s0, 1
	s_cmp_lg_u32 s7, s0
	s_cbranch_scc1 .LBB94_711
.LBB94_712:
	s_mov_b32 s0, exec_lo
	s_waitcnt lgkmcnt(0)
	v_cmpx_eq_f64_e32 0, v[0:1]
	s_xor_b32 s0, exec_lo, s0
; %bb.713:
	v_cmp_ne_u32_e32 vcc_lo, 0, v105
	v_cndmask_b32_e32 v105, 43, v105, vcc_lo
; %bb.714:
	s_andn2_saveexec_b32 s0, s0
	s_cbranch_execz .LBB94_716
; %bb.715:
	v_div_scale_f64 v[103:104], null, v[0:1], v[0:1], 1.0
	v_rcp_f64_e32 v[112:113], v[103:104]
	v_fma_f64 v[114:115], -v[103:104], v[112:113], 1.0
	v_fma_f64 v[112:113], v[112:113], v[114:115], v[112:113]
	v_fma_f64 v[114:115], -v[103:104], v[112:113], 1.0
	v_fma_f64 v[112:113], v[112:113], v[114:115], v[112:113]
	v_div_scale_f64 v[114:115], vcc_lo, 1.0, v[0:1], 1.0
	v_mul_f64 v[116:117], v[114:115], v[112:113]
	v_fma_f64 v[103:104], -v[103:104], v[116:117], v[114:115]
	v_div_fmas_f64 v[103:104], v[103:104], v[112:113], v[116:117]
	v_div_fixup_f64 v[0:1], v[103:104], v[0:1], 1.0
.LBB94_716:
	s_or_b32 exec_lo, exec_lo, s0
	s_mov_b32 s0, exec_lo
	v_cmpx_ne_u32_e64 v111, v102
	s_xor_b32 s0, exec_lo, s0
	s_cbranch_execz .LBB94_722
; %bb.717:
	s_mov_b32 s1, exec_lo
	v_cmpx_eq_u32_e32 42, v111
	s_cbranch_execz .LBB94_721
; %bb.718:
	v_cmp_ne_u32_e32 vcc_lo, 42, v102
	s_xor_b32 s2, s6, -1
	s_and_b32 s3, s2, vcc_lo
	s_and_saveexec_b32 s2, s3
	s_cbranch_execz .LBB94_720
; %bb.719:
	v_ashrrev_i32_e32 v103, 31, v102
	v_lshlrev_b64 v[103:104], 2, v[102:103]
	v_add_co_u32 v103, vcc_lo, v4, v103
	v_add_co_ci_u32_e64 v104, null, v5, v104, vcc_lo
	s_clause 0x1
	global_load_dword v110, v[103:104], off
	global_load_dword v111, v[4:5], off offset:168
	s_waitcnt vmcnt(1)
	global_store_dword v[4:5], v110, off offset:168
	s_waitcnt vmcnt(0)
	global_store_dword v[103:104], v111, off
.LBB94_720:
	s_or_b32 exec_lo, exec_lo, s2
	v_mov_b32_e32 v110, v102
	v_mov_b32_e32 v111, v102
.LBB94_721:
	s_or_b32 exec_lo, exec_lo, s1
.LBB94_722:
	s_andn2_saveexec_b32 s0, s0
	s_cbranch_execz .LBB94_724
; %bb.723:
	v_mov_b32_e32 v111, 42
	ds_write2_b64 v108, v[8:9], v[12:13] offset0:43 offset1:44
	ds_write2_b64 v108, v[6:7], v[10:11] offset0:45 offset1:46
	ds_write_b64 v108, v[100:101] offset:376
.LBB94_724:
	s_or_b32 exec_lo, exec_lo, s0
	s_mov_b32 s0, exec_lo
	s_waitcnt lgkmcnt(0)
	s_waitcnt_vscnt null, 0x0
	s_barrier
	buffer_gl0_inv
	v_cmpx_lt_i32_e32 42, v111
	s_cbranch_execz .LBB94_726
; %bb.725:
	v_mul_f64 v[14:15], v[0:1], v[14:15]
	ds_read2_b64 v[112:115], v108 offset0:43 offset1:44
	ds_read2_b64 v[116:119], v108 offset0:45 offset1:46
	ds_read_b64 v[0:1], v108 offset:376
	s_waitcnt lgkmcnt(2)
	v_fma_f64 v[8:9], -v[14:15], v[112:113], v[8:9]
	v_fma_f64 v[12:13], -v[14:15], v[114:115], v[12:13]
	s_waitcnt lgkmcnt(1)
	v_fma_f64 v[6:7], -v[14:15], v[116:117], v[6:7]
	v_fma_f64 v[10:11], -v[14:15], v[118:119], v[10:11]
	s_waitcnt lgkmcnt(0)
	v_fma_f64 v[100:101], -v[14:15], v[0:1], v[100:101]
.LBB94_726:
	s_or_b32 exec_lo, exec_lo, s0
	v_lshl_add_u32 v0, v111, 3, v108
	s_barrier
	buffer_gl0_inv
	v_mov_b32_e32 v102, 43
	ds_write_b64 v0, v[8:9]
	s_waitcnt lgkmcnt(0)
	s_barrier
	buffer_gl0_inv
	ds_read_b64 v[0:1], v108 offset:344
	s_cmp_lt_i32 s7, 45
	s_cbranch_scc1 .LBB94_729
; %bb.727:
	v_add3_u32 v103, v109, 0, 0x160
	v_mov_b32_e32 v102, 43
	s_mov_b32 s0, 44
.LBB94_728:                             ; =>This Inner Loop Header: Depth=1
	ds_read_b64 v[112:113], v103
	v_add_nc_u32_e32 v103, 8, v103
	s_waitcnt lgkmcnt(0)
	v_cmp_lt_f64_e64 vcc_lo, |v[0:1]|, |v[112:113]|
	v_cndmask_b32_e32 v1, v1, v113, vcc_lo
	v_cndmask_b32_e32 v0, v0, v112, vcc_lo
	v_cndmask_b32_e64 v102, v102, s0, vcc_lo
	s_add_i32 s0, s0, 1
	s_cmp_lg_u32 s7, s0
	s_cbranch_scc1 .LBB94_728
.LBB94_729:
	s_mov_b32 s0, exec_lo
	s_waitcnt lgkmcnt(0)
	v_cmpx_eq_f64_e32 0, v[0:1]
	s_xor_b32 s0, exec_lo, s0
; %bb.730:
	v_cmp_ne_u32_e32 vcc_lo, 0, v105
	v_cndmask_b32_e32 v105, 44, v105, vcc_lo
; %bb.731:
	s_andn2_saveexec_b32 s0, s0
	s_cbranch_execz .LBB94_733
; %bb.732:
	v_div_scale_f64 v[103:104], null, v[0:1], v[0:1], 1.0
	v_rcp_f64_e32 v[112:113], v[103:104]
	v_fma_f64 v[114:115], -v[103:104], v[112:113], 1.0
	v_fma_f64 v[112:113], v[112:113], v[114:115], v[112:113]
	v_fma_f64 v[114:115], -v[103:104], v[112:113], 1.0
	v_fma_f64 v[112:113], v[112:113], v[114:115], v[112:113]
	v_div_scale_f64 v[114:115], vcc_lo, 1.0, v[0:1], 1.0
	v_mul_f64 v[116:117], v[114:115], v[112:113]
	v_fma_f64 v[103:104], -v[103:104], v[116:117], v[114:115]
	v_div_fmas_f64 v[103:104], v[103:104], v[112:113], v[116:117]
	v_div_fixup_f64 v[0:1], v[103:104], v[0:1], 1.0
.LBB94_733:
	s_or_b32 exec_lo, exec_lo, s0
	s_mov_b32 s0, exec_lo
	v_cmpx_ne_u32_e64 v111, v102
	s_xor_b32 s0, exec_lo, s0
	s_cbranch_execz .LBB94_739
; %bb.734:
	s_mov_b32 s1, exec_lo
	v_cmpx_eq_u32_e32 43, v111
	s_cbranch_execz .LBB94_738
; %bb.735:
	v_cmp_ne_u32_e32 vcc_lo, 43, v102
	s_xor_b32 s2, s6, -1
	s_and_b32 s3, s2, vcc_lo
	s_and_saveexec_b32 s2, s3
	s_cbranch_execz .LBB94_737
; %bb.736:
	v_ashrrev_i32_e32 v103, 31, v102
	v_lshlrev_b64 v[103:104], 2, v[102:103]
	v_add_co_u32 v103, vcc_lo, v4, v103
	v_add_co_ci_u32_e64 v104, null, v5, v104, vcc_lo
	s_clause 0x1
	global_load_dword v110, v[103:104], off
	global_load_dword v111, v[4:5], off offset:172
	s_waitcnt vmcnt(1)
	global_store_dword v[4:5], v110, off offset:172
	s_waitcnt vmcnt(0)
	global_store_dword v[103:104], v111, off
.LBB94_737:
	s_or_b32 exec_lo, exec_lo, s2
	v_mov_b32_e32 v110, v102
	v_mov_b32_e32 v111, v102
.LBB94_738:
	s_or_b32 exec_lo, exec_lo, s1
.LBB94_739:
	s_andn2_saveexec_b32 s0, s0
	s_cbranch_execz .LBB94_741
; %bb.740:
	v_mov_b32_e32 v102, v12
	v_mov_b32_e32 v103, v13
	;; [unrolled: 1-line block ×7, first 2 shown]
	ds_write2_b64 v108, v[102:103], v[112:113] offset0:44 offset1:45
	ds_write2_b64 v108, v[114:115], v[100:101] offset0:46 offset1:47
.LBB94_741:
	s_or_b32 exec_lo, exec_lo, s0
	s_mov_b32 s0, exec_lo
	s_waitcnt lgkmcnt(0)
	s_waitcnt_vscnt null, 0x0
	s_barrier
	buffer_gl0_inv
	v_cmpx_lt_i32_e32 43, v111
	s_cbranch_execz .LBB94_743
; %bb.742:
	v_mul_f64 v[8:9], v[0:1], v[8:9]
	ds_read2_b64 v[112:115], v108 offset0:44 offset1:45
	ds_read2_b64 v[116:119], v108 offset0:46 offset1:47
	s_waitcnt lgkmcnt(1)
	v_fma_f64 v[12:13], -v[8:9], v[112:113], v[12:13]
	v_fma_f64 v[6:7], -v[8:9], v[114:115], v[6:7]
	s_waitcnt lgkmcnt(0)
	v_fma_f64 v[10:11], -v[8:9], v[116:117], v[10:11]
	v_fma_f64 v[100:101], -v[8:9], v[118:119], v[100:101]
.LBB94_743:
	s_or_b32 exec_lo, exec_lo, s0
	v_lshl_add_u32 v0, v111, 3, v108
	s_barrier
	buffer_gl0_inv
	v_mov_b32_e32 v102, 44
	ds_write_b64 v0, v[12:13]
	s_waitcnt lgkmcnt(0)
	s_barrier
	buffer_gl0_inv
	ds_read_b64 v[0:1], v108 offset:352
	s_cmp_lt_i32 s7, 46
	s_cbranch_scc1 .LBB94_746
; %bb.744:
	v_add3_u32 v103, v109, 0, 0x168
	v_mov_b32_e32 v102, 44
	s_mov_b32 s0, 45
.LBB94_745:                             ; =>This Inner Loop Header: Depth=1
	ds_read_b64 v[112:113], v103
	v_add_nc_u32_e32 v103, 8, v103
	s_waitcnt lgkmcnt(0)
	v_cmp_lt_f64_e64 vcc_lo, |v[0:1]|, |v[112:113]|
	v_cndmask_b32_e32 v1, v1, v113, vcc_lo
	v_cndmask_b32_e32 v0, v0, v112, vcc_lo
	v_cndmask_b32_e64 v102, v102, s0, vcc_lo
	s_add_i32 s0, s0, 1
	s_cmp_lg_u32 s7, s0
	s_cbranch_scc1 .LBB94_745
.LBB94_746:
	s_mov_b32 s0, exec_lo
	s_waitcnt lgkmcnt(0)
	v_cmpx_eq_f64_e32 0, v[0:1]
	s_xor_b32 s0, exec_lo, s0
; %bb.747:
	v_cmp_ne_u32_e32 vcc_lo, 0, v105
	v_cndmask_b32_e32 v105, 45, v105, vcc_lo
; %bb.748:
	s_andn2_saveexec_b32 s0, s0
	s_cbranch_execz .LBB94_750
; %bb.749:
	v_div_scale_f64 v[103:104], null, v[0:1], v[0:1], 1.0
	v_rcp_f64_e32 v[112:113], v[103:104]
	v_fma_f64 v[114:115], -v[103:104], v[112:113], 1.0
	v_fma_f64 v[112:113], v[112:113], v[114:115], v[112:113]
	v_fma_f64 v[114:115], -v[103:104], v[112:113], 1.0
	v_fma_f64 v[112:113], v[112:113], v[114:115], v[112:113]
	v_div_scale_f64 v[114:115], vcc_lo, 1.0, v[0:1], 1.0
	v_mul_f64 v[116:117], v[114:115], v[112:113]
	v_fma_f64 v[103:104], -v[103:104], v[116:117], v[114:115]
	v_div_fmas_f64 v[103:104], v[103:104], v[112:113], v[116:117]
	v_div_fixup_f64 v[0:1], v[103:104], v[0:1], 1.0
.LBB94_750:
	s_or_b32 exec_lo, exec_lo, s0
	s_mov_b32 s0, exec_lo
	v_cmpx_ne_u32_e64 v111, v102
	s_xor_b32 s0, exec_lo, s0
	s_cbranch_execz .LBB94_756
; %bb.751:
	s_mov_b32 s1, exec_lo
	v_cmpx_eq_u32_e32 44, v111
	s_cbranch_execz .LBB94_755
; %bb.752:
	v_cmp_ne_u32_e32 vcc_lo, 44, v102
	s_xor_b32 s2, s6, -1
	s_and_b32 s3, s2, vcc_lo
	s_and_saveexec_b32 s2, s3
	s_cbranch_execz .LBB94_754
; %bb.753:
	v_ashrrev_i32_e32 v103, 31, v102
	v_lshlrev_b64 v[103:104], 2, v[102:103]
	v_add_co_u32 v103, vcc_lo, v4, v103
	v_add_co_ci_u32_e64 v104, null, v5, v104, vcc_lo
	s_clause 0x1
	global_load_dword v110, v[103:104], off
	global_load_dword v111, v[4:5], off offset:176
	s_waitcnt vmcnt(1)
	global_store_dword v[4:5], v110, off offset:176
	s_waitcnt vmcnt(0)
	global_store_dword v[103:104], v111, off
.LBB94_754:
	s_or_b32 exec_lo, exec_lo, s2
	v_mov_b32_e32 v110, v102
	v_mov_b32_e32 v111, v102
.LBB94_755:
	s_or_b32 exec_lo, exec_lo, s1
.LBB94_756:
	s_andn2_saveexec_b32 s0, s0
	s_cbranch_execz .LBB94_758
; %bb.757:
	v_mov_b32_e32 v111, 44
	ds_write2_b64 v108, v[6:7], v[10:11] offset0:45 offset1:46
	ds_write_b64 v108, v[100:101] offset:376
.LBB94_758:
	s_or_b32 exec_lo, exec_lo, s0
	s_mov_b32 s0, exec_lo
	s_waitcnt lgkmcnt(0)
	s_waitcnt_vscnt null, 0x0
	s_barrier
	buffer_gl0_inv
	v_cmpx_lt_i32_e32 44, v111
	s_cbranch_execz .LBB94_760
; %bb.759:
	v_mul_f64 v[12:13], v[0:1], v[12:13]
	ds_read2_b64 v[112:115], v108 offset0:45 offset1:46
	ds_read_b64 v[0:1], v108 offset:376
	s_waitcnt lgkmcnt(1)
	v_fma_f64 v[6:7], -v[12:13], v[112:113], v[6:7]
	v_fma_f64 v[10:11], -v[12:13], v[114:115], v[10:11]
	s_waitcnt lgkmcnt(0)
	v_fma_f64 v[100:101], -v[12:13], v[0:1], v[100:101]
.LBB94_760:
	s_or_b32 exec_lo, exec_lo, s0
	v_lshl_add_u32 v0, v111, 3, v108
	s_barrier
	buffer_gl0_inv
	v_mov_b32_e32 v102, 45
	ds_write_b64 v0, v[6:7]
	s_waitcnt lgkmcnt(0)
	s_barrier
	buffer_gl0_inv
	ds_read_b64 v[0:1], v108 offset:360
	s_cmp_lt_i32 s7, 47
	s_cbranch_scc1 .LBB94_763
; %bb.761:
	v_add3_u32 v103, v109, 0, 0x170
	v_mov_b32_e32 v102, 45
	s_mov_b32 s0, 46
.LBB94_762:                             ; =>This Inner Loop Header: Depth=1
	ds_read_b64 v[112:113], v103
	v_add_nc_u32_e32 v103, 8, v103
	s_waitcnt lgkmcnt(0)
	v_cmp_lt_f64_e64 vcc_lo, |v[0:1]|, |v[112:113]|
	v_cndmask_b32_e32 v1, v1, v113, vcc_lo
	v_cndmask_b32_e32 v0, v0, v112, vcc_lo
	v_cndmask_b32_e64 v102, v102, s0, vcc_lo
	s_add_i32 s0, s0, 1
	s_cmp_lg_u32 s7, s0
	s_cbranch_scc1 .LBB94_762
.LBB94_763:
	s_mov_b32 s0, exec_lo
	s_waitcnt lgkmcnt(0)
	v_cmpx_eq_f64_e32 0, v[0:1]
	s_xor_b32 s0, exec_lo, s0
; %bb.764:
	v_cmp_ne_u32_e32 vcc_lo, 0, v105
	v_cndmask_b32_e32 v105, 46, v105, vcc_lo
; %bb.765:
	s_andn2_saveexec_b32 s0, s0
	s_cbranch_execz .LBB94_767
; %bb.766:
	v_div_scale_f64 v[103:104], null, v[0:1], v[0:1], 1.0
	v_rcp_f64_e32 v[112:113], v[103:104]
	v_fma_f64 v[114:115], -v[103:104], v[112:113], 1.0
	v_fma_f64 v[112:113], v[112:113], v[114:115], v[112:113]
	v_fma_f64 v[114:115], -v[103:104], v[112:113], 1.0
	v_fma_f64 v[112:113], v[112:113], v[114:115], v[112:113]
	v_div_scale_f64 v[114:115], vcc_lo, 1.0, v[0:1], 1.0
	v_mul_f64 v[116:117], v[114:115], v[112:113]
	v_fma_f64 v[103:104], -v[103:104], v[116:117], v[114:115]
	v_div_fmas_f64 v[103:104], v[103:104], v[112:113], v[116:117]
	v_div_fixup_f64 v[0:1], v[103:104], v[0:1], 1.0
.LBB94_767:
	s_or_b32 exec_lo, exec_lo, s0
	s_mov_b32 s0, exec_lo
	v_cmpx_ne_u32_e64 v111, v102
	s_xor_b32 s0, exec_lo, s0
	s_cbranch_execz .LBB94_773
; %bb.768:
	s_mov_b32 s1, exec_lo
	v_cmpx_eq_u32_e32 45, v111
	s_cbranch_execz .LBB94_772
; %bb.769:
	v_cmp_ne_u32_e32 vcc_lo, 45, v102
	s_xor_b32 s2, s6, -1
	s_and_b32 s3, s2, vcc_lo
	s_and_saveexec_b32 s2, s3
	s_cbranch_execz .LBB94_771
; %bb.770:
	v_ashrrev_i32_e32 v103, 31, v102
	v_lshlrev_b64 v[103:104], 2, v[102:103]
	v_add_co_u32 v103, vcc_lo, v4, v103
	v_add_co_ci_u32_e64 v104, null, v5, v104, vcc_lo
	s_clause 0x1
	global_load_dword v110, v[103:104], off
	global_load_dword v111, v[4:5], off offset:180
	s_waitcnt vmcnt(1)
	global_store_dword v[4:5], v110, off offset:180
	s_waitcnt vmcnt(0)
	global_store_dword v[103:104], v111, off
.LBB94_771:
	s_or_b32 exec_lo, exec_lo, s2
	v_mov_b32_e32 v110, v102
	v_mov_b32_e32 v111, v102
.LBB94_772:
	s_or_b32 exec_lo, exec_lo, s1
.LBB94_773:
	s_andn2_saveexec_b32 s0, s0
	s_cbranch_execz .LBB94_775
; %bb.774:
	v_mov_b32_e32 v102, v10
	v_mov_b32_e32 v103, v11
	;; [unrolled: 1-line block ×3, first 2 shown]
	ds_write2_b64 v108, v[102:103], v[100:101] offset0:46 offset1:47
.LBB94_775:
	s_or_b32 exec_lo, exec_lo, s0
	s_mov_b32 s0, exec_lo
	s_waitcnt lgkmcnt(0)
	s_waitcnt_vscnt null, 0x0
	s_barrier
	buffer_gl0_inv
	v_cmpx_lt_i32_e32 45, v111
	s_cbranch_execz .LBB94_777
; %bb.776:
	v_mul_f64 v[6:7], v[0:1], v[6:7]
	ds_read2_b64 v[112:115], v108 offset0:46 offset1:47
	s_waitcnt lgkmcnt(0)
	v_fma_f64 v[10:11], -v[6:7], v[112:113], v[10:11]
	v_fma_f64 v[100:101], -v[6:7], v[114:115], v[100:101]
.LBB94_777:
	s_or_b32 exec_lo, exec_lo, s0
	v_lshl_add_u32 v0, v111, 3, v108
	s_barrier
	buffer_gl0_inv
	v_mov_b32_e32 v102, 46
	ds_write_b64 v0, v[10:11]
	s_waitcnt lgkmcnt(0)
	s_barrier
	buffer_gl0_inv
	ds_read_b64 v[0:1], v108 offset:368
	s_cmp_lt_i32 s7, 48
	s_cbranch_scc1 .LBB94_780
; %bb.778:
	v_add3_u32 v103, v109, 0, 0x178
	v_mov_b32_e32 v102, 46
	s_mov_b32 s0, 47
.LBB94_779:                             ; =>This Inner Loop Header: Depth=1
	ds_read_b64 v[112:113], v103
	v_add_nc_u32_e32 v103, 8, v103
	s_waitcnt lgkmcnt(0)
	v_cmp_lt_f64_e64 vcc_lo, |v[0:1]|, |v[112:113]|
	v_cndmask_b32_e32 v1, v1, v113, vcc_lo
	v_cndmask_b32_e32 v0, v0, v112, vcc_lo
	v_cndmask_b32_e64 v102, v102, s0, vcc_lo
	s_add_i32 s0, s0, 1
	s_cmp_lg_u32 s7, s0
	s_cbranch_scc1 .LBB94_779
.LBB94_780:
	s_mov_b32 s0, exec_lo
	s_waitcnt lgkmcnt(0)
	v_cmpx_eq_f64_e32 0, v[0:1]
	s_xor_b32 s0, exec_lo, s0
; %bb.781:
	v_cmp_ne_u32_e32 vcc_lo, 0, v105
	v_cndmask_b32_e32 v105, 47, v105, vcc_lo
; %bb.782:
	s_andn2_saveexec_b32 s0, s0
	s_cbranch_execz .LBB94_784
; %bb.783:
	v_div_scale_f64 v[103:104], null, v[0:1], v[0:1], 1.0
	v_rcp_f64_e32 v[112:113], v[103:104]
	v_fma_f64 v[114:115], -v[103:104], v[112:113], 1.0
	v_fma_f64 v[112:113], v[112:113], v[114:115], v[112:113]
	v_fma_f64 v[114:115], -v[103:104], v[112:113], 1.0
	v_fma_f64 v[112:113], v[112:113], v[114:115], v[112:113]
	v_div_scale_f64 v[114:115], vcc_lo, 1.0, v[0:1], 1.0
	v_mul_f64 v[116:117], v[114:115], v[112:113]
	v_fma_f64 v[103:104], -v[103:104], v[116:117], v[114:115]
	v_div_fmas_f64 v[103:104], v[103:104], v[112:113], v[116:117]
	v_div_fixup_f64 v[0:1], v[103:104], v[0:1], 1.0
.LBB94_784:
	s_or_b32 exec_lo, exec_lo, s0
	s_mov_b32 s0, exec_lo
	v_cmpx_ne_u32_e64 v111, v102
	s_xor_b32 s0, exec_lo, s0
	s_cbranch_execz .LBB94_790
; %bb.785:
	s_mov_b32 s1, exec_lo
	v_cmpx_eq_u32_e32 46, v111
	s_cbranch_execz .LBB94_789
; %bb.786:
	v_cmp_ne_u32_e32 vcc_lo, 46, v102
	s_xor_b32 s2, s6, -1
	s_and_b32 s3, s2, vcc_lo
	s_and_saveexec_b32 s2, s3
	s_cbranch_execz .LBB94_788
; %bb.787:
	v_ashrrev_i32_e32 v103, 31, v102
	v_lshlrev_b64 v[103:104], 2, v[102:103]
	v_add_co_u32 v103, vcc_lo, v4, v103
	v_add_co_ci_u32_e64 v104, null, v5, v104, vcc_lo
	s_clause 0x1
	global_load_dword v110, v[103:104], off
	global_load_dword v111, v[4:5], off offset:184
	s_waitcnt vmcnt(1)
	global_store_dword v[4:5], v110, off offset:184
	s_waitcnt vmcnt(0)
	global_store_dword v[103:104], v111, off
.LBB94_788:
	s_or_b32 exec_lo, exec_lo, s2
	v_mov_b32_e32 v110, v102
	v_mov_b32_e32 v111, v102
.LBB94_789:
	s_or_b32 exec_lo, exec_lo, s1
.LBB94_790:
	s_andn2_saveexec_b32 s0, s0
; %bb.791:
	v_mov_b32_e32 v111, 46
	ds_write_b64 v108, v[100:101] offset:376
; %bb.792:
	s_or_b32 exec_lo, exec_lo, s0
	s_mov_b32 s0, exec_lo
	s_waitcnt lgkmcnt(0)
	s_waitcnt_vscnt null, 0x0
	s_barrier
	buffer_gl0_inv
	v_cmpx_lt_i32_e32 46, v111
	s_cbranch_execz .LBB94_794
; %bb.793:
	v_mul_f64 v[10:11], v[0:1], v[10:11]
	ds_read_b64 v[0:1], v108 offset:376
	s_waitcnt lgkmcnt(0)
	v_fma_f64 v[100:101], -v[10:11], v[0:1], v[100:101]
.LBB94_794:
	s_or_b32 exec_lo, exec_lo, s0
	v_lshl_add_u32 v0, v111, 3, v108
	s_barrier
	buffer_gl0_inv
	v_mov_b32_e32 v102, 47
	ds_write_b64 v0, v[100:101]
	s_waitcnt lgkmcnt(0)
	s_barrier
	buffer_gl0_inv
	ds_read_b64 v[0:1], v108 offset:376
	s_cmp_lt_i32 s7, 49
	s_cbranch_scc1 .LBB94_797
; %bb.795:
	v_add3_u32 v103, v109, 0, 0x180
	v_mov_b32_e32 v102, 47
	s_mov_b32 s0, 48
.LBB94_796:                             ; =>This Inner Loop Header: Depth=1
	ds_read_b64 v[108:109], v103
	v_add_nc_u32_e32 v103, 8, v103
	s_waitcnt lgkmcnt(0)
	v_cmp_lt_f64_e64 vcc_lo, |v[0:1]|, |v[108:109]|
	v_cndmask_b32_e32 v1, v1, v109, vcc_lo
	v_cndmask_b32_e32 v0, v0, v108, vcc_lo
	v_cndmask_b32_e64 v102, v102, s0, vcc_lo
	s_add_i32 s0, s0, 1
	s_cmp_lg_u32 s7, s0
	s_cbranch_scc1 .LBB94_796
.LBB94_797:
	s_mov_b32 s0, exec_lo
	s_waitcnt lgkmcnt(0)
	v_cmpx_eq_f64_e32 0, v[0:1]
	s_xor_b32 s0, exec_lo, s0
; %bb.798:
	v_cmp_ne_u32_e32 vcc_lo, 0, v105
	v_cndmask_b32_e32 v105, 48, v105, vcc_lo
; %bb.799:
	s_andn2_saveexec_b32 s0, s0
	s_cbranch_execz .LBB94_801
; %bb.800:
	v_div_scale_f64 v[103:104], null, v[0:1], v[0:1], 1.0
	v_rcp_f64_e32 v[108:109], v[103:104]
	v_fma_f64 v[112:113], -v[103:104], v[108:109], 1.0
	v_fma_f64 v[108:109], v[108:109], v[112:113], v[108:109]
	v_fma_f64 v[112:113], -v[103:104], v[108:109], 1.0
	v_fma_f64 v[108:109], v[108:109], v[112:113], v[108:109]
	v_div_scale_f64 v[112:113], vcc_lo, 1.0, v[0:1], 1.0
	v_mul_f64 v[114:115], v[112:113], v[108:109]
	v_fma_f64 v[103:104], -v[103:104], v[114:115], v[112:113]
	v_div_fmas_f64 v[103:104], v[103:104], v[108:109], v[114:115]
	v_div_fixup_f64 v[0:1], v[103:104], v[0:1], 1.0
.LBB94_801:
	s_or_b32 exec_lo, exec_lo, s0
	v_mov_b32_e32 v103, 47
	s_mov_b32 s0, exec_lo
	v_cmpx_ne_u32_e64 v111, v102
	s_cbranch_execz .LBB94_807
; %bb.802:
	s_mov_b32 s1, exec_lo
	v_cmpx_eq_u32_e32 47, v111
	s_cbranch_execz .LBB94_806
; %bb.803:
	v_cmp_ne_u32_e32 vcc_lo, 47, v102
	s_xor_b32 s2, s6, -1
	s_and_b32 s3, s2, vcc_lo
	s_and_saveexec_b32 s2, s3
	s_cbranch_execz .LBB94_805
; %bb.804:
	v_ashrrev_i32_e32 v103, 31, v102
	v_lshlrev_b64 v[103:104], 2, v[102:103]
	v_add_co_u32 v103, vcc_lo, v4, v103
	v_add_co_ci_u32_e64 v104, null, v5, v104, vcc_lo
	s_clause 0x1
	global_load_dword v108, v[103:104], off
	global_load_dword v109, v[4:5], off offset:188
	s_waitcnt vmcnt(1)
	global_store_dword v[4:5], v108, off offset:188
	s_waitcnt vmcnt(0)
	global_store_dword v[103:104], v109, off
.LBB94_805:
	s_or_b32 exec_lo, exec_lo, s2
	v_mov_b32_e32 v110, v102
	v_mov_b32_e32 v111, v102
.LBB94_806:
	s_or_b32 exec_lo, exec_lo, s1
	v_mov_b32_e32 v103, v111
.LBB94_807:
	s_or_b32 exec_lo, exec_lo, s0
	s_load_dwordx8 s[0:7], s[4:5], 0x28
	v_ashrrev_i32_e32 v104, 31, v103
	s_mov_b32 s9, exec_lo
	s_waitcnt lgkmcnt(0)
	s_waitcnt_vscnt null, 0x0
	s_barrier
	buffer_gl0_inv
	s_barrier
	buffer_gl0_inv
	v_cmpx_gt_i32_e32 48, v103
	s_cbranch_execz .LBB94_809
; %bb.808:
	v_mul_lo_u32 v102, s5, v2
	v_mul_lo_u32 v108, s4, v3
	v_mad_u64_u32 v[4:5], null, s4, v2, 0
	s_lshl_b64 s[2:3], s[2:3], 2
	v_add3_u32 v5, v5, v108, v102
	v_lshlrev_b64 v[4:5], 2, v[4:5]
	v_add_co_u32 v102, vcc_lo, s0, v4
	v_add_co_ci_u32_e64 v108, null, s1, v5, vcc_lo
	v_lshlrev_b64 v[4:5], 2, v[103:104]
	v_add_co_u32 v102, vcc_lo, v102, s2
	v_add_co_ci_u32_e64 v108, null, s3, v108, vcc_lo
	v_add_co_u32 v4, vcc_lo, v102, v4
	v_add_co_ci_u32_e64 v5, null, v108, v5, vcc_lo
	v_add3_u32 v102, v110, s13, 1
	global_store_dword v[4:5], v102, off
.LBB94_809:
	s_or_b32 exec_lo, exec_lo, s9
	s_mov_b32 s1, exec_lo
	v_cmpx_eq_u32_e32 0, v103
	s_cbranch_execz .LBB94_812
; %bb.810:
	v_lshlrev_b64 v[2:3], 2, v[2:3]
	v_cmp_ne_u32_e64 s0, 0, v105
	v_add_co_u32 v2, vcc_lo, s6, v2
	v_add_co_ci_u32_e64 v3, null, s7, v3, vcc_lo
	global_load_dword v4, v[2:3], off
	s_waitcnt vmcnt(0)
	v_cmp_eq_u32_e32 vcc_lo, 0, v4
	s_and_b32 s0, vcc_lo, s0
	s_and_b32 exec_lo, exec_lo, s0
	s_cbranch_execz .LBB94_812
; %bb.811:
	v_add_nc_u32_e32 v4, s13, v105
	global_store_dword v[2:3], v4, off
.LBB94_812:
	s_or_b32 exec_lo, exec_lo, s1
	v_mul_f64 v[0:1], v[0:1], v[100:101]
	v_add3_u32 v2, s8, s8, v103
	v_lshlrev_b64 v[4:5], 3, v[103:104]
	v_add_nc_u32_e32 v102, s8, v2
	v_ashrrev_i32_e32 v3, 31, v2
	v_add_co_u32 v4, vcc_lo, v106, v4
	v_add_co_ci_u32_e64 v5, null, v107, v5, vcc_lo
	v_add_nc_u32_e32 v104, s8, v102
	v_lshlrev_b64 v[2:3], 3, v[2:3]
	v_cmp_lt_i32_e32 vcc_lo, 47, v103
	flat_store_dwordx2 v[4:5], v[98:99]
	v_ashrrev_i32_e32 v103, 31, v102
	v_add_nc_u32_e32 v98, s8, v104
	v_add_co_u32 v4, s0, v4, s10
	v_add_co_ci_u32_e64 v5, null, s11, v5, s0
	v_cndmask_b32_e32 v1, v101, v1, vcc_lo
	v_cndmask_b32_e32 v0, v100, v0, vcc_lo
	v_add_co_u32 v2, vcc_lo, v106, v2
	v_ashrrev_i32_e32 v105, 31, v104
	v_add_co_ci_u32_e64 v3, null, v107, v3, vcc_lo
	v_ashrrev_i32_e32 v99, 31, v98
	v_lshlrev_b64 v[100:101], 3, v[102:103]
	flat_store_dwordx2 v[4:5], v[94:95]
	flat_store_dwordx2 v[2:3], v[96:97]
	v_lshlrev_b64 v[2:3], 3, v[104:105]
	v_add_nc_u32_e32 v96, s8, v98
	v_lshlrev_b64 v[94:95], 3, v[98:99]
	v_add_co_u32 v4, vcc_lo, v106, v100
	v_add_co_ci_u32_e64 v5, null, v107, v101, vcc_lo
	v_add_co_u32 v2, vcc_lo, v106, v2
	v_add_co_ci_u32_e64 v3, null, v107, v3, vcc_lo
	v_add_co_u32 v94, vcc_lo, v106, v94
	v_add_nc_u32_e32 v98, s8, v96
	v_add_co_ci_u32_e64 v95, null, v107, v95, vcc_lo
	v_ashrrev_i32_e32 v97, 31, v96
	flat_store_dwordx2 v[4:5], v[92:93]
	flat_store_dwordx2 v[2:3], v[90:91]
	flat_store_dwordx2 v[94:95], v[88:89]
	v_add_nc_u32_e32 v88, s8, v98
	v_ashrrev_i32_e32 v99, 31, v98
	v_lshlrev_b64 v[4:5], 3, v[96:97]
	v_add_nc_u32_e32 v90, s8, v88
	v_lshlrev_b64 v[2:3], 3, v[98:99]
	v_ashrrev_i32_e32 v89, 31, v88
	v_add_co_u32 v4, vcc_lo, v106, v4
	v_add_nc_u32_e32 v92, s8, v90
	v_add_co_ci_u32_e64 v5, null, v107, v5, vcc_lo
	v_add_co_u32 v2, vcc_lo, v106, v2
	v_ashrrev_i32_e32 v91, 31, v90
	v_add_co_ci_u32_e64 v3, null, v107, v3, vcc_lo
	v_ashrrev_i32_e32 v93, 31, v92
	v_lshlrev_b64 v[88:89], 3, v[88:89]
	flat_store_dwordx2 v[4:5], v[86:87]
	flat_store_dwordx2 v[2:3], v[84:85]
	v_lshlrev_b64 v[2:3], 3, v[90:91]
	v_add_nc_u32_e32 v86, s8, v92
	v_lshlrev_b64 v[84:85], 3, v[92:93]
	v_add_co_u32 v4, vcc_lo, v106, v88
	v_add_co_ci_u32_e64 v5, null, v107, v89, vcc_lo
	v_add_co_u32 v2, vcc_lo, v106, v2
	v_add_co_ci_u32_e64 v3, null, v107, v3, vcc_lo
	v_add_co_u32 v84, vcc_lo, v106, v84
	v_add_nc_u32_e32 v88, s8, v86
	v_add_co_ci_u32_e64 v85, null, v107, v85, vcc_lo
	v_ashrrev_i32_e32 v87, 31, v86
	flat_store_dwordx2 v[4:5], v[82:83]
	flat_store_dwordx2 v[2:3], v[78:79]
	flat_store_dwordx2 v[84:85], v[80:81]
	v_add_nc_u32_e32 v78, s8, v88
	v_ashrrev_i32_e32 v89, 31, v88
	v_lshlrev_b64 v[4:5], 3, v[86:87]
	v_add_nc_u32_e32 v80, s8, v78
	v_lshlrev_b64 v[2:3], 3, v[88:89]
	v_ashrrev_i32_e32 v79, 31, v78
	v_add_co_u32 v4, vcc_lo, v106, v4
	v_add_nc_u32_e32 v82, s8, v80
	v_add_co_ci_u32_e64 v5, null, v107, v5, vcc_lo
	;; [unrolled: 30-line block ×7, first 2 shown]
	v_add_co_u32 v2, vcc_lo, v106, v2
	v_ashrrev_i32_e32 v31, 31, v30
	v_add_co_ci_u32_e64 v3, null, v107, v3, vcc_lo
	v_ashrrev_i32_e32 v33, 31, v32
	v_lshlrev_b64 v[28:29], 3, v[28:29]
	flat_store_dwordx2 v[4:5], v[26:27]
	flat_store_dwordx2 v[2:3], v[24:25]
	v_lshlrev_b64 v[2:3], 3, v[30:31]
	v_add_nc_u32_e32 v26, s8, v32
	v_lshlrev_b64 v[24:25], 3, v[32:33]
	v_add_co_u32 v4, vcc_lo, v106, v28
	v_add_co_ci_u32_e64 v5, null, v107, v29, vcc_lo
	v_add_co_u32 v2, vcc_lo, v106, v2
	v_add_nc_u32_e32 v28, s8, v26
	v_add_co_ci_u32_e64 v3, null, v107, v3, vcc_lo
	v_add_co_u32 v24, vcc_lo, v106, v24
	v_ashrrev_i32_e32 v27, 31, v26
	v_add_co_ci_u32_e64 v25, null, v107, v25, vcc_lo
	v_ashrrev_i32_e32 v29, 31, v28
	flat_store_dwordx2 v[4:5], v[22:23]
	v_lshlrev_b64 v[4:5], 3, v[26:27]
	flat_store_dwordx2 v[2:3], v[18:19]
	flat_store_dwordx2 v[24:25], v[20:21]
	v_add_nc_u32_e32 v18, s8, v28
	v_lshlrev_b64 v[2:3], 3, v[28:29]
	v_add_co_u32 v4, vcc_lo, v106, v4
	v_add_nc_u32_e32 v20, s8, v18
	v_add_co_ci_u32_e64 v5, null, v107, v5, vcc_lo
	v_add_co_u32 v2, vcc_lo, v106, v2
	v_add_co_ci_u32_e64 v3, null, v107, v3, vcc_lo
	v_add_nc_u32_e32 v22, s8, v20
	v_ashrrev_i32_e32 v19, 31, v18
	flat_store_dwordx2 v[4:5], v[16:17]
	flat_store_dwordx2 v[2:3], v[14:15]
	v_ashrrev_i32_e32 v21, 31, v20
	v_add_nc_u32_e32 v14, s8, v22
	v_lshlrev_b64 v[4:5], 3, v[18:19]
	v_ashrrev_i32_e32 v23, 31, v22
	v_lshlrev_b64 v[2:3], 3, v[20:21]
	v_add_nc_u32_e32 v18, s8, v14
	v_ashrrev_i32_e32 v15, 31, v14
	v_lshlrev_b64 v[16:17], 3, v[22:23]
	v_add_co_u32 v4, vcc_lo, v106, v4
	v_ashrrev_i32_e32 v19, 31, v18
	v_lshlrev_b64 v[14:15], 3, v[14:15]
	v_add_co_ci_u32_e64 v5, null, v107, v5, vcc_lo
	v_add_co_u32 v2, vcc_lo, v106, v2
	v_lshlrev_b64 v[18:19], 3, v[18:19]
	v_add_co_ci_u32_e64 v3, null, v107, v3, vcc_lo
	v_add_co_u32 v16, vcc_lo, v106, v16
	v_add_co_ci_u32_e64 v17, null, v107, v17, vcc_lo
	v_add_co_u32 v14, vcc_lo, v106, v14
	;; [unrolled: 2-line block ×3, first 2 shown]
	v_add_co_ci_u32_e64 v19, null, v107, v19, vcc_lo
	flat_store_dwordx2 v[4:5], v[8:9]
	flat_store_dwordx2 v[2:3], v[12:13]
	;; [unrolled: 1-line block ×5, first 2 shown]
.LBB94_813:
	s_endpgm
	.section	.rodata,"a",@progbits
	.p2align	6, 0x0
	.amdhsa_kernel _ZN9rocsolver6v33100L18getf2_small_kernelILi48EdiiPKPdEEvT1_T3_lS5_lPS5_llPT2_S5_S5_S7_l
		.amdhsa_group_segment_fixed_size 0
		.amdhsa_private_segment_fixed_size 0
		.amdhsa_kernarg_size 352
		.amdhsa_user_sgpr_count 6
		.amdhsa_user_sgpr_private_segment_buffer 1
		.amdhsa_user_sgpr_dispatch_ptr 0
		.amdhsa_user_sgpr_queue_ptr 0
		.amdhsa_user_sgpr_kernarg_segment_ptr 1
		.amdhsa_user_sgpr_dispatch_id 0
		.amdhsa_user_sgpr_flat_scratch_init 0
		.amdhsa_user_sgpr_private_segment_size 0
		.amdhsa_wavefront_size32 1
		.amdhsa_uses_dynamic_stack 0
		.amdhsa_system_sgpr_private_segment_wavefront_offset 0
		.amdhsa_system_sgpr_workgroup_id_x 1
		.amdhsa_system_sgpr_workgroup_id_y 1
		.amdhsa_system_sgpr_workgroup_id_z 0
		.amdhsa_system_sgpr_workgroup_info 0
		.amdhsa_system_vgpr_workitem_id 1
		.amdhsa_next_free_vgpr 200
		.amdhsa_next_free_sgpr 14
		.amdhsa_reserve_vcc 1
		.amdhsa_reserve_flat_scratch 1
		.amdhsa_float_round_mode_32 0
		.amdhsa_float_round_mode_16_64 0
		.amdhsa_float_denorm_mode_32 3
		.amdhsa_float_denorm_mode_16_64 3
		.amdhsa_dx10_clamp 1
		.amdhsa_ieee_mode 1
		.amdhsa_fp16_overflow 0
		.amdhsa_workgroup_processor_mode 1
		.amdhsa_memory_ordered 1
		.amdhsa_forward_progress 1
		.amdhsa_shared_vgpr_count 0
		.amdhsa_exception_fp_ieee_invalid_op 0
		.amdhsa_exception_fp_denorm_src 0
		.amdhsa_exception_fp_ieee_div_zero 0
		.amdhsa_exception_fp_ieee_overflow 0
		.amdhsa_exception_fp_ieee_underflow 0
		.amdhsa_exception_fp_ieee_inexact 0
		.amdhsa_exception_int_div_zero 0
	.end_amdhsa_kernel
	.section	.text._ZN9rocsolver6v33100L18getf2_small_kernelILi48EdiiPKPdEEvT1_T3_lS5_lPS5_llPT2_S5_S5_S7_l,"axG",@progbits,_ZN9rocsolver6v33100L18getf2_small_kernelILi48EdiiPKPdEEvT1_T3_lS5_lPS5_llPT2_S5_S5_S7_l,comdat
.Lfunc_end94:
	.size	_ZN9rocsolver6v33100L18getf2_small_kernelILi48EdiiPKPdEEvT1_T3_lS5_lPS5_llPT2_S5_S5_S7_l, .Lfunc_end94-_ZN9rocsolver6v33100L18getf2_small_kernelILi48EdiiPKPdEEvT1_T3_lS5_lPS5_llPT2_S5_S5_S7_l
                                        ; -- End function
	.set _ZN9rocsolver6v33100L18getf2_small_kernelILi48EdiiPKPdEEvT1_T3_lS5_lPS5_llPT2_S5_S5_S7_l.num_vgpr, 200
	.set _ZN9rocsolver6v33100L18getf2_small_kernelILi48EdiiPKPdEEvT1_T3_lS5_lPS5_llPT2_S5_S5_S7_l.num_agpr, 0
	.set _ZN9rocsolver6v33100L18getf2_small_kernelILi48EdiiPKPdEEvT1_T3_lS5_lPS5_llPT2_S5_S5_S7_l.numbered_sgpr, 14
	.set _ZN9rocsolver6v33100L18getf2_small_kernelILi48EdiiPKPdEEvT1_T3_lS5_lPS5_llPT2_S5_S5_S7_l.num_named_barrier, 0
	.set _ZN9rocsolver6v33100L18getf2_small_kernelILi48EdiiPKPdEEvT1_T3_lS5_lPS5_llPT2_S5_S5_S7_l.private_seg_size, 0
	.set _ZN9rocsolver6v33100L18getf2_small_kernelILi48EdiiPKPdEEvT1_T3_lS5_lPS5_llPT2_S5_S5_S7_l.uses_vcc, 1
	.set _ZN9rocsolver6v33100L18getf2_small_kernelILi48EdiiPKPdEEvT1_T3_lS5_lPS5_llPT2_S5_S5_S7_l.uses_flat_scratch, 1
	.set _ZN9rocsolver6v33100L18getf2_small_kernelILi48EdiiPKPdEEvT1_T3_lS5_lPS5_llPT2_S5_S5_S7_l.has_dyn_sized_stack, 0
	.set _ZN9rocsolver6v33100L18getf2_small_kernelILi48EdiiPKPdEEvT1_T3_lS5_lPS5_llPT2_S5_S5_S7_l.has_recursion, 0
	.set _ZN9rocsolver6v33100L18getf2_small_kernelILi48EdiiPKPdEEvT1_T3_lS5_lPS5_llPT2_S5_S5_S7_l.has_indirect_call, 0
	.section	.AMDGPU.csdata,"",@progbits
; Kernel info:
; codeLenInByte = 50916
; TotalNumSgprs: 16
; NumVgprs: 200
; ScratchSize: 0
; MemoryBound: 0
; FloatMode: 240
; IeeeMode: 1
; LDSByteSize: 0 bytes/workgroup (compile time only)
; SGPRBlocks: 0
; VGPRBlocks: 24
; NumSGPRsForWavesPerEU: 16
; NumVGPRsForWavesPerEU: 200
; Occupancy: 4
; WaveLimiterHint : 1
; COMPUTE_PGM_RSRC2:SCRATCH_EN: 0
; COMPUTE_PGM_RSRC2:USER_SGPR: 6
; COMPUTE_PGM_RSRC2:TRAP_HANDLER: 0
; COMPUTE_PGM_RSRC2:TGID_X_EN: 1
; COMPUTE_PGM_RSRC2:TGID_Y_EN: 1
; COMPUTE_PGM_RSRC2:TGID_Z_EN: 0
; COMPUTE_PGM_RSRC2:TIDIG_COMP_CNT: 1
	.section	.text._ZN9rocsolver6v33100L23getf2_npvt_small_kernelILi48EdiiPKPdEEvT1_T3_lS5_lPT2_S5_S5_,"axG",@progbits,_ZN9rocsolver6v33100L23getf2_npvt_small_kernelILi48EdiiPKPdEEvT1_T3_lS5_lPT2_S5_S5_,comdat
	.globl	_ZN9rocsolver6v33100L23getf2_npvt_small_kernelILi48EdiiPKPdEEvT1_T3_lS5_lPT2_S5_S5_ ; -- Begin function _ZN9rocsolver6v33100L23getf2_npvt_small_kernelILi48EdiiPKPdEEvT1_T3_lS5_lPT2_S5_S5_
	.p2align	8
	.type	_ZN9rocsolver6v33100L23getf2_npvt_small_kernelILi48EdiiPKPdEEvT1_T3_lS5_lPT2_S5_S5_,@function
_ZN9rocsolver6v33100L23getf2_npvt_small_kernelILi48EdiiPKPdEEvT1_T3_lS5_lPT2_S5_S5_: ; @_ZN9rocsolver6v33100L23getf2_npvt_small_kernelILi48EdiiPKPdEEvT1_T3_lS5_lPT2_S5_S5_
; %bb.0:
	s_mov_b64 s[14:15], s[2:3]
	s_mov_b64 s[12:13], s[0:1]
	s_add_u32 s12, s12, s8
	s_clause 0x1
	s_load_dword s0, s[4:5], 0x44
	s_load_dwordx2 s[8:9], s[4:5], 0x30
	s_addc_u32 s13, s13, 0
	s_waitcnt lgkmcnt(0)
	s_lshr_b32 s10, s0, 16
	s_mov_b32 s0, exec_lo
	v_mad_u64_u32 v[2:3], null, s7, s10, v[1:2]
	v_cmpx_gt_i32_e64 s8, v2
	s_cbranch_execz .LBB95_243
; %bb.1:
	s_clause 0x1
	s_load_dwordx4 s[0:3], s[4:5], 0x8
	s_load_dword s6, s[4:5], 0x18
	v_ashrrev_i32_e32 v3, 31, v2
	v_lshlrev_b32_e32 v100, 3, v0
	s_mulk_i32 s10, 0x180
	v_mad_u32_u24 v232, 0x180, v1, 0
	v_lshlrev_b64 v[4:5], 3, v[2:3]
	s_waitcnt lgkmcnt(0)
	v_add_co_u32 v4, vcc_lo, s0, v4
	v_add_co_ci_u32_e64 v5, null, s1, v5, vcc_lo
	v_add3_u32 v6, s6, s6, v0
	s_lshl_b64 s[2:3], s[2:3], 3
	s_ashr_i32 s7, s6, 31
	global_load_dwordx2 v[4:5], v[4:5], off
	s_lshl_b64 s[0:1], s[6:7], 3
	v_add_nc_u32_e32 v8, s6, v6
	v_ashrrev_i32_e32 v7, 31, v6
	v_add_nc_u32_e32 v10, s6, v8
	v_ashrrev_i32_e32 v9, 31, v8
	v_lshlrev_b64 v[6:7], 3, v[6:7]
	v_add_nc_u32_e32 v12, s6, v10
	v_ashrrev_i32_e32 v11, 31, v10
	v_lshlrev_b64 v[8:9], 3, v[8:9]
	;; [unrolled: 3-line block ×43, first 2 shown]
	v_ashrrev_i32_e32 v95, 31, v94
	v_add_nc_u32_e32 v96, s6, v94
	v_lshlrev_b64 v[92:93], 3, v[92:93]
	v_lshlrev_b64 v[94:95], 3, v[94:95]
	v_ashrrev_i32_e32 v97, 31, v96
	v_lshlrev_b64 v[98:99], 3, v[96:97]
	s_waitcnt vmcnt(0)
	v_add_co_u32 v4, vcc_lo, v4, s2
	v_add_co_ci_u32_e64 v5, null, s3, v5, vcc_lo
	v_add_co_u32 v116, vcc_lo, v4, v6
	v_add_co_ci_u32_e64 v117, null, v5, v7, vcc_lo
	;; [unrolled: 2-line block ×49, first 2 shown]
	s_clause 0x9
	flat_load_dwordx2 v[104:105], v[8:9]
	flat_load_dwordx2 v[100:101], v[10:11]
	;; [unrolled: 1-line block ×10, first 2 shown]
	buffer_store_dword v116, off, s[12:15], 0 ; 4-byte Folded Spill
	buffer_store_dword v117, off, s[12:15], 0 offset:4 ; 4-byte Folded Spill
	v_lshlrev_b32_e32 v4, 3, v1
	v_cmp_ne_u32_e64 s1, 0, v0
	v_cmp_eq_u32_e64 s0, 0, v0
	s_clause 0x25
	flat_load_dwordx2 v[192:193], v[116:117]
	flat_load_dwordx2 v[188:189], v[6:7]
	;; [unrolled: 1-line block ×38, first 2 shown]
	v_add3_u32 v1, 0, s10, v4
	s_and_saveexec_b32 s2, s0
	s_cbranch_execz .LBB95_4
; %bb.2:
	s_waitcnt vmcnt(39) lgkmcnt(39)
	ds_write_b64 v1, v[186:187]
	s_waitcnt vmcnt(37) lgkmcnt(38)
	ds_write2_b64 v232, v[190:191], v[192:193] offset0:1 offset1:2
	s_waitcnt vmcnt(36) lgkmcnt(38)
	ds_write2_b64 v232, v[188:189], v[104:105] offset0:3 offset1:4
	ds_write2_b64 v232, v[100:101], v[102:103] offset0:5 offset1:6
	;; [unrolled: 1-line block ×4, first 2 shown]
	s_waitcnt vmcnt(35) lgkmcnt(41)
	ds_write2_b64 v232, v[108:109], v[184:185] offset0:11 offset1:12
	s_waitcnt vmcnt(33) lgkmcnt(40)
	ds_write2_b64 v232, v[176:177], v[182:183] offset0:13 offset1:14
	;; [unrolled: 2-line block ×18, first 2 shown]
	s_waitcnt vmcnt(0) lgkmcnt(24)
	ds_write_b64 v232, v[194:195] offset:376
	ds_read_b64 v[196:197], v1
	s_waitcnt lgkmcnt(0)
	v_cmp_neq_f64_e32 vcc_lo, 0, v[196:197]
	s_and_b32 exec_lo, exec_lo, vcc_lo
	s_cbranch_execz .LBB95_4
; %bb.3:
	v_div_scale_f64 v[198:199], null, v[196:197], v[196:197], 1.0
	v_rcp_f64_e32 v[200:201], v[198:199]
	v_fma_f64 v[202:203], -v[198:199], v[200:201], 1.0
	v_fma_f64 v[200:201], v[200:201], v[202:203], v[200:201]
	v_fma_f64 v[202:203], -v[198:199], v[200:201], 1.0
	v_fma_f64 v[200:201], v[200:201], v[202:203], v[200:201]
	v_div_scale_f64 v[202:203], vcc_lo, 1.0, v[196:197], 1.0
	v_mul_f64 v[204:205], v[202:203], v[200:201]
	v_fma_f64 v[198:199], -v[198:199], v[204:205], v[202:203]
	v_div_fmas_f64 v[198:199], v[198:199], v[200:201], v[204:205]
	v_div_fixup_f64 v[196:197], v[198:199], v[196:197], 1.0
	ds_write_b64 v1, v[196:197]
.LBB95_4:
	s_or_b32 exec_lo, exec_lo, s2
	s_waitcnt vmcnt(0) lgkmcnt(0)
	s_waitcnt_vscnt null, 0x0
	s_barrier
	buffer_gl0_inv
	ds_read_b64 v[4:5], v1
	s_waitcnt lgkmcnt(0)
	buffer_store_dword v4, off, s[12:15], 0 offset:8 ; 4-byte Folded Spill
	buffer_store_dword v5, off, s[12:15], 0 offset:12 ; 4-byte Folded Spill
	s_and_saveexec_b32 s2, s1
	s_cbranch_execz .LBB95_6
; %bb.5:
	s_clause 0x1
	buffer_load_dword v4, off, s[12:15], 0 offset:8
	buffer_load_dword v5, off, s[12:15], 0 offset:12
	ds_read2_b64 v[196:199], v232 offset0:1 offset1:2
	ds_read2_b64 v[200:203], v232 offset0:3 offset1:4
	;; [unrolled: 1-line block ×12, first 2 shown]
	s_waitcnt vmcnt(0)
	v_mul_f64 v[186:187], v[4:5], v[186:187]
	s_waitcnt lgkmcnt(11)
	v_fma_f64 v[190:191], -v[186:187], v[196:197], v[190:191]
	v_fma_f64 v[192:193], -v[186:187], v[198:199], v[192:193]
	s_waitcnt lgkmcnt(10)
	v_fma_f64 v[188:189], -v[186:187], v[200:201], v[188:189]
	v_fma_f64 v[104:105], -v[186:187], v[202:203], v[104:105]
	ds_read2_b64 v[196:199], v232 offset0:25 offset1:26
	ds_read2_b64 v[200:203], v232 offset0:27 offset1:28
	s_waitcnt lgkmcnt(11)
	v_fma_f64 v[100:101], -v[186:187], v[204:205], v[100:101]
	v_fma_f64 v[102:103], -v[186:187], v[206:207], v[102:103]
	s_waitcnt lgkmcnt(10)
	v_fma_f64 v[98:99], -v[186:187], v[208:209], v[98:99]
	v_fma_f64 v[114:115], -v[186:187], v[210:211], v[114:115]
	;; [unrolled: 3-line block ×7, first 2 shown]
	ds_read2_b64 v[204:207], v232 offset0:29 offset1:30
	ds_read2_b64 v[208:211], v232 offset0:31 offset1:32
	s_waitcnt lgkmcnt(6)
	v_fma_f64 v[142:143], -v[186:187], v[233:234], v[142:143]
	v_fma_f64 v[170:171], -v[186:187], v[235:236], v[170:171]
	ds_read2_b64 v[212:215], v232 offset0:33 offset1:34
	ds_read2_b64 v[216:219], v232 offset0:35 offset1:36
	;; [unrolled: 1-line block ×6, first 2 shown]
	s_waitcnt lgkmcnt(9)
	v_fma_f64 v[136:137], -v[186:187], v[196:197], v[136:137]
	v_fma_f64 v[164:165], -v[186:187], v[198:199], v[164:165]
	ds_read2_b64 v[196:199], v232 offset0:45 offset1:46
	s_waitcnt lgkmcnt(9)
	v_fma_f64 v[134:135], -v[186:187], v[200:201], v[134:135]
	ds_read_b64 v[200:201], v232 offset:376
	v_fma_f64 v[140:141], -v[186:187], v[237:238], v[140:141]
	v_fma_f64 v[168:169], -v[186:187], v[239:240], v[168:169]
	;; [unrolled: 1-line block ×5, first 2 shown]
	s_waitcnt lgkmcnt(9)
	v_fma_f64 v[132:133], -v[186:187], v[204:205], v[132:133]
	v_fma_f64 v[160:161], -v[186:187], v[206:207], v[160:161]
	s_waitcnt lgkmcnt(8)
	v_fma_f64 v[130:131], -v[186:187], v[208:209], v[130:131]
	v_fma_f64 v[158:159], -v[186:187], v[210:211], v[158:159]
	;; [unrolled: 3-line block ×9, first 2 shown]
	s_waitcnt lgkmcnt(0)
	v_fma_f64 v[194:195], -v[186:187], v[200:201], v[194:195]
.LBB95_6:
	s_or_b32 exec_lo, exec_lo, s2
	s_mov_b32 s1, exec_lo
	s_waitcnt_vscnt null, 0x0
	s_barrier
	buffer_gl0_inv
	v_cmpx_eq_u32_e32 1, v0
	s_cbranch_execz .LBB95_9
; %bb.7:
	v_mov_b32_e32 v196, v192
	v_mov_b32_e32 v197, v193
	;; [unrolled: 1-line block ×12, first 2 shown]
	ds_write_b64 v1, v[190:191]
	ds_write2_b64 v232, v[196:197], v[198:199] offset0:2 offset1:3
	ds_write2_b64 v232, v[200:201], v[202:203] offset0:4 offset1:5
	ds_write2_b64 v232, v[204:205], v[206:207] offset0:6 offset1:7
	v_mov_b32_e32 v196, v114
	v_mov_b32_e32 v197, v115
	v_mov_b32_e32 v198, v110
	v_mov_b32_e32 v199, v111
	v_mov_b32_e32 v200, v112
	v_mov_b32_e32 v201, v113
	v_mov_b32_e32 v202, v108
	v_mov_b32_e32 v203, v109
	v_mov_b32_e32 v204, v184
	v_mov_b32_e32 v205, v185
	v_mov_b32_e32 v206, v176
	v_mov_b32_e32 v207, v177
	v_mov_b32_e32 v208, v182
	v_mov_b32_e32 v209, v183
	v_mov_b32_e32 v210, v174
	v_mov_b32_e32 v211, v175
	v_mov_b32_e32 v212, v180
	v_mov_b32_e32 v213, v181
	v_mov_b32_e32 v214, v172
	v_mov_b32_e32 v215, v173
	ds_write2_b64 v232, v[196:197], v[198:199] offset0:8 offset1:9
	ds_write2_b64 v232, v[200:201], v[202:203] offset0:10 offset1:11
	ds_write2_b64 v232, v[204:205], v[206:207] offset0:12 offset1:13
	ds_write2_b64 v232, v[208:209], v[210:211] offset0:14 offset1:15
	ds_write2_b64 v232, v[212:213], v[214:215] offset0:16 offset1:17
	v_mov_b32_e32 v196, v178
	v_mov_b32_e32 v197, v179
	v_mov_b32_e32 v198, v142
	v_mov_b32_e32 v199, v143
	v_mov_b32_e32 v200, v170
	v_mov_b32_e32 v201, v171
	v_mov_b32_e32 v202, v140
	v_mov_b32_e32 v203, v141
	v_mov_b32_e32 v204, v168
	v_mov_b32_e32 v205, v169
	v_mov_b32_e32 v206, v138
	v_mov_b32_e32 v207, v139
	v_mov_b32_e32 v208, v166
	v_mov_b32_e32 v209, v167
	v_mov_b32_e32 v210, v136
	v_mov_b32_e32 v211, v137
	v_mov_b32_e32 v212, v164
	v_mov_b32_e32 v213, v165
	v_mov_b32_e32 v214, v134
	v_mov_b32_e32 v215, v135
	ds_write2_b64 v232, v[196:197], v[198:199] offset0:18 offset1:19
	ds_write2_b64 v232, v[200:201], v[202:203] offset0:20 offset1:21
	;; [unrolled: 25-line block ×3, first 2 shown]
	ds_write2_b64 v232, v[204:205], v[206:207] offset0:32 offset1:33
	ds_write2_b64 v232, v[208:209], v[210:211] offset0:34 offset1:35
	;; [unrolled: 1-line block ×3, first 2 shown]
	v_mov_b32_e32 v196, v152
	v_mov_b32_e32 v197, v153
	;; [unrolled: 1-line block ×18, first 2 shown]
	ds_write2_b64 v232, v[196:197], v[198:199] offset0:38 offset1:39
	ds_write2_b64 v232, v[200:201], v[202:203] offset0:40 offset1:41
	;; [unrolled: 1-line block ×5, first 2 shown]
	ds_read_b64 v[196:197], v1
	s_waitcnt lgkmcnt(0)
	v_cmp_neq_f64_e32 vcc_lo, 0, v[196:197]
	s_and_b32 exec_lo, exec_lo, vcc_lo
	s_cbranch_execz .LBB95_9
; %bb.8:
	v_div_scale_f64 v[198:199], null, v[196:197], v[196:197], 1.0
	v_rcp_f64_e32 v[200:201], v[198:199]
	v_fma_f64 v[202:203], -v[198:199], v[200:201], 1.0
	v_fma_f64 v[200:201], v[200:201], v[202:203], v[200:201]
	v_fma_f64 v[202:203], -v[198:199], v[200:201], 1.0
	v_fma_f64 v[200:201], v[200:201], v[202:203], v[200:201]
	v_div_scale_f64 v[202:203], vcc_lo, 1.0, v[196:197], 1.0
	v_mul_f64 v[204:205], v[202:203], v[200:201]
	v_fma_f64 v[198:199], -v[198:199], v[204:205], v[202:203]
	v_div_fmas_f64 v[198:199], v[198:199], v[200:201], v[204:205]
	v_div_fixup_f64 v[196:197], v[198:199], v[196:197], 1.0
	ds_write_b64 v1, v[196:197]
.LBB95_9:
	s_or_b32 exec_lo, exec_lo, s1
	s_waitcnt lgkmcnt(0)
	s_barrier
	buffer_gl0_inv
	ds_read_b64 v[4:5], v1
	s_mov_b32 s1, exec_lo
	s_waitcnt lgkmcnt(0)
	buffer_store_dword v4, off, s[12:15], 0 offset:16 ; 4-byte Folded Spill
	buffer_store_dword v5, off, s[12:15], 0 offset:20 ; 4-byte Folded Spill
	v_cmpx_lt_u32_e32 1, v0
	s_cbranch_execz .LBB95_11
; %bb.10:
	s_clause 0x1
	buffer_load_dword v4, off, s[12:15], 0 offset:16
	buffer_load_dword v5, off, s[12:15], 0 offset:20
	ds_read2_b64 v[196:199], v232 offset0:2 offset1:3
	ds_read2_b64 v[200:203], v232 offset0:4 offset1:5
	;; [unrolled: 1-line block ×11, first 2 shown]
	s_waitcnt vmcnt(0)
	v_mul_f64 v[190:191], v[4:5], v[190:191]
	s_waitcnt lgkmcnt(10)
	v_fma_f64 v[192:193], -v[190:191], v[196:197], v[192:193]
	v_fma_f64 v[188:189], -v[190:191], v[198:199], v[188:189]
	ds_read2_b64 v[196:199], v232 offset0:24 offset1:25
	s_waitcnt lgkmcnt(10)
	v_fma_f64 v[104:105], -v[190:191], v[200:201], v[104:105]
	v_fma_f64 v[100:101], -v[190:191], v[202:203], v[100:101]
	s_waitcnt lgkmcnt(9)
	v_fma_f64 v[102:103], -v[190:191], v[204:205], v[102:103]
	v_fma_f64 v[98:99], -v[190:191], v[206:207], v[98:99]
	;; [unrolled: 3-line block ×6, first 2 shown]
	ds_read2_b64 v[200:203], v232 offset0:26 offset1:27
	s_waitcnt lgkmcnt(5)
	v_fma_f64 v[180:181], -v[190:191], v[224:225], v[180:181]
	v_fma_f64 v[172:173], -v[190:191], v[226:227], v[172:173]
	ds_read2_b64 v[204:207], v232 offset0:28 offset1:29
	ds_read2_b64 v[208:211], v232 offset0:30 offset1:31
	s_waitcnt lgkmcnt(6)
	v_fma_f64 v[178:179], -v[190:191], v[228:229], v[178:179]
	v_fma_f64 v[142:143], -v[190:191], v[230:231], v[142:143]
	ds_read2_b64 v[212:215], v232 offset0:32 offset1:33
	;; [unrolled: 5-line block ×5, first 2 shown]
	ds_read2_b64 v[237:240], v232 offset0:46 offset1:47
	s_waitcnt lgkmcnt(10)
	v_fma_f64 v[164:165], -v[190:191], v[200:201], v[164:165]
	v_fma_f64 v[134:135], -v[190:191], v[202:203], v[134:135]
	s_waitcnt lgkmcnt(9)
	v_fma_f64 v[162:163], -v[190:191], v[204:205], v[162:163]
	v_fma_f64 v[132:133], -v[190:191], v[206:207], v[132:133]
	;; [unrolled: 3-line block ×11, first 2 shown]
.LBB95_11:
	s_or_b32 exec_lo, exec_lo, s1
	s_mov_b32 s1, exec_lo
	s_waitcnt_vscnt null, 0x0
	s_barrier
	buffer_gl0_inv
	v_cmpx_eq_u32_e32 2, v0
	s_cbranch_execz .LBB95_14
; %bb.12:
	ds_write_b64 v1, v[192:193]
	ds_write2_b64 v232, v[188:189], v[104:105] offset0:3 offset1:4
	ds_write2_b64 v232, v[100:101], v[102:103] offset0:5 offset1:6
	ds_write2_b64 v232, v[98:99], v[114:115] offset0:7 offset1:8
	ds_write2_b64 v232, v[110:111], v[112:113] offset0:9 offset1:10
	ds_write2_b64 v232, v[108:109], v[184:185] offset0:11 offset1:12
	ds_write2_b64 v232, v[176:177], v[182:183] offset0:13 offset1:14
	ds_write2_b64 v232, v[174:175], v[180:181] offset0:15 offset1:16
	ds_write2_b64 v232, v[172:173], v[178:179] offset0:17 offset1:18
	ds_write2_b64 v232, v[142:143], v[170:171] offset0:19 offset1:20
	ds_write2_b64 v232, v[140:141], v[168:169] offset0:21 offset1:22
	ds_write2_b64 v232, v[138:139], v[166:167] offset0:23 offset1:24
	ds_write2_b64 v232, v[136:137], v[164:165] offset0:25 offset1:26
	ds_write2_b64 v232, v[134:135], v[162:163] offset0:27 offset1:28
	ds_write2_b64 v232, v[132:133], v[160:161] offset0:29 offset1:30
	ds_write2_b64 v232, v[130:131], v[158:159] offset0:31 offset1:32
	ds_write2_b64 v232, v[128:129], v[156:157] offset0:33 offset1:34
	ds_write2_b64 v232, v[126:127], v[154:155] offset0:35 offset1:36
	ds_write2_b64 v232, v[124:125], v[152:153] offset0:37 offset1:38
	ds_write2_b64 v232, v[122:123], v[150:151] offset0:39 offset1:40
	ds_write2_b64 v232, v[120:121], v[148:149] offset0:41 offset1:42
	ds_write2_b64 v232, v[118:119], v[146:147] offset0:43 offset1:44
	ds_write2_b64 v232, v[116:117], v[144:145] offset0:45 offset1:46
	ds_write_b64 v232, v[194:195] offset:376
	ds_read_b64 v[196:197], v1
	s_waitcnt lgkmcnt(0)
	v_cmp_neq_f64_e32 vcc_lo, 0, v[196:197]
	s_and_b32 exec_lo, exec_lo, vcc_lo
	s_cbranch_execz .LBB95_14
; %bb.13:
	v_div_scale_f64 v[198:199], null, v[196:197], v[196:197], 1.0
	v_rcp_f64_e32 v[200:201], v[198:199]
	v_fma_f64 v[202:203], -v[198:199], v[200:201], 1.0
	v_fma_f64 v[200:201], v[200:201], v[202:203], v[200:201]
	v_fma_f64 v[202:203], -v[198:199], v[200:201], 1.0
	v_fma_f64 v[200:201], v[200:201], v[202:203], v[200:201]
	v_div_scale_f64 v[202:203], vcc_lo, 1.0, v[196:197], 1.0
	v_mul_f64 v[204:205], v[202:203], v[200:201]
	v_fma_f64 v[198:199], -v[198:199], v[204:205], v[202:203]
	v_div_fmas_f64 v[198:199], v[198:199], v[200:201], v[204:205]
	v_div_fixup_f64 v[196:197], v[198:199], v[196:197], 1.0
	ds_write_b64 v1, v[196:197]
.LBB95_14:
	s_or_b32 exec_lo, exec_lo, s1
	s_waitcnt lgkmcnt(0)
	s_barrier
	buffer_gl0_inv
	ds_read_b64 v[4:5], v1
	s_mov_b32 s1, exec_lo
	s_waitcnt lgkmcnt(0)
	buffer_store_dword v4, off, s[12:15], 0 offset:24 ; 4-byte Folded Spill
	buffer_store_dword v5, off, s[12:15], 0 offset:28 ; 4-byte Folded Spill
	v_cmpx_lt_u32_e32 2, v0
	s_cbranch_execz .LBB95_16
; %bb.15:
	s_clause 0x1
	buffer_load_dword v4, off, s[12:15], 0 offset:24
	buffer_load_dword v5, off, s[12:15], 0 offset:28
	ds_read2_b64 v[196:199], v232 offset0:3 offset1:4
	ds_read2_b64 v[200:203], v232 offset0:5 offset1:6
	ds_read2_b64 v[204:207], v232 offset0:7 offset1:8
	ds_read2_b64 v[208:211], v232 offset0:9 offset1:10
	ds_read2_b64 v[212:215], v232 offset0:11 offset1:12
	ds_read2_b64 v[216:219], v232 offset0:13 offset1:14
	ds_read2_b64 v[220:223], v232 offset0:15 offset1:16
	ds_read2_b64 v[224:227], v232 offset0:17 offset1:18
	ds_read2_b64 v[228:231], v232 offset0:19 offset1:20
	ds_read2_b64 v[233:236], v232 offset0:21 offset1:22
	ds_read2_b64 v[237:240], v232 offset0:23 offset1:24
	s_waitcnt vmcnt(0)
	v_mul_f64 v[192:193], v[4:5], v[192:193]
	s_waitcnt lgkmcnt(10)
	v_fma_f64 v[188:189], -v[192:193], v[196:197], v[188:189]
	v_fma_f64 v[104:105], -v[192:193], v[198:199], v[104:105]
	s_waitcnt lgkmcnt(9)
	v_fma_f64 v[100:101], -v[192:193], v[200:201], v[100:101]
	v_fma_f64 v[102:103], -v[192:193], v[202:203], v[102:103]
	ds_read2_b64 v[196:199], v232 offset0:25 offset1:26
	ds_read2_b64 v[200:203], v232 offset0:27 offset1:28
	s_waitcnt lgkmcnt(10)
	v_fma_f64 v[98:99], -v[192:193], v[204:205], v[98:99]
	v_fma_f64 v[114:115], -v[192:193], v[206:207], v[114:115]
	s_waitcnt lgkmcnt(9)
	v_fma_f64 v[110:111], -v[192:193], v[208:209], v[110:111]
	v_fma_f64 v[112:113], -v[192:193], v[210:211], v[112:113]
	;; [unrolled: 3-line block ×6, first 2 shown]
	ds_read2_b64 v[204:207], v232 offset0:29 offset1:30
	ds_read2_b64 v[208:211], v232 offset0:31 offset1:32
	s_waitcnt lgkmcnt(6)
	v_fma_f64 v[142:143], -v[192:193], v[228:229], v[142:143]
	v_fma_f64 v[170:171], -v[192:193], v[230:231], v[170:171]
	ds_read2_b64 v[212:215], v232 offset0:33 offset1:34
	ds_read2_b64 v[216:219], v232 offset0:35 offset1:36
	s_waitcnt lgkmcnt(7)
	v_fma_f64 v[140:141], -v[192:193], v[233:234], v[140:141]
	v_fma_f64 v[168:169], -v[192:193], v[235:236], v[168:169]
	ds_read2_b64 v[220:223], v232 offset0:37 offset1:38
	ds_read2_b64 v[224:227], v232 offset0:39 offset1:40
	ds_read2_b64 v[228:231], v232 offset0:41 offset1:42
	ds_read2_b64 v[233:236], v232 offset0:43 offset1:44
	s_waitcnt lgkmcnt(9)
	v_fma_f64 v[136:137], -v[192:193], v[196:197], v[136:137]
	v_fma_f64 v[164:165], -v[192:193], v[198:199], v[164:165]
	ds_read2_b64 v[196:199], v232 offset0:45 offset1:46
	s_waitcnt lgkmcnt(9)
	v_fma_f64 v[134:135], -v[192:193], v[200:201], v[134:135]
	ds_read_b64 v[200:201], v232 offset:376
	v_fma_f64 v[138:139], -v[192:193], v[237:238], v[138:139]
	v_fma_f64 v[166:167], -v[192:193], v[239:240], v[166:167]
	;; [unrolled: 1-line block ×3, first 2 shown]
	s_waitcnt lgkmcnt(9)
	v_fma_f64 v[132:133], -v[192:193], v[204:205], v[132:133]
	v_fma_f64 v[160:161], -v[192:193], v[206:207], v[160:161]
	s_waitcnt lgkmcnt(8)
	v_fma_f64 v[130:131], -v[192:193], v[208:209], v[130:131]
	v_fma_f64 v[158:159], -v[192:193], v[210:211], v[158:159]
	;; [unrolled: 3-line block ×9, first 2 shown]
	s_waitcnt lgkmcnt(0)
	v_fma_f64 v[194:195], -v[192:193], v[200:201], v[194:195]
.LBB95_16:
	s_or_b32 exec_lo, exec_lo, s1
	s_mov_b32 s1, exec_lo
	s_waitcnt_vscnt null, 0x0
	s_barrier
	buffer_gl0_inv
	v_cmpx_eq_u32_e32 3, v0
	s_cbranch_execz .LBB95_19
; %bb.17:
	v_mov_b32_e32 v196, v104
	v_mov_b32_e32 v197, v105
	;; [unrolled: 1-line block ×8, first 2 shown]
	ds_write_b64 v1, v[188:189]
	ds_write2_b64 v232, v[196:197], v[198:199] offset0:4 offset1:5
	ds_write2_b64 v232, v[200:201], v[202:203] offset0:6 offset1:7
	v_mov_b32_e32 v196, v114
	v_mov_b32_e32 v197, v115
	v_mov_b32_e32 v198, v110
	v_mov_b32_e32 v199, v111
	v_mov_b32_e32 v200, v112
	v_mov_b32_e32 v201, v113
	v_mov_b32_e32 v202, v108
	v_mov_b32_e32 v203, v109
	v_mov_b32_e32 v204, v184
	v_mov_b32_e32 v205, v185
	v_mov_b32_e32 v206, v176
	v_mov_b32_e32 v207, v177
	v_mov_b32_e32 v208, v182
	v_mov_b32_e32 v209, v183
	v_mov_b32_e32 v210, v174
	v_mov_b32_e32 v211, v175
	v_mov_b32_e32 v212, v180
	v_mov_b32_e32 v213, v181
	v_mov_b32_e32 v214, v172
	v_mov_b32_e32 v215, v173
	ds_write2_b64 v232, v[196:197], v[198:199] offset0:8 offset1:9
	ds_write2_b64 v232, v[200:201], v[202:203] offset0:10 offset1:11
	ds_write2_b64 v232, v[204:205], v[206:207] offset0:12 offset1:13
	ds_write2_b64 v232, v[208:209], v[210:211] offset0:14 offset1:15
	ds_write2_b64 v232, v[212:213], v[214:215] offset0:16 offset1:17
	v_mov_b32_e32 v196, v178
	v_mov_b32_e32 v197, v179
	v_mov_b32_e32 v198, v142
	v_mov_b32_e32 v199, v143
	v_mov_b32_e32 v200, v170
	v_mov_b32_e32 v201, v171
	v_mov_b32_e32 v202, v140
	v_mov_b32_e32 v203, v141
	v_mov_b32_e32 v204, v168
	v_mov_b32_e32 v205, v169
	v_mov_b32_e32 v206, v138
	v_mov_b32_e32 v207, v139
	v_mov_b32_e32 v208, v166
	v_mov_b32_e32 v209, v167
	v_mov_b32_e32 v210, v136
	v_mov_b32_e32 v211, v137
	v_mov_b32_e32 v212, v164
	v_mov_b32_e32 v213, v165
	v_mov_b32_e32 v214, v134
	v_mov_b32_e32 v215, v135
	ds_write2_b64 v232, v[196:197], v[198:199] offset0:18 offset1:19
	ds_write2_b64 v232, v[200:201], v[202:203] offset0:20 offset1:21
	ds_write2_b64 v232, v[204:205], v[206:207] offset0:22 offset1:23
	;; [unrolled: 25-line block ×3, first 2 shown]
	ds_write2_b64 v232, v[208:209], v[210:211] offset0:34 offset1:35
	ds_write2_b64 v232, v[212:213], v[214:215] offset0:36 offset1:37
	v_mov_b32_e32 v196, v152
	v_mov_b32_e32 v197, v153
	;; [unrolled: 1-line block ×18, first 2 shown]
	ds_write2_b64 v232, v[196:197], v[198:199] offset0:38 offset1:39
	ds_write2_b64 v232, v[200:201], v[202:203] offset0:40 offset1:41
	ds_write2_b64 v232, v[204:205], v[206:207] offset0:42 offset1:43
	ds_write2_b64 v232, v[208:209], v[210:211] offset0:44 offset1:45
	ds_write2_b64 v232, v[212:213], v[194:195] offset0:46 offset1:47
	ds_read_b64 v[196:197], v1
	s_waitcnt lgkmcnt(0)
	v_cmp_neq_f64_e32 vcc_lo, 0, v[196:197]
	s_and_b32 exec_lo, exec_lo, vcc_lo
	s_cbranch_execz .LBB95_19
; %bb.18:
	v_div_scale_f64 v[198:199], null, v[196:197], v[196:197], 1.0
	v_rcp_f64_e32 v[200:201], v[198:199]
	v_fma_f64 v[202:203], -v[198:199], v[200:201], 1.0
	v_fma_f64 v[200:201], v[200:201], v[202:203], v[200:201]
	v_fma_f64 v[202:203], -v[198:199], v[200:201], 1.0
	v_fma_f64 v[200:201], v[200:201], v[202:203], v[200:201]
	v_div_scale_f64 v[202:203], vcc_lo, 1.0, v[196:197], 1.0
	v_mul_f64 v[204:205], v[202:203], v[200:201]
	v_fma_f64 v[198:199], -v[198:199], v[204:205], v[202:203]
	v_div_fmas_f64 v[198:199], v[198:199], v[200:201], v[204:205]
	v_div_fixup_f64 v[196:197], v[198:199], v[196:197], 1.0
	ds_write_b64 v1, v[196:197]
.LBB95_19:
	s_or_b32 exec_lo, exec_lo, s1
	s_waitcnt lgkmcnt(0)
	s_barrier
	buffer_gl0_inv
	ds_read_b64 v[4:5], v1
	s_mov_b32 s1, exec_lo
	s_waitcnt lgkmcnt(0)
	buffer_store_dword v4, off, s[12:15], 0 offset:32 ; 4-byte Folded Spill
	buffer_store_dword v5, off, s[12:15], 0 offset:36 ; 4-byte Folded Spill
	v_cmpx_lt_u32_e32 3, v0
	s_cbranch_execz .LBB95_21
; %bb.20:
	s_clause 0x1
	buffer_load_dword v4, off, s[12:15], 0 offset:32
	buffer_load_dword v5, off, s[12:15], 0 offset:36
	ds_read2_b64 v[196:199], v232 offset0:4 offset1:5
	ds_read2_b64 v[200:203], v232 offset0:6 offset1:7
	;; [unrolled: 1-line block ×11, first 2 shown]
	s_waitcnt vmcnt(0)
	v_mul_f64 v[188:189], v[4:5], v[188:189]
	s_waitcnt lgkmcnt(10)
	v_fma_f64 v[104:105], -v[188:189], v[196:197], v[104:105]
	v_fma_f64 v[100:101], -v[188:189], v[198:199], v[100:101]
	s_waitcnt lgkmcnt(9)
	v_fma_f64 v[102:103], -v[188:189], v[200:201], v[102:103]
	v_fma_f64 v[98:99], -v[188:189], v[202:203], v[98:99]
	;; [unrolled: 3-line block ×6, first 2 shown]
	ds_read2_b64 v[196:199], v232 offset0:26 offset1:27
	ds_read2_b64 v[200:203], v232 offset0:28 offset1:29
	s_waitcnt lgkmcnt(6)
	v_fma_f64 v[180:181], -v[188:189], v[220:221], v[180:181]
	v_fma_f64 v[172:173], -v[188:189], v[222:223], v[172:173]
	s_waitcnt lgkmcnt(5)
	v_fma_f64 v[178:179], -v[188:189], v[224:225], v[178:179]
	ds_read2_b64 v[204:207], v232 offset0:30 offset1:31
	ds_read2_b64 v[208:211], v232 offset0:32 offset1:33
	v_fma_f64 v[142:143], -v[188:189], v[226:227], v[142:143]
	s_waitcnt lgkmcnt(6)
	v_fma_f64 v[170:171], -v[188:189], v[228:229], v[170:171]
	ds_read2_b64 v[212:215], v232 offset0:34 offset1:35
	ds_read2_b64 v[216:219], v232 offset0:36 offset1:37
	;; [unrolled: 5-line block ×4, first 2 shown]
	v_fma_f64 v[136:137], -v[188:189], v[239:240], v[136:137]
	ds_read2_b64 v[237:240], v232 offset0:46 offset1:47
	s_waitcnt lgkmcnt(10)
	v_fma_f64 v[164:165], -v[188:189], v[196:197], v[164:165]
	v_fma_f64 v[134:135], -v[188:189], v[198:199], v[134:135]
	s_waitcnt lgkmcnt(9)
	v_fma_f64 v[162:163], -v[188:189], v[200:201], v[162:163]
	v_fma_f64 v[132:133], -v[188:189], v[202:203], v[132:133]
	;; [unrolled: 3-line block ×11, first 2 shown]
.LBB95_21:
	s_or_b32 exec_lo, exec_lo, s1
	s_mov_b32 s1, exec_lo
	s_waitcnt_vscnt null, 0x0
	s_barrier
	buffer_gl0_inv
	v_cmpx_eq_u32_e32 4, v0
	s_cbranch_execz .LBB95_24
; %bb.22:
	ds_write_b64 v1, v[104:105]
	ds_write2_b64 v232, v[100:101], v[102:103] offset0:5 offset1:6
	ds_write2_b64 v232, v[98:99], v[114:115] offset0:7 offset1:8
	;; [unrolled: 1-line block ×21, first 2 shown]
	ds_write_b64 v232, v[194:195] offset:376
	ds_read_b64 v[196:197], v1
	s_waitcnt lgkmcnt(0)
	v_cmp_neq_f64_e32 vcc_lo, 0, v[196:197]
	s_and_b32 exec_lo, exec_lo, vcc_lo
	s_cbranch_execz .LBB95_24
; %bb.23:
	v_div_scale_f64 v[198:199], null, v[196:197], v[196:197], 1.0
	v_rcp_f64_e32 v[200:201], v[198:199]
	v_fma_f64 v[202:203], -v[198:199], v[200:201], 1.0
	v_fma_f64 v[200:201], v[200:201], v[202:203], v[200:201]
	v_fma_f64 v[202:203], -v[198:199], v[200:201], 1.0
	v_fma_f64 v[200:201], v[200:201], v[202:203], v[200:201]
	v_div_scale_f64 v[202:203], vcc_lo, 1.0, v[196:197], 1.0
	v_mul_f64 v[204:205], v[202:203], v[200:201]
	v_fma_f64 v[198:199], -v[198:199], v[204:205], v[202:203]
	v_div_fmas_f64 v[198:199], v[198:199], v[200:201], v[204:205]
	v_div_fixup_f64 v[196:197], v[198:199], v[196:197], 1.0
	ds_write_b64 v1, v[196:197]
.LBB95_24:
	s_or_b32 exec_lo, exec_lo, s1
	s_waitcnt lgkmcnt(0)
	s_barrier
	buffer_gl0_inv
	ds_read_b64 v[4:5], v1
	s_mov_b32 s1, exec_lo
	s_waitcnt lgkmcnt(0)
	buffer_store_dword v4, off, s[12:15], 0 offset:40 ; 4-byte Folded Spill
	buffer_store_dword v5, off, s[12:15], 0 offset:44 ; 4-byte Folded Spill
	v_cmpx_lt_u32_e32 4, v0
	s_cbranch_execz .LBB95_26
; %bb.25:
	s_clause 0x1
	buffer_load_dword v4, off, s[12:15], 0 offset:40
	buffer_load_dword v5, off, s[12:15], 0 offset:44
	ds_read2_b64 v[196:199], v232 offset0:5 offset1:6
	ds_read2_b64 v[200:203], v232 offset0:7 offset1:8
	ds_read2_b64 v[204:207], v232 offset0:9 offset1:10
	ds_read2_b64 v[208:211], v232 offset0:11 offset1:12
	ds_read2_b64 v[212:215], v232 offset0:13 offset1:14
	ds_read2_b64 v[216:219], v232 offset0:15 offset1:16
	ds_read2_b64 v[220:223], v232 offset0:17 offset1:18
	ds_read2_b64 v[224:227], v232 offset0:19 offset1:20
	ds_read2_b64 v[228:231], v232 offset0:21 offset1:22
	ds_read2_b64 v[233:236], v232 offset0:23 offset1:24
	ds_read2_b64 v[237:240], v232 offset0:25 offset1:26
	s_waitcnt vmcnt(0)
	v_mul_f64 v[104:105], v[4:5], v[104:105]
	s_waitcnt lgkmcnt(10)
	v_fma_f64 v[100:101], -v[104:105], v[196:197], v[100:101]
	v_fma_f64 v[102:103], -v[104:105], v[198:199], v[102:103]
	ds_read2_b64 v[196:199], v232 offset0:27 offset1:28
	s_waitcnt lgkmcnt(10)
	v_fma_f64 v[98:99], -v[104:105], v[200:201], v[98:99]
	v_fma_f64 v[114:115], -v[104:105], v[202:203], v[114:115]
	s_waitcnt lgkmcnt(9)
	v_fma_f64 v[110:111], -v[104:105], v[204:205], v[110:111]
	v_fma_f64 v[112:113], -v[104:105], v[206:207], v[112:113]
	s_waitcnt lgkmcnt(8)
	v_fma_f64 v[108:109], -v[104:105], v[208:209], v[108:109]
	v_fma_f64 v[184:185], -v[104:105], v[210:211], v[184:185]
	s_waitcnt lgkmcnt(7)
	v_fma_f64 v[176:177], -v[104:105], v[212:213], v[176:177]
	v_fma_f64 v[182:183], -v[104:105], v[214:215], v[182:183]
	s_waitcnt lgkmcnt(6)
	v_fma_f64 v[174:175], -v[104:105], v[216:217], v[174:175]
	v_fma_f64 v[180:181], -v[104:105], v[218:219], v[180:181]
	s_waitcnt lgkmcnt(5)
	v_fma_f64 v[172:173], -v[104:105], v[220:221], v[172:173]
	v_fma_f64 v[178:179], -v[104:105], v[222:223], v[178:179]
	ds_read2_b64 v[200:203], v232 offset0:29 offset1:30
	s_waitcnt lgkmcnt(5)
	v_fma_f64 v[142:143], -v[104:105], v[224:225], v[142:143]
	ds_read2_b64 v[204:207], v232 offset0:31 offset1:32
	ds_read2_b64 v[208:211], v232 offset0:33 offset1:34
	v_fma_f64 v[170:171], -v[104:105], v[226:227], v[170:171]
	s_waitcnt lgkmcnt(6)
	v_fma_f64 v[140:141], -v[104:105], v[228:229], v[140:141]
	ds_read2_b64 v[212:215], v232 offset0:35 offset1:36
	ds_read2_b64 v[216:219], v232 offset0:37 offset1:38
	v_fma_f64 v[168:169], -v[104:105], v[230:231], v[168:169]
	;; [unrolled: 5-line block ×3, first 2 shown]
	ds_read2_b64 v[228:231], v232 offset0:43 offset1:44
	ds_read2_b64 v[233:236], v232 offset0:45 offset1:46
	s_waitcnt lgkmcnt(9)
	v_fma_f64 v[134:135], -v[104:105], v[196:197], v[134:135]
	ds_read_b64 v[196:197], v232 offset:376
	v_fma_f64 v[136:137], -v[104:105], v[237:238], v[136:137]
	v_fma_f64 v[164:165], -v[104:105], v[239:240], v[164:165]
	;; [unrolled: 1-line block ×3, first 2 shown]
	s_waitcnt lgkmcnt(9)
	v_fma_f64 v[132:133], -v[104:105], v[200:201], v[132:133]
	v_fma_f64 v[160:161], -v[104:105], v[202:203], v[160:161]
	s_waitcnt lgkmcnt(8)
	v_fma_f64 v[130:131], -v[104:105], v[204:205], v[130:131]
	v_fma_f64 v[158:159], -v[104:105], v[206:207], v[158:159]
	s_waitcnt lgkmcnt(7)
	v_fma_f64 v[128:129], -v[104:105], v[208:209], v[128:129]
	v_fma_f64 v[156:157], -v[104:105], v[210:211], v[156:157]
	s_waitcnt lgkmcnt(6)
	v_fma_f64 v[126:127], -v[104:105], v[212:213], v[126:127]
	v_fma_f64 v[154:155], -v[104:105], v[214:215], v[154:155]
	s_waitcnt lgkmcnt(5)
	v_fma_f64 v[124:125], -v[104:105], v[216:217], v[124:125]
	v_fma_f64 v[152:153], -v[104:105], v[218:219], v[152:153]
	s_waitcnt lgkmcnt(4)
	v_fma_f64 v[122:123], -v[104:105], v[220:221], v[122:123]
	v_fma_f64 v[150:151], -v[104:105], v[222:223], v[150:151]
	s_waitcnt lgkmcnt(3)
	v_fma_f64 v[120:121], -v[104:105], v[224:225], v[120:121]
	v_fma_f64 v[148:149], -v[104:105], v[226:227], v[148:149]
	s_waitcnt lgkmcnt(2)
	v_fma_f64 v[118:119], -v[104:105], v[228:229], v[118:119]
	v_fma_f64 v[146:147], -v[104:105], v[230:231], v[146:147]
	s_waitcnt lgkmcnt(1)
	v_fma_f64 v[116:117], -v[104:105], v[233:234], v[116:117]
	v_fma_f64 v[144:145], -v[104:105], v[235:236], v[144:145]
	s_waitcnt lgkmcnt(0)
	v_fma_f64 v[194:195], -v[104:105], v[196:197], v[194:195]
.LBB95_26:
	s_or_b32 exec_lo, exec_lo, s1
	s_mov_b32 s1, exec_lo
	s_waitcnt_vscnt null, 0x0
	s_barrier
	buffer_gl0_inv
	v_cmpx_eq_u32_e32 5, v0
	s_cbranch_execz .LBB95_29
; %bb.27:
	v_mov_b32_e32 v196, v102
	v_mov_b32_e32 v197, v103
	;; [unrolled: 1-line block ×4, first 2 shown]
	ds_write_b64 v1, v[100:101]
	ds_write2_b64 v232, v[196:197], v[198:199] offset0:6 offset1:7
	v_mov_b32_e32 v196, v114
	v_mov_b32_e32 v197, v115
	v_mov_b32_e32 v198, v110
	v_mov_b32_e32 v199, v111
	v_mov_b32_e32 v200, v112
	v_mov_b32_e32 v201, v113
	v_mov_b32_e32 v202, v108
	v_mov_b32_e32 v203, v109
	v_mov_b32_e32 v204, v184
	v_mov_b32_e32 v205, v185
	v_mov_b32_e32 v206, v176
	v_mov_b32_e32 v207, v177
	v_mov_b32_e32 v208, v182
	v_mov_b32_e32 v209, v183
	v_mov_b32_e32 v210, v174
	v_mov_b32_e32 v211, v175
	v_mov_b32_e32 v212, v180
	v_mov_b32_e32 v213, v181
	v_mov_b32_e32 v214, v172
	v_mov_b32_e32 v215, v173
	ds_write2_b64 v232, v[196:197], v[198:199] offset0:8 offset1:9
	ds_write2_b64 v232, v[200:201], v[202:203] offset0:10 offset1:11
	ds_write2_b64 v232, v[204:205], v[206:207] offset0:12 offset1:13
	ds_write2_b64 v232, v[208:209], v[210:211] offset0:14 offset1:15
	ds_write2_b64 v232, v[212:213], v[214:215] offset0:16 offset1:17
	v_mov_b32_e32 v196, v178
	v_mov_b32_e32 v197, v179
	v_mov_b32_e32 v198, v142
	v_mov_b32_e32 v199, v143
	v_mov_b32_e32 v200, v170
	v_mov_b32_e32 v201, v171
	v_mov_b32_e32 v202, v140
	v_mov_b32_e32 v203, v141
	v_mov_b32_e32 v204, v168
	v_mov_b32_e32 v205, v169
	v_mov_b32_e32 v206, v138
	v_mov_b32_e32 v207, v139
	v_mov_b32_e32 v208, v166
	v_mov_b32_e32 v209, v167
	v_mov_b32_e32 v210, v136
	v_mov_b32_e32 v211, v137
	v_mov_b32_e32 v212, v164
	v_mov_b32_e32 v213, v165
	v_mov_b32_e32 v214, v134
	v_mov_b32_e32 v215, v135
	ds_write2_b64 v232, v[196:197], v[198:199] offset0:18 offset1:19
	ds_write2_b64 v232, v[200:201], v[202:203] offset0:20 offset1:21
	ds_write2_b64 v232, v[204:205], v[206:207] offset0:22 offset1:23
	ds_write2_b64 v232, v[208:209], v[210:211] offset0:24 offset1:25
	;; [unrolled: 25-line block ×3, first 2 shown]
	ds_write2_b64 v232, v[212:213], v[214:215] offset0:36 offset1:37
	v_mov_b32_e32 v196, v152
	v_mov_b32_e32 v197, v153
	;; [unrolled: 1-line block ×18, first 2 shown]
	ds_write2_b64 v232, v[196:197], v[198:199] offset0:38 offset1:39
	ds_write2_b64 v232, v[200:201], v[202:203] offset0:40 offset1:41
	ds_write2_b64 v232, v[204:205], v[206:207] offset0:42 offset1:43
	ds_write2_b64 v232, v[208:209], v[210:211] offset0:44 offset1:45
	ds_write2_b64 v232, v[212:213], v[194:195] offset0:46 offset1:47
	ds_read_b64 v[196:197], v1
	s_waitcnt lgkmcnt(0)
	v_cmp_neq_f64_e32 vcc_lo, 0, v[196:197]
	s_and_b32 exec_lo, exec_lo, vcc_lo
	s_cbranch_execz .LBB95_29
; %bb.28:
	v_div_scale_f64 v[198:199], null, v[196:197], v[196:197], 1.0
	v_rcp_f64_e32 v[200:201], v[198:199]
	v_fma_f64 v[202:203], -v[198:199], v[200:201], 1.0
	v_fma_f64 v[200:201], v[200:201], v[202:203], v[200:201]
	v_fma_f64 v[202:203], -v[198:199], v[200:201], 1.0
	v_fma_f64 v[200:201], v[200:201], v[202:203], v[200:201]
	v_div_scale_f64 v[202:203], vcc_lo, 1.0, v[196:197], 1.0
	v_mul_f64 v[204:205], v[202:203], v[200:201]
	v_fma_f64 v[198:199], -v[198:199], v[204:205], v[202:203]
	v_div_fmas_f64 v[198:199], v[198:199], v[200:201], v[204:205]
	v_div_fixup_f64 v[196:197], v[198:199], v[196:197], 1.0
	ds_write_b64 v1, v[196:197]
.LBB95_29:
	s_or_b32 exec_lo, exec_lo, s1
	s_waitcnt lgkmcnt(0)
	s_barrier
	buffer_gl0_inv
	ds_read_b64 v[4:5], v1
	s_mov_b32 s1, exec_lo
	s_waitcnt lgkmcnt(0)
	buffer_store_dword v4, off, s[12:15], 0 offset:48 ; 4-byte Folded Spill
	buffer_store_dword v5, off, s[12:15], 0 offset:52 ; 4-byte Folded Spill
	v_cmpx_lt_u32_e32 5, v0
	s_cbranch_execz .LBB95_31
; %bb.30:
	s_clause 0x1
	buffer_load_dword v4, off, s[12:15], 0 offset:48
	buffer_load_dword v5, off, s[12:15], 0 offset:52
	ds_read2_b64 v[196:199], v232 offset0:6 offset1:7
	ds_read2_b64 v[200:203], v232 offset0:8 offset1:9
	;; [unrolled: 1-line block ×11, first 2 shown]
	s_waitcnt vmcnt(0)
	v_mul_f64 v[100:101], v[4:5], v[100:101]
	s_waitcnt lgkmcnt(10)
	v_fma_f64 v[102:103], -v[100:101], v[196:197], v[102:103]
	v_fma_f64 v[98:99], -v[100:101], v[198:199], v[98:99]
	s_waitcnt lgkmcnt(9)
	v_fma_f64 v[114:115], -v[100:101], v[200:201], v[114:115]
	v_fma_f64 v[110:111], -v[100:101], v[202:203], v[110:111]
	;; [unrolled: 3-line block ×6, first 2 shown]
	ds_read2_b64 v[196:199], v232 offset0:28 offset1:29
	ds_read2_b64 v[200:203], v232 offset0:30 offset1:31
	s_waitcnt lgkmcnt(6)
	v_fma_f64 v[178:179], -v[100:101], v[220:221], v[178:179]
	v_fma_f64 v[142:143], -v[100:101], v[222:223], v[142:143]
	ds_read2_b64 v[204:207], v232 offset0:32 offset1:33
	ds_read2_b64 v[208:211], v232 offset0:34 offset1:35
	s_waitcnt lgkmcnt(7)
	v_fma_f64 v[170:171], -v[100:101], v[224:225], v[170:171]
	v_fma_f64 v[140:141], -v[100:101], v[226:227], v[140:141]
	;; [unrolled: 5-line block ×5, first 2 shown]
	s_waitcnt lgkmcnt(9)
	v_fma_f64 v[162:163], -v[100:101], v[196:197], v[162:163]
	v_fma_f64 v[132:133], -v[100:101], v[198:199], v[132:133]
	s_waitcnt lgkmcnt(8)
	v_fma_f64 v[160:161], -v[100:101], v[200:201], v[160:161]
	v_fma_f64 v[130:131], -v[100:101], v[202:203], v[130:131]
	;; [unrolled: 3-line block ×10, first 2 shown]
.LBB95_31:
	s_or_b32 exec_lo, exec_lo, s1
	s_mov_b32 s1, exec_lo
	s_waitcnt_vscnt null, 0x0
	s_barrier
	buffer_gl0_inv
	v_cmpx_eq_u32_e32 6, v0
	s_cbranch_execz .LBB95_34
; %bb.32:
	ds_write_b64 v1, v[102:103]
	ds_write2_b64 v232, v[98:99], v[114:115] offset0:7 offset1:8
	ds_write2_b64 v232, v[110:111], v[112:113] offset0:9 offset1:10
	;; [unrolled: 1-line block ×20, first 2 shown]
	ds_write_b64 v232, v[194:195] offset:376
	ds_read_b64 v[196:197], v1
	s_waitcnt lgkmcnt(0)
	v_cmp_neq_f64_e32 vcc_lo, 0, v[196:197]
	s_and_b32 exec_lo, exec_lo, vcc_lo
	s_cbranch_execz .LBB95_34
; %bb.33:
	v_div_scale_f64 v[198:199], null, v[196:197], v[196:197], 1.0
	v_rcp_f64_e32 v[200:201], v[198:199]
	v_fma_f64 v[202:203], -v[198:199], v[200:201], 1.0
	v_fma_f64 v[200:201], v[200:201], v[202:203], v[200:201]
	v_fma_f64 v[202:203], -v[198:199], v[200:201], 1.0
	v_fma_f64 v[200:201], v[200:201], v[202:203], v[200:201]
	v_div_scale_f64 v[202:203], vcc_lo, 1.0, v[196:197], 1.0
	v_mul_f64 v[204:205], v[202:203], v[200:201]
	v_fma_f64 v[198:199], -v[198:199], v[204:205], v[202:203]
	v_div_fmas_f64 v[198:199], v[198:199], v[200:201], v[204:205]
	v_div_fixup_f64 v[196:197], v[198:199], v[196:197], 1.0
	ds_write_b64 v1, v[196:197]
.LBB95_34:
	s_or_b32 exec_lo, exec_lo, s1
	s_waitcnt lgkmcnt(0)
	s_barrier
	buffer_gl0_inv
	ds_read_b64 v[4:5], v1
	s_mov_b32 s1, exec_lo
	s_waitcnt lgkmcnt(0)
	buffer_store_dword v4, off, s[12:15], 0 offset:56 ; 4-byte Folded Spill
	buffer_store_dword v5, off, s[12:15], 0 offset:60 ; 4-byte Folded Spill
	v_cmpx_lt_u32_e32 6, v0
	s_cbranch_execz .LBB95_36
; %bb.35:
	s_clause 0x1
	buffer_load_dword v4, off, s[12:15], 0 offset:56
	buffer_load_dword v5, off, s[12:15], 0 offset:60
	ds_read2_b64 v[196:199], v232 offset0:7 offset1:8
	ds_read2_b64 v[200:203], v232 offset0:9 offset1:10
	;; [unrolled: 1-line block ×11, first 2 shown]
	s_waitcnt vmcnt(0)
	v_mul_f64 v[102:103], v[4:5], v[102:103]
	s_waitcnt lgkmcnt(10)
	v_fma_f64 v[98:99], -v[102:103], v[196:197], v[98:99]
	v_fma_f64 v[114:115], -v[102:103], v[198:199], v[114:115]
	s_waitcnt lgkmcnt(9)
	v_fma_f64 v[110:111], -v[102:103], v[200:201], v[110:111]
	v_fma_f64 v[112:113], -v[102:103], v[202:203], v[112:113]
	;; [unrolled: 3-line block ×6, first 2 shown]
	ds_read2_b64 v[196:199], v232 offset0:29 offset1:30
	ds_read2_b64 v[200:203], v232 offset0:31 offset1:32
	s_waitcnt lgkmcnt(6)
	v_fma_f64 v[142:143], -v[102:103], v[220:221], v[142:143]
	v_fma_f64 v[170:171], -v[102:103], v[222:223], v[170:171]
	ds_read2_b64 v[204:207], v232 offset0:33 offset1:34
	ds_read2_b64 v[208:211], v232 offset0:35 offset1:36
	s_waitcnt lgkmcnt(7)
	v_fma_f64 v[140:141], -v[102:103], v[224:225], v[140:141]
	v_fma_f64 v[168:169], -v[102:103], v[226:227], v[168:169]
	;; [unrolled: 5-line block ×3, first 2 shown]
	ds_read2_b64 v[220:223], v232 offset0:41 offset1:42
	ds_read2_b64 v[224:227], v232 offset0:43 offset1:44
	s_waitcnt lgkmcnt(9)
	v_fma_f64 v[136:137], -v[102:103], v[233:234], v[136:137]
	ds_read2_b64 v[228:231], v232 offset0:45 offset1:46
	ds_read_b64 v[233:234], v232 offset:376
	v_fma_f64 v[164:165], -v[102:103], v[235:236], v[164:165]
	s_waitcnt lgkmcnt(10)
	v_fma_f64 v[134:135], -v[102:103], v[237:238], v[134:135]
	v_fma_f64 v[162:163], -v[102:103], v[239:240], v[162:163]
	s_waitcnt lgkmcnt(9)
	v_fma_f64 v[132:133], -v[102:103], v[196:197], v[132:133]
	;; [unrolled: 3-line block ×11, first 2 shown]
.LBB95_36:
	s_or_b32 exec_lo, exec_lo, s1
	s_mov_b32 s1, exec_lo
	s_waitcnt_vscnt null, 0x0
	s_barrier
	buffer_gl0_inv
	v_cmpx_eq_u32_e32 7, v0
	s_cbranch_execz .LBB95_39
; %bb.37:
	v_mov_b32_e32 v196, v114
	v_mov_b32_e32 v197, v115
	;; [unrolled: 1-line block ×20, first 2 shown]
	ds_write_b64 v1, v[98:99]
	ds_write2_b64 v232, v[196:197], v[198:199] offset0:8 offset1:9
	ds_write2_b64 v232, v[200:201], v[202:203] offset0:10 offset1:11
	;; [unrolled: 1-line block ×5, first 2 shown]
	v_mov_b32_e32 v196, v178
	v_mov_b32_e32 v197, v179
	;; [unrolled: 1-line block ×20, first 2 shown]
	ds_write2_b64 v232, v[196:197], v[198:199] offset0:18 offset1:19
	ds_write2_b64 v232, v[200:201], v[202:203] offset0:20 offset1:21
	;; [unrolled: 1-line block ×5, first 2 shown]
	v_mov_b32_e32 v196, v162
	v_mov_b32_e32 v197, v163
	;; [unrolled: 1-line block ×20, first 2 shown]
	ds_write2_b64 v232, v[196:197], v[198:199] offset0:28 offset1:29
	ds_write2_b64 v232, v[200:201], v[202:203] offset0:30 offset1:31
	;; [unrolled: 1-line block ×5, first 2 shown]
	v_mov_b32_e32 v196, v152
	v_mov_b32_e32 v197, v153
	;; [unrolled: 1-line block ×18, first 2 shown]
	ds_write2_b64 v232, v[196:197], v[198:199] offset0:38 offset1:39
	ds_write2_b64 v232, v[200:201], v[202:203] offset0:40 offset1:41
	ds_write2_b64 v232, v[204:205], v[206:207] offset0:42 offset1:43
	ds_write2_b64 v232, v[208:209], v[210:211] offset0:44 offset1:45
	ds_write2_b64 v232, v[212:213], v[194:195] offset0:46 offset1:47
	ds_read_b64 v[196:197], v1
	s_waitcnt lgkmcnt(0)
	v_cmp_neq_f64_e32 vcc_lo, 0, v[196:197]
	s_and_b32 exec_lo, exec_lo, vcc_lo
	s_cbranch_execz .LBB95_39
; %bb.38:
	v_div_scale_f64 v[198:199], null, v[196:197], v[196:197], 1.0
	v_rcp_f64_e32 v[200:201], v[198:199]
	v_fma_f64 v[202:203], -v[198:199], v[200:201], 1.0
	v_fma_f64 v[200:201], v[200:201], v[202:203], v[200:201]
	v_fma_f64 v[202:203], -v[198:199], v[200:201], 1.0
	v_fma_f64 v[200:201], v[200:201], v[202:203], v[200:201]
	v_div_scale_f64 v[202:203], vcc_lo, 1.0, v[196:197], 1.0
	v_mul_f64 v[204:205], v[202:203], v[200:201]
	v_fma_f64 v[198:199], -v[198:199], v[204:205], v[202:203]
	v_div_fmas_f64 v[198:199], v[198:199], v[200:201], v[204:205]
	v_div_fixup_f64 v[196:197], v[198:199], v[196:197], 1.0
	ds_write_b64 v1, v[196:197]
.LBB95_39:
	s_or_b32 exec_lo, exec_lo, s1
	s_waitcnt lgkmcnt(0)
	s_barrier
	buffer_gl0_inv
	ds_read_b64 v[4:5], v1
	s_mov_b32 s1, exec_lo
	s_waitcnt lgkmcnt(0)
	buffer_store_dword v4, off, s[12:15], 0 offset:64 ; 4-byte Folded Spill
	buffer_store_dword v5, off, s[12:15], 0 offset:68 ; 4-byte Folded Spill
	v_cmpx_lt_u32_e32 7, v0
	s_cbranch_execz .LBB95_41
; %bb.40:
	s_clause 0x1
	buffer_load_dword v4, off, s[12:15], 0 offset:64
	buffer_load_dword v5, off, s[12:15], 0 offset:68
	ds_read2_b64 v[196:199], v232 offset0:8 offset1:9
	s_waitcnt vmcnt(0)
	v_mul_f64 v[98:99], v[4:5], v[98:99]
	s_waitcnt lgkmcnt(0)
	v_fma_f64 v[114:115], -v[98:99], v[196:197], v[114:115]
	v_fma_f64 v[110:111], -v[98:99], v[198:199], v[110:111]
	ds_read2_b64 v[196:199], v232 offset0:10 offset1:11
	s_waitcnt lgkmcnt(0)
	v_fma_f64 v[112:113], -v[98:99], v[196:197], v[112:113]
	v_fma_f64 v[108:109], -v[98:99], v[198:199], v[108:109]
	ds_read2_b64 v[196:199], v232 offset0:12 offset1:13
	;; [unrolled: 4-line block ×19, first 2 shown]
	s_waitcnt lgkmcnt(0)
	v_fma_f64 v[144:145], -v[98:99], v[196:197], v[144:145]
	v_fma_f64 v[194:195], -v[98:99], v[198:199], v[194:195]
.LBB95_41:
	s_or_b32 exec_lo, exec_lo, s1
	s_mov_b32 s1, exec_lo
	s_waitcnt_vscnt null, 0x0
	s_barrier
	buffer_gl0_inv
	v_cmpx_eq_u32_e32 8, v0
	s_cbranch_execz .LBB95_44
; %bb.42:
	ds_write_b64 v1, v[114:115]
	ds_write2_b64 v232, v[110:111], v[112:113] offset0:9 offset1:10
	ds_write2_b64 v232, v[108:109], v[184:185] offset0:11 offset1:12
	;; [unrolled: 1-line block ×19, first 2 shown]
	ds_write_b64 v232, v[194:195] offset:376
	ds_read_b64 v[196:197], v1
	s_waitcnt lgkmcnt(0)
	v_cmp_neq_f64_e32 vcc_lo, 0, v[196:197]
	s_and_b32 exec_lo, exec_lo, vcc_lo
	s_cbranch_execz .LBB95_44
; %bb.43:
	v_div_scale_f64 v[198:199], null, v[196:197], v[196:197], 1.0
	v_rcp_f64_e32 v[200:201], v[198:199]
	v_fma_f64 v[202:203], -v[198:199], v[200:201], 1.0
	v_fma_f64 v[200:201], v[200:201], v[202:203], v[200:201]
	v_fma_f64 v[202:203], -v[198:199], v[200:201], 1.0
	v_fma_f64 v[200:201], v[200:201], v[202:203], v[200:201]
	v_div_scale_f64 v[202:203], vcc_lo, 1.0, v[196:197], 1.0
	v_mul_f64 v[204:205], v[202:203], v[200:201]
	v_fma_f64 v[198:199], -v[198:199], v[204:205], v[202:203]
	v_div_fmas_f64 v[198:199], v[198:199], v[200:201], v[204:205]
	v_div_fixup_f64 v[196:197], v[198:199], v[196:197], 1.0
	ds_write_b64 v1, v[196:197]
.LBB95_44:
	s_or_b32 exec_lo, exec_lo, s1
	s_waitcnt lgkmcnt(0)
	s_barrier
	buffer_gl0_inv
	ds_read_b64 v[4:5], v1
	s_mov_b32 s1, exec_lo
	s_waitcnt lgkmcnt(0)
	buffer_store_dword v4, off, s[12:15], 0 offset:72 ; 4-byte Folded Spill
	buffer_store_dword v5, off, s[12:15], 0 offset:76 ; 4-byte Folded Spill
	v_cmpx_lt_u32_e32 8, v0
	s_cbranch_execz .LBB95_46
; %bb.45:
	s_clause 0x1
	buffer_load_dword v4, off, s[12:15], 0 offset:72
	buffer_load_dword v5, off, s[12:15], 0 offset:76
	ds_read2_b64 v[196:199], v232 offset0:9 offset1:10
	s_waitcnt vmcnt(0)
	v_mul_f64 v[114:115], v[4:5], v[114:115]
	s_waitcnt lgkmcnt(0)
	v_fma_f64 v[110:111], -v[114:115], v[196:197], v[110:111]
	v_fma_f64 v[112:113], -v[114:115], v[198:199], v[112:113]
	ds_read2_b64 v[196:199], v232 offset0:11 offset1:12
	s_waitcnt lgkmcnt(0)
	v_fma_f64 v[108:109], -v[114:115], v[196:197], v[108:109]
	v_fma_f64 v[184:185], -v[114:115], v[198:199], v[184:185]
	ds_read2_b64 v[196:199], v232 offset0:13 offset1:14
	;; [unrolled: 4-line block ×18, first 2 shown]
	s_waitcnt lgkmcnt(0)
	v_fma_f64 v[116:117], -v[114:115], v[196:197], v[116:117]
	ds_read_b64 v[196:197], v232 offset:376
	v_fma_f64 v[144:145], -v[114:115], v[198:199], v[144:145]
	s_waitcnt lgkmcnt(0)
	v_fma_f64 v[194:195], -v[114:115], v[196:197], v[194:195]
.LBB95_46:
	s_or_b32 exec_lo, exec_lo, s1
	s_mov_b32 s1, exec_lo
	s_waitcnt_vscnt null, 0x0
	s_barrier
	buffer_gl0_inv
	v_cmpx_eq_u32_e32 9, v0
	s_cbranch_execz .LBB95_49
; %bb.47:
	v_mov_b32_e32 v196, v112
	v_mov_b32_e32 v197, v113
	;; [unrolled: 1-line block ×16, first 2 shown]
	ds_write_b64 v1, v[110:111]
	ds_write2_b64 v232, v[196:197], v[198:199] offset0:10 offset1:11
	ds_write2_b64 v232, v[200:201], v[202:203] offset0:12 offset1:13
	;; [unrolled: 1-line block ×4, first 2 shown]
	v_mov_b32_e32 v196, v178
	v_mov_b32_e32 v197, v179
	;; [unrolled: 1-line block ×20, first 2 shown]
	ds_write2_b64 v232, v[196:197], v[198:199] offset0:18 offset1:19
	ds_write2_b64 v232, v[200:201], v[202:203] offset0:20 offset1:21
	;; [unrolled: 1-line block ×5, first 2 shown]
	v_mov_b32_e32 v196, v162
	v_mov_b32_e32 v197, v163
	;; [unrolled: 1-line block ×20, first 2 shown]
	ds_write2_b64 v232, v[196:197], v[198:199] offset0:28 offset1:29
	ds_write2_b64 v232, v[200:201], v[202:203] offset0:30 offset1:31
	ds_write2_b64 v232, v[204:205], v[206:207] offset0:32 offset1:33
	ds_write2_b64 v232, v[208:209], v[210:211] offset0:34 offset1:35
	ds_write2_b64 v232, v[212:213], v[214:215] offset0:36 offset1:37
	v_mov_b32_e32 v196, v152
	v_mov_b32_e32 v197, v153
	;; [unrolled: 1-line block ×18, first 2 shown]
	ds_write2_b64 v232, v[196:197], v[198:199] offset0:38 offset1:39
	ds_write2_b64 v232, v[200:201], v[202:203] offset0:40 offset1:41
	ds_write2_b64 v232, v[204:205], v[206:207] offset0:42 offset1:43
	ds_write2_b64 v232, v[208:209], v[210:211] offset0:44 offset1:45
	ds_write2_b64 v232, v[212:213], v[194:195] offset0:46 offset1:47
	ds_read_b64 v[196:197], v1
	s_waitcnt lgkmcnt(0)
	v_cmp_neq_f64_e32 vcc_lo, 0, v[196:197]
	s_and_b32 exec_lo, exec_lo, vcc_lo
	s_cbranch_execz .LBB95_49
; %bb.48:
	v_div_scale_f64 v[198:199], null, v[196:197], v[196:197], 1.0
	v_rcp_f64_e32 v[200:201], v[198:199]
	v_fma_f64 v[202:203], -v[198:199], v[200:201], 1.0
	v_fma_f64 v[200:201], v[200:201], v[202:203], v[200:201]
	v_fma_f64 v[202:203], -v[198:199], v[200:201], 1.0
	v_fma_f64 v[200:201], v[200:201], v[202:203], v[200:201]
	v_div_scale_f64 v[202:203], vcc_lo, 1.0, v[196:197], 1.0
	v_mul_f64 v[204:205], v[202:203], v[200:201]
	v_fma_f64 v[198:199], -v[198:199], v[204:205], v[202:203]
	v_div_fmas_f64 v[198:199], v[198:199], v[200:201], v[204:205]
	v_div_fixup_f64 v[196:197], v[198:199], v[196:197], 1.0
	ds_write_b64 v1, v[196:197]
.LBB95_49:
	s_or_b32 exec_lo, exec_lo, s1
	s_waitcnt lgkmcnt(0)
	s_barrier
	buffer_gl0_inv
	ds_read_b64 v[4:5], v1
	s_mov_b32 s1, exec_lo
	s_waitcnt lgkmcnt(0)
	buffer_store_dword v4, off, s[12:15], 0 offset:80 ; 4-byte Folded Spill
	buffer_store_dword v5, off, s[12:15], 0 offset:84 ; 4-byte Folded Spill
	v_cmpx_lt_u32_e32 9, v0
	s_cbranch_execz .LBB95_51
; %bb.50:
	s_clause 0x1
	buffer_load_dword v4, off, s[12:15], 0 offset:80
	buffer_load_dword v5, off, s[12:15], 0 offset:84
	ds_read2_b64 v[196:199], v232 offset0:10 offset1:11
	s_waitcnt vmcnt(0)
	v_mul_f64 v[110:111], v[4:5], v[110:111]
	s_waitcnt lgkmcnt(0)
	v_fma_f64 v[112:113], -v[110:111], v[196:197], v[112:113]
	v_fma_f64 v[108:109], -v[110:111], v[198:199], v[108:109]
	ds_read2_b64 v[196:199], v232 offset0:12 offset1:13
	s_waitcnt lgkmcnt(0)
	v_fma_f64 v[184:185], -v[110:111], v[196:197], v[184:185]
	v_fma_f64 v[176:177], -v[110:111], v[198:199], v[176:177]
	ds_read2_b64 v[196:199], v232 offset0:14 offset1:15
	;; [unrolled: 4-line block ×18, first 2 shown]
	s_waitcnt lgkmcnt(0)
	v_fma_f64 v[144:145], -v[110:111], v[196:197], v[144:145]
	v_fma_f64 v[194:195], -v[110:111], v[198:199], v[194:195]
.LBB95_51:
	s_or_b32 exec_lo, exec_lo, s1
	s_mov_b32 s1, exec_lo
	s_waitcnt_vscnt null, 0x0
	s_barrier
	buffer_gl0_inv
	v_cmpx_eq_u32_e32 10, v0
	s_cbranch_execz .LBB95_54
; %bb.52:
	ds_write_b64 v1, v[112:113]
	ds_write2_b64 v232, v[108:109], v[184:185] offset0:11 offset1:12
	ds_write2_b64 v232, v[176:177], v[182:183] offset0:13 offset1:14
	;; [unrolled: 1-line block ×18, first 2 shown]
	ds_write_b64 v232, v[194:195] offset:376
	ds_read_b64 v[196:197], v1
	s_waitcnt lgkmcnt(0)
	v_cmp_neq_f64_e32 vcc_lo, 0, v[196:197]
	s_and_b32 exec_lo, exec_lo, vcc_lo
	s_cbranch_execz .LBB95_54
; %bb.53:
	v_div_scale_f64 v[198:199], null, v[196:197], v[196:197], 1.0
	v_rcp_f64_e32 v[200:201], v[198:199]
	v_fma_f64 v[202:203], -v[198:199], v[200:201], 1.0
	v_fma_f64 v[200:201], v[200:201], v[202:203], v[200:201]
	v_fma_f64 v[202:203], -v[198:199], v[200:201], 1.0
	v_fma_f64 v[200:201], v[200:201], v[202:203], v[200:201]
	v_div_scale_f64 v[202:203], vcc_lo, 1.0, v[196:197], 1.0
	v_mul_f64 v[204:205], v[202:203], v[200:201]
	v_fma_f64 v[198:199], -v[198:199], v[204:205], v[202:203]
	v_div_fmas_f64 v[198:199], v[198:199], v[200:201], v[204:205]
	v_div_fixup_f64 v[196:197], v[198:199], v[196:197], 1.0
	ds_write_b64 v1, v[196:197]
.LBB95_54:
	s_or_b32 exec_lo, exec_lo, s1
	s_waitcnt lgkmcnt(0)
	s_barrier
	buffer_gl0_inv
	ds_read_b64 v[4:5], v1
	s_mov_b32 s1, exec_lo
	s_waitcnt lgkmcnt(0)
	buffer_store_dword v4, off, s[12:15], 0 offset:88 ; 4-byte Folded Spill
	buffer_store_dword v5, off, s[12:15], 0 offset:92 ; 4-byte Folded Spill
	v_cmpx_lt_u32_e32 10, v0
	s_cbranch_execz .LBB95_56
; %bb.55:
	s_clause 0x1
	buffer_load_dword v4, off, s[12:15], 0 offset:88
	buffer_load_dword v5, off, s[12:15], 0 offset:92
	ds_read2_b64 v[196:199], v232 offset0:11 offset1:12
	s_waitcnt vmcnt(0)
	v_mul_f64 v[112:113], v[4:5], v[112:113]
	s_waitcnt lgkmcnt(0)
	v_fma_f64 v[108:109], -v[112:113], v[196:197], v[108:109]
	v_fma_f64 v[184:185], -v[112:113], v[198:199], v[184:185]
	ds_read2_b64 v[196:199], v232 offset0:13 offset1:14
	s_waitcnt lgkmcnt(0)
	v_fma_f64 v[176:177], -v[112:113], v[196:197], v[176:177]
	v_fma_f64 v[182:183], -v[112:113], v[198:199], v[182:183]
	ds_read2_b64 v[196:199], v232 offset0:15 offset1:16
	;; [unrolled: 4-line block ×17, first 2 shown]
	s_waitcnt lgkmcnt(0)
	v_fma_f64 v[116:117], -v[112:113], v[196:197], v[116:117]
	ds_read_b64 v[196:197], v232 offset:376
	v_fma_f64 v[144:145], -v[112:113], v[198:199], v[144:145]
	s_waitcnt lgkmcnt(0)
	v_fma_f64 v[194:195], -v[112:113], v[196:197], v[194:195]
.LBB95_56:
	s_or_b32 exec_lo, exec_lo, s1
	s_mov_b32 s1, exec_lo
	s_waitcnt_vscnt null, 0x0
	s_barrier
	buffer_gl0_inv
	v_cmpx_eq_u32_e32 11, v0
	s_cbranch_execz .LBB95_59
; %bb.57:
	v_mov_b32_e32 v196, v184
	v_mov_b32_e32 v197, v185
	;; [unrolled: 1-line block ×12, first 2 shown]
	ds_write_b64 v1, v[108:109]
	ds_write2_b64 v232, v[196:197], v[198:199] offset0:12 offset1:13
	ds_write2_b64 v232, v[200:201], v[202:203] offset0:14 offset1:15
	;; [unrolled: 1-line block ×3, first 2 shown]
	v_mov_b32_e32 v196, v178
	v_mov_b32_e32 v197, v179
	;; [unrolled: 1-line block ×20, first 2 shown]
	ds_write2_b64 v232, v[196:197], v[198:199] offset0:18 offset1:19
	ds_write2_b64 v232, v[200:201], v[202:203] offset0:20 offset1:21
	;; [unrolled: 1-line block ×5, first 2 shown]
	v_mov_b32_e32 v196, v162
	v_mov_b32_e32 v197, v163
	;; [unrolled: 1-line block ×20, first 2 shown]
	ds_write2_b64 v232, v[196:197], v[198:199] offset0:28 offset1:29
	ds_write2_b64 v232, v[200:201], v[202:203] offset0:30 offset1:31
	;; [unrolled: 1-line block ×5, first 2 shown]
	v_mov_b32_e32 v196, v152
	v_mov_b32_e32 v197, v153
	;; [unrolled: 1-line block ×18, first 2 shown]
	ds_write2_b64 v232, v[196:197], v[198:199] offset0:38 offset1:39
	ds_write2_b64 v232, v[200:201], v[202:203] offset0:40 offset1:41
	;; [unrolled: 1-line block ×5, first 2 shown]
	ds_read_b64 v[196:197], v1
	s_waitcnt lgkmcnt(0)
	v_cmp_neq_f64_e32 vcc_lo, 0, v[196:197]
	s_and_b32 exec_lo, exec_lo, vcc_lo
	s_cbranch_execz .LBB95_59
; %bb.58:
	v_div_scale_f64 v[198:199], null, v[196:197], v[196:197], 1.0
	v_rcp_f64_e32 v[200:201], v[198:199]
	v_fma_f64 v[202:203], -v[198:199], v[200:201], 1.0
	v_fma_f64 v[200:201], v[200:201], v[202:203], v[200:201]
	v_fma_f64 v[202:203], -v[198:199], v[200:201], 1.0
	v_fma_f64 v[200:201], v[200:201], v[202:203], v[200:201]
	v_div_scale_f64 v[202:203], vcc_lo, 1.0, v[196:197], 1.0
	v_mul_f64 v[204:205], v[202:203], v[200:201]
	v_fma_f64 v[198:199], -v[198:199], v[204:205], v[202:203]
	v_div_fmas_f64 v[198:199], v[198:199], v[200:201], v[204:205]
	v_div_fixup_f64 v[196:197], v[198:199], v[196:197], 1.0
	ds_write_b64 v1, v[196:197]
.LBB95_59:
	s_or_b32 exec_lo, exec_lo, s1
	s_waitcnt lgkmcnt(0)
	s_barrier
	buffer_gl0_inv
	ds_read_b64 v[4:5], v1
	s_mov_b32 s1, exec_lo
	s_waitcnt lgkmcnt(0)
	buffer_store_dword v4, off, s[12:15], 0 offset:96 ; 4-byte Folded Spill
	buffer_store_dword v5, off, s[12:15], 0 offset:100 ; 4-byte Folded Spill
	v_cmpx_lt_u32_e32 11, v0
	s_cbranch_execz .LBB95_61
; %bb.60:
	s_clause 0x1
	buffer_load_dword v4, off, s[12:15], 0 offset:96
	buffer_load_dword v5, off, s[12:15], 0 offset:100
	ds_read2_b64 v[196:199], v232 offset0:12 offset1:13
	s_waitcnt vmcnt(0)
	v_mul_f64 v[108:109], v[4:5], v[108:109]
	s_waitcnt lgkmcnt(0)
	v_fma_f64 v[184:185], -v[108:109], v[196:197], v[184:185]
	v_fma_f64 v[176:177], -v[108:109], v[198:199], v[176:177]
	ds_read2_b64 v[196:199], v232 offset0:14 offset1:15
	s_waitcnt lgkmcnt(0)
	v_fma_f64 v[182:183], -v[108:109], v[196:197], v[182:183]
	v_fma_f64 v[174:175], -v[108:109], v[198:199], v[174:175]
	ds_read2_b64 v[196:199], v232 offset0:16 offset1:17
	;; [unrolled: 4-line block ×17, first 2 shown]
	s_waitcnt lgkmcnt(0)
	v_fma_f64 v[144:145], -v[108:109], v[196:197], v[144:145]
	v_fma_f64 v[194:195], -v[108:109], v[198:199], v[194:195]
.LBB95_61:
	s_or_b32 exec_lo, exec_lo, s1
	s_mov_b32 s1, exec_lo
	s_waitcnt_vscnt null, 0x0
	s_barrier
	buffer_gl0_inv
	v_cmpx_eq_u32_e32 12, v0
	s_cbranch_execz .LBB95_64
; %bb.62:
	ds_write_b64 v1, v[184:185]
	ds_write2_b64 v232, v[176:177], v[182:183] offset0:13 offset1:14
	ds_write2_b64 v232, v[174:175], v[180:181] offset0:15 offset1:16
	;; [unrolled: 1-line block ×17, first 2 shown]
	ds_write_b64 v232, v[194:195] offset:376
	ds_read_b64 v[196:197], v1
	s_waitcnt lgkmcnt(0)
	v_cmp_neq_f64_e32 vcc_lo, 0, v[196:197]
	s_and_b32 exec_lo, exec_lo, vcc_lo
	s_cbranch_execz .LBB95_64
; %bb.63:
	v_div_scale_f64 v[198:199], null, v[196:197], v[196:197], 1.0
	v_rcp_f64_e32 v[200:201], v[198:199]
	v_fma_f64 v[202:203], -v[198:199], v[200:201], 1.0
	v_fma_f64 v[200:201], v[200:201], v[202:203], v[200:201]
	v_fma_f64 v[202:203], -v[198:199], v[200:201], 1.0
	v_fma_f64 v[200:201], v[200:201], v[202:203], v[200:201]
	v_div_scale_f64 v[202:203], vcc_lo, 1.0, v[196:197], 1.0
	v_mul_f64 v[204:205], v[202:203], v[200:201]
	v_fma_f64 v[198:199], -v[198:199], v[204:205], v[202:203]
	v_div_fmas_f64 v[198:199], v[198:199], v[200:201], v[204:205]
	v_div_fixup_f64 v[196:197], v[198:199], v[196:197], 1.0
	ds_write_b64 v1, v[196:197]
.LBB95_64:
	s_or_b32 exec_lo, exec_lo, s1
	s_waitcnt lgkmcnt(0)
	s_barrier
	buffer_gl0_inv
	ds_read_b64 v[4:5], v1
	s_mov_b32 s1, exec_lo
	s_waitcnt lgkmcnt(0)
	buffer_store_dword v4, off, s[12:15], 0 offset:104 ; 4-byte Folded Spill
	buffer_store_dword v5, off, s[12:15], 0 offset:108 ; 4-byte Folded Spill
	v_cmpx_lt_u32_e32 12, v0
	s_cbranch_execz .LBB95_66
; %bb.65:
	s_clause 0x1
	buffer_load_dword v4, off, s[12:15], 0 offset:104
	buffer_load_dword v5, off, s[12:15], 0 offset:108
	ds_read2_b64 v[196:199], v232 offset0:13 offset1:14
	s_waitcnt vmcnt(0)
	v_mul_f64 v[184:185], v[4:5], v[184:185]
	s_waitcnt lgkmcnt(0)
	v_fma_f64 v[176:177], -v[184:185], v[196:197], v[176:177]
	v_fma_f64 v[182:183], -v[184:185], v[198:199], v[182:183]
	ds_read2_b64 v[196:199], v232 offset0:15 offset1:16
	s_waitcnt lgkmcnt(0)
	v_fma_f64 v[174:175], -v[184:185], v[196:197], v[174:175]
	v_fma_f64 v[180:181], -v[184:185], v[198:199], v[180:181]
	ds_read2_b64 v[196:199], v232 offset0:17 offset1:18
	s_waitcnt lgkmcnt(0)
	v_fma_f64 v[172:173], -v[184:185], v[196:197], v[172:173]
	v_fma_f64 v[178:179], -v[184:185], v[198:199], v[178:179]
	ds_read2_b64 v[196:199], v232 offset0:19 offset1:20
	s_waitcnt lgkmcnt(0)
	v_fma_f64 v[142:143], -v[184:185], v[196:197], v[142:143]
	v_fma_f64 v[170:171], -v[184:185], v[198:199], v[170:171]
	ds_read2_b64 v[196:199], v232 offset0:21 offset1:22
	s_waitcnt lgkmcnt(0)
	v_fma_f64 v[140:141], -v[184:185], v[196:197], v[140:141]
	v_fma_f64 v[168:169], -v[184:185], v[198:199], v[168:169]
	ds_read2_b64 v[196:199], v232 offset0:23 offset1:24
	s_waitcnt lgkmcnt(0)
	v_fma_f64 v[138:139], -v[184:185], v[196:197], v[138:139]
	v_fma_f64 v[166:167], -v[184:185], v[198:199], v[166:167]
	ds_read2_b64 v[196:199], v232 offset0:25 offset1:26
	s_waitcnt lgkmcnt(0)
	v_fma_f64 v[136:137], -v[184:185], v[196:197], v[136:137]
	v_fma_f64 v[164:165], -v[184:185], v[198:199], v[164:165]
	ds_read2_b64 v[196:199], v232 offset0:27 offset1:28
	s_waitcnt lgkmcnt(0)
	v_fma_f64 v[134:135], -v[184:185], v[196:197], v[134:135]
	v_fma_f64 v[162:163], -v[184:185], v[198:199], v[162:163]
	ds_read2_b64 v[196:199], v232 offset0:29 offset1:30
	s_waitcnt lgkmcnt(0)
	v_fma_f64 v[132:133], -v[184:185], v[196:197], v[132:133]
	v_fma_f64 v[160:161], -v[184:185], v[198:199], v[160:161]
	ds_read2_b64 v[196:199], v232 offset0:31 offset1:32
	s_waitcnt lgkmcnt(0)
	v_fma_f64 v[130:131], -v[184:185], v[196:197], v[130:131]
	v_fma_f64 v[158:159], -v[184:185], v[198:199], v[158:159]
	ds_read2_b64 v[196:199], v232 offset0:33 offset1:34
	s_waitcnt lgkmcnt(0)
	v_fma_f64 v[128:129], -v[184:185], v[196:197], v[128:129]
	v_fma_f64 v[156:157], -v[184:185], v[198:199], v[156:157]
	ds_read2_b64 v[196:199], v232 offset0:35 offset1:36
	s_waitcnt lgkmcnt(0)
	v_fma_f64 v[126:127], -v[184:185], v[196:197], v[126:127]
	v_fma_f64 v[154:155], -v[184:185], v[198:199], v[154:155]
	ds_read2_b64 v[196:199], v232 offset0:37 offset1:38
	s_waitcnt lgkmcnt(0)
	v_fma_f64 v[124:125], -v[184:185], v[196:197], v[124:125]
	v_fma_f64 v[152:153], -v[184:185], v[198:199], v[152:153]
	ds_read2_b64 v[196:199], v232 offset0:39 offset1:40
	s_waitcnt lgkmcnt(0)
	v_fma_f64 v[122:123], -v[184:185], v[196:197], v[122:123]
	v_fma_f64 v[150:151], -v[184:185], v[198:199], v[150:151]
	ds_read2_b64 v[196:199], v232 offset0:41 offset1:42
	s_waitcnt lgkmcnt(0)
	v_fma_f64 v[120:121], -v[184:185], v[196:197], v[120:121]
	v_fma_f64 v[148:149], -v[184:185], v[198:199], v[148:149]
	ds_read2_b64 v[196:199], v232 offset0:43 offset1:44
	s_waitcnt lgkmcnt(0)
	v_fma_f64 v[118:119], -v[184:185], v[196:197], v[118:119]
	v_fma_f64 v[146:147], -v[184:185], v[198:199], v[146:147]
	ds_read2_b64 v[196:199], v232 offset0:45 offset1:46
	s_waitcnt lgkmcnt(0)
	v_fma_f64 v[116:117], -v[184:185], v[196:197], v[116:117]
	ds_read_b64 v[196:197], v232 offset:376
	v_fma_f64 v[144:145], -v[184:185], v[198:199], v[144:145]
	s_waitcnt lgkmcnt(0)
	v_fma_f64 v[194:195], -v[184:185], v[196:197], v[194:195]
.LBB95_66:
	s_or_b32 exec_lo, exec_lo, s1
	s_mov_b32 s1, exec_lo
	s_waitcnt_vscnt null, 0x0
	s_barrier
	buffer_gl0_inv
	v_cmpx_eq_u32_e32 13, v0
	s_cbranch_execz .LBB95_69
; %bb.67:
	v_mov_b32_e32 v196, v182
	v_mov_b32_e32 v197, v183
	;; [unrolled: 1-line block ×8, first 2 shown]
	ds_write_b64 v1, v[176:177]
	ds_write2_b64 v232, v[196:197], v[198:199] offset0:14 offset1:15
	ds_write2_b64 v232, v[200:201], v[202:203] offset0:16 offset1:17
	v_mov_b32_e32 v196, v178
	v_mov_b32_e32 v197, v179
	;; [unrolled: 1-line block ×20, first 2 shown]
	ds_write2_b64 v232, v[196:197], v[198:199] offset0:18 offset1:19
	ds_write2_b64 v232, v[200:201], v[202:203] offset0:20 offset1:21
	;; [unrolled: 1-line block ×5, first 2 shown]
	v_mov_b32_e32 v196, v162
	v_mov_b32_e32 v197, v163
	v_mov_b32_e32 v198, v132
	v_mov_b32_e32 v199, v133
	v_mov_b32_e32 v200, v160
	v_mov_b32_e32 v201, v161
	v_mov_b32_e32 v202, v130
	v_mov_b32_e32 v203, v131
	v_mov_b32_e32 v204, v158
	v_mov_b32_e32 v205, v159
	v_mov_b32_e32 v206, v128
	v_mov_b32_e32 v207, v129
	v_mov_b32_e32 v208, v156
	v_mov_b32_e32 v209, v157
	v_mov_b32_e32 v210, v126
	v_mov_b32_e32 v211, v127
	v_mov_b32_e32 v212, v154
	v_mov_b32_e32 v213, v155
	v_mov_b32_e32 v214, v124
	v_mov_b32_e32 v215, v125
	ds_write2_b64 v232, v[196:197], v[198:199] offset0:28 offset1:29
	ds_write2_b64 v232, v[200:201], v[202:203] offset0:30 offset1:31
	ds_write2_b64 v232, v[204:205], v[206:207] offset0:32 offset1:33
	ds_write2_b64 v232, v[208:209], v[210:211] offset0:34 offset1:35
	ds_write2_b64 v232, v[212:213], v[214:215] offset0:36 offset1:37
	v_mov_b32_e32 v196, v152
	v_mov_b32_e32 v197, v153
	;; [unrolled: 1-line block ×18, first 2 shown]
	ds_write2_b64 v232, v[196:197], v[198:199] offset0:38 offset1:39
	ds_write2_b64 v232, v[200:201], v[202:203] offset0:40 offset1:41
	ds_write2_b64 v232, v[204:205], v[206:207] offset0:42 offset1:43
	ds_write2_b64 v232, v[208:209], v[210:211] offset0:44 offset1:45
	ds_write2_b64 v232, v[212:213], v[194:195] offset0:46 offset1:47
	ds_read_b64 v[196:197], v1
	s_waitcnt lgkmcnt(0)
	v_cmp_neq_f64_e32 vcc_lo, 0, v[196:197]
	s_and_b32 exec_lo, exec_lo, vcc_lo
	s_cbranch_execz .LBB95_69
; %bb.68:
	v_div_scale_f64 v[198:199], null, v[196:197], v[196:197], 1.0
	v_rcp_f64_e32 v[200:201], v[198:199]
	v_fma_f64 v[202:203], -v[198:199], v[200:201], 1.0
	v_fma_f64 v[200:201], v[200:201], v[202:203], v[200:201]
	v_fma_f64 v[202:203], -v[198:199], v[200:201], 1.0
	v_fma_f64 v[200:201], v[200:201], v[202:203], v[200:201]
	v_div_scale_f64 v[202:203], vcc_lo, 1.0, v[196:197], 1.0
	v_mul_f64 v[204:205], v[202:203], v[200:201]
	v_fma_f64 v[198:199], -v[198:199], v[204:205], v[202:203]
	v_div_fmas_f64 v[198:199], v[198:199], v[200:201], v[204:205]
	v_div_fixup_f64 v[196:197], v[198:199], v[196:197], 1.0
	ds_write_b64 v1, v[196:197]
.LBB95_69:
	s_or_b32 exec_lo, exec_lo, s1
	s_waitcnt lgkmcnt(0)
	s_barrier
	buffer_gl0_inv
	ds_read_b64 v[4:5], v1
	s_mov_b32 s1, exec_lo
	s_waitcnt lgkmcnt(0)
	buffer_store_dword v4, off, s[12:15], 0 offset:112 ; 4-byte Folded Spill
	buffer_store_dword v5, off, s[12:15], 0 offset:116 ; 4-byte Folded Spill
	v_cmpx_lt_u32_e32 13, v0
	s_cbranch_execz .LBB95_71
; %bb.70:
	s_clause 0x1
	buffer_load_dword v4, off, s[12:15], 0 offset:112
	buffer_load_dword v5, off, s[12:15], 0 offset:116
	ds_read2_b64 v[196:199], v232 offset0:14 offset1:15
	s_waitcnt vmcnt(0)
	v_mul_f64 v[176:177], v[4:5], v[176:177]
	s_waitcnt lgkmcnt(0)
	v_fma_f64 v[182:183], -v[176:177], v[196:197], v[182:183]
	v_fma_f64 v[174:175], -v[176:177], v[198:199], v[174:175]
	ds_read2_b64 v[196:199], v232 offset0:16 offset1:17
	s_waitcnt lgkmcnt(0)
	v_fma_f64 v[180:181], -v[176:177], v[196:197], v[180:181]
	v_fma_f64 v[172:173], -v[176:177], v[198:199], v[172:173]
	ds_read2_b64 v[196:199], v232 offset0:18 offset1:19
	;; [unrolled: 4-line block ×16, first 2 shown]
	s_waitcnt lgkmcnt(0)
	v_fma_f64 v[144:145], -v[176:177], v[196:197], v[144:145]
	v_fma_f64 v[194:195], -v[176:177], v[198:199], v[194:195]
.LBB95_71:
	s_or_b32 exec_lo, exec_lo, s1
	s_mov_b32 s1, exec_lo
	s_waitcnt_vscnt null, 0x0
	s_barrier
	buffer_gl0_inv
	v_cmpx_eq_u32_e32 14, v0
	s_cbranch_execz .LBB95_74
; %bb.72:
	ds_write_b64 v1, v[182:183]
	ds_write2_b64 v232, v[174:175], v[180:181] offset0:15 offset1:16
	ds_write2_b64 v232, v[172:173], v[178:179] offset0:17 offset1:18
	;; [unrolled: 1-line block ×16, first 2 shown]
	ds_write_b64 v232, v[194:195] offset:376
	ds_read_b64 v[196:197], v1
	s_waitcnt lgkmcnt(0)
	v_cmp_neq_f64_e32 vcc_lo, 0, v[196:197]
	s_and_b32 exec_lo, exec_lo, vcc_lo
	s_cbranch_execz .LBB95_74
; %bb.73:
	v_div_scale_f64 v[198:199], null, v[196:197], v[196:197], 1.0
	v_rcp_f64_e32 v[200:201], v[198:199]
	v_fma_f64 v[202:203], -v[198:199], v[200:201], 1.0
	v_fma_f64 v[200:201], v[200:201], v[202:203], v[200:201]
	v_fma_f64 v[202:203], -v[198:199], v[200:201], 1.0
	v_fma_f64 v[200:201], v[200:201], v[202:203], v[200:201]
	v_div_scale_f64 v[202:203], vcc_lo, 1.0, v[196:197], 1.0
	v_mul_f64 v[204:205], v[202:203], v[200:201]
	v_fma_f64 v[198:199], -v[198:199], v[204:205], v[202:203]
	v_div_fmas_f64 v[198:199], v[198:199], v[200:201], v[204:205]
	v_div_fixup_f64 v[196:197], v[198:199], v[196:197], 1.0
	ds_write_b64 v1, v[196:197]
.LBB95_74:
	s_or_b32 exec_lo, exec_lo, s1
	s_waitcnt lgkmcnt(0)
	s_barrier
	buffer_gl0_inv
	ds_read_b64 v[4:5], v1
	s_mov_b32 s1, exec_lo
	s_waitcnt lgkmcnt(0)
	buffer_store_dword v4, off, s[12:15], 0 offset:120 ; 4-byte Folded Spill
	buffer_store_dword v5, off, s[12:15], 0 offset:124 ; 4-byte Folded Spill
	v_cmpx_lt_u32_e32 14, v0
	s_cbranch_execz .LBB95_76
; %bb.75:
	s_clause 0x1
	buffer_load_dword v4, off, s[12:15], 0 offset:120
	buffer_load_dword v5, off, s[12:15], 0 offset:124
	ds_read2_b64 v[196:199], v232 offset0:15 offset1:16
	s_waitcnt vmcnt(0)
	v_mul_f64 v[182:183], v[4:5], v[182:183]
	s_waitcnt lgkmcnt(0)
	v_fma_f64 v[174:175], -v[182:183], v[196:197], v[174:175]
	v_fma_f64 v[180:181], -v[182:183], v[198:199], v[180:181]
	ds_read2_b64 v[196:199], v232 offset0:17 offset1:18
	s_waitcnt lgkmcnt(0)
	v_fma_f64 v[172:173], -v[182:183], v[196:197], v[172:173]
	v_fma_f64 v[178:179], -v[182:183], v[198:199], v[178:179]
	ds_read2_b64 v[196:199], v232 offset0:19 offset1:20
	;; [unrolled: 4-line block ×15, first 2 shown]
	s_waitcnt lgkmcnt(0)
	v_fma_f64 v[116:117], -v[182:183], v[196:197], v[116:117]
	ds_read_b64 v[196:197], v232 offset:376
	v_fma_f64 v[144:145], -v[182:183], v[198:199], v[144:145]
	s_waitcnt lgkmcnt(0)
	v_fma_f64 v[194:195], -v[182:183], v[196:197], v[194:195]
.LBB95_76:
	s_or_b32 exec_lo, exec_lo, s1
	s_mov_b32 s1, exec_lo
	s_waitcnt_vscnt null, 0x0
	s_barrier
	buffer_gl0_inv
	v_cmpx_eq_u32_e32 15, v0
	s_cbranch_execz .LBB95_79
; %bb.77:
	v_mov_b32_e32 v196, v180
	v_mov_b32_e32 v197, v181
	;; [unrolled: 1-line block ×4, first 2 shown]
	ds_write_b64 v1, v[174:175]
	ds_write2_b64 v232, v[196:197], v[198:199] offset0:16 offset1:17
	v_mov_b32_e32 v196, v178
	v_mov_b32_e32 v197, v179
	;; [unrolled: 1-line block ×20, first 2 shown]
	ds_write2_b64 v232, v[196:197], v[198:199] offset0:18 offset1:19
	ds_write2_b64 v232, v[200:201], v[202:203] offset0:20 offset1:21
	;; [unrolled: 1-line block ×5, first 2 shown]
	v_mov_b32_e32 v196, v162
	v_mov_b32_e32 v197, v163
	;; [unrolled: 1-line block ×20, first 2 shown]
	ds_write2_b64 v232, v[196:197], v[198:199] offset0:28 offset1:29
	ds_write2_b64 v232, v[200:201], v[202:203] offset0:30 offset1:31
	;; [unrolled: 1-line block ×5, first 2 shown]
	v_mov_b32_e32 v196, v152
	v_mov_b32_e32 v197, v153
	;; [unrolled: 1-line block ×18, first 2 shown]
	ds_write2_b64 v232, v[196:197], v[198:199] offset0:38 offset1:39
	ds_write2_b64 v232, v[200:201], v[202:203] offset0:40 offset1:41
	;; [unrolled: 1-line block ×5, first 2 shown]
	ds_read_b64 v[196:197], v1
	s_waitcnt lgkmcnt(0)
	v_cmp_neq_f64_e32 vcc_lo, 0, v[196:197]
	s_and_b32 exec_lo, exec_lo, vcc_lo
	s_cbranch_execz .LBB95_79
; %bb.78:
	v_div_scale_f64 v[198:199], null, v[196:197], v[196:197], 1.0
	v_rcp_f64_e32 v[200:201], v[198:199]
	v_fma_f64 v[202:203], -v[198:199], v[200:201], 1.0
	v_fma_f64 v[200:201], v[200:201], v[202:203], v[200:201]
	v_fma_f64 v[202:203], -v[198:199], v[200:201], 1.0
	v_fma_f64 v[200:201], v[200:201], v[202:203], v[200:201]
	v_div_scale_f64 v[202:203], vcc_lo, 1.0, v[196:197], 1.0
	v_mul_f64 v[204:205], v[202:203], v[200:201]
	v_fma_f64 v[198:199], -v[198:199], v[204:205], v[202:203]
	v_div_fmas_f64 v[198:199], v[198:199], v[200:201], v[204:205]
	v_div_fixup_f64 v[196:197], v[198:199], v[196:197], 1.0
	ds_write_b64 v1, v[196:197]
.LBB95_79:
	s_or_b32 exec_lo, exec_lo, s1
	s_waitcnt lgkmcnt(0)
	s_barrier
	buffer_gl0_inv
	ds_read_b64 v[4:5], v1
	s_mov_b32 s1, exec_lo
	s_waitcnt lgkmcnt(0)
	buffer_store_dword v4, off, s[12:15], 0 offset:128 ; 4-byte Folded Spill
	buffer_store_dword v5, off, s[12:15], 0 offset:132 ; 4-byte Folded Spill
	v_cmpx_lt_u32_e32 15, v0
	s_cbranch_execz .LBB95_81
; %bb.80:
	s_clause 0x1
	buffer_load_dword v4, off, s[12:15], 0 offset:128
	buffer_load_dword v5, off, s[12:15], 0 offset:132
	ds_read2_b64 v[196:199], v232 offset0:16 offset1:17
	s_waitcnt vmcnt(0)
	v_mul_f64 v[174:175], v[4:5], v[174:175]
	s_waitcnt lgkmcnt(0)
	v_fma_f64 v[180:181], -v[174:175], v[196:197], v[180:181]
	v_fma_f64 v[172:173], -v[174:175], v[198:199], v[172:173]
	ds_read2_b64 v[196:199], v232 offset0:18 offset1:19
	s_waitcnt lgkmcnt(0)
	v_fma_f64 v[178:179], -v[174:175], v[196:197], v[178:179]
	v_fma_f64 v[142:143], -v[174:175], v[198:199], v[142:143]
	ds_read2_b64 v[196:199], v232 offset0:20 offset1:21
	;; [unrolled: 4-line block ×15, first 2 shown]
	s_waitcnt lgkmcnt(0)
	v_fma_f64 v[144:145], -v[174:175], v[196:197], v[144:145]
	v_fma_f64 v[194:195], -v[174:175], v[198:199], v[194:195]
.LBB95_81:
	s_or_b32 exec_lo, exec_lo, s1
	s_mov_b32 s1, exec_lo
	s_waitcnt_vscnt null, 0x0
	s_barrier
	buffer_gl0_inv
	v_cmpx_eq_u32_e32 16, v0
	s_cbranch_execz .LBB95_84
; %bb.82:
	ds_write_b64 v1, v[180:181]
	ds_write2_b64 v232, v[172:173], v[178:179] offset0:17 offset1:18
	ds_write2_b64 v232, v[142:143], v[170:171] offset0:19 offset1:20
	;; [unrolled: 1-line block ×15, first 2 shown]
	ds_write_b64 v232, v[194:195] offset:376
	ds_read_b64 v[196:197], v1
	s_waitcnt lgkmcnt(0)
	v_cmp_neq_f64_e32 vcc_lo, 0, v[196:197]
	s_and_b32 exec_lo, exec_lo, vcc_lo
	s_cbranch_execz .LBB95_84
; %bb.83:
	v_div_scale_f64 v[198:199], null, v[196:197], v[196:197], 1.0
	v_rcp_f64_e32 v[200:201], v[198:199]
	v_fma_f64 v[202:203], -v[198:199], v[200:201], 1.0
	v_fma_f64 v[200:201], v[200:201], v[202:203], v[200:201]
	v_fma_f64 v[202:203], -v[198:199], v[200:201], 1.0
	v_fma_f64 v[200:201], v[200:201], v[202:203], v[200:201]
	v_div_scale_f64 v[202:203], vcc_lo, 1.0, v[196:197], 1.0
	v_mul_f64 v[204:205], v[202:203], v[200:201]
	v_fma_f64 v[198:199], -v[198:199], v[204:205], v[202:203]
	v_div_fmas_f64 v[198:199], v[198:199], v[200:201], v[204:205]
	v_div_fixup_f64 v[196:197], v[198:199], v[196:197], 1.0
	ds_write_b64 v1, v[196:197]
.LBB95_84:
	s_or_b32 exec_lo, exec_lo, s1
	s_waitcnt lgkmcnt(0)
	s_barrier
	buffer_gl0_inv
	ds_read_b64 v[4:5], v1
	s_mov_b32 s1, exec_lo
	s_waitcnt lgkmcnt(0)
	buffer_store_dword v4, off, s[12:15], 0 offset:136 ; 4-byte Folded Spill
	buffer_store_dword v5, off, s[12:15], 0 offset:140 ; 4-byte Folded Spill
	v_cmpx_lt_u32_e32 16, v0
	s_cbranch_execz .LBB95_86
; %bb.85:
	s_clause 0x1
	buffer_load_dword v4, off, s[12:15], 0 offset:136
	buffer_load_dword v5, off, s[12:15], 0 offset:140
	ds_read2_b64 v[196:199], v232 offset0:17 offset1:18
	s_waitcnt vmcnt(0)
	v_mul_f64 v[180:181], v[4:5], v[180:181]
	s_waitcnt lgkmcnt(0)
	v_fma_f64 v[172:173], -v[180:181], v[196:197], v[172:173]
	v_fma_f64 v[178:179], -v[180:181], v[198:199], v[178:179]
	ds_read2_b64 v[196:199], v232 offset0:19 offset1:20
	s_waitcnt lgkmcnt(0)
	v_fma_f64 v[142:143], -v[180:181], v[196:197], v[142:143]
	v_fma_f64 v[170:171], -v[180:181], v[198:199], v[170:171]
	ds_read2_b64 v[196:199], v232 offset0:21 offset1:22
	;; [unrolled: 4-line block ×14, first 2 shown]
	s_waitcnt lgkmcnt(0)
	v_fma_f64 v[116:117], -v[180:181], v[196:197], v[116:117]
	ds_read_b64 v[196:197], v232 offset:376
	v_fma_f64 v[144:145], -v[180:181], v[198:199], v[144:145]
	s_waitcnt lgkmcnt(0)
	v_fma_f64 v[194:195], -v[180:181], v[196:197], v[194:195]
.LBB95_86:
	s_or_b32 exec_lo, exec_lo, s1
	s_mov_b32 s1, exec_lo
	s_waitcnt_vscnt null, 0x0
	s_barrier
	buffer_gl0_inv
	v_cmpx_eq_u32_e32 17, v0
	s_cbranch_execz .LBB95_89
; %bb.87:
	v_mov_b32_e32 v196, v178
	v_mov_b32_e32 v197, v179
	;; [unrolled: 1-line block ×20, first 2 shown]
	ds_write_b64 v1, v[172:173]
	ds_write2_b64 v232, v[196:197], v[198:199] offset0:18 offset1:19
	ds_write2_b64 v232, v[200:201], v[202:203] offset0:20 offset1:21
	;; [unrolled: 1-line block ×5, first 2 shown]
	v_mov_b32_e32 v196, v162
	v_mov_b32_e32 v197, v163
	;; [unrolled: 1-line block ×20, first 2 shown]
	ds_write2_b64 v232, v[196:197], v[198:199] offset0:28 offset1:29
	ds_write2_b64 v232, v[200:201], v[202:203] offset0:30 offset1:31
	;; [unrolled: 1-line block ×5, first 2 shown]
	v_mov_b32_e32 v196, v152
	v_mov_b32_e32 v197, v153
	;; [unrolled: 1-line block ×18, first 2 shown]
	ds_write2_b64 v232, v[196:197], v[198:199] offset0:38 offset1:39
	ds_write2_b64 v232, v[200:201], v[202:203] offset0:40 offset1:41
	;; [unrolled: 1-line block ×5, first 2 shown]
	ds_read_b64 v[196:197], v1
	s_waitcnt lgkmcnt(0)
	v_cmp_neq_f64_e32 vcc_lo, 0, v[196:197]
	s_and_b32 exec_lo, exec_lo, vcc_lo
	s_cbranch_execz .LBB95_89
; %bb.88:
	v_div_scale_f64 v[198:199], null, v[196:197], v[196:197], 1.0
	v_rcp_f64_e32 v[200:201], v[198:199]
	v_fma_f64 v[202:203], -v[198:199], v[200:201], 1.0
	v_fma_f64 v[200:201], v[200:201], v[202:203], v[200:201]
	v_fma_f64 v[202:203], -v[198:199], v[200:201], 1.0
	v_fma_f64 v[200:201], v[200:201], v[202:203], v[200:201]
	v_div_scale_f64 v[202:203], vcc_lo, 1.0, v[196:197], 1.0
	v_mul_f64 v[204:205], v[202:203], v[200:201]
	v_fma_f64 v[198:199], -v[198:199], v[204:205], v[202:203]
	v_div_fmas_f64 v[198:199], v[198:199], v[200:201], v[204:205]
	v_div_fixup_f64 v[196:197], v[198:199], v[196:197], 1.0
	ds_write_b64 v1, v[196:197]
.LBB95_89:
	s_or_b32 exec_lo, exec_lo, s1
	s_waitcnt lgkmcnt(0)
	s_barrier
	buffer_gl0_inv
	ds_read_b64 v[4:5], v1
	s_mov_b32 s1, exec_lo
	s_waitcnt lgkmcnt(0)
	buffer_store_dword v4, off, s[12:15], 0 offset:144 ; 4-byte Folded Spill
	buffer_store_dword v5, off, s[12:15], 0 offset:148 ; 4-byte Folded Spill
	v_cmpx_lt_u32_e32 17, v0
	s_cbranch_execz .LBB95_91
; %bb.90:
	s_clause 0x1
	buffer_load_dword v4, off, s[12:15], 0 offset:144
	buffer_load_dword v5, off, s[12:15], 0 offset:148
	ds_read2_b64 v[196:199], v232 offset0:18 offset1:19
	s_waitcnt vmcnt(0)
	v_mul_f64 v[172:173], v[4:5], v[172:173]
	s_waitcnt lgkmcnt(0)
	v_fma_f64 v[178:179], -v[172:173], v[196:197], v[178:179]
	v_fma_f64 v[142:143], -v[172:173], v[198:199], v[142:143]
	ds_read2_b64 v[196:199], v232 offset0:20 offset1:21
	s_waitcnt lgkmcnt(0)
	v_fma_f64 v[170:171], -v[172:173], v[196:197], v[170:171]
	v_fma_f64 v[140:141], -v[172:173], v[198:199], v[140:141]
	ds_read2_b64 v[196:199], v232 offset0:22 offset1:23
	;; [unrolled: 4-line block ×14, first 2 shown]
	s_waitcnt lgkmcnt(0)
	v_fma_f64 v[144:145], -v[172:173], v[196:197], v[144:145]
	v_fma_f64 v[194:195], -v[172:173], v[198:199], v[194:195]
.LBB95_91:
	s_or_b32 exec_lo, exec_lo, s1
	s_mov_b32 s1, exec_lo
	s_waitcnt_vscnt null, 0x0
	s_barrier
	buffer_gl0_inv
	v_cmpx_eq_u32_e32 18, v0
	s_cbranch_execz .LBB95_94
; %bb.92:
	ds_write_b64 v1, v[178:179]
	ds_write2_b64 v232, v[142:143], v[170:171] offset0:19 offset1:20
	ds_write2_b64 v232, v[140:141], v[168:169] offset0:21 offset1:22
	;; [unrolled: 1-line block ×14, first 2 shown]
	ds_write_b64 v232, v[194:195] offset:376
	ds_read_b64 v[196:197], v1
	s_waitcnt lgkmcnt(0)
	v_cmp_neq_f64_e32 vcc_lo, 0, v[196:197]
	s_and_b32 exec_lo, exec_lo, vcc_lo
	s_cbranch_execz .LBB95_94
; %bb.93:
	v_div_scale_f64 v[198:199], null, v[196:197], v[196:197], 1.0
	v_rcp_f64_e32 v[200:201], v[198:199]
	v_fma_f64 v[202:203], -v[198:199], v[200:201], 1.0
	v_fma_f64 v[200:201], v[200:201], v[202:203], v[200:201]
	v_fma_f64 v[202:203], -v[198:199], v[200:201], 1.0
	v_fma_f64 v[200:201], v[200:201], v[202:203], v[200:201]
	v_div_scale_f64 v[202:203], vcc_lo, 1.0, v[196:197], 1.0
	v_mul_f64 v[204:205], v[202:203], v[200:201]
	v_fma_f64 v[198:199], -v[198:199], v[204:205], v[202:203]
	v_div_fmas_f64 v[198:199], v[198:199], v[200:201], v[204:205]
	v_div_fixup_f64 v[196:197], v[198:199], v[196:197], 1.0
	ds_write_b64 v1, v[196:197]
.LBB95_94:
	s_or_b32 exec_lo, exec_lo, s1
	s_waitcnt lgkmcnt(0)
	s_barrier
	buffer_gl0_inv
	ds_read_b64 v[4:5], v1
	s_mov_b32 s1, exec_lo
	s_waitcnt lgkmcnt(0)
	buffer_store_dword v4, off, s[12:15], 0 offset:152 ; 4-byte Folded Spill
	buffer_store_dword v5, off, s[12:15], 0 offset:156 ; 4-byte Folded Spill
	v_cmpx_lt_u32_e32 18, v0
	s_cbranch_execz .LBB95_96
; %bb.95:
	s_clause 0x1
	buffer_load_dword v4, off, s[12:15], 0 offset:152
	buffer_load_dword v5, off, s[12:15], 0 offset:156
	ds_read2_b64 v[196:199], v232 offset0:19 offset1:20
	s_waitcnt vmcnt(0)
	v_mul_f64 v[178:179], v[4:5], v[178:179]
	s_waitcnt lgkmcnt(0)
	v_fma_f64 v[142:143], -v[178:179], v[196:197], v[142:143]
	v_fma_f64 v[170:171], -v[178:179], v[198:199], v[170:171]
	ds_read2_b64 v[196:199], v232 offset0:21 offset1:22
	s_waitcnt lgkmcnt(0)
	v_fma_f64 v[140:141], -v[178:179], v[196:197], v[140:141]
	v_fma_f64 v[168:169], -v[178:179], v[198:199], v[168:169]
	ds_read2_b64 v[196:199], v232 offset0:23 offset1:24
	;; [unrolled: 4-line block ×13, first 2 shown]
	s_waitcnt lgkmcnt(0)
	v_fma_f64 v[116:117], -v[178:179], v[196:197], v[116:117]
	ds_read_b64 v[196:197], v232 offset:376
	v_fma_f64 v[144:145], -v[178:179], v[198:199], v[144:145]
	s_waitcnt lgkmcnt(0)
	v_fma_f64 v[194:195], -v[178:179], v[196:197], v[194:195]
.LBB95_96:
	s_or_b32 exec_lo, exec_lo, s1
	s_mov_b32 s1, exec_lo
	s_waitcnt_vscnt null, 0x0
	s_barrier
	buffer_gl0_inv
	v_cmpx_eq_u32_e32 19, v0
	s_cbranch_execz .LBB95_99
; %bb.97:
	v_mov_b32_e32 v196, v170
	v_mov_b32_e32 v197, v171
	v_mov_b32_e32 v198, v140
	v_mov_b32_e32 v199, v141
	v_mov_b32_e32 v200, v168
	v_mov_b32_e32 v201, v169
	v_mov_b32_e32 v202, v138
	v_mov_b32_e32 v203, v139
	v_mov_b32_e32 v204, v166
	v_mov_b32_e32 v205, v167
	v_mov_b32_e32 v206, v136
	v_mov_b32_e32 v207, v137
	v_mov_b32_e32 v208, v164
	v_mov_b32_e32 v209, v165
	v_mov_b32_e32 v210, v134
	v_mov_b32_e32 v211, v135
	ds_write_b64 v1, v[142:143]
	ds_write2_b64 v232, v[196:197], v[198:199] offset0:20 offset1:21
	ds_write2_b64 v232, v[200:201], v[202:203] offset0:22 offset1:23
	;; [unrolled: 1-line block ×4, first 2 shown]
	v_mov_b32_e32 v196, v162
	v_mov_b32_e32 v197, v163
	;; [unrolled: 1-line block ×20, first 2 shown]
	ds_write2_b64 v232, v[196:197], v[198:199] offset0:28 offset1:29
	ds_write2_b64 v232, v[200:201], v[202:203] offset0:30 offset1:31
	;; [unrolled: 1-line block ×5, first 2 shown]
	v_mov_b32_e32 v196, v152
	v_mov_b32_e32 v197, v153
	v_mov_b32_e32 v198, v122
	v_mov_b32_e32 v199, v123
	v_mov_b32_e32 v200, v150
	v_mov_b32_e32 v201, v151
	v_mov_b32_e32 v202, v120
	v_mov_b32_e32 v203, v121
	v_mov_b32_e32 v204, v148
	v_mov_b32_e32 v205, v149
	v_mov_b32_e32 v206, v118
	v_mov_b32_e32 v207, v119
	v_mov_b32_e32 v208, v146
	v_mov_b32_e32 v209, v147
	v_mov_b32_e32 v210, v116
	v_mov_b32_e32 v211, v117
	v_mov_b32_e32 v212, v144
	v_mov_b32_e32 v213, v145
	ds_write2_b64 v232, v[196:197], v[198:199] offset0:38 offset1:39
	ds_write2_b64 v232, v[200:201], v[202:203] offset0:40 offset1:41
	;; [unrolled: 1-line block ×5, first 2 shown]
	ds_read_b64 v[196:197], v1
	s_waitcnt lgkmcnt(0)
	v_cmp_neq_f64_e32 vcc_lo, 0, v[196:197]
	s_and_b32 exec_lo, exec_lo, vcc_lo
	s_cbranch_execz .LBB95_99
; %bb.98:
	v_div_scale_f64 v[198:199], null, v[196:197], v[196:197], 1.0
	v_rcp_f64_e32 v[200:201], v[198:199]
	v_fma_f64 v[202:203], -v[198:199], v[200:201], 1.0
	v_fma_f64 v[200:201], v[200:201], v[202:203], v[200:201]
	v_fma_f64 v[202:203], -v[198:199], v[200:201], 1.0
	v_fma_f64 v[200:201], v[200:201], v[202:203], v[200:201]
	v_div_scale_f64 v[202:203], vcc_lo, 1.0, v[196:197], 1.0
	v_mul_f64 v[204:205], v[202:203], v[200:201]
	v_fma_f64 v[198:199], -v[198:199], v[204:205], v[202:203]
	v_div_fmas_f64 v[198:199], v[198:199], v[200:201], v[204:205]
	v_div_fixup_f64 v[196:197], v[198:199], v[196:197], 1.0
	ds_write_b64 v1, v[196:197]
.LBB95_99:
	s_or_b32 exec_lo, exec_lo, s1
	s_waitcnt lgkmcnt(0)
	s_barrier
	buffer_gl0_inv
	ds_read_b64 v[4:5], v1
	s_mov_b32 s1, exec_lo
	s_waitcnt lgkmcnt(0)
	buffer_store_dword v4, off, s[12:15], 0 offset:160 ; 4-byte Folded Spill
	buffer_store_dword v5, off, s[12:15], 0 offset:164 ; 4-byte Folded Spill
	v_cmpx_lt_u32_e32 19, v0
	s_cbranch_execz .LBB95_101
; %bb.100:
	s_clause 0x1
	buffer_load_dword v4, off, s[12:15], 0 offset:160
	buffer_load_dword v5, off, s[12:15], 0 offset:164
	ds_read2_b64 v[196:199], v232 offset0:20 offset1:21
	s_waitcnt vmcnt(0)
	v_mul_f64 v[142:143], v[4:5], v[142:143]
	s_waitcnt lgkmcnt(0)
	v_fma_f64 v[170:171], -v[142:143], v[196:197], v[170:171]
	v_fma_f64 v[140:141], -v[142:143], v[198:199], v[140:141]
	ds_read2_b64 v[196:199], v232 offset0:22 offset1:23
	s_waitcnt lgkmcnt(0)
	v_fma_f64 v[168:169], -v[142:143], v[196:197], v[168:169]
	v_fma_f64 v[138:139], -v[142:143], v[198:199], v[138:139]
	ds_read2_b64 v[196:199], v232 offset0:24 offset1:25
	;; [unrolled: 4-line block ×13, first 2 shown]
	s_waitcnt lgkmcnt(0)
	v_fma_f64 v[144:145], -v[142:143], v[196:197], v[144:145]
	v_fma_f64 v[194:195], -v[142:143], v[198:199], v[194:195]
.LBB95_101:
	s_or_b32 exec_lo, exec_lo, s1
	s_mov_b32 s1, exec_lo
	s_waitcnt_vscnt null, 0x0
	s_barrier
	buffer_gl0_inv
	v_cmpx_eq_u32_e32 20, v0
	s_cbranch_execz .LBB95_104
; %bb.102:
	ds_write_b64 v1, v[170:171]
	ds_write2_b64 v232, v[140:141], v[168:169] offset0:21 offset1:22
	ds_write2_b64 v232, v[138:139], v[166:167] offset0:23 offset1:24
	;; [unrolled: 1-line block ×13, first 2 shown]
	ds_write_b64 v232, v[194:195] offset:376
	ds_read_b64 v[196:197], v1
	s_waitcnt lgkmcnt(0)
	v_cmp_neq_f64_e32 vcc_lo, 0, v[196:197]
	s_and_b32 exec_lo, exec_lo, vcc_lo
	s_cbranch_execz .LBB95_104
; %bb.103:
	v_div_scale_f64 v[198:199], null, v[196:197], v[196:197], 1.0
	v_rcp_f64_e32 v[200:201], v[198:199]
	v_fma_f64 v[202:203], -v[198:199], v[200:201], 1.0
	v_fma_f64 v[200:201], v[200:201], v[202:203], v[200:201]
	v_fma_f64 v[202:203], -v[198:199], v[200:201], 1.0
	v_fma_f64 v[200:201], v[200:201], v[202:203], v[200:201]
	v_div_scale_f64 v[202:203], vcc_lo, 1.0, v[196:197], 1.0
	v_mul_f64 v[204:205], v[202:203], v[200:201]
	v_fma_f64 v[198:199], -v[198:199], v[204:205], v[202:203]
	v_div_fmas_f64 v[198:199], v[198:199], v[200:201], v[204:205]
	v_div_fixup_f64 v[196:197], v[198:199], v[196:197], 1.0
	ds_write_b64 v1, v[196:197]
.LBB95_104:
	s_or_b32 exec_lo, exec_lo, s1
	s_waitcnt lgkmcnt(0)
	s_barrier
	buffer_gl0_inv
	ds_read_b64 v[4:5], v1
	s_mov_b32 s1, exec_lo
	s_waitcnt lgkmcnt(0)
	buffer_store_dword v4, off, s[12:15], 0 offset:168 ; 4-byte Folded Spill
	buffer_store_dword v5, off, s[12:15], 0 offset:172 ; 4-byte Folded Spill
	v_cmpx_lt_u32_e32 20, v0
	s_cbranch_execz .LBB95_106
; %bb.105:
	s_clause 0x1
	buffer_load_dword v4, off, s[12:15], 0 offset:168
	buffer_load_dword v5, off, s[12:15], 0 offset:172
	ds_read2_b64 v[196:199], v232 offset0:21 offset1:22
	s_waitcnt vmcnt(0)
	v_mul_f64 v[170:171], v[4:5], v[170:171]
	s_waitcnt lgkmcnt(0)
	v_fma_f64 v[140:141], -v[170:171], v[196:197], v[140:141]
	v_fma_f64 v[168:169], -v[170:171], v[198:199], v[168:169]
	ds_read2_b64 v[196:199], v232 offset0:23 offset1:24
	s_waitcnt lgkmcnt(0)
	v_fma_f64 v[138:139], -v[170:171], v[196:197], v[138:139]
	v_fma_f64 v[166:167], -v[170:171], v[198:199], v[166:167]
	ds_read2_b64 v[196:199], v232 offset0:25 offset1:26
	;; [unrolled: 4-line block ×12, first 2 shown]
	s_waitcnt lgkmcnt(0)
	v_fma_f64 v[116:117], -v[170:171], v[196:197], v[116:117]
	ds_read_b64 v[196:197], v232 offset:376
	v_fma_f64 v[144:145], -v[170:171], v[198:199], v[144:145]
	s_waitcnt lgkmcnt(0)
	v_fma_f64 v[194:195], -v[170:171], v[196:197], v[194:195]
.LBB95_106:
	s_or_b32 exec_lo, exec_lo, s1
	s_mov_b32 s1, exec_lo
	s_waitcnt_vscnt null, 0x0
	s_barrier
	buffer_gl0_inv
	v_cmpx_eq_u32_e32 21, v0
	s_cbranch_execz .LBB95_109
; %bb.107:
	v_mov_b32_e32 v196, v168
	v_mov_b32_e32 v197, v169
	;; [unrolled: 1-line block ×4, first 2 shown]
	ds_write_b64 v1, v[140:141]
	ds_write2_b64 v232, v[196:197], v[198:199] offset0:22 offset1:23
	v_mov_b32_e32 v196, v166
	v_mov_b32_e32 v197, v167
	v_mov_b32_e32 v198, v136
	v_mov_b32_e32 v199, v137
	ds_write2_b64 v232, v[196:197], v[198:199] offset0:24 offset1:25
	v_mov_b32_e32 v196, v164
	v_mov_b32_e32 v197, v165
	v_mov_b32_e32 v198, v134
	v_mov_b32_e32 v199, v135
	;; [unrolled: 5-line block ×11, first 2 shown]
	ds_write2_b64 v232, v[196:197], v[198:199] offset0:44 offset1:45
	v_mov_b32_e32 v196, v144
	v_mov_b32_e32 v197, v145
	ds_write2_b64 v232, v[196:197], v[194:195] offset0:46 offset1:47
	ds_read_b64 v[196:197], v1
	s_waitcnt lgkmcnt(0)
	v_cmp_neq_f64_e32 vcc_lo, 0, v[196:197]
	s_and_b32 exec_lo, exec_lo, vcc_lo
	s_cbranch_execz .LBB95_109
; %bb.108:
	v_div_scale_f64 v[198:199], null, v[196:197], v[196:197], 1.0
	v_rcp_f64_e32 v[200:201], v[198:199]
	v_fma_f64 v[202:203], -v[198:199], v[200:201], 1.0
	v_fma_f64 v[200:201], v[200:201], v[202:203], v[200:201]
	v_fma_f64 v[202:203], -v[198:199], v[200:201], 1.0
	v_fma_f64 v[200:201], v[200:201], v[202:203], v[200:201]
	v_div_scale_f64 v[202:203], vcc_lo, 1.0, v[196:197], 1.0
	v_mul_f64 v[204:205], v[202:203], v[200:201]
	v_fma_f64 v[198:199], -v[198:199], v[204:205], v[202:203]
	v_div_fmas_f64 v[198:199], v[198:199], v[200:201], v[204:205]
	v_div_fixup_f64 v[196:197], v[198:199], v[196:197], 1.0
	ds_write_b64 v1, v[196:197]
.LBB95_109:
	s_or_b32 exec_lo, exec_lo, s1
	s_waitcnt lgkmcnt(0)
	s_barrier
	buffer_gl0_inv
	ds_read_b64 v[238:239], v1
	s_mov_b32 s1, exec_lo
	v_cmpx_lt_u32_e32 21, v0
	s_cbranch_execz .LBB95_111
; %bb.110:
	s_waitcnt lgkmcnt(0)
	v_mul_f64 v[140:141], v[238:239], v[140:141]
	ds_read2_b64 v[196:199], v232 offset0:22 offset1:23
	s_waitcnt lgkmcnt(0)
	v_fma_f64 v[168:169], -v[140:141], v[196:197], v[168:169]
	v_fma_f64 v[138:139], -v[140:141], v[198:199], v[138:139]
	ds_read2_b64 v[196:199], v232 offset0:24 offset1:25
	s_waitcnt lgkmcnt(0)
	v_fma_f64 v[166:167], -v[140:141], v[196:197], v[166:167]
	v_fma_f64 v[136:137], -v[140:141], v[198:199], v[136:137]
	;; [unrolled: 4-line block ×13, first 2 shown]
.LBB95_111:
	s_or_b32 exec_lo, exec_lo, s1
	s_mov_b32 s1, exec_lo
	s_waitcnt lgkmcnt(0)
	s_barrier
	buffer_gl0_inv
	v_cmpx_eq_u32_e32 22, v0
	s_cbranch_execz .LBB95_114
; %bb.112:
	ds_write_b64 v1, v[168:169]
	ds_write2_b64 v232, v[138:139], v[166:167] offset0:23 offset1:24
	ds_write2_b64 v232, v[136:137], v[164:165] offset0:25 offset1:26
	;; [unrolled: 1-line block ×12, first 2 shown]
	ds_write_b64 v232, v[194:195] offset:376
	ds_read_b64 v[196:197], v1
	s_waitcnt lgkmcnt(0)
	v_cmp_neq_f64_e32 vcc_lo, 0, v[196:197]
	s_and_b32 exec_lo, exec_lo, vcc_lo
	s_cbranch_execz .LBB95_114
; %bb.113:
	v_div_scale_f64 v[198:199], null, v[196:197], v[196:197], 1.0
	v_rcp_f64_e32 v[200:201], v[198:199]
	v_fma_f64 v[202:203], -v[198:199], v[200:201], 1.0
	v_fma_f64 v[200:201], v[200:201], v[202:203], v[200:201]
	v_fma_f64 v[202:203], -v[198:199], v[200:201], 1.0
	v_fma_f64 v[200:201], v[200:201], v[202:203], v[200:201]
	v_div_scale_f64 v[202:203], vcc_lo, 1.0, v[196:197], 1.0
	v_mul_f64 v[204:205], v[202:203], v[200:201]
	v_fma_f64 v[198:199], -v[198:199], v[204:205], v[202:203]
	v_div_fmas_f64 v[198:199], v[198:199], v[200:201], v[204:205]
	v_div_fixup_f64 v[196:197], v[198:199], v[196:197], 1.0
	ds_write_b64 v1, v[196:197]
.LBB95_114:
	s_or_b32 exec_lo, exec_lo, s1
	s_waitcnt lgkmcnt(0)
	s_barrier
	buffer_gl0_inv
	ds_read_b64 v[240:241], v1
	s_mov_b32 s1, exec_lo
	v_cmpx_lt_u32_e32 22, v0
	s_cbranch_execz .LBB95_116
; %bb.115:
	s_waitcnt lgkmcnt(0)
	v_mul_f64 v[168:169], v[240:241], v[168:169]
	ds_read2_b64 v[196:199], v232 offset0:23 offset1:24
	s_waitcnt lgkmcnt(0)
	v_fma_f64 v[138:139], -v[168:169], v[196:197], v[138:139]
	v_fma_f64 v[166:167], -v[168:169], v[198:199], v[166:167]
	ds_read2_b64 v[196:199], v232 offset0:25 offset1:26
	s_waitcnt lgkmcnt(0)
	v_fma_f64 v[136:137], -v[168:169], v[196:197], v[136:137]
	v_fma_f64 v[164:165], -v[168:169], v[198:199], v[164:165]
	;; [unrolled: 4-line block ×11, first 2 shown]
	ds_read2_b64 v[196:199], v232 offset0:45 offset1:46
	s_waitcnt lgkmcnt(0)
	v_fma_f64 v[116:117], -v[168:169], v[196:197], v[116:117]
	ds_read_b64 v[196:197], v232 offset:376
	v_fma_f64 v[144:145], -v[168:169], v[198:199], v[144:145]
	s_waitcnt lgkmcnt(0)
	v_fma_f64 v[194:195], -v[168:169], v[196:197], v[194:195]
.LBB95_116:
	s_or_b32 exec_lo, exec_lo, s1
	s_mov_b32 s1, exec_lo
	s_waitcnt lgkmcnt(0)
	s_barrier
	buffer_gl0_inv
	v_cmpx_eq_u32_e32 23, v0
	s_cbranch_execz .LBB95_119
; %bb.117:
	v_mov_b32_e32 v196, v166
	v_mov_b32_e32 v197, v167
	;; [unrolled: 1-line block ×4, first 2 shown]
	ds_write_b64 v1, v[138:139]
	ds_write2_b64 v232, v[196:197], v[198:199] offset0:24 offset1:25
	v_mov_b32_e32 v196, v164
	v_mov_b32_e32 v197, v165
	v_mov_b32_e32 v198, v134
	v_mov_b32_e32 v199, v135
	ds_write2_b64 v232, v[196:197], v[198:199] offset0:26 offset1:27
	v_mov_b32_e32 v196, v162
	v_mov_b32_e32 v197, v163
	v_mov_b32_e32 v198, v132
	v_mov_b32_e32 v199, v133
	;; [unrolled: 5-line block ×10, first 2 shown]
	ds_write2_b64 v232, v[196:197], v[198:199] offset0:44 offset1:45
	v_mov_b32_e32 v196, v144
	v_mov_b32_e32 v197, v145
	ds_write2_b64 v232, v[196:197], v[194:195] offset0:46 offset1:47
	ds_read_b64 v[196:197], v1
	s_waitcnt lgkmcnt(0)
	v_cmp_neq_f64_e32 vcc_lo, 0, v[196:197]
	s_and_b32 exec_lo, exec_lo, vcc_lo
	s_cbranch_execz .LBB95_119
; %bb.118:
	v_div_scale_f64 v[198:199], null, v[196:197], v[196:197], 1.0
	v_rcp_f64_e32 v[200:201], v[198:199]
	v_fma_f64 v[202:203], -v[198:199], v[200:201], 1.0
	v_fma_f64 v[200:201], v[200:201], v[202:203], v[200:201]
	v_fma_f64 v[202:203], -v[198:199], v[200:201], 1.0
	v_fma_f64 v[200:201], v[200:201], v[202:203], v[200:201]
	v_div_scale_f64 v[202:203], vcc_lo, 1.0, v[196:197], 1.0
	v_mul_f64 v[204:205], v[202:203], v[200:201]
	v_fma_f64 v[198:199], -v[198:199], v[204:205], v[202:203]
	v_div_fmas_f64 v[198:199], v[198:199], v[200:201], v[204:205]
	v_div_fixup_f64 v[196:197], v[198:199], v[196:197], 1.0
	ds_write_b64 v1, v[196:197]
.LBB95_119:
	s_or_b32 exec_lo, exec_lo, s1
	s_waitcnt lgkmcnt(0)
	s_barrier
	buffer_gl0_inv
	ds_read_b64 v[242:243], v1
	s_mov_b32 s1, exec_lo
	v_cmpx_lt_u32_e32 23, v0
	s_cbranch_execz .LBB95_121
; %bb.120:
	s_waitcnt lgkmcnt(0)
	v_mul_f64 v[138:139], v[242:243], v[138:139]
	ds_read2_b64 v[196:199], v232 offset0:24 offset1:25
	s_waitcnt lgkmcnt(0)
	v_fma_f64 v[166:167], -v[138:139], v[196:197], v[166:167]
	v_fma_f64 v[136:137], -v[138:139], v[198:199], v[136:137]
	ds_read2_b64 v[196:199], v232 offset0:26 offset1:27
	s_waitcnt lgkmcnt(0)
	v_fma_f64 v[164:165], -v[138:139], v[196:197], v[164:165]
	v_fma_f64 v[134:135], -v[138:139], v[198:199], v[134:135]
	;; [unrolled: 4-line block ×12, first 2 shown]
.LBB95_121:
	s_or_b32 exec_lo, exec_lo, s1
	s_mov_b32 s1, exec_lo
	s_waitcnt lgkmcnt(0)
	s_barrier
	buffer_gl0_inv
	v_cmpx_eq_u32_e32 24, v0
	s_cbranch_execz .LBB95_124
; %bb.122:
	ds_write_b64 v1, v[166:167]
	ds_write2_b64 v232, v[136:137], v[164:165] offset0:25 offset1:26
	ds_write2_b64 v232, v[134:135], v[162:163] offset0:27 offset1:28
	;; [unrolled: 1-line block ×11, first 2 shown]
	ds_write_b64 v232, v[194:195] offset:376
	ds_read_b64 v[196:197], v1
	s_waitcnt lgkmcnt(0)
	v_cmp_neq_f64_e32 vcc_lo, 0, v[196:197]
	s_and_b32 exec_lo, exec_lo, vcc_lo
	s_cbranch_execz .LBB95_124
; %bb.123:
	v_div_scale_f64 v[198:199], null, v[196:197], v[196:197], 1.0
	v_rcp_f64_e32 v[200:201], v[198:199]
	v_fma_f64 v[202:203], -v[198:199], v[200:201], 1.0
	v_fma_f64 v[200:201], v[200:201], v[202:203], v[200:201]
	v_fma_f64 v[202:203], -v[198:199], v[200:201], 1.0
	v_fma_f64 v[200:201], v[200:201], v[202:203], v[200:201]
	v_div_scale_f64 v[202:203], vcc_lo, 1.0, v[196:197], 1.0
	v_mul_f64 v[204:205], v[202:203], v[200:201]
	v_fma_f64 v[198:199], -v[198:199], v[204:205], v[202:203]
	v_div_fmas_f64 v[198:199], v[198:199], v[200:201], v[204:205]
	v_div_fixup_f64 v[196:197], v[198:199], v[196:197], 1.0
	ds_write_b64 v1, v[196:197]
.LBB95_124:
	s_or_b32 exec_lo, exec_lo, s1
	s_waitcnt lgkmcnt(0)
	s_barrier
	buffer_gl0_inv
	ds_read_b64 v[244:245], v1
	s_mov_b32 s1, exec_lo
	v_cmpx_lt_u32_e32 24, v0
	s_cbranch_execz .LBB95_126
; %bb.125:
	s_waitcnt lgkmcnt(0)
	v_mul_f64 v[166:167], v[244:245], v[166:167]
	ds_read2_b64 v[196:199], v232 offset0:25 offset1:26
	s_waitcnt lgkmcnt(0)
	v_fma_f64 v[136:137], -v[166:167], v[196:197], v[136:137]
	v_fma_f64 v[164:165], -v[166:167], v[198:199], v[164:165]
	ds_read2_b64 v[196:199], v232 offset0:27 offset1:28
	s_waitcnt lgkmcnt(0)
	v_fma_f64 v[134:135], -v[166:167], v[196:197], v[134:135]
	v_fma_f64 v[162:163], -v[166:167], v[198:199], v[162:163]
	;; [unrolled: 4-line block ×10, first 2 shown]
	ds_read2_b64 v[196:199], v232 offset0:45 offset1:46
	s_waitcnt lgkmcnt(0)
	v_fma_f64 v[116:117], -v[166:167], v[196:197], v[116:117]
	ds_read_b64 v[196:197], v232 offset:376
	v_fma_f64 v[144:145], -v[166:167], v[198:199], v[144:145]
	s_waitcnt lgkmcnt(0)
	v_fma_f64 v[194:195], -v[166:167], v[196:197], v[194:195]
.LBB95_126:
	s_or_b32 exec_lo, exec_lo, s1
	s_mov_b32 s1, exec_lo
	s_waitcnt lgkmcnt(0)
	s_barrier
	buffer_gl0_inv
	v_cmpx_eq_u32_e32 25, v0
	s_cbranch_execz .LBB95_129
; %bb.127:
	v_mov_b32_e32 v196, v164
	v_mov_b32_e32 v197, v165
	;; [unrolled: 1-line block ×4, first 2 shown]
	ds_write_b64 v1, v[136:137]
	ds_write2_b64 v232, v[196:197], v[198:199] offset0:26 offset1:27
	v_mov_b32_e32 v196, v162
	v_mov_b32_e32 v197, v163
	v_mov_b32_e32 v198, v132
	v_mov_b32_e32 v199, v133
	ds_write2_b64 v232, v[196:197], v[198:199] offset0:28 offset1:29
	v_mov_b32_e32 v196, v160
	v_mov_b32_e32 v197, v161
	v_mov_b32_e32 v198, v130
	v_mov_b32_e32 v199, v131
	;; [unrolled: 5-line block ×9, first 2 shown]
	ds_write2_b64 v232, v[196:197], v[198:199] offset0:44 offset1:45
	v_mov_b32_e32 v196, v144
	v_mov_b32_e32 v197, v145
	ds_write2_b64 v232, v[196:197], v[194:195] offset0:46 offset1:47
	ds_read_b64 v[196:197], v1
	s_waitcnt lgkmcnt(0)
	v_cmp_neq_f64_e32 vcc_lo, 0, v[196:197]
	s_and_b32 exec_lo, exec_lo, vcc_lo
	s_cbranch_execz .LBB95_129
; %bb.128:
	v_div_scale_f64 v[198:199], null, v[196:197], v[196:197], 1.0
	v_rcp_f64_e32 v[200:201], v[198:199]
	v_fma_f64 v[202:203], -v[198:199], v[200:201], 1.0
	v_fma_f64 v[200:201], v[200:201], v[202:203], v[200:201]
	v_fma_f64 v[202:203], -v[198:199], v[200:201], 1.0
	v_fma_f64 v[200:201], v[200:201], v[202:203], v[200:201]
	v_div_scale_f64 v[202:203], vcc_lo, 1.0, v[196:197], 1.0
	v_mul_f64 v[204:205], v[202:203], v[200:201]
	v_fma_f64 v[198:199], -v[198:199], v[204:205], v[202:203]
	v_div_fmas_f64 v[198:199], v[198:199], v[200:201], v[204:205]
	v_div_fixup_f64 v[196:197], v[198:199], v[196:197], 1.0
	ds_write_b64 v1, v[196:197]
.LBB95_129:
	s_or_b32 exec_lo, exec_lo, s1
	s_waitcnt lgkmcnt(0)
	s_barrier
	buffer_gl0_inv
	ds_read_b64 v[246:247], v1
	s_mov_b32 s1, exec_lo
	v_cmpx_lt_u32_e32 25, v0
	s_cbranch_execz .LBB95_131
; %bb.130:
	s_waitcnt lgkmcnt(0)
	v_mul_f64 v[136:137], v[246:247], v[136:137]
	ds_read2_b64 v[196:199], v232 offset0:26 offset1:27
	s_waitcnt lgkmcnt(0)
	v_fma_f64 v[164:165], -v[136:137], v[196:197], v[164:165]
	v_fma_f64 v[134:135], -v[136:137], v[198:199], v[134:135]
	ds_read2_b64 v[196:199], v232 offset0:28 offset1:29
	s_waitcnt lgkmcnt(0)
	v_fma_f64 v[162:163], -v[136:137], v[196:197], v[162:163]
	v_fma_f64 v[132:133], -v[136:137], v[198:199], v[132:133]
	;; [unrolled: 4-line block ×11, first 2 shown]
.LBB95_131:
	s_or_b32 exec_lo, exec_lo, s1
	s_mov_b32 s1, exec_lo
	s_waitcnt lgkmcnt(0)
	s_barrier
	buffer_gl0_inv
	v_cmpx_eq_u32_e32 26, v0
	s_cbranch_execz .LBB95_134
; %bb.132:
	ds_write_b64 v1, v[164:165]
	ds_write2_b64 v232, v[134:135], v[162:163] offset0:27 offset1:28
	ds_write2_b64 v232, v[132:133], v[160:161] offset0:29 offset1:30
	;; [unrolled: 1-line block ×10, first 2 shown]
	ds_write_b64 v232, v[194:195] offset:376
	ds_read_b64 v[196:197], v1
	s_waitcnt lgkmcnt(0)
	v_cmp_neq_f64_e32 vcc_lo, 0, v[196:197]
	s_and_b32 exec_lo, exec_lo, vcc_lo
	s_cbranch_execz .LBB95_134
; %bb.133:
	v_div_scale_f64 v[198:199], null, v[196:197], v[196:197], 1.0
	v_rcp_f64_e32 v[200:201], v[198:199]
	v_fma_f64 v[202:203], -v[198:199], v[200:201], 1.0
	v_fma_f64 v[200:201], v[200:201], v[202:203], v[200:201]
	v_fma_f64 v[202:203], -v[198:199], v[200:201], 1.0
	v_fma_f64 v[200:201], v[200:201], v[202:203], v[200:201]
	v_div_scale_f64 v[202:203], vcc_lo, 1.0, v[196:197], 1.0
	v_mul_f64 v[204:205], v[202:203], v[200:201]
	v_fma_f64 v[198:199], -v[198:199], v[204:205], v[202:203]
	v_div_fmas_f64 v[198:199], v[198:199], v[200:201], v[204:205]
	v_div_fixup_f64 v[196:197], v[198:199], v[196:197], 1.0
	ds_write_b64 v1, v[196:197]
.LBB95_134:
	s_or_b32 exec_lo, exec_lo, s1
	s_waitcnt lgkmcnt(0)
	s_barrier
	buffer_gl0_inv
	ds_read_b64 v[248:249], v1
	s_mov_b32 s1, exec_lo
	v_cmpx_lt_u32_e32 26, v0
	s_cbranch_execz .LBB95_136
; %bb.135:
	s_waitcnt lgkmcnt(0)
	v_mul_f64 v[164:165], v[248:249], v[164:165]
	ds_read2_b64 v[196:199], v232 offset0:27 offset1:28
	s_waitcnt lgkmcnt(0)
	v_fma_f64 v[134:135], -v[164:165], v[196:197], v[134:135]
	v_fma_f64 v[162:163], -v[164:165], v[198:199], v[162:163]
	ds_read2_b64 v[196:199], v232 offset0:29 offset1:30
	s_waitcnt lgkmcnt(0)
	v_fma_f64 v[132:133], -v[164:165], v[196:197], v[132:133]
	v_fma_f64 v[160:161], -v[164:165], v[198:199], v[160:161]
	;; [unrolled: 4-line block ×9, first 2 shown]
	ds_read2_b64 v[196:199], v232 offset0:45 offset1:46
	s_waitcnt lgkmcnt(0)
	v_fma_f64 v[116:117], -v[164:165], v[196:197], v[116:117]
	ds_read_b64 v[196:197], v232 offset:376
	v_fma_f64 v[144:145], -v[164:165], v[198:199], v[144:145]
	s_waitcnt lgkmcnt(0)
	v_fma_f64 v[194:195], -v[164:165], v[196:197], v[194:195]
.LBB95_136:
	s_or_b32 exec_lo, exec_lo, s1
	s_mov_b32 s1, exec_lo
	s_waitcnt lgkmcnt(0)
	s_barrier
	buffer_gl0_inv
	v_cmpx_eq_u32_e32 27, v0
	s_cbranch_execz .LBB95_139
; %bb.137:
	v_mov_b32_e32 v196, v162
	v_mov_b32_e32 v197, v163
	;; [unrolled: 1-line block ×4, first 2 shown]
	ds_write_b64 v1, v[134:135]
	ds_write2_b64 v232, v[196:197], v[198:199] offset0:28 offset1:29
	v_mov_b32_e32 v196, v160
	v_mov_b32_e32 v197, v161
	v_mov_b32_e32 v198, v130
	v_mov_b32_e32 v199, v131
	ds_write2_b64 v232, v[196:197], v[198:199] offset0:30 offset1:31
	v_mov_b32_e32 v196, v158
	v_mov_b32_e32 v197, v159
	v_mov_b32_e32 v198, v128
	v_mov_b32_e32 v199, v129
	;; [unrolled: 5-line block ×8, first 2 shown]
	ds_write2_b64 v232, v[196:197], v[198:199] offset0:44 offset1:45
	v_mov_b32_e32 v196, v144
	v_mov_b32_e32 v197, v145
	ds_write2_b64 v232, v[196:197], v[194:195] offset0:46 offset1:47
	ds_read_b64 v[196:197], v1
	s_waitcnt lgkmcnt(0)
	v_cmp_neq_f64_e32 vcc_lo, 0, v[196:197]
	s_and_b32 exec_lo, exec_lo, vcc_lo
	s_cbranch_execz .LBB95_139
; %bb.138:
	v_div_scale_f64 v[198:199], null, v[196:197], v[196:197], 1.0
	v_rcp_f64_e32 v[200:201], v[198:199]
	v_fma_f64 v[202:203], -v[198:199], v[200:201], 1.0
	v_fma_f64 v[200:201], v[200:201], v[202:203], v[200:201]
	v_fma_f64 v[202:203], -v[198:199], v[200:201], 1.0
	v_fma_f64 v[200:201], v[200:201], v[202:203], v[200:201]
	v_div_scale_f64 v[202:203], vcc_lo, 1.0, v[196:197], 1.0
	v_mul_f64 v[204:205], v[202:203], v[200:201]
	v_fma_f64 v[198:199], -v[198:199], v[204:205], v[202:203]
	v_div_fmas_f64 v[198:199], v[198:199], v[200:201], v[204:205]
	v_div_fixup_f64 v[196:197], v[198:199], v[196:197], 1.0
	ds_write_b64 v1, v[196:197]
.LBB95_139:
	s_or_b32 exec_lo, exec_lo, s1
	s_waitcnt lgkmcnt(0)
	s_barrier
	buffer_gl0_inv
	ds_read_b64 v[250:251], v1
	s_mov_b32 s1, exec_lo
	v_cmpx_lt_u32_e32 27, v0
	s_cbranch_execz .LBB95_141
; %bb.140:
	s_waitcnt lgkmcnt(0)
	v_mul_f64 v[134:135], v[250:251], v[134:135]
	ds_read2_b64 v[196:199], v232 offset0:28 offset1:29
	s_waitcnt lgkmcnt(0)
	v_fma_f64 v[162:163], -v[134:135], v[196:197], v[162:163]
	v_fma_f64 v[132:133], -v[134:135], v[198:199], v[132:133]
	ds_read2_b64 v[196:199], v232 offset0:30 offset1:31
	s_waitcnt lgkmcnt(0)
	v_fma_f64 v[160:161], -v[134:135], v[196:197], v[160:161]
	v_fma_f64 v[130:131], -v[134:135], v[198:199], v[130:131]
	;; [unrolled: 4-line block ×10, first 2 shown]
.LBB95_141:
	s_or_b32 exec_lo, exec_lo, s1
	s_mov_b32 s1, exec_lo
	s_waitcnt lgkmcnt(0)
	s_barrier
	buffer_gl0_inv
	v_cmpx_eq_u32_e32 28, v0
	s_cbranch_execz .LBB95_144
; %bb.142:
	ds_write_b64 v1, v[162:163]
	ds_write2_b64 v232, v[132:133], v[160:161] offset0:29 offset1:30
	ds_write2_b64 v232, v[130:131], v[158:159] offset0:31 offset1:32
	;; [unrolled: 1-line block ×9, first 2 shown]
	ds_write_b64 v232, v[194:195] offset:376
	ds_read_b64 v[196:197], v1
	s_waitcnt lgkmcnt(0)
	v_cmp_neq_f64_e32 vcc_lo, 0, v[196:197]
	s_and_b32 exec_lo, exec_lo, vcc_lo
	s_cbranch_execz .LBB95_144
; %bb.143:
	v_div_scale_f64 v[198:199], null, v[196:197], v[196:197], 1.0
	v_rcp_f64_e32 v[200:201], v[198:199]
	v_fma_f64 v[202:203], -v[198:199], v[200:201], 1.0
	v_fma_f64 v[200:201], v[200:201], v[202:203], v[200:201]
	v_fma_f64 v[202:203], -v[198:199], v[200:201], 1.0
	v_fma_f64 v[200:201], v[200:201], v[202:203], v[200:201]
	v_div_scale_f64 v[202:203], vcc_lo, 1.0, v[196:197], 1.0
	v_mul_f64 v[204:205], v[202:203], v[200:201]
	v_fma_f64 v[198:199], -v[198:199], v[204:205], v[202:203]
	v_div_fmas_f64 v[198:199], v[198:199], v[200:201], v[204:205]
	v_div_fixup_f64 v[196:197], v[198:199], v[196:197], 1.0
	ds_write_b64 v1, v[196:197]
.LBB95_144:
	s_or_b32 exec_lo, exec_lo, s1
	s_waitcnt lgkmcnt(0)
	s_barrier
	buffer_gl0_inv
	ds_read_b64 v[252:253], v1
	s_mov_b32 s1, exec_lo
	v_cmpx_lt_u32_e32 28, v0
	s_cbranch_execz .LBB95_146
; %bb.145:
	s_waitcnt lgkmcnt(0)
	v_mul_f64 v[162:163], v[252:253], v[162:163]
	ds_read2_b64 v[196:199], v232 offset0:29 offset1:30
	s_waitcnt lgkmcnt(0)
	v_fma_f64 v[132:133], -v[162:163], v[196:197], v[132:133]
	v_fma_f64 v[160:161], -v[162:163], v[198:199], v[160:161]
	ds_read2_b64 v[196:199], v232 offset0:31 offset1:32
	s_waitcnt lgkmcnt(0)
	v_fma_f64 v[130:131], -v[162:163], v[196:197], v[130:131]
	v_fma_f64 v[158:159], -v[162:163], v[198:199], v[158:159]
	;; [unrolled: 4-line block ×8, first 2 shown]
	ds_read2_b64 v[196:199], v232 offset0:45 offset1:46
	s_waitcnt lgkmcnt(0)
	v_fma_f64 v[116:117], -v[162:163], v[196:197], v[116:117]
	ds_read_b64 v[196:197], v232 offset:376
	v_fma_f64 v[144:145], -v[162:163], v[198:199], v[144:145]
	s_waitcnt lgkmcnt(0)
	v_fma_f64 v[194:195], -v[162:163], v[196:197], v[194:195]
.LBB95_146:
	s_or_b32 exec_lo, exec_lo, s1
	s_mov_b32 s1, exec_lo
	s_waitcnt lgkmcnt(0)
	s_barrier
	buffer_gl0_inv
	v_cmpx_eq_u32_e32 29, v0
	s_cbranch_execz .LBB95_149
; %bb.147:
	v_mov_b32_e32 v196, v160
	v_mov_b32_e32 v197, v161
	;; [unrolled: 1-line block ×4, first 2 shown]
	ds_write_b64 v1, v[132:133]
	ds_write2_b64 v232, v[196:197], v[198:199] offset0:30 offset1:31
	v_mov_b32_e32 v196, v158
	v_mov_b32_e32 v197, v159
	v_mov_b32_e32 v198, v128
	v_mov_b32_e32 v199, v129
	ds_write2_b64 v232, v[196:197], v[198:199] offset0:32 offset1:33
	v_mov_b32_e32 v196, v156
	v_mov_b32_e32 v197, v157
	v_mov_b32_e32 v198, v126
	v_mov_b32_e32 v199, v127
	;; [unrolled: 5-line block ×7, first 2 shown]
	ds_write2_b64 v232, v[196:197], v[198:199] offset0:44 offset1:45
	v_mov_b32_e32 v196, v144
	v_mov_b32_e32 v197, v145
	ds_write2_b64 v232, v[196:197], v[194:195] offset0:46 offset1:47
	ds_read_b64 v[196:197], v1
	s_waitcnt lgkmcnt(0)
	v_cmp_neq_f64_e32 vcc_lo, 0, v[196:197]
	s_and_b32 exec_lo, exec_lo, vcc_lo
	s_cbranch_execz .LBB95_149
; %bb.148:
	v_div_scale_f64 v[198:199], null, v[196:197], v[196:197], 1.0
	v_rcp_f64_e32 v[200:201], v[198:199]
	v_fma_f64 v[202:203], -v[198:199], v[200:201], 1.0
	v_fma_f64 v[200:201], v[200:201], v[202:203], v[200:201]
	v_fma_f64 v[202:203], -v[198:199], v[200:201], 1.0
	v_fma_f64 v[200:201], v[200:201], v[202:203], v[200:201]
	v_div_scale_f64 v[202:203], vcc_lo, 1.0, v[196:197], 1.0
	v_mul_f64 v[204:205], v[202:203], v[200:201]
	v_fma_f64 v[198:199], -v[198:199], v[204:205], v[202:203]
	v_div_fmas_f64 v[198:199], v[198:199], v[200:201], v[204:205]
	v_div_fixup_f64 v[196:197], v[198:199], v[196:197], 1.0
	ds_write_b64 v1, v[196:197]
.LBB95_149:
	s_or_b32 exec_lo, exec_lo, s1
	s_waitcnt lgkmcnt(0)
	s_barrier
	buffer_gl0_inv
	ds_read_b64 v[254:255], v1
	s_mov_b32 s1, exec_lo
	v_cmpx_lt_u32_e32 29, v0
	s_cbranch_execz .LBB95_151
; %bb.150:
	s_waitcnt lgkmcnt(0)
	v_mul_f64 v[132:133], v[254:255], v[132:133]
	ds_read2_b64 v[196:199], v232 offset0:30 offset1:31
	s_waitcnt lgkmcnt(0)
	v_fma_f64 v[160:161], -v[132:133], v[196:197], v[160:161]
	v_fma_f64 v[130:131], -v[132:133], v[198:199], v[130:131]
	ds_read2_b64 v[196:199], v232 offset0:32 offset1:33
	s_waitcnt lgkmcnt(0)
	v_fma_f64 v[158:159], -v[132:133], v[196:197], v[158:159]
	v_fma_f64 v[128:129], -v[132:133], v[198:199], v[128:129]
	ds_read2_b64 v[196:199], v232 offset0:34 offset1:35
	s_waitcnt lgkmcnt(0)
	v_fma_f64 v[156:157], -v[132:133], v[196:197], v[156:157]
	v_fma_f64 v[126:127], -v[132:133], v[198:199], v[126:127]
	ds_read2_b64 v[196:199], v232 offset0:36 offset1:37
	s_waitcnt lgkmcnt(0)
	v_fma_f64 v[154:155], -v[132:133], v[196:197], v[154:155]
	v_fma_f64 v[124:125], -v[132:133], v[198:199], v[124:125]
	ds_read2_b64 v[196:199], v232 offset0:38 offset1:39
	s_waitcnt lgkmcnt(0)
	v_fma_f64 v[152:153], -v[132:133], v[196:197], v[152:153]
	v_fma_f64 v[122:123], -v[132:133], v[198:199], v[122:123]
	ds_read2_b64 v[196:199], v232 offset0:40 offset1:41
	s_waitcnt lgkmcnt(0)
	v_fma_f64 v[150:151], -v[132:133], v[196:197], v[150:151]
	v_fma_f64 v[120:121], -v[132:133], v[198:199], v[120:121]
	ds_read2_b64 v[196:199], v232 offset0:42 offset1:43
	s_waitcnt lgkmcnt(0)
	v_fma_f64 v[148:149], -v[132:133], v[196:197], v[148:149]
	v_fma_f64 v[118:119], -v[132:133], v[198:199], v[118:119]
	ds_read2_b64 v[196:199], v232 offset0:44 offset1:45
	s_waitcnt lgkmcnt(0)
	v_fma_f64 v[146:147], -v[132:133], v[196:197], v[146:147]
	v_fma_f64 v[116:117], -v[132:133], v[198:199], v[116:117]
	ds_read2_b64 v[196:199], v232 offset0:46 offset1:47
	s_waitcnt lgkmcnt(0)
	v_fma_f64 v[144:145], -v[132:133], v[196:197], v[144:145]
	v_fma_f64 v[194:195], -v[132:133], v[198:199], v[194:195]
.LBB95_151:
	s_or_b32 exec_lo, exec_lo, s1
	s_mov_b32 s1, exec_lo
	s_waitcnt lgkmcnt(0)
	s_barrier
	buffer_gl0_inv
	v_cmpx_eq_u32_e32 30, v0
	s_cbranch_execz .LBB95_154
; %bb.152:
	ds_write_b64 v1, v[160:161]
	ds_write2_b64 v232, v[130:131], v[158:159] offset0:31 offset1:32
	ds_write2_b64 v232, v[128:129], v[156:157] offset0:33 offset1:34
	;; [unrolled: 1-line block ×8, first 2 shown]
	ds_write_b64 v232, v[194:195] offset:376
	ds_read_b64 v[196:197], v1
	s_waitcnt lgkmcnt(0)
	v_cmp_neq_f64_e32 vcc_lo, 0, v[196:197]
	s_and_b32 exec_lo, exec_lo, vcc_lo
	s_cbranch_execz .LBB95_154
; %bb.153:
	v_div_scale_f64 v[198:199], null, v[196:197], v[196:197], 1.0
	v_rcp_f64_e32 v[200:201], v[198:199]
	v_fma_f64 v[202:203], -v[198:199], v[200:201], 1.0
	v_fma_f64 v[200:201], v[200:201], v[202:203], v[200:201]
	v_fma_f64 v[202:203], -v[198:199], v[200:201], 1.0
	v_fma_f64 v[200:201], v[200:201], v[202:203], v[200:201]
	v_div_scale_f64 v[202:203], vcc_lo, 1.0, v[196:197], 1.0
	v_mul_f64 v[204:205], v[202:203], v[200:201]
	v_fma_f64 v[198:199], -v[198:199], v[204:205], v[202:203]
	v_div_fmas_f64 v[198:199], v[198:199], v[200:201], v[204:205]
	v_div_fixup_f64 v[196:197], v[198:199], v[196:197], 1.0
	ds_write_b64 v1, v[196:197]
.LBB95_154:
	s_or_b32 exec_lo, exec_lo, s1
	s_waitcnt lgkmcnt(0)
	s_barrier
	buffer_gl0_inv
	ds_read_b64 v[196:197], v1
	s_mov_b32 s1, exec_lo
	v_cmpx_lt_u32_e32 30, v0
	s_cbranch_execz .LBB95_156
; %bb.155:
	s_waitcnt lgkmcnt(0)
	v_mul_f64 v[160:161], v[196:197], v[160:161]
	ds_read2_b64 v[198:201], v232 offset0:31 offset1:32
	s_waitcnt lgkmcnt(0)
	v_fma_f64 v[130:131], -v[160:161], v[198:199], v[130:131]
	v_fma_f64 v[158:159], -v[160:161], v[200:201], v[158:159]
	ds_read2_b64 v[198:201], v232 offset0:33 offset1:34
	s_waitcnt lgkmcnt(0)
	v_fma_f64 v[128:129], -v[160:161], v[198:199], v[128:129]
	v_fma_f64 v[156:157], -v[160:161], v[200:201], v[156:157]
	ds_read2_b64 v[198:201], v232 offset0:35 offset1:36
	s_waitcnt lgkmcnt(0)
	v_fma_f64 v[126:127], -v[160:161], v[198:199], v[126:127]
	v_fma_f64 v[154:155], -v[160:161], v[200:201], v[154:155]
	ds_read2_b64 v[198:201], v232 offset0:37 offset1:38
	s_waitcnt lgkmcnt(0)
	v_fma_f64 v[124:125], -v[160:161], v[198:199], v[124:125]
	v_fma_f64 v[152:153], -v[160:161], v[200:201], v[152:153]
	ds_read2_b64 v[198:201], v232 offset0:39 offset1:40
	s_waitcnt lgkmcnt(0)
	v_fma_f64 v[122:123], -v[160:161], v[198:199], v[122:123]
	v_fma_f64 v[150:151], -v[160:161], v[200:201], v[150:151]
	ds_read2_b64 v[198:201], v232 offset0:41 offset1:42
	s_waitcnt lgkmcnt(0)
	v_fma_f64 v[120:121], -v[160:161], v[198:199], v[120:121]
	v_fma_f64 v[148:149], -v[160:161], v[200:201], v[148:149]
	ds_read2_b64 v[198:201], v232 offset0:43 offset1:44
	s_waitcnt lgkmcnt(0)
	v_fma_f64 v[118:119], -v[160:161], v[198:199], v[118:119]
	v_fma_f64 v[146:147], -v[160:161], v[200:201], v[146:147]
	ds_read2_b64 v[198:201], v232 offset0:45 offset1:46
	s_waitcnt lgkmcnt(0)
	v_fma_f64 v[116:117], -v[160:161], v[198:199], v[116:117]
	ds_read_b64 v[198:199], v232 offset:376
	v_fma_f64 v[144:145], -v[160:161], v[200:201], v[144:145]
	s_waitcnt lgkmcnt(0)
	v_fma_f64 v[194:195], -v[160:161], v[198:199], v[194:195]
.LBB95_156:
	s_or_b32 exec_lo, exec_lo, s1
	s_mov_b32 s1, exec_lo
	s_waitcnt lgkmcnt(0)
	s_barrier
	buffer_gl0_inv
	v_cmpx_eq_u32_e32 31, v0
	s_cbranch_execz .LBB95_159
; %bb.157:
	v_mov_b32_e32 v198, v158
	v_mov_b32_e32 v199, v159
	v_mov_b32_e32 v200, v128
	v_mov_b32_e32 v201, v129
	ds_write_b64 v1, v[130:131]
	ds_write2_b64 v232, v[198:199], v[200:201] offset0:32 offset1:33
	v_mov_b32_e32 v198, v156
	v_mov_b32_e32 v199, v157
	v_mov_b32_e32 v200, v126
	v_mov_b32_e32 v201, v127
	ds_write2_b64 v232, v[198:199], v[200:201] offset0:34 offset1:35
	v_mov_b32_e32 v198, v154
	v_mov_b32_e32 v199, v155
	v_mov_b32_e32 v200, v124
	v_mov_b32_e32 v201, v125
	;; [unrolled: 5-line block ×6, first 2 shown]
	ds_write2_b64 v232, v[198:199], v[200:201] offset0:44 offset1:45
	v_mov_b32_e32 v198, v144
	v_mov_b32_e32 v199, v145
	ds_write2_b64 v232, v[198:199], v[194:195] offset0:46 offset1:47
	ds_read_b64 v[198:199], v1
	s_waitcnt lgkmcnt(0)
	v_cmp_neq_f64_e32 vcc_lo, 0, v[198:199]
	s_and_b32 exec_lo, exec_lo, vcc_lo
	s_cbranch_execz .LBB95_159
; %bb.158:
	v_div_scale_f64 v[200:201], null, v[198:199], v[198:199], 1.0
	v_rcp_f64_e32 v[202:203], v[200:201]
	v_fma_f64 v[204:205], -v[200:201], v[202:203], 1.0
	v_fma_f64 v[202:203], v[202:203], v[204:205], v[202:203]
	v_fma_f64 v[204:205], -v[200:201], v[202:203], 1.0
	v_fma_f64 v[202:203], v[202:203], v[204:205], v[202:203]
	v_div_scale_f64 v[204:205], vcc_lo, 1.0, v[198:199], 1.0
	v_mul_f64 v[206:207], v[204:205], v[202:203]
	v_fma_f64 v[200:201], -v[200:201], v[206:207], v[204:205]
	v_div_fmas_f64 v[200:201], v[200:201], v[202:203], v[206:207]
	v_div_fixup_f64 v[198:199], v[200:201], v[198:199], 1.0
	ds_write_b64 v1, v[198:199]
.LBB95_159:
	s_or_b32 exec_lo, exec_lo, s1
	s_waitcnt lgkmcnt(0)
	s_barrier
	buffer_gl0_inv
	ds_read_b64 v[198:199], v1
	s_mov_b32 s1, exec_lo
	v_cmpx_lt_u32_e32 31, v0
	s_cbranch_execz .LBB95_161
; %bb.160:
	s_waitcnt lgkmcnt(0)
	v_mul_f64 v[130:131], v[198:199], v[130:131]
	ds_read2_b64 v[200:203], v232 offset0:32 offset1:33
	s_waitcnt lgkmcnt(0)
	v_fma_f64 v[158:159], -v[130:131], v[200:201], v[158:159]
	v_fma_f64 v[128:129], -v[130:131], v[202:203], v[128:129]
	ds_read2_b64 v[200:203], v232 offset0:34 offset1:35
	s_waitcnt lgkmcnt(0)
	v_fma_f64 v[156:157], -v[130:131], v[200:201], v[156:157]
	v_fma_f64 v[126:127], -v[130:131], v[202:203], v[126:127]
	;; [unrolled: 4-line block ×8, first 2 shown]
.LBB95_161:
	s_or_b32 exec_lo, exec_lo, s1
	s_mov_b32 s1, exec_lo
	s_waitcnt lgkmcnt(0)
	s_barrier
	buffer_gl0_inv
	v_cmpx_eq_u32_e32 32, v0
	s_cbranch_execz .LBB95_164
; %bb.162:
	ds_write_b64 v1, v[158:159]
	ds_write2_b64 v232, v[128:129], v[156:157] offset0:33 offset1:34
	ds_write2_b64 v232, v[126:127], v[154:155] offset0:35 offset1:36
	;; [unrolled: 1-line block ×7, first 2 shown]
	ds_write_b64 v232, v[194:195] offset:376
	ds_read_b64 v[200:201], v1
	s_waitcnt lgkmcnt(0)
	v_cmp_neq_f64_e32 vcc_lo, 0, v[200:201]
	s_and_b32 exec_lo, exec_lo, vcc_lo
	s_cbranch_execz .LBB95_164
; %bb.163:
	v_div_scale_f64 v[202:203], null, v[200:201], v[200:201], 1.0
	v_rcp_f64_e32 v[204:205], v[202:203]
	v_fma_f64 v[206:207], -v[202:203], v[204:205], 1.0
	v_fma_f64 v[204:205], v[204:205], v[206:207], v[204:205]
	v_fma_f64 v[206:207], -v[202:203], v[204:205], 1.0
	v_fma_f64 v[204:205], v[204:205], v[206:207], v[204:205]
	v_div_scale_f64 v[206:207], vcc_lo, 1.0, v[200:201], 1.0
	v_mul_f64 v[208:209], v[206:207], v[204:205]
	v_fma_f64 v[202:203], -v[202:203], v[208:209], v[206:207]
	v_div_fmas_f64 v[202:203], v[202:203], v[204:205], v[208:209]
	v_div_fixup_f64 v[200:201], v[202:203], v[200:201], 1.0
	ds_write_b64 v1, v[200:201]
.LBB95_164:
	s_or_b32 exec_lo, exec_lo, s1
	s_waitcnt lgkmcnt(0)
	s_barrier
	buffer_gl0_inv
	ds_read_b64 v[200:201], v1
	s_mov_b32 s1, exec_lo
	v_cmpx_lt_u32_e32 32, v0
	s_cbranch_execz .LBB95_166
; %bb.165:
	s_waitcnt lgkmcnt(0)
	v_mul_f64 v[158:159], v[200:201], v[158:159]
	ds_read2_b64 v[202:205], v232 offset0:33 offset1:34
	s_waitcnt lgkmcnt(0)
	v_fma_f64 v[128:129], -v[158:159], v[202:203], v[128:129]
	v_fma_f64 v[156:157], -v[158:159], v[204:205], v[156:157]
	ds_read2_b64 v[202:205], v232 offset0:35 offset1:36
	s_waitcnt lgkmcnt(0)
	v_fma_f64 v[126:127], -v[158:159], v[202:203], v[126:127]
	v_fma_f64 v[154:155], -v[158:159], v[204:205], v[154:155]
	;; [unrolled: 4-line block ×6, first 2 shown]
	ds_read2_b64 v[202:205], v232 offset0:45 offset1:46
	s_waitcnt lgkmcnt(0)
	v_fma_f64 v[116:117], -v[158:159], v[202:203], v[116:117]
	ds_read_b64 v[202:203], v232 offset:376
	v_fma_f64 v[144:145], -v[158:159], v[204:205], v[144:145]
	s_waitcnt lgkmcnt(0)
	v_fma_f64 v[194:195], -v[158:159], v[202:203], v[194:195]
.LBB95_166:
	s_or_b32 exec_lo, exec_lo, s1
	s_mov_b32 s1, exec_lo
	s_waitcnt lgkmcnt(0)
	s_barrier
	buffer_gl0_inv
	v_cmpx_eq_u32_e32 33, v0
	s_cbranch_execz .LBB95_169
; %bb.167:
	v_mov_b32_e32 v202, v156
	v_mov_b32_e32 v203, v157
	;; [unrolled: 1-line block ×4, first 2 shown]
	ds_write_b64 v1, v[128:129]
	ds_write2_b64 v232, v[202:203], v[204:205] offset0:34 offset1:35
	v_mov_b32_e32 v202, v154
	v_mov_b32_e32 v203, v155
	v_mov_b32_e32 v204, v124
	v_mov_b32_e32 v205, v125
	ds_write2_b64 v232, v[202:203], v[204:205] offset0:36 offset1:37
	v_mov_b32_e32 v202, v152
	v_mov_b32_e32 v203, v153
	v_mov_b32_e32 v204, v122
	v_mov_b32_e32 v205, v123
	;; [unrolled: 5-line block ×5, first 2 shown]
	ds_write2_b64 v232, v[202:203], v[204:205] offset0:44 offset1:45
	v_mov_b32_e32 v202, v144
	v_mov_b32_e32 v203, v145
	ds_write2_b64 v232, v[202:203], v[194:195] offset0:46 offset1:47
	ds_read_b64 v[202:203], v1
	s_waitcnt lgkmcnt(0)
	v_cmp_neq_f64_e32 vcc_lo, 0, v[202:203]
	s_and_b32 exec_lo, exec_lo, vcc_lo
	s_cbranch_execz .LBB95_169
; %bb.168:
	v_div_scale_f64 v[204:205], null, v[202:203], v[202:203], 1.0
	v_rcp_f64_e32 v[206:207], v[204:205]
	v_fma_f64 v[208:209], -v[204:205], v[206:207], 1.0
	v_fma_f64 v[206:207], v[206:207], v[208:209], v[206:207]
	v_fma_f64 v[208:209], -v[204:205], v[206:207], 1.0
	v_fma_f64 v[206:207], v[206:207], v[208:209], v[206:207]
	v_div_scale_f64 v[208:209], vcc_lo, 1.0, v[202:203], 1.0
	v_mul_f64 v[210:211], v[208:209], v[206:207]
	v_fma_f64 v[204:205], -v[204:205], v[210:211], v[208:209]
	v_div_fmas_f64 v[204:205], v[204:205], v[206:207], v[210:211]
	v_div_fixup_f64 v[202:203], v[204:205], v[202:203], 1.0
	ds_write_b64 v1, v[202:203]
.LBB95_169:
	s_or_b32 exec_lo, exec_lo, s1
	s_waitcnt lgkmcnt(0)
	s_barrier
	buffer_gl0_inv
	ds_read_b64 v[202:203], v1
	s_mov_b32 s1, exec_lo
	v_cmpx_lt_u32_e32 33, v0
	s_cbranch_execz .LBB95_171
; %bb.170:
	s_waitcnt lgkmcnt(0)
	v_mul_f64 v[128:129], v[202:203], v[128:129]
	ds_read2_b64 v[204:207], v232 offset0:34 offset1:35
	s_waitcnt lgkmcnt(0)
	v_fma_f64 v[156:157], -v[128:129], v[204:205], v[156:157]
	v_fma_f64 v[126:127], -v[128:129], v[206:207], v[126:127]
	ds_read2_b64 v[204:207], v232 offset0:36 offset1:37
	s_waitcnt lgkmcnt(0)
	v_fma_f64 v[154:155], -v[128:129], v[204:205], v[154:155]
	v_fma_f64 v[124:125], -v[128:129], v[206:207], v[124:125]
	;; [unrolled: 4-line block ×7, first 2 shown]
.LBB95_171:
	s_or_b32 exec_lo, exec_lo, s1
	s_mov_b32 s1, exec_lo
	s_waitcnt lgkmcnt(0)
	s_barrier
	buffer_gl0_inv
	v_cmpx_eq_u32_e32 34, v0
	s_cbranch_execz .LBB95_174
; %bb.172:
	ds_write_b64 v1, v[156:157]
	ds_write2_b64 v232, v[126:127], v[154:155] offset0:35 offset1:36
	ds_write2_b64 v232, v[124:125], v[152:153] offset0:37 offset1:38
	;; [unrolled: 1-line block ×6, first 2 shown]
	ds_write_b64 v232, v[194:195] offset:376
	ds_read_b64 v[204:205], v1
	s_waitcnt lgkmcnt(0)
	v_cmp_neq_f64_e32 vcc_lo, 0, v[204:205]
	s_and_b32 exec_lo, exec_lo, vcc_lo
	s_cbranch_execz .LBB95_174
; %bb.173:
	v_div_scale_f64 v[206:207], null, v[204:205], v[204:205], 1.0
	v_rcp_f64_e32 v[208:209], v[206:207]
	v_fma_f64 v[210:211], -v[206:207], v[208:209], 1.0
	v_fma_f64 v[208:209], v[208:209], v[210:211], v[208:209]
	v_fma_f64 v[210:211], -v[206:207], v[208:209], 1.0
	v_fma_f64 v[208:209], v[208:209], v[210:211], v[208:209]
	v_div_scale_f64 v[210:211], vcc_lo, 1.0, v[204:205], 1.0
	v_mul_f64 v[212:213], v[210:211], v[208:209]
	v_fma_f64 v[206:207], -v[206:207], v[212:213], v[210:211]
	v_div_fmas_f64 v[206:207], v[206:207], v[208:209], v[212:213]
	v_div_fixup_f64 v[204:205], v[206:207], v[204:205], 1.0
	ds_write_b64 v1, v[204:205]
.LBB95_174:
	s_or_b32 exec_lo, exec_lo, s1
	s_waitcnt lgkmcnt(0)
	s_barrier
	buffer_gl0_inv
	ds_read_b64 v[204:205], v1
	s_mov_b32 s1, exec_lo
	v_cmpx_lt_u32_e32 34, v0
	s_cbranch_execz .LBB95_176
; %bb.175:
	s_waitcnt lgkmcnt(0)
	v_mul_f64 v[156:157], v[204:205], v[156:157]
	ds_read2_b64 v[206:209], v232 offset0:35 offset1:36
	s_waitcnt lgkmcnt(0)
	v_fma_f64 v[126:127], -v[156:157], v[206:207], v[126:127]
	v_fma_f64 v[154:155], -v[156:157], v[208:209], v[154:155]
	ds_read2_b64 v[206:209], v232 offset0:37 offset1:38
	s_waitcnt lgkmcnt(0)
	v_fma_f64 v[124:125], -v[156:157], v[206:207], v[124:125]
	v_fma_f64 v[152:153], -v[156:157], v[208:209], v[152:153]
	;; [unrolled: 4-line block ×5, first 2 shown]
	ds_read2_b64 v[206:209], v232 offset0:45 offset1:46
	s_waitcnt lgkmcnt(0)
	v_fma_f64 v[116:117], -v[156:157], v[206:207], v[116:117]
	ds_read_b64 v[206:207], v232 offset:376
	v_fma_f64 v[144:145], -v[156:157], v[208:209], v[144:145]
	s_waitcnt lgkmcnt(0)
	v_fma_f64 v[194:195], -v[156:157], v[206:207], v[194:195]
.LBB95_176:
	s_or_b32 exec_lo, exec_lo, s1
	s_mov_b32 s1, exec_lo
	s_waitcnt lgkmcnt(0)
	s_barrier
	buffer_gl0_inv
	v_cmpx_eq_u32_e32 35, v0
	s_cbranch_execz .LBB95_179
; %bb.177:
	v_mov_b32_e32 v206, v154
	v_mov_b32_e32 v207, v155
	;; [unrolled: 1-line block ×4, first 2 shown]
	ds_write_b64 v1, v[126:127]
	ds_write2_b64 v232, v[206:207], v[208:209] offset0:36 offset1:37
	v_mov_b32_e32 v206, v152
	v_mov_b32_e32 v207, v153
	v_mov_b32_e32 v208, v122
	v_mov_b32_e32 v209, v123
	ds_write2_b64 v232, v[206:207], v[208:209] offset0:38 offset1:39
	v_mov_b32_e32 v206, v150
	v_mov_b32_e32 v207, v151
	v_mov_b32_e32 v208, v120
	v_mov_b32_e32 v209, v121
	;; [unrolled: 5-line block ×4, first 2 shown]
	ds_write2_b64 v232, v[206:207], v[208:209] offset0:44 offset1:45
	v_mov_b32_e32 v206, v144
	v_mov_b32_e32 v207, v145
	ds_write2_b64 v232, v[206:207], v[194:195] offset0:46 offset1:47
	ds_read_b64 v[206:207], v1
	s_waitcnt lgkmcnt(0)
	v_cmp_neq_f64_e32 vcc_lo, 0, v[206:207]
	s_and_b32 exec_lo, exec_lo, vcc_lo
	s_cbranch_execz .LBB95_179
; %bb.178:
	v_div_scale_f64 v[208:209], null, v[206:207], v[206:207], 1.0
	v_rcp_f64_e32 v[210:211], v[208:209]
	v_fma_f64 v[212:213], -v[208:209], v[210:211], 1.0
	v_fma_f64 v[210:211], v[210:211], v[212:213], v[210:211]
	v_fma_f64 v[212:213], -v[208:209], v[210:211], 1.0
	v_fma_f64 v[210:211], v[210:211], v[212:213], v[210:211]
	v_div_scale_f64 v[212:213], vcc_lo, 1.0, v[206:207], 1.0
	v_mul_f64 v[214:215], v[212:213], v[210:211]
	v_fma_f64 v[208:209], -v[208:209], v[214:215], v[212:213]
	v_div_fmas_f64 v[208:209], v[208:209], v[210:211], v[214:215]
	v_div_fixup_f64 v[206:207], v[208:209], v[206:207], 1.0
	ds_write_b64 v1, v[206:207]
.LBB95_179:
	s_or_b32 exec_lo, exec_lo, s1
	s_waitcnt lgkmcnt(0)
	s_barrier
	buffer_gl0_inv
	ds_read_b64 v[206:207], v1
	s_mov_b32 s1, exec_lo
	v_cmpx_lt_u32_e32 35, v0
	s_cbranch_execz .LBB95_181
; %bb.180:
	s_waitcnt lgkmcnt(0)
	v_mul_f64 v[126:127], v[206:207], v[126:127]
	ds_read2_b64 v[208:211], v232 offset0:36 offset1:37
	s_waitcnt lgkmcnt(0)
	v_fma_f64 v[154:155], -v[126:127], v[208:209], v[154:155]
	v_fma_f64 v[124:125], -v[126:127], v[210:211], v[124:125]
	ds_read2_b64 v[208:211], v232 offset0:38 offset1:39
	s_waitcnt lgkmcnt(0)
	v_fma_f64 v[152:153], -v[126:127], v[208:209], v[152:153]
	v_fma_f64 v[122:123], -v[126:127], v[210:211], v[122:123]
	;; [unrolled: 4-line block ×6, first 2 shown]
.LBB95_181:
	s_or_b32 exec_lo, exec_lo, s1
	s_mov_b32 s1, exec_lo
	s_waitcnt lgkmcnt(0)
	s_barrier
	buffer_gl0_inv
	v_cmpx_eq_u32_e32 36, v0
	s_cbranch_execz .LBB95_184
; %bb.182:
	ds_write_b64 v1, v[154:155]
	ds_write2_b64 v232, v[124:125], v[152:153] offset0:37 offset1:38
	ds_write2_b64 v232, v[122:123], v[150:151] offset0:39 offset1:40
	;; [unrolled: 1-line block ×5, first 2 shown]
	ds_write_b64 v232, v[194:195] offset:376
	ds_read_b64 v[208:209], v1
	s_waitcnt lgkmcnt(0)
	v_cmp_neq_f64_e32 vcc_lo, 0, v[208:209]
	s_and_b32 exec_lo, exec_lo, vcc_lo
	s_cbranch_execz .LBB95_184
; %bb.183:
	v_div_scale_f64 v[210:211], null, v[208:209], v[208:209], 1.0
	v_rcp_f64_e32 v[212:213], v[210:211]
	v_fma_f64 v[214:215], -v[210:211], v[212:213], 1.0
	v_fma_f64 v[212:213], v[212:213], v[214:215], v[212:213]
	v_fma_f64 v[214:215], -v[210:211], v[212:213], 1.0
	v_fma_f64 v[212:213], v[212:213], v[214:215], v[212:213]
	v_div_scale_f64 v[214:215], vcc_lo, 1.0, v[208:209], 1.0
	v_mul_f64 v[216:217], v[214:215], v[212:213]
	v_fma_f64 v[210:211], -v[210:211], v[216:217], v[214:215]
	v_div_fmas_f64 v[210:211], v[210:211], v[212:213], v[216:217]
	v_div_fixup_f64 v[208:209], v[210:211], v[208:209], 1.0
	ds_write_b64 v1, v[208:209]
.LBB95_184:
	s_or_b32 exec_lo, exec_lo, s1
	s_waitcnt lgkmcnt(0)
	s_barrier
	buffer_gl0_inv
	ds_read_b64 v[208:209], v1
	s_mov_b32 s1, exec_lo
	v_cmpx_lt_u32_e32 36, v0
	s_cbranch_execz .LBB95_186
; %bb.185:
	s_waitcnt lgkmcnt(0)
	v_mul_f64 v[154:155], v[208:209], v[154:155]
	ds_read2_b64 v[210:213], v232 offset0:37 offset1:38
	s_waitcnt lgkmcnt(0)
	v_fma_f64 v[124:125], -v[154:155], v[210:211], v[124:125]
	v_fma_f64 v[152:153], -v[154:155], v[212:213], v[152:153]
	ds_read2_b64 v[210:213], v232 offset0:39 offset1:40
	s_waitcnt lgkmcnt(0)
	v_fma_f64 v[122:123], -v[154:155], v[210:211], v[122:123]
	v_fma_f64 v[150:151], -v[154:155], v[212:213], v[150:151]
	;; [unrolled: 4-line block ×4, first 2 shown]
	ds_read2_b64 v[210:213], v232 offset0:45 offset1:46
	s_waitcnt lgkmcnt(0)
	v_fma_f64 v[116:117], -v[154:155], v[210:211], v[116:117]
	ds_read_b64 v[210:211], v232 offset:376
	v_fma_f64 v[144:145], -v[154:155], v[212:213], v[144:145]
	s_waitcnt lgkmcnt(0)
	v_fma_f64 v[194:195], -v[154:155], v[210:211], v[194:195]
.LBB95_186:
	s_or_b32 exec_lo, exec_lo, s1
	s_mov_b32 s1, exec_lo
	s_waitcnt lgkmcnt(0)
	s_barrier
	buffer_gl0_inv
	v_cmpx_eq_u32_e32 37, v0
	s_cbranch_execz .LBB95_189
; %bb.187:
	v_mov_b32_e32 v210, v152
	v_mov_b32_e32 v211, v153
	;; [unrolled: 1-line block ×4, first 2 shown]
	ds_write_b64 v1, v[124:125]
	ds_write2_b64 v232, v[210:211], v[212:213] offset0:38 offset1:39
	v_mov_b32_e32 v210, v150
	v_mov_b32_e32 v211, v151
	v_mov_b32_e32 v212, v120
	v_mov_b32_e32 v213, v121
	ds_write2_b64 v232, v[210:211], v[212:213] offset0:40 offset1:41
	v_mov_b32_e32 v210, v148
	v_mov_b32_e32 v211, v149
	v_mov_b32_e32 v212, v118
	v_mov_b32_e32 v213, v119
	;; [unrolled: 5-line block ×3, first 2 shown]
	ds_write2_b64 v232, v[210:211], v[212:213] offset0:44 offset1:45
	v_mov_b32_e32 v210, v144
	v_mov_b32_e32 v211, v145
	ds_write2_b64 v232, v[210:211], v[194:195] offset0:46 offset1:47
	ds_read_b64 v[210:211], v1
	s_waitcnt lgkmcnt(0)
	v_cmp_neq_f64_e32 vcc_lo, 0, v[210:211]
	s_and_b32 exec_lo, exec_lo, vcc_lo
	s_cbranch_execz .LBB95_189
; %bb.188:
	v_div_scale_f64 v[212:213], null, v[210:211], v[210:211], 1.0
	v_rcp_f64_e32 v[214:215], v[212:213]
	v_fma_f64 v[216:217], -v[212:213], v[214:215], 1.0
	v_fma_f64 v[214:215], v[214:215], v[216:217], v[214:215]
	v_fma_f64 v[216:217], -v[212:213], v[214:215], 1.0
	v_fma_f64 v[214:215], v[214:215], v[216:217], v[214:215]
	v_div_scale_f64 v[216:217], vcc_lo, 1.0, v[210:211], 1.0
	v_mul_f64 v[218:219], v[216:217], v[214:215]
	v_fma_f64 v[212:213], -v[212:213], v[218:219], v[216:217]
	v_div_fmas_f64 v[212:213], v[212:213], v[214:215], v[218:219]
	v_div_fixup_f64 v[210:211], v[212:213], v[210:211], 1.0
	ds_write_b64 v1, v[210:211]
.LBB95_189:
	s_or_b32 exec_lo, exec_lo, s1
	s_waitcnt lgkmcnt(0)
	s_barrier
	buffer_gl0_inv
	ds_read_b64 v[210:211], v1
	s_mov_b32 s1, exec_lo
	v_cmpx_lt_u32_e32 37, v0
	s_cbranch_execz .LBB95_191
; %bb.190:
	s_waitcnt lgkmcnt(0)
	v_mul_f64 v[124:125], v[210:211], v[124:125]
	ds_read2_b64 v[212:215], v232 offset0:38 offset1:39
	s_waitcnt lgkmcnt(0)
	v_fma_f64 v[152:153], -v[124:125], v[212:213], v[152:153]
	v_fma_f64 v[122:123], -v[124:125], v[214:215], v[122:123]
	ds_read2_b64 v[212:215], v232 offset0:40 offset1:41
	s_waitcnt lgkmcnt(0)
	v_fma_f64 v[150:151], -v[124:125], v[212:213], v[150:151]
	v_fma_f64 v[120:121], -v[124:125], v[214:215], v[120:121]
	;; [unrolled: 4-line block ×5, first 2 shown]
.LBB95_191:
	s_or_b32 exec_lo, exec_lo, s1
	s_mov_b32 s1, exec_lo
	s_waitcnt lgkmcnt(0)
	s_barrier
	buffer_gl0_inv
	v_cmpx_eq_u32_e32 38, v0
	s_cbranch_execz .LBB95_194
; %bb.192:
	ds_write_b64 v1, v[152:153]
	ds_write2_b64 v232, v[122:123], v[150:151] offset0:39 offset1:40
	ds_write2_b64 v232, v[120:121], v[148:149] offset0:41 offset1:42
	;; [unrolled: 1-line block ×4, first 2 shown]
	ds_write_b64 v232, v[194:195] offset:376
	ds_read_b64 v[212:213], v1
	s_waitcnt lgkmcnt(0)
	v_cmp_neq_f64_e32 vcc_lo, 0, v[212:213]
	s_and_b32 exec_lo, exec_lo, vcc_lo
	s_cbranch_execz .LBB95_194
; %bb.193:
	v_div_scale_f64 v[214:215], null, v[212:213], v[212:213], 1.0
	v_rcp_f64_e32 v[216:217], v[214:215]
	v_fma_f64 v[218:219], -v[214:215], v[216:217], 1.0
	v_fma_f64 v[216:217], v[216:217], v[218:219], v[216:217]
	v_fma_f64 v[218:219], -v[214:215], v[216:217], 1.0
	v_fma_f64 v[216:217], v[216:217], v[218:219], v[216:217]
	v_div_scale_f64 v[218:219], vcc_lo, 1.0, v[212:213], 1.0
	v_mul_f64 v[220:221], v[218:219], v[216:217]
	v_fma_f64 v[214:215], -v[214:215], v[220:221], v[218:219]
	v_div_fmas_f64 v[214:215], v[214:215], v[216:217], v[220:221]
	v_div_fixup_f64 v[212:213], v[214:215], v[212:213], 1.0
	ds_write_b64 v1, v[212:213]
.LBB95_194:
	s_or_b32 exec_lo, exec_lo, s1
	s_waitcnt lgkmcnt(0)
	s_barrier
	buffer_gl0_inv
	ds_read_b64 v[212:213], v1
	s_mov_b32 s1, exec_lo
	v_cmpx_lt_u32_e32 38, v0
	s_cbranch_execz .LBB95_196
; %bb.195:
	s_waitcnt lgkmcnt(0)
	v_mul_f64 v[152:153], v[212:213], v[152:153]
	ds_read2_b64 v[214:217], v232 offset0:39 offset1:40
	s_waitcnt lgkmcnt(0)
	v_fma_f64 v[122:123], -v[152:153], v[214:215], v[122:123]
	v_fma_f64 v[150:151], -v[152:153], v[216:217], v[150:151]
	ds_read2_b64 v[214:217], v232 offset0:41 offset1:42
	s_waitcnt lgkmcnt(0)
	v_fma_f64 v[120:121], -v[152:153], v[214:215], v[120:121]
	v_fma_f64 v[148:149], -v[152:153], v[216:217], v[148:149]
	;; [unrolled: 4-line block ×3, first 2 shown]
	ds_read2_b64 v[214:217], v232 offset0:45 offset1:46
	s_waitcnt lgkmcnt(0)
	v_fma_f64 v[116:117], -v[152:153], v[214:215], v[116:117]
	ds_read_b64 v[214:215], v232 offset:376
	v_fma_f64 v[144:145], -v[152:153], v[216:217], v[144:145]
	s_waitcnt lgkmcnt(0)
	v_fma_f64 v[194:195], -v[152:153], v[214:215], v[194:195]
.LBB95_196:
	s_or_b32 exec_lo, exec_lo, s1
	s_mov_b32 s1, exec_lo
	s_waitcnt lgkmcnt(0)
	s_barrier
	buffer_gl0_inv
	v_cmpx_eq_u32_e32 39, v0
	s_cbranch_execz .LBB95_199
; %bb.197:
	v_mov_b32_e32 v214, v150
	v_mov_b32_e32 v215, v151
	;; [unrolled: 1-line block ×4, first 2 shown]
	ds_write_b64 v1, v[122:123]
	ds_write2_b64 v232, v[214:215], v[216:217] offset0:40 offset1:41
	v_mov_b32_e32 v214, v148
	v_mov_b32_e32 v215, v149
	v_mov_b32_e32 v216, v118
	v_mov_b32_e32 v217, v119
	ds_write2_b64 v232, v[214:215], v[216:217] offset0:42 offset1:43
	v_mov_b32_e32 v214, v146
	v_mov_b32_e32 v215, v147
	;; [unrolled: 1-line block ×4, first 2 shown]
	ds_write2_b64 v232, v[214:215], v[216:217] offset0:44 offset1:45
	v_mov_b32_e32 v214, v144
	v_mov_b32_e32 v215, v145
	ds_write2_b64 v232, v[214:215], v[194:195] offset0:46 offset1:47
	ds_read_b64 v[214:215], v1
	s_waitcnt lgkmcnt(0)
	v_cmp_neq_f64_e32 vcc_lo, 0, v[214:215]
	s_and_b32 exec_lo, exec_lo, vcc_lo
	s_cbranch_execz .LBB95_199
; %bb.198:
	v_div_scale_f64 v[216:217], null, v[214:215], v[214:215], 1.0
	v_rcp_f64_e32 v[218:219], v[216:217]
	v_fma_f64 v[220:221], -v[216:217], v[218:219], 1.0
	v_fma_f64 v[218:219], v[218:219], v[220:221], v[218:219]
	v_fma_f64 v[220:221], -v[216:217], v[218:219], 1.0
	v_fma_f64 v[218:219], v[218:219], v[220:221], v[218:219]
	v_div_scale_f64 v[220:221], vcc_lo, 1.0, v[214:215], 1.0
	v_mul_f64 v[222:223], v[220:221], v[218:219]
	v_fma_f64 v[216:217], -v[216:217], v[222:223], v[220:221]
	v_div_fmas_f64 v[216:217], v[216:217], v[218:219], v[222:223]
	v_div_fixup_f64 v[214:215], v[216:217], v[214:215], 1.0
	ds_write_b64 v1, v[214:215]
.LBB95_199:
	s_or_b32 exec_lo, exec_lo, s1
	s_waitcnt lgkmcnt(0)
	s_barrier
	buffer_gl0_inv
	ds_read_b64 v[214:215], v1
	s_mov_b32 s1, exec_lo
	v_cmpx_lt_u32_e32 39, v0
	s_cbranch_execz .LBB95_201
; %bb.200:
	s_waitcnt lgkmcnt(0)
	v_mul_f64 v[122:123], v[214:215], v[122:123]
	ds_read2_b64 v[216:219], v232 offset0:40 offset1:41
	s_waitcnt lgkmcnt(0)
	v_fma_f64 v[150:151], -v[122:123], v[216:217], v[150:151]
	v_fma_f64 v[120:121], -v[122:123], v[218:219], v[120:121]
	ds_read2_b64 v[216:219], v232 offset0:42 offset1:43
	s_waitcnt lgkmcnt(0)
	v_fma_f64 v[148:149], -v[122:123], v[216:217], v[148:149]
	v_fma_f64 v[118:119], -v[122:123], v[218:219], v[118:119]
	;; [unrolled: 4-line block ×4, first 2 shown]
.LBB95_201:
	s_or_b32 exec_lo, exec_lo, s1
	s_mov_b32 s1, exec_lo
	s_waitcnt lgkmcnt(0)
	s_barrier
	buffer_gl0_inv
	v_cmpx_eq_u32_e32 40, v0
	s_cbranch_execz .LBB95_204
; %bb.202:
	ds_write_b64 v1, v[150:151]
	ds_write2_b64 v232, v[120:121], v[148:149] offset0:41 offset1:42
	ds_write2_b64 v232, v[118:119], v[146:147] offset0:43 offset1:44
	;; [unrolled: 1-line block ×3, first 2 shown]
	ds_write_b64 v232, v[194:195] offset:376
	ds_read_b64 v[216:217], v1
	s_waitcnt lgkmcnt(0)
	v_cmp_neq_f64_e32 vcc_lo, 0, v[216:217]
	s_and_b32 exec_lo, exec_lo, vcc_lo
	s_cbranch_execz .LBB95_204
; %bb.203:
	v_div_scale_f64 v[218:219], null, v[216:217], v[216:217], 1.0
	v_rcp_f64_e32 v[220:221], v[218:219]
	v_fma_f64 v[222:223], -v[218:219], v[220:221], 1.0
	v_fma_f64 v[220:221], v[220:221], v[222:223], v[220:221]
	v_fma_f64 v[222:223], -v[218:219], v[220:221], 1.0
	v_fma_f64 v[220:221], v[220:221], v[222:223], v[220:221]
	v_div_scale_f64 v[222:223], vcc_lo, 1.0, v[216:217], 1.0
	v_mul_f64 v[224:225], v[222:223], v[220:221]
	v_fma_f64 v[218:219], -v[218:219], v[224:225], v[222:223]
	v_div_fmas_f64 v[218:219], v[218:219], v[220:221], v[224:225]
	v_div_fixup_f64 v[216:217], v[218:219], v[216:217], 1.0
	ds_write_b64 v1, v[216:217]
.LBB95_204:
	s_or_b32 exec_lo, exec_lo, s1
	s_waitcnt lgkmcnt(0)
	s_barrier
	buffer_gl0_inv
	ds_read_b64 v[218:219], v1
	s_mov_b32 s1, exec_lo
	v_cmpx_lt_u32_e32 40, v0
	s_cbranch_execz .LBB95_206
; %bb.205:
	s_waitcnt lgkmcnt(0)
	v_mul_f64 v[150:151], v[218:219], v[150:151]
	ds_read2_b64 v[220:223], v232 offset0:41 offset1:42
	ds_read_b64 v[216:217], v232 offset:376
	s_waitcnt lgkmcnt(1)
	v_fma_f64 v[120:121], -v[150:151], v[220:221], v[120:121]
	v_fma_f64 v[148:149], -v[150:151], v[222:223], v[148:149]
	ds_read2_b64 v[220:223], v232 offset0:43 offset1:44
	s_waitcnt lgkmcnt(1)
	v_fma_f64 v[194:195], -v[150:151], v[216:217], v[194:195]
	s_waitcnt lgkmcnt(0)
	v_fma_f64 v[118:119], -v[150:151], v[220:221], v[118:119]
	v_fma_f64 v[146:147], -v[150:151], v[222:223], v[146:147]
	ds_read2_b64 v[220:223], v232 offset0:45 offset1:46
	s_waitcnt lgkmcnt(0)
	v_fma_f64 v[116:117], -v[150:151], v[220:221], v[116:117]
	v_fma_f64 v[144:145], -v[150:151], v[222:223], v[144:145]
.LBB95_206:
	s_or_b32 exec_lo, exec_lo, s1
	s_mov_b32 s1, exec_lo
	s_waitcnt lgkmcnt(0)
	s_barrier
	buffer_gl0_inv
	v_cmpx_eq_u32_e32 41, v0
	s_cbranch_execz .LBB95_209
; %bb.207:
	v_mov_b32_e32 v216, v148
	v_mov_b32_e32 v217, v149
	;; [unrolled: 1-line block ×4, first 2 shown]
	ds_write_b64 v1, v[120:121]
	ds_write2_b64 v232, v[216:217], v[220:221] offset0:42 offset1:43
	v_mov_b32_e32 v216, v146
	v_mov_b32_e32 v217, v147
	;; [unrolled: 1-line block ×4, first 2 shown]
	ds_write2_b64 v232, v[216:217], v[220:221] offset0:44 offset1:45
	v_mov_b32_e32 v216, v144
	v_mov_b32_e32 v217, v145
	ds_write2_b64 v232, v[216:217], v[194:195] offset0:46 offset1:47
	ds_read_b64 v[216:217], v1
	s_waitcnt lgkmcnt(0)
	v_cmp_neq_f64_e32 vcc_lo, 0, v[216:217]
	s_and_b32 exec_lo, exec_lo, vcc_lo
	s_cbranch_execz .LBB95_209
; %bb.208:
	v_div_scale_f64 v[220:221], null, v[216:217], v[216:217], 1.0
	v_rcp_f64_e32 v[222:223], v[220:221]
	v_fma_f64 v[224:225], -v[220:221], v[222:223], 1.0
	v_fma_f64 v[222:223], v[222:223], v[224:225], v[222:223]
	v_fma_f64 v[224:225], -v[220:221], v[222:223], 1.0
	v_fma_f64 v[222:223], v[222:223], v[224:225], v[222:223]
	v_div_scale_f64 v[224:225], vcc_lo, 1.0, v[216:217], 1.0
	v_mul_f64 v[226:227], v[224:225], v[222:223]
	v_fma_f64 v[220:221], -v[220:221], v[226:227], v[224:225]
	v_div_fmas_f64 v[220:221], v[220:221], v[222:223], v[226:227]
	v_div_fixup_f64 v[216:217], v[220:221], v[216:217], 1.0
	ds_write_b64 v1, v[216:217]
.LBB95_209:
	s_or_b32 exec_lo, exec_lo, s1
	s_waitcnt lgkmcnt(0)
	s_barrier
	buffer_gl0_inv
	ds_read_b64 v[220:221], v1
	s_mov_b32 s1, exec_lo
	v_cmpx_lt_u32_e32 41, v0
	s_cbranch_execz .LBB95_211
; %bb.210:
	s_waitcnt lgkmcnt(0)
	v_mul_f64 v[120:121], v[220:221], v[120:121]
	ds_read2_b64 v[222:225], v232 offset0:42 offset1:43
	s_waitcnt lgkmcnt(0)
	v_fma_f64 v[148:149], -v[120:121], v[222:223], v[148:149]
	v_fma_f64 v[118:119], -v[120:121], v[224:225], v[118:119]
	ds_read2_b64 v[222:225], v232 offset0:44 offset1:45
	s_waitcnt lgkmcnt(0)
	v_fma_f64 v[146:147], -v[120:121], v[222:223], v[146:147]
	v_fma_f64 v[116:117], -v[120:121], v[224:225], v[116:117]
	;; [unrolled: 4-line block ×3, first 2 shown]
.LBB95_211:
	s_or_b32 exec_lo, exec_lo, s1
	s_mov_b32 s1, exec_lo
	s_waitcnt lgkmcnt(0)
	s_barrier
	buffer_gl0_inv
	v_cmpx_eq_u32_e32 42, v0
	s_cbranch_execz .LBB95_214
; %bb.212:
	ds_write_b64 v1, v[148:149]
	ds_write2_b64 v232, v[118:119], v[146:147] offset0:43 offset1:44
	ds_write2_b64 v232, v[116:117], v[144:145] offset0:45 offset1:46
	ds_write_b64 v232, v[194:195] offset:376
	ds_read_b64 v[216:217], v1
	s_waitcnt lgkmcnt(0)
	v_cmp_neq_f64_e32 vcc_lo, 0, v[216:217]
	s_and_b32 exec_lo, exec_lo, vcc_lo
	s_cbranch_execz .LBB95_214
; %bb.213:
	v_div_scale_f64 v[222:223], null, v[216:217], v[216:217], 1.0
	v_rcp_f64_e32 v[224:225], v[222:223]
	v_fma_f64 v[226:227], -v[222:223], v[224:225], 1.0
	v_fma_f64 v[224:225], v[224:225], v[226:227], v[224:225]
	v_fma_f64 v[226:227], -v[222:223], v[224:225], 1.0
	v_fma_f64 v[224:225], v[224:225], v[226:227], v[224:225]
	v_div_scale_f64 v[226:227], vcc_lo, 1.0, v[216:217], 1.0
	v_mul_f64 v[228:229], v[226:227], v[224:225]
	v_fma_f64 v[222:223], -v[222:223], v[228:229], v[226:227]
	v_div_fmas_f64 v[222:223], v[222:223], v[224:225], v[228:229]
	v_div_fixup_f64 v[216:217], v[222:223], v[216:217], 1.0
	ds_write_b64 v1, v[216:217]
.LBB95_214:
	s_or_b32 exec_lo, exec_lo, s1
	s_waitcnt lgkmcnt(0)
	s_barrier
	buffer_gl0_inv
	ds_read_b64 v[222:223], v1
	s_mov_b32 s1, exec_lo
	v_cmpx_lt_u32_e32 42, v0
	s_cbranch_execz .LBB95_216
; %bb.215:
	s_waitcnt lgkmcnt(0)
	v_mul_f64 v[148:149], v[222:223], v[148:149]
	ds_read2_b64 v[224:227], v232 offset0:43 offset1:44
	ds_read_b64 v[216:217], v232 offset:376
	s_waitcnt lgkmcnt(1)
	v_fma_f64 v[118:119], -v[148:149], v[224:225], v[118:119]
	v_fma_f64 v[146:147], -v[148:149], v[226:227], v[146:147]
	ds_read2_b64 v[224:227], v232 offset0:45 offset1:46
	s_waitcnt lgkmcnt(1)
	v_fma_f64 v[194:195], -v[148:149], v[216:217], v[194:195]
	s_waitcnt lgkmcnt(0)
	v_fma_f64 v[116:117], -v[148:149], v[224:225], v[116:117]
	v_fma_f64 v[144:145], -v[148:149], v[226:227], v[144:145]
.LBB95_216:
	s_or_b32 exec_lo, exec_lo, s1
	s_mov_b32 s1, exec_lo
	s_waitcnt lgkmcnt(0)
	s_barrier
	buffer_gl0_inv
	v_cmpx_eq_u32_e32 43, v0
	s_cbranch_execz .LBB95_219
; %bb.217:
	v_mov_b32_e32 v216, v146
	v_mov_b32_e32 v217, v147
	;; [unrolled: 1-line block ×4, first 2 shown]
	ds_write_b64 v1, v[118:119]
	ds_write2_b64 v232, v[216:217], v[224:225] offset0:44 offset1:45
	v_mov_b32_e32 v216, v144
	v_mov_b32_e32 v217, v145
	ds_write2_b64 v232, v[216:217], v[194:195] offset0:46 offset1:47
	ds_read_b64 v[216:217], v1
	s_waitcnt lgkmcnt(0)
	v_cmp_neq_f64_e32 vcc_lo, 0, v[216:217]
	s_and_b32 exec_lo, exec_lo, vcc_lo
	s_cbranch_execz .LBB95_219
; %bb.218:
	v_div_scale_f64 v[224:225], null, v[216:217], v[216:217], 1.0
	v_rcp_f64_e32 v[226:227], v[224:225]
	v_fma_f64 v[228:229], -v[224:225], v[226:227], 1.0
	v_fma_f64 v[226:227], v[226:227], v[228:229], v[226:227]
	v_fma_f64 v[228:229], -v[224:225], v[226:227], 1.0
	v_fma_f64 v[226:227], v[226:227], v[228:229], v[226:227]
	v_div_scale_f64 v[228:229], vcc_lo, 1.0, v[216:217], 1.0
	v_mul_f64 v[230:231], v[228:229], v[226:227]
	v_fma_f64 v[224:225], -v[224:225], v[230:231], v[228:229]
	v_div_fmas_f64 v[224:225], v[224:225], v[226:227], v[230:231]
	v_div_fixup_f64 v[216:217], v[224:225], v[216:217], 1.0
	ds_write_b64 v1, v[216:217]
.LBB95_219:
	s_or_b32 exec_lo, exec_lo, s1
	s_waitcnt lgkmcnt(0)
	s_barrier
	buffer_gl0_inv
	ds_read_b64 v[224:225], v1
	s_mov_b32 s1, exec_lo
	v_cmpx_lt_u32_e32 43, v0
	s_cbranch_execz .LBB95_221
; %bb.220:
	s_waitcnt lgkmcnt(0)
	v_mul_f64 v[118:119], v[224:225], v[118:119]
	ds_read2_b64 v[226:229], v232 offset0:44 offset1:45
	s_waitcnt lgkmcnt(0)
	v_fma_f64 v[146:147], -v[118:119], v[226:227], v[146:147]
	v_fma_f64 v[116:117], -v[118:119], v[228:229], v[116:117]
	ds_read2_b64 v[226:229], v232 offset0:46 offset1:47
	s_waitcnt lgkmcnt(0)
	v_fma_f64 v[144:145], -v[118:119], v[226:227], v[144:145]
	v_fma_f64 v[194:195], -v[118:119], v[228:229], v[194:195]
.LBB95_221:
	s_or_b32 exec_lo, exec_lo, s1
	s_mov_b32 s1, exec_lo
	s_waitcnt lgkmcnt(0)
	s_barrier
	buffer_gl0_inv
	v_cmpx_eq_u32_e32 44, v0
	s_cbranch_execz .LBB95_224
; %bb.222:
	ds_write_b64 v1, v[146:147]
	ds_write2_b64 v232, v[116:117], v[144:145] offset0:45 offset1:46
	ds_write_b64 v232, v[194:195] offset:376
	ds_read_b64 v[216:217], v1
	s_waitcnt lgkmcnt(0)
	v_cmp_neq_f64_e32 vcc_lo, 0, v[216:217]
	s_and_b32 exec_lo, exec_lo, vcc_lo
	s_cbranch_execz .LBB95_224
; %bb.223:
	v_div_scale_f64 v[226:227], null, v[216:217], v[216:217], 1.0
	v_rcp_f64_e32 v[228:229], v[226:227]
	v_fma_f64 v[230:231], -v[226:227], v[228:229], 1.0
	v_fma_f64 v[228:229], v[228:229], v[230:231], v[228:229]
	v_fma_f64 v[230:231], -v[226:227], v[228:229], 1.0
	v_fma_f64 v[228:229], v[228:229], v[230:231], v[228:229]
	v_div_scale_f64 v[230:231], vcc_lo, 1.0, v[216:217], 1.0
	v_mul_f64 v[233:234], v[230:231], v[228:229]
	v_fma_f64 v[226:227], -v[226:227], v[233:234], v[230:231]
	v_div_fmas_f64 v[226:227], v[226:227], v[228:229], v[233:234]
	v_div_fixup_f64 v[216:217], v[226:227], v[216:217], 1.0
	ds_write_b64 v1, v[216:217]
.LBB95_224:
	s_or_b32 exec_lo, exec_lo, s1
	s_waitcnt lgkmcnt(0)
	s_barrier
	buffer_gl0_inv
	ds_read_b64 v[226:227], v1
	s_mov_b32 s1, exec_lo
	v_cmpx_lt_u32_e32 44, v0
	s_cbranch_execz .LBB95_226
; %bb.225:
	s_waitcnt lgkmcnt(0)
	v_mul_f64 v[146:147], v[226:227], v[146:147]
	ds_read2_b64 v[228:231], v232 offset0:45 offset1:46
	ds_read_b64 v[216:217], v232 offset:376
	s_waitcnt lgkmcnt(1)
	v_fma_f64 v[116:117], -v[146:147], v[228:229], v[116:117]
	v_fma_f64 v[144:145], -v[146:147], v[230:231], v[144:145]
	s_waitcnt lgkmcnt(0)
	v_fma_f64 v[194:195], -v[146:147], v[216:217], v[194:195]
.LBB95_226:
	s_or_b32 exec_lo, exec_lo, s1
	s_mov_b32 s1, exec_lo
	s_waitcnt lgkmcnt(0)
	s_barrier
	buffer_gl0_inv
	v_cmpx_eq_u32_e32 45, v0
	s_cbranch_execz .LBB95_229
; %bb.227:
	v_mov_b32_e32 v216, v144
	v_mov_b32_e32 v217, v145
	ds_write_b64 v1, v[116:117]
	ds_write2_b64 v232, v[216:217], v[194:195] offset0:46 offset1:47
	ds_read_b64 v[216:217], v1
	s_waitcnt lgkmcnt(0)
	v_cmp_neq_f64_e32 vcc_lo, 0, v[216:217]
	s_and_b32 exec_lo, exec_lo, vcc_lo
	s_cbranch_execz .LBB95_229
; %bb.228:
	v_div_scale_f64 v[228:229], null, v[216:217], v[216:217], 1.0
	v_rcp_f64_e32 v[230:231], v[228:229]
	v_fma_f64 v[233:234], -v[228:229], v[230:231], 1.0
	v_fma_f64 v[230:231], v[230:231], v[233:234], v[230:231]
	v_fma_f64 v[233:234], -v[228:229], v[230:231], 1.0
	v_fma_f64 v[230:231], v[230:231], v[233:234], v[230:231]
	v_div_scale_f64 v[233:234], vcc_lo, 1.0, v[216:217], 1.0
	v_mul_f64 v[235:236], v[233:234], v[230:231]
	v_fma_f64 v[228:229], -v[228:229], v[235:236], v[233:234]
	v_div_fmas_f64 v[228:229], v[228:229], v[230:231], v[235:236]
	v_div_fixup_f64 v[216:217], v[228:229], v[216:217], 1.0
	ds_write_b64 v1, v[216:217]
.LBB95_229:
	s_or_b32 exec_lo, exec_lo, s1
	s_waitcnt lgkmcnt(0)
	s_barrier
	buffer_gl0_inv
	ds_read_b64 v[228:229], v1
	s_mov_b32 s1, exec_lo
	v_cmpx_lt_u32_e32 45, v0
	s_cbranch_execz .LBB95_231
; %bb.230:
	s_waitcnt lgkmcnt(0)
	v_mul_f64 v[116:117], v[228:229], v[116:117]
	ds_read2_b64 v[233:236], v232 offset0:46 offset1:47
	s_waitcnt lgkmcnt(0)
	v_fma_f64 v[144:145], -v[116:117], v[233:234], v[144:145]
	v_fma_f64 v[194:195], -v[116:117], v[235:236], v[194:195]
.LBB95_231:
	s_or_b32 exec_lo, exec_lo, s1
	s_mov_b32 s1, exec_lo
	s_waitcnt lgkmcnt(0)
	s_barrier
	buffer_gl0_inv
	v_cmpx_eq_u32_e32 46, v0
	s_cbranch_execz .LBB95_234
; %bb.232:
	ds_write_b64 v1, v[144:145]
	ds_write_b64 v232, v[194:195] offset:376
	ds_read_b64 v[216:217], v1
	s_waitcnt lgkmcnt(0)
	v_cmp_neq_f64_e32 vcc_lo, 0, v[216:217]
	s_and_b32 exec_lo, exec_lo, vcc_lo
	s_cbranch_execz .LBB95_234
; %bb.233:
	v_div_scale_f64 v[230:231], null, v[216:217], v[216:217], 1.0
	v_rcp_f64_e32 v[233:234], v[230:231]
	v_fma_f64 v[235:236], -v[230:231], v[233:234], 1.0
	v_fma_f64 v[233:234], v[233:234], v[235:236], v[233:234]
	v_fma_f64 v[235:236], -v[230:231], v[233:234], 1.0
	v_fma_f64 v[233:234], v[233:234], v[235:236], v[233:234]
	v_div_scale_f64 v[235:236], vcc_lo, 1.0, v[216:217], 1.0
	v_mul_f64 v[4:5], v[235:236], v[233:234]
	v_fma_f64 v[230:231], -v[230:231], v[4:5], v[235:236]
	v_div_fmas_f64 v[4:5], v[230:231], v[233:234], v[4:5]
	v_div_fixup_f64 v[4:5], v[4:5], v[216:217], 1.0
	ds_write_b64 v1, v[4:5]
.LBB95_234:
	s_or_b32 exec_lo, exec_lo, s1
	s_waitcnt lgkmcnt(0)
	s_barrier
	buffer_gl0_inv
	ds_read_b64 v[230:231], v1
	s_mov_b32 s1, exec_lo
	v_cmpx_lt_u32_e32 46, v0
	s_cbranch_execz .LBB95_236
; %bb.235:
	s_waitcnt lgkmcnt(0)
	v_mul_f64 v[144:145], v[230:231], v[144:145]
	ds_read_b64 v[4:5], v232 offset:376
	s_waitcnt lgkmcnt(0)
	v_fma_f64 v[194:195], -v[144:145], v[4:5], v[194:195]
.LBB95_236:
	s_or_b32 exec_lo, exec_lo, s1
	s_mov_b32 s1, exec_lo
	s_waitcnt lgkmcnt(0)
	s_barrier
	buffer_gl0_inv
	v_cmpx_eq_u32_e32 47, v0
	s_cbranch_execz .LBB95_239
; %bb.237:
	v_cmp_neq_f64_e32 vcc_lo, 0, v[194:195]
	ds_write_b64 v1, v[194:195]
	s_and_b32 exec_lo, exec_lo, vcc_lo
	s_cbranch_execz .LBB95_239
; %bb.238:
	v_div_scale_f64 v[4:5], null, v[194:195], v[194:195], 1.0
	v_rcp_f64_e32 v[216:217], v[4:5]
	v_fma_f64 v[232:233], -v[4:5], v[216:217], 1.0
	v_fma_f64 v[216:217], v[216:217], v[232:233], v[216:217]
	v_fma_f64 v[232:233], -v[4:5], v[216:217], 1.0
	v_fma_f64 v[216:217], v[216:217], v[232:233], v[216:217]
	v_div_scale_f64 v[232:233], vcc_lo, 1.0, v[194:195], 1.0
	v_mul_f64 v[234:235], v[232:233], v[216:217]
	v_fma_f64 v[4:5], -v[4:5], v[234:235], v[232:233]
	v_div_fmas_f64 v[4:5], v[4:5], v[216:217], v[234:235]
	v_div_fixup_f64 v[4:5], v[4:5], v[194:195], 1.0
	ds_write_b64 v1, v[4:5]
.LBB95_239:
	s_or_b32 exec_lo, exec_lo, s1
	s_waitcnt lgkmcnt(0)
	s_barrier
	buffer_gl0_inv
	ds_read_b64 v[216:217], v1
	s_waitcnt lgkmcnt(0)
	s_barrier
	buffer_gl0_inv
	s_and_saveexec_b32 s1, s0
	s_cbranch_execz .LBB95_242
; %bb.240:
	s_clause 0x1
	buffer_load_dword v4, off, s[12:15], 0 offset:8
	buffer_load_dword v5, off, s[12:15], 0 offset:12
	s_load_dwordx2 s[2:3], s[4:5], 0x28
	s_waitcnt vmcnt(0)
	v_cmp_eq_f64_e32 vcc_lo, 0, v[4:5]
	s_clause 0x1
	buffer_load_dword v4, off, s[12:15], 0 offset:16
	buffer_load_dword v5, off, s[12:15], 0 offset:20
	v_cndmask_b32_e64 v1, 0, 1, vcc_lo
	s_waitcnt vmcnt(0)
	v_cmp_neq_f64_e64 s0, 0, v[4:5]
	s_clause 0x1
	buffer_load_dword v4, off, s[12:15], 0 offset:24
	buffer_load_dword v5, off, s[12:15], 0 offset:28
	s_or_b32 vcc_lo, s0, vcc_lo
	v_cndmask_b32_e32 v1, 2, v1, vcc_lo
	v_cmp_eq_u32_e64 s0, 0, v1
	s_waitcnt vmcnt(0)
	v_cmp_eq_f64_e32 vcc_lo, 0, v[4:5]
	s_clause 0x1
	buffer_load_dword v4, off, s[12:15], 0 offset:32
	buffer_load_dword v5, off, s[12:15], 0 offset:36
	s_and_b32 s0, vcc_lo, s0
	v_cndmask_b32_e64 v1, v1, 3, s0
	v_cmp_eq_u32_e64 s0, 0, v1
	s_waitcnt vmcnt(0)
	v_cmp_eq_f64_e32 vcc_lo, 0, v[4:5]
	s_clause 0x1
	buffer_load_dword v4, off, s[12:15], 0 offset:40
	buffer_load_dword v5, off, s[12:15], 0 offset:44
	s_and_b32 s0, vcc_lo, s0
	v_cndmask_b32_e64 v1, v1, 4, s0
	;; [unrolled: 8-line block ×18, first 2 shown]
	v_cmp_eq_u32_e64 s0, 0, v1
	s_waitcnt vmcnt(0)
	v_cmp_eq_f64_e32 vcc_lo, 0, v[4:5]
	s_and_b32 s0, vcc_lo, s0
	v_cmp_eq_f64_e32 vcc_lo, 0, v[238:239]
	v_cndmask_b32_e64 v1, v1, 21, s0
	v_cmp_eq_u32_e64 s0, 0, v1
	s_and_b32 s0, vcc_lo, s0
	v_cmp_eq_f64_e32 vcc_lo, 0, v[240:241]
	v_cndmask_b32_e64 v1, v1, 22, s0
	v_cmp_eq_u32_e64 s0, 0, v1
	s_and_b32 s0, vcc_lo, s0
	v_cmp_eq_f64_e32 vcc_lo, 0, v[242:243]
	v_cndmask_b32_e64 v1, v1, 23, s0
	v_cmp_eq_u32_e64 s0, 0, v1
	s_and_b32 s0, vcc_lo, s0
	v_cmp_eq_f64_e32 vcc_lo, 0, v[244:245]
	v_cndmask_b32_e64 v1, v1, 24, s0
	v_cmp_eq_u32_e64 s0, 0, v1
	s_and_b32 s0, vcc_lo, s0
	v_cmp_eq_f64_e32 vcc_lo, 0, v[246:247]
	v_cndmask_b32_e64 v1, v1, 25, s0
	v_cmp_eq_u32_e64 s0, 0, v1
	s_and_b32 s0, vcc_lo, s0
	v_cmp_eq_f64_e32 vcc_lo, 0, v[248:249]
	v_cndmask_b32_e64 v1, v1, 26, s0
	v_cmp_eq_u32_e64 s0, 0, v1
	s_and_b32 s0, vcc_lo, s0
	v_cmp_eq_f64_e32 vcc_lo, 0, v[250:251]
	v_cndmask_b32_e64 v1, v1, 27, s0
	v_cmp_eq_u32_e64 s0, 0, v1
	s_and_b32 s0, vcc_lo, s0
	v_cmp_eq_f64_e32 vcc_lo, 0, v[252:253]
	v_cndmask_b32_e64 v1, v1, 28, s0
	v_cmp_eq_u32_e64 s0, 0, v1
	s_and_b32 s0, vcc_lo, s0
	v_cmp_eq_f64_e32 vcc_lo, 0, v[254:255]
	v_cndmask_b32_e64 v1, v1, 29, s0
	v_cmp_eq_u32_e64 s0, 0, v1
	s_and_b32 s0, vcc_lo, s0
	v_cmp_eq_f64_e32 vcc_lo, 0, v[196:197]
	v_cndmask_b32_e64 v1, v1, 30, s0
	v_cmp_eq_u32_e64 s0, 0, v1
	s_and_b32 s0, vcc_lo, s0
	v_cmp_eq_f64_e32 vcc_lo, 0, v[198:199]
	v_cndmask_b32_e64 v1, v1, 31, s0
	v_cmp_eq_u32_e64 s0, 0, v1
	s_and_b32 s0, vcc_lo, s0
	v_cmp_eq_f64_e32 vcc_lo, 0, v[200:201]
	v_cndmask_b32_e64 v1, v1, 32, s0
	v_cmp_eq_u32_e64 s0, 0, v1
	s_and_b32 s0, vcc_lo, s0
	v_cmp_eq_f64_e32 vcc_lo, 0, v[202:203]
	v_cndmask_b32_e64 v1, v1, 33, s0
	v_cmp_eq_u32_e64 s0, 0, v1
	s_and_b32 s0, vcc_lo, s0
	v_cmp_eq_f64_e32 vcc_lo, 0, v[204:205]
	v_cndmask_b32_e64 v1, v1, 34, s0
	v_cmp_eq_u32_e64 s0, 0, v1
	s_and_b32 s0, vcc_lo, s0
	v_cmp_eq_f64_e32 vcc_lo, 0, v[206:207]
	v_cndmask_b32_e64 v1, v1, 35, s0
	v_cmp_eq_u32_e64 s0, 0, v1
	s_and_b32 s0, vcc_lo, s0
	v_cmp_eq_f64_e32 vcc_lo, 0, v[208:209]
	v_cndmask_b32_e64 v1, v1, 36, s0
	v_cmp_eq_u32_e64 s0, 0, v1
	s_and_b32 s0, vcc_lo, s0
	v_cmp_eq_f64_e32 vcc_lo, 0, v[210:211]
	v_cndmask_b32_e64 v1, v1, 37, s0
	v_cmp_eq_u32_e64 s0, 0, v1
	s_and_b32 s0, vcc_lo, s0
	v_cmp_eq_f64_e32 vcc_lo, 0, v[212:213]
	v_cndmask_b32_e64 v1, v1, 38, s0
	v_cmp_eq_u32_e64 s0, 0, v1
	s_and_b32 s0, vcc_lo, s0
	v_cmp_eq_f64_e32 vcc_lo, 0, v[214:215]
	v_cndmask_b32_e64 v1, v1, 39, s0
	v_cmp_eq_u32_e64 s0, 0, v1
	s_and_b32 s0, vcc_lo, s0
	v_cmp_eq_f64_e32 vcc_lo, 0, v[218:219]
	v_cndmask_b32_e64 v1, v1, 40, s0
	v_cmp_eq_u32_e64 s0, 0, v1
	s_and_b32 s0, vcc_lo, s0
	v_cmp_eq_f64_e32 vcc_lo, 0, v[220:221]
	v_cndmask_b32_e64 v1, v1, 41, s0
	v_cmp_eq_u32_e64 s0, 0, v1
	s_and_b32 s0, vcc_lo, s0
	v_cmp_eq_f64_e32 vcc_lo, 0, v[222:223]
	v_cndmask_b32_e64 v1, v1, 42, s0
	v_cmp_eq_u32_e64 s0, 0, v1
	s_and_b32 s0, vcc_lo, s0
	v_cmp_eq_f64_e32 vcc_lo, 0, v[224:225]
	v_cndmask_b32_e64 v1, v1, 43, s0
	v_cmp_eq_u32_e64 s0, 0, v1
	s_and_b32 s0, vcc_lo, s0
	v_cmp_eq_f64_e32 vcc_lo, 0, v[226:227]
	v_cndmask_b32_e64 v1, v1, 44, s0
	v_cmp_eq_u32_e64 s0, 0, v1
	s_and_b32 s0, vcc_lo, s0
	v_cmp_eq_f64_e32 vcc_lo, 0, v[228:229]
	v_cndmask_b32_e64 v1, v1, 45, s0
	v_cmp_eq_u32_e64 s0, 0, v1
	s_and_b32 s0, vcc_lo, s0
	v_cmp_eq_f64_e32 vcc_lo, 0, v[230:231]
	v_cndmask_b32_e64 v1, v1, 46, s0
	v_cmp_eq_u32_e64 s0, 0, v1
	s_and_b32 s0, vcc_lo, s0
	v_cmp_eq_f64_e32 vcc_lo, 0, v[216:217]
	v_cndmask_b32_e64 v1, v1, 47, s0
	v_cmp_eq_u32_e64 s0, 0, v1
	s_and_b32 s0, vcc_lo, s0
	v_cndmask_b32_e64 v196, v1, 48, s0
	v_lshlrev_b64 v[1:2], 2, v[2:3]
	v_cmp_ne_u32_e64 s0, 0, v196
	s_waitcnt lgkmcnt(0)
	v_add_co_u32 v1, vcc_lo, s2, v1
	v_add_co_ci_u32_e64 v2, null, s3, v2, vcc_lo
	global_load_dword v3, v[1:2], off
	s_waitcnt vmcnt(0)
	v_cmp_eq_u32_e32 vcc_lo, 0, v3
	s_and_b32 s0, vcc_lo, s0
	s_and_b32 exec_lo, exec_lo, s0
	s_cbranch_execz .LBB95_242
; %bb.241:
	v_add_nc_u32_e32 v3, s9, v196
	global_store_dword v[1:2], v3, off
.LBB95_242:
	s_or_b32 exec_lo, exec_lo, s1
	flat_store_dwordx2 v[96:97], v[186:187]
	flat_store_dwordx2 v[106:107], v[190:191]
	s_clause 0x1
	buffer_load_dword v3, off, s[12:15], 0
	buffer_load_dword v4, off, s[12:15], 0 offset:4
	v_mul_f64 v[1:2], v[216:217], v[194:195]
	v_cmp_lt_u32_e32 vcc_lo, 47, v0
	s_waitcnt vmcnt(0)
	flat_store_dwordx2 v[3:4], v[192:193]
	flat_store_dwordx2 v[6:7], v[188:189]
	;; [unrolled: 1-line block ×17, first 2 shown]
	v_cndmask_b32_e32 v2, v195, v2, vcc_lo
	v_cndmask_b32_e32 v1, v194, v1, vcc_lo
	flat_store_dwordx2 v[36:37], v[142:143]
	flat_store_dwordx2 v[40:41], v[170:171]
	;; [unrolled: 1-line block ×29, first 2 shown]
.LBB95_243:
	s_endpgm
	.section	.rodata,"a",@progbits
	.p2align	6, 0x0
	.amdhsa_kernel _ZN9rocsolver6v33100L23getf2_npvt_small_kernelILi48EdiiPKPdEEvT1_T3_lS5_lPT2_S5_S5_
		.amdhsa_group_segment_fixed_size 0
		.amdhsa_private_segment_fixed_size 180
		.amdhsa_kernarg_size 312
		.amdhsa_user_sgpr_count 6
		.amdhsa_user_sgpr_private_segment_buffer 1
		.amdhsa_user_sgpr_dispatch_ptr 0
		.amdhsa_user_sgpr_queue_ptr 0
		.amdhsa_user_sgpr_kernarg_segment_ptr 1
		.amdhsa_user_sgpr_dispatch_id 0
		.amdhsa_user_sgpr_flat_scratch_init 0
		.amdhsa_user_sgpr_private_segment_size 0
		.amdhsa_wavefront_size32 1
		.amdhsa_uses_dynamic_stack 0
		.amdhsa_system_sgpr_private_segment_wavefront_offset 1
		.amdhsa_system_sgpr_workgroup_id_x 1
		.amdhsa_system_sgpr_workgroup_id_y 1
		.amdhsa_system_sgpr_workgroup_id_z 0
		.amdhsa_system_sgpr_workgroup_info 0
		.amdhsa_system_vgpr_workitem_id 1
		.amdhsa_next_free_vgpr 256
		.amdhsa_next_free_sgpr 16
		.amdhsa_reserve_vcc 1
		.amdhsa_reserve_flat_scratch 1
		.amdhsa_float_round_mode_32 0
		.amdhsa_float_round_mode_16_64 0
		.amdhsa_float_denorm_mode_32 3
		.amdhsa_float_denorm_mode_16_64 3
		.amdhsa_dx10_clamp 1
		.amdhsa_ieee_mode 1
		.amdhsa_fp16_overflow 0
		.amdhsa_workgroup_processor_mode 1
		.amdhsa_memory_ordered 1
		.amdhsa_forward_progress 1
		.amdhsa_shared_vgpr_count 0
		.amdhsa_exception_fp_ieee_invalid_op 0
		.amdhsa_exception_fp_denorm_src 0
		.amdhsa_exception_fp_ieee_div_zero 0
		.amdhsa_exception_fp_ieee_overflow 0
		.amdhsa_exception_fp_ieee_underflow 0
		.amdhsa_exception_fp_ieee_inexact 0
		.amdhsa_exception_int_div_zero 0
	.end_amdhsa_kernel
	.section	.text._ZN9rocsolver6v33100L23getf2_npvt_small_kernelILi48EdiiPKPdEEvT1_T3_lS5_lPT2_S5_S5_,"axG",@progbits,_ZN9rocsolver6v33100L23getf2_npvt_small_kernelILi48EdiiPKPdEEvT1_T3_lS5_lPT2_S5_S5_,comdat
.Lfunc_end95:
	.size	_ZN9rocsolver6v33100L23getf2_npvt_small_kernelILi48EdiiPKPdEEvT1_T3_lS5_lPT2_S5_S5_, .Lfunc_end95-_ZN9rocsolver6v33100L23getf2_npvt_small_kernelILi48EdiiPKPdEEvT1_T3_lS5_lPT2_S5_S5_
                                        ; -- End function
	.set _ZN9rocsolver6v33100L23getf2_npvt_small_kernelILi48EdiiPKPdEEvT1_T3_lS5_lPT2_S5_S5_.num_vgpr, 256
	.set _ZN9rocsolver6v33100L23getf2_npvt_small_kernelILi48EdiiPKPdEEvT1_T3_lS5_lPT2_S5_S5_.num_agpr, 0
	.set _ZN9rocsolver6v33100L23getf2_npvt_small_kernelILi48EdiiPKPdEEvT1_T3_lS5_lPT2_S5_S5_.numbered_sgpr, 16
	.set _ZN9rocsolver6v33100L23getf2_npvt_small_kernelILi48EdiiPKPdEEvT1_T3_lS5_lPT2_S5_S5_.num_named_barrier, 0
	.set _ZN9rocsolver6v33100L23getf2_npvt_small_kernelILi48EdiiPKPdEEvT1_T3_lS5_lPT2_S5_S5_.private_seg_size, 180
	.set _ZN9rocsolver6v33100L23getf2_npvt_small_kernelILi48EdiiPKPdEEvT1_T3_lS5_lPT2_S5_S5_.uses_vcc, 1
	.set _ZN9rocsolver6v33100L23getf2_npvt_small_kernelILi48EdiiPKPdEEvT1_T3_lS5_lPT2_S5_S5_.uses_flat_scratch, 1
	.set _ZN9rocsolver6v33100L23getf2_npvt_small_kernelILi48EdiiPKPdEEvT1_T3_lS5_lPT2_S5_S5_.has_dyn_sized_stack, 0
	.set _ZN9rocsolver6v33100L23getf2_npvt_small_kernelILi48EdiiPKPdEEvT1_T3_lS5_lPT2_S5_S5_.has_recursion, 0
	.set _ZN9rocsolver6v33100L23getf2_npvt_small_kernelILi48EdiiPKPdEEvT1_T3_lS5_lPT2_S5_S5_.has_indirect_call, 0
	.section	.AMDGPU.csdata,"",@progbits
; Kernel info:
; codeLenInByte = 39916
; TotalNumSgprs: 18
; NumVgprs: 256
; ScratchSize: 180
; MemoryBound: 0
; FloatMode: 240
; IeeeMode: 1
; LDSByteSize: 0 bytes/workgroup (compile time only)
; SGPRBlocks: 0
; VGPRBlocks: 31
; NumSGPRsForWavesPerEU: 18
; NumVGPRsForWavesPerEU: 256
; Occupancy: 4
; WaveLimiterHint : 1
; COMPUTE_PGM_RSRC2:SCRATCH_EN: 1
; COMPUTE_PGM_RSRC2:USER_SGPR: 6
; COMPUTE_PGM_RSRC2:TRAP_HANDLER: 0
; COMPUTE_PGM_RSRC2:TGID_X_EN: 1
; COMPUTE_PGM_RSRC2:TGID_Y_EN: 1
; COMPUTE_PGM_RSRC2:TGID_Z_EN: 0
; COMPUTE_PGM_RSRC2:TIDIG_COMP_CNT: 1
	.section	.text._ZN9rocsolver6v33100L18getf2_small_kernelILi49EdiiPKPdEEvT1_T3_lS5_lPS5_llPT2_S5_S5_S7_l,"axG",@progbits,_ZN9rocsolver6v33100L18getf2_small_kernelILi49EdiiPKPdEEvT1_T3_lS5_lPS5_llPT2_S5_S5_S7_l,comdat
	.globl	_ZN9rocsolver6v33100L18getf2_small_kernelILi49EdiiPKPdEEvT1_T3_lS5_lPS5_llPT2_S5_S5_S7_l ; -- Begin function _ZN9rocsolver6v33100L18getf2_small_kernelILi49EdiiPKPdEEvT1_T3_lS5_lPS5_llPT2_S5_S5_S7_l
	.p2align	8
	.type	_ZN9rocsolver6v33100L18getf2_small_kernelILi49EdiiPKPdEEvT1_T3_lS5_lPS5_llPT2_S5_S5_S7_l,@function
_ZN9rocsolver6v33100L18getf2_small_kernelILi49EdiiPKPdEEvT1_T3_lS5_lPS5_llPT2_S5_S5_S7_l: ; @_ZN9rocsolver6v33100L18getf2_small_kernelILi49EdiiPKPdEEvT1_T3_lS5_lPS5_llPT2_S5_S5_S7_l
; %bb.0:
	s_clause 0x1
	s_load_dword s0, s[4:5], 0x6c
	s_load_dwordx2 s[12:13], s[4:5], 0x48
	s_waitcnt lgkmcnt(0)
	s_lshr_b32 s0, s0, 16
	v_mad_u64_u32 v[2:3], null, s7, s0, v[1:2]
	s_mov_b32 s0, exec_lo
	v_cmpx_gt_i32_e64 s12, v2
	s_cbranch_execz .LBB96_830
; %bb.1:
	s_clause 0x1
	s_load_dwordx4 s[0:3], s[4:5], 0x8
	s_load_dwordx4 s[8:11], s[4:5], 0x50
	v_ashrrev_i32_e32 v3, 31, v2
	v_lshlrev_b64 v[4:5], 3, v[2:3]
	s_waitcnt lgkmcnt(0)
	v_add_co_u32 v4, vcc_lo, s0, v4
	v_add_co_ci_u32_e64 v5, null, s1, v5, vcc_lo
	s_cmp_eq_u64 s[8:9], 0
	s_cselect_b32 s6, -1, 0
	global_load_dwordx2 v[6:7], v[4:5], off
	v_mov_b32_e32 v4, 0
	v_mov_b32_e32 v5, 0
	s_and_b32 vcc_lo, exec_lo, s6
	s_cbranch_vccnz .LBB96_3
; %bb.2:
	v_mul_lo_u32 v8, s11, v2
	v_mul_lo_u32 v9, s10, v3
	v_mad_u64_u32 v[4:5], null, s10, v2, 0
	v_add3_u32 v5, v5, v9, v8
	v_lshlrev_b64 v[4:5], 2, v[4:5]
	v_add_co_u32 v4, vcc_lo, s8, v4
	v_add_co_ci_u32_e64 v5, null, s9, v5, vcc_lo
.LBB96_3:
	s_clause 0x1
	s_load_dword s8, s[4:5], 0x18
	s_load_dword s7, s[4:5], 0x0
	s_lshl_b64 s[0:1], s[2:3], 3
	v_lshlrev_b32_e32 v152, 3, v0
	s_waitcnt vmcnt(0)
	v_add_co_u32 v108, vcc_lo, v6, s0
	v_add_co_ci_u32_e64 v109, null, s1, v7, vcc_lo
	s_waitcnt lgkmcnt(0)
	v_add3_u32 v8, s8, s8, v0
	s_ashr_i32 s9, s8, 31
	s_max_i32 s0, s7, 49
	s_lshl_b64 s[10:11], s[8:9], 3
	v_mul_lo_u32 v1, s0, v1
	v_add_nc_u32_e32 v10, s8, v8
	v_ashrrev_i32_e32 v9, 31, v8
	s_cmp_lt_i32 s7, 2
	v_ashrrev_i32_e32 v11, 31, v10
	v_add_nc_u32_e32 v12, s8, v10
	v_lshlrev_b64 v[8:9], 3, v[8:9]
	v_lshlrev_b64 v[6:7], 3, v[10:11]
	v_add_nc_u32_e32 v10, s8, v12
	v_ashrrev_i32_e32 v13, 31, v12
	v_add_co_u32 v8, vcc_lo, v108, v8
	v_add_co_ci_u32_e64 v9, null, v109, v9, vcc_lo
	v_add_nc_u32_e32 v14, s8, v10
	v_ashrrev_i32_e32 v11, 31, v10
	v_lshlrev_b64 v[12:13], 3, v[12:13]
	v_add_co_u32 v6, vcc_lo, v108, v6
	v_add_nc_u32_e32 v16, s8, v14
	v_ashrrev_i32_e32 v15, 31, v14
	v_lshlrev_b64 v[10:11], 3, v[10:11]
	v_add_co_ci_u32_e64 v7, null, v109, v7, vcc_lo
	v_add_nc_u32_e32 v18, s8, v16
	v_ashrrev_i32_e32 v17, 31, v16
	v_lshlrev_b64 v[14:15], 3, v[14:15]
	v_add_co_u32 v12, vcc_lo, v108, v12
	v_add_nc_u32_e32 v20, s8, v18
	v_ashrrev_i32_e32 v19, 31, v18
	v_lshlrev_b64 v[16:17], 3, v[16:17]
	v_add_co_ci_u32_e64 v13, null, v109, v13, vcc_lo
	v_add_nc_u32_e32 v22, s8, v20
	v_ashrrev_i32_e32 v21, 31, v20
	v_add_co_u32 v10, vcc_lo, v108, v10
	v_lshlrev_b64 v[18:19], 3, v[18:19]
	v_add_nc_u32_e32 v24, s8, v22
	v_ashrrev_i32_e32 v23, 31, v22
	v_add_co_ci_u32_e64 v11, null, v109, v11, vcc_lo
	v_add_co_u32 v14, vcc_lo, v108, v14
	v_add_nc_u32_e32 v26, s8, v24
	v_ashrrev_i32_e32 v25, 31, v24
	v_lshlrev_b64 v[20:21], 3, v[20:21]
	v_add_co_ci_u32_e64 v15, null, v109, v15, vcc_lo
	v_add_nc_u32_e32 v28, s8, v26
	v_ashrrev_i32_e32 v27, 31, v26
	v_add_co_u32 v16, vcc_lo, v108, v16
	v_lshlrev_b64 v[22:23], 3, v[22:23]
	v_add_nc_u32_e32 v30, s8, v28
	v_ashrrev_i32_e32 v29, 31, v28
	v_add_co_ci_u32_e64 v17, null, v109, v17, vcc_lo
	v_add_co_u32 v18, vcc_lo, v108, v18
	v_add_nc_u32_e32 v32, s8, v30
	v_lshlrev_b64 v[24:25], 3, v[24:25]
	v_ashrrev_i32_e32 v31, 31, v30
	v_add_co_ci_u32_e64 v19, null, v109, v19, vcc_lo
	v_add_nc_u32_e32 v34, s8, v32
	v_add_co_u32 v20, vcc_lo, v108, v20
	v_lshlrev_b64 v[26:27], 3, v[26:27]
	v_ashrrev_i32_e32 v33, 31, v32
	v_add_nc_u32_e32 v36, s8, v34
	v_add_co_ci_u32_e64 v21, null, v109, v21, vcc_lo
	v_add_co_u32 v22, vcc_lo, v108, v22
	v_add_nc_u32_e32 v38, s8, v36
	v_lshlrev_b64 v[28:29], 3, v[28:29]
	v_ashrrev_i32_e32 v35, 31, v34
	v_add_co_ci_u32_e64 v23, null, v109, v23, vcc_lo
	v_add_nc_u32_e32 v40, s8, v38
	v_add_co_u32 v24, vcc_lo, v108, v24
	v_lshlrev_b64 v[30:31], 3, v[30:31]
	v_ashrrev_i32_e32 v37, 31, v36
	v_add_nc_u32_e32 v42, s8, v40
	;; [unrolled: 11-line block ×3, first 2 shown]
	v_add_co_ci_u32_e64 v29, null, v109, v29, vcc_lo
	v_add_co_u32 v30, vcc_lo, v108, v30
	v_add_nc_u32_e32 v50, s8, v48
	v_lshlrev_b64 v[36:37], 3, v[36:37]
	v_ashrrev_i32_e32 v43, 31, v42
	v_add_co_ci_u32_e64 v31, null, v109, v31, vcc_lo
	v_add_co_u32 v32, vcc_lo, v108, v32
	v_lshlrev_b64 v[38:39], 3, v[38:39]
	v_ashrrev_i32_e32 v45, 31, v44
	v_add_co_ci_u32_e64 v33, null, v109, v33, vcc_lo
	v_add_co_u32 v34, vcc_lo, v108, v34
	v_lshlrev_b64 v[40:41], 3, v[40:41]
	v_add_nc_u32_e32 v52, s8, v50
	v_ashrrev_i32_e32 v47, 31, v46
	v_add_co_ci_u32_e64 v35, null, v109, v35, vcc_lo
	v_add_co_u32 v36, vcc_lo, v108, v36
	v_lshlrev_b64 v[42:43], 3, v[42:43]
	v_ashrrev_i32_e32 v49, 31, v48
	v_add_co_ci_u32_e64 v37, null, v109, v37, vcc_lo
	v_add_co_u32 v38, vcc_lo, v108, v38
	v_lshlrev_b64 v[44:45], 3, v[44:45]
	v_ashrrev_i32_e32 v51, 31, v50
	v_add_nc_u32_e32 v54, s8, v52
	v_add_co_ci_u32_e64 v39, null, v109, v39, vcc_lo
	v_add_co_u32 v40, vcc_lo, v108, v40
	v_lshlrev_b64 v[46:47], 3, v[46:47]
	v_ashrrev_i32_e32 v53, 31, v52
	v_add_co_ci_u32_e64 v41, null, v109, v41, vcc_lo
	v_add_co_u32 v42, vcc_lo, v108, v42
	v_lshlrev_b64 v[48:49], 3, v[48:49]
	v_add_co_ci_u32_e64 v43, null, v109, v43, vcc_lo
	v_add_co_u32 v44, vcc_lo, v108, v44
	v_lshlrev_b64 v[50:51], 3, v[50:51]
	v_add_nc_u32_e32 v56, s8, v54
	v_add_co_ci_u32_e64 v45, null, v109, v45, vcc_lo
	v_add_co_u32 v46, vcc_lo, v108, v46
	v_lshlrev_b64 v[52:53], 3, v[52:53]
	v_ashrrev_i32_e32 v55, 31, v54
	v_add_co_ci_u32_e64 v47, null, v109, v47, vcc_lo
	v_add_co_u32 v48, vcc_lo, v108, v48
	v_ashrrev_i32_e32 v57, 31, v56
	v_add_nc_u32_e32 v58, s8, v56
	v_add_co_ci_u32_e64 v49, null, v109, v49, vcc_lo
	v_add_co_u32 v50, vcc_lo, v108, v50
	v_lshlrev_b64 v[54:55], 3, v[54:55]
	v_add_co_ci_u32_e64 v51, null, v109, v51, vcc_lo
	v_add_co_u32 v102, vcc_lo, v108, v52
	v_add_co_ci_u32_e64 v103, null, v109, v53, vcc_lo
	v_lshlrev_b64 v[52:53], 3, v[56:57]
	v_ashrrev_i32_e32 v59, 31, v58
	v_add_nc_u32_e32 v56, s8, v58
	v_add_co_u32 v104, vcc_lo, v108, v54
	v_add_co_ci_u32_e64 v105, null, v109, v55, vcc_lo
	v_lshlrev_b64 v[54:55], 3, v[58:59]
	v_ashrrev_i32_e32 v57, 31, v56
	v_add_nc_u32_e32 v58, s8, v56
	;; [unrolled: 5-line block ×18, first 2 shown]
	v_add_co_u32 v140, vcc_lo, v108, v52
	v_add_co_ci_u32_e64 v141, null, v109, v53, vcc_lo
	v_lshlrev_b64 v[52:53], 3, v[56:57]
	v_add_nc_u32_e32 v56, s8, v58
	v_ashrrev_i32_e32 v59, 31, v58
	v_add_co_u32 v142, vcc_lo, v108, v54
	v_add_co_ci_u32_e64 v143, null, v109, v55, vcc_lo
	v_ashrrev_i32_e32 v57, 31, v56
	v_lshlrev_b64 v[54:55], 3, v[58:59]
	v_add_co_u32 v144, vcc_lo, v108, v52
	v_add_co_ci_u32_e64 v145, null, v109, v53, vcc_lo
	v_lshlrev_b64 v[52:53], 3, v[56:57]
	v_add_nc_u32_e32 v56, s8, v56
	v_add_co_u32 v146, vcc_lo, v108, v54
	v_add_co_ci_u32_e64 v147, null, v109, v55, vcc_lo
	v_ashrrev_i32_e32 v57, 31, v56
	v_add_co_u32 v148, vcc_lo, v108, v52
	v_add_co_ci_u32_e64 v149, null, v109, v53, vcc_lo
	v_add_co_u32 v54, vcc_lo, v108, v152
	v_add_co_ci_u32_e64 v55, null, 0, v109, vcc_lo
	v_lshlrev_b64 v[52:53], 3, v[56:57]
	v_add_co_u32 v56, vcc_lo, v54, s10
	v_add_co_ci_u32_e64 v57, null, s11, v55, vcc_lo
	v_add_co_u32 v150, vcc_lo, v108, v52
	v_add_co_ci_u32_e64 v151, null, v109, v53, vcc_lo
	s_clause 0x30
	flat_load_dwordx2 v[100:101], v[54:55]
	flat_load_dwordx2 v[98:99], v[56:57]
	;; [unrolled: 1-line block ×49, first 2 shown]
	v_lshl_add_u32 v110, v1, 3, 0
	v_lshlrev_b32_e32 v111, 3, v1
	v_mov_b32_e32 v106, 0
	v_add_nc_u32_e32 v104, v110, v152
	s_waitcnt vmcnt(48) lgkmcnt(48)
	ds_write_b64 v104, v[100:101]
	s_waitcnt vmcnt(0) lgkmcnt(0)
	s_barrier
	buffer_gl0_inv
	ds_read_b64 v[104:105], v110
	s_cbranch_scc1 .LBB96_6
; %bb.4:
	v_add3_u32 v1, v111, 0, 8
	v_mov_b32_e32 v106, 0
	s_mov_b32 s0, 1
.LBB96_5:                               ; =>This Inner Loop Header: Depth=1
	ds_read_b64 v[112:113], v1
	v_add_nc_u32_e32 v1, 8, v1
	s_waitcnt lgkmcnt(0)
	v_cmp_lt_f64_e64 vcc_lo, |v[104:105]|, |v[112:113]|
	v_cndmask_b32_e32 v105, v105, v113, vcc_lo
	v_cndmask_b32_e32 v104, v104, v112, vcc_lo
	v_cndmask_b32_e64 v106, v106, s0, vcc_lo
	s_add_i32 s0, s0, 1
	s_cmp_eq_u32 s7, s0
	s_cbranch_scc0 .LBB96_5
.LBB96_6:
	s_mov_b32 s0, exec_lo
                                        ; implicit-def: $vgpr113
	v_cmpx_ne_u32_e64 v0, v106
	s_xor_b32 s0, exec_lo, s0
	s_cbranch_execz .LBB96_12
; %bb.7:
	s_mov_b32 s1, exec_lo
	v_cmpx_eq_u32_e32 0, v0
	s_cbranch_execz .LBB96_11
; %bb.8:
	v_cmp_ne_u32_e32 vcc_lo, 0, v106
	s_xor_b32 s2, s6, -1
	s_and_b32 s3, s2, vcc_lo
	s_and_saveexec_b32 s2, s3
	s_cbranch_execz .LBB96_10
; %bb.9:
	v_ashrrev_i32_e32 v107, 31, v106
	v_lshlrev_b64 v[0:1], 2, v[106:107]
	v_add_co_u32 v0, vcc_lo, v4, v0
	v_add_co_ci_u32_e64 v1, null, v5, v1, vcc_lo
	s_clause 0x1
	global_load_dword v107, v[0:1], off
	global_load_dword v112, v[4:5], off
	s_waitcnt vmcnt(1)
	global_store_dword v[4:5], v107, off
	s_waitcnt vmcnt(0)
	global_store_dword v[0:1], v112, off
.LBB96_10:
	s_or_b32 exec_lo, exec_lo, s2
	v_mov_b32_e32 v0, v106
.LBB96_11:
	s_or_b32 exec_lo, exec_lo, s1
	v_mov_b32_e32 v113, v0
                                        ; implicit-def: $vgpr0
.LBB96_12:
	s_or_saveexec_b32 s0, s0
	v_mov_b32_e32 v112, v113
	s_xor_b32 exec_lo, exec_lo, s0
	s_cbranch_execz .LBB96_14
; %bb.13:
	v_mov_b32_e32 v113, 0
	v_mov_b32_e32 v112, v0
	ds_write2_b64 v110, v[98:99], v[96:97] offset0:1 offset1:2
	ds_write2_b64 v110, v[94:95], v[92:93] offset0:3 offset1:4
	;; [unrolled: 1-line block ×24, first 2 shown]
.LBB96_14:
	s_or_b32 exec_lo, exec_lo, s0
	s_waitcnt lgkmcnt(0)
	v_cmp_eq_f64_e64 s0, 0, v[104:105]
	s_mov_b32 s1, exec_lo
	s_waitcnt_vscnt null, 0x0
	s_barrier
	buffer_gl0_inv
	v_cmpx_lt_i32_e32 0, v113
	s_cbranch_execz .LBB96_16
; %bb.15:
	v_div_scale_f64 v[0:1], null, v[104:105], v[104:105], 1.0
	v_div_scale_f64 v[116:117], vcc_lo, 1.0, v[104:105], 1.0
	v_rcp_f64_e32 v[106:107], v[0:1]
	v_fma_f64 v[114:115], -v[0:1], v[106:107], 1.0
	v_fma_f64 v[106:107], v[106:107], v[114:115], v[106:107]
	v_fma_f64 v[114:115], -v[0:1], v[106:107], 1.0
	v_fma_f64 v[106:107], v[106:107], v[114:115], v[106:107]
	v_mul_f64 v[114:115], v[116:117], v[106:107]
	v_fma_f64 v[0:1], -v[0:1], v[114:115], v[116:117]
	v_div_fmas_f64 v[0:1], v[0:1], v[106:107], v[114:115]
	v_div_fixup_f64 v[0:1], v[0:1], v[104:105], 1.0
	v_cndmask_b32_e64 v1, v1, v105, s0
	v_cndmask_b32_e64 v0, v0, v104, s0
	ds_read2_b64 v[104:107], v110 offset0:1 offset1:2
	ds_read2_b64 v[114:117], v110 offset0:3 offset1:4
	;; [unrolled: 1-line block ×22, first 2 shown]
	v_mul_f64 v[100:101], v[0:1], v[100:101]
	s_waitcnt lgkmcnt(21)
	v_fma_f64 v[98:99], -v[100:101], v[104:105], v[98:99]
	v_fma_f64 v[96:97], -v[100:101], v[106:107], v[96:97]
	s_waitcnt lgkmcnt(20)
	v_fma_f64 v[94:95], -v[100:101], v[114:115], v[94:95]
	v_fma_f64 v[92:93], -v[100:101], v[116:117], v[92:93]
	ds_read2_b64 v[104:107], v110 offset0:45 offset1:46
	ds_read2_b64 v[114:117], v110 offset0:47 offset1:48
	s_waitcnt lgkmcnt(21)
	v_fma_f64 v[88:89], -v[100:101], v[118:119], v[88:89]
	v_fma_f64 v[90:91], -v[100:101], v[120:121], v[90:91]
	s_waitcnt lgkmcnt(20)
	v_fma_f64 v[84:85], -v[100:101], v[122:123], v[84:85]
	v_fma_f64 v[86:87], -v[100:101], v[124:125], v[86:87]
	;; [unrolled: 3-line block ×22, first 2 shown]
.LBB96_16:
	s_or_b32 exec_lo, exec_lo, s1
	v_lshl_add_u32 v0, v113, 3, v110
	s_barrier
	buffer_gl0_inv
	v_mov_b32_e32 v104, 1
	ds_write_b64 v0, v[98:99]
	s_waitcnt lgkmcnt(0)
	s_barrier
	buffer_gl0_inv
	ds_read_b64 v[0:1], v110 offset:8
	s_cmp_lt_i32 s7, 3
	s_cbranch_scc1 .LBB96_19
; %bb.17:
	v_add3_u32 v105, v111, 0, 16
	v_mov_b32_e32 v104, 1
	s_mov_b32 s1, 2
.LBB96_18:                              ; =>This Inner Loop Header: Depth=1
	ds_read_b64 v[106:107], v105
	v_add_nc_u32_e32 v105, 8, v105
	s_waitcnt lgkmcnt(0)
	v_cmp_lt_f64_e64 vcc_lo, |v[0:1]|, |v[106:107]|
	v_cndmask_b32_e32 v1, v1, v107, vcc_lo
	v_cndmask_b32_e32 v0, v0, v106, vcc_lo
	v_cndmask_b32_e64 v104, v104, s1, vcc_lo
	s_add_i32 s1, s1, 1
	s_cmp_lg_u32 s7, s1
	s_cbranch_scc1 .LBB96_18
.LBB96_19:
	s_mov_b32 s1, exec_lo
	v_cmpx_ne_u32_e64 v113, v104
	s_xor_b32 s1, exec_lo, s1
	s_cbranch_execz .LBB96_25
; %bb.20:
	s_mov_b32 s2, exec_lo
	v_cmpx_eq_u32_e32 1, v113
	s_cbranch_execz .LBB96_24
; %bb.21:
	v_cmp_ne_u32_e32 vcc_lo, 1, v104
	s_xor_b32 s3, s6, -1
	s_and_b32 s9, s3, vcc_lo
	s_and_saveexec_b32 s3, s9
	s_cbranch_execz .LBB96_23
; %bb.22:
	v_ashrrev_i32_e32 v105, 31, v104
	v_lshlrev_b64 v[105:106], 2, v[104:105]
	v_add_co_u32 v105, vcc_lo, v4, v105
	v_add_co_ci_u32_e64 v106, null, v5, v106, vcc_lo
	s_clause 0x1
	global_load_dword v107, v[105:106], off
	global_load_dword v112, v[4:5], off offset:4
	s_waitcnt vmcnt(1)
	global_store_dword v[4:5], v107, off offset:4
	s_waitcnt vmcnt(0)
	global_store_dword v[105:106], v112, off
.LBB96_23:
	s_or_b32 exec_lo, exec_lo, s3
	v_mov_b32_e32 v112, v104
	v_mov_b32_e32 v113, v104
.LBB96_24:
	s_or_b32 exec_lo, exec_lo, s2
.LBB96_25:
	s_andn2_saveexec_b32 s1, s1
	s_cbranch_execz .LBB96_27
; %bb.26:
	v_mov_b32_e32 v104, v96
	v_mov_b32_e32 v105, v97
	;; [unrolled: 1-line block ×16, first 2 shown]
	ds_write2_b64 v110, v[104:105], v[106:107] offset0:2 offset1:3
	ds_write2_b64 v110, v[113:114], v[115:116] offset0:4 offset1:5
	ds_write2_b64 v110, v[117:118], v[119:120] offset0:6 offset1:7
	ds_write2_b64 v110, v[121:122], v[123:124] offset0:8 offset1:9
	v_mov_b32_e32 v104, v80
	v_mov_b32_e32 v105, v81
	v_mov_b32_e32 v106, v78
	v_mov_b32_e32 v107, v79
	v_mov_b32_e32 v113, v76
	v_mov_b32_e32 v114, v77
	v_mov_b32_e32 v115, v74
	v_mov_b32_e32 v116, v75
	v_mov_b32_e32 v117, v72
	v_mov_b32_e32 v118, v73
	v_mov_b32_e32 v119, v68
	v_mov_b32_e32 v120, v69
	v_mov_b32_e32 v121, v70
	v_mov_b32_e32 v122, v71
	v_mov_b32_e32 v123, v64
	v_mov_b32_e32 v124, v65
	v_mov_b32_e32 v125, v66
	v_mov_b32_e32 v126, v67
	v_mov_b32_e32 v127, v62
	v_mov_b32_e32 v128, v63
	ds_write2_b64 v110, v[104:105], v[106:107] offset0:10 offset1:11
	ds_write2_b64 v110, v[113:114], v[115:116] offset0:12 offset1:13
	ds_write2_b64 v110, v[117:118], v[119:120] offset0:14 offset1:15
	ds_write2_b64 v110, v[121:122], v[123:124] offset0:16 offset1:17
	ds_write2_b64 v110, v[125:126], v[127:128] offset0:18 offset1:19
	v_mov_b32_e32 v104, v60
	v_mov_b32_e32 v105, v61
	v_mov_b32_e32 v106, v58
	v_mov_b32_e32 v107, v59
	v_mov_b32_e32 v113, v56
	v_mov_b32_e32 v114, v57
	v_mov_b32_e32 v115, v54
	v_mov_b32_e32 v116, v55
	v_mov_b32_e32 v117, v52
	v_mov_b32_e32 v118, v53
	v_mov_b32_e32 v119, v48
	v_mov_b32_e32 v120, v49
	v_mov_b32_e32 v121, v50
	v_mov_b32_e32 v122, v51
	v_mov_b32_e32 v123, v44
	v_mov_b32_e32 v124, v45
	v_mov_b32_e32 v125, v46
	v_mov_b32_e32 v126, v47
	v_mov_b32_e32 v127, v42
	v_mov_b32_e32 v128, v43
	ds_write2_b64 v110, v[104:105], v[106:107] offset0:20 offset1:21
	;; [unrolled: 25-line block ×3, first 2 shown]
	ds_write2_b64 v110, v[113:114], v[115:116] offset0:32 offset1:33
	ds_write2_b64 v110, v[117:118], v[119:120] offset0:34 offset1:35
	;; [unrolled: 1-line block ×4, first 2 shown]
	v_mov_b32_e32 v104, v20
	v_mov_b32_e32 v105, v21
	v_mov_b32_e32 v106, v18
	v_mov_b32_e32 v107, v19
	v_mov_b32_e32 v114, v16
	v_mov_b32_e32 v115, v17
	v_mov_b32_e32 v116, v14
	v_mov_b32_e32 v117, v15
	v_mov_b32_e32 v113, 1
	v_mov_b32_e32 v118, v12
	v_mov_b32_e32 v119, v13
	v_mov_b32_e32 v120, v8
	v_mov_b32_e32 v121, v9
	v_mov_b32_e32 v122, v10
	v_mov_b32_e32 v123, v11
	v_mov_b32_e32 v124, v6
	v_mov_b32_e32 v125, v7
	ds_write2_b64 v110, v[104:105], v[106:107] offset0:40 offset1:41
	ds_write2_b64 v110, v[114:115], v[116:117] offset0:42 offset1:43
	;; [unrolled: 1-line block ×4, first 2 shown]
	ds_write_b64 v110, v[102:103] offset:384
.LBB96_27:
	s_or_b32 exec_lo, exec_lo, s1
	s_waitcnt lgkmcnt(0)
	v_cmp_neq_f64_e64 s1, 0, v[0:1]
	s_mov_b32 s2, exec_lo
	s_waitcnt_vscnt null, 0x0
	s_barrier
	buffer_gl0_inv
	v_cmpx_lt_i32_e32 1, v113
	s_cbranch_execz .LBB96_29
; %bb.28:
	v_div_scale_f64 v[104:105], null, v[0:1], v[0:1], 1.0
	v_div_scale_f64 v[116:117], vcc_lo, 1.0, v[0:1], 1.0
	v_rcp_f64_e32 v[106:107], v[104:105]
	v_fma_f64 v[114:115], -v[104:105], v[106:107], 1.0
	v_fma_f64 v[106:107], v[106:107], v[114:115], v[106:107]
	v_fma_f64 v[114:115], -v[104:105], v[106:107], 1.0
	v_fma_f64 v[106:107], v[106:107], v[114:115], v[106:107]
	v_mul_f64 v[114:115], v[116:117], v[106:107]
	v_fma_f64 v[104:105], -v[104:105], v[114:115], v[116:117]
	v_div_fmas_f64 v[104:105], v[104:105], v[106:107], v[114:115]
	v_div_fixup_f64 v[104:105], v[104:105], v[0:1], 1.0
	v_cndmask_b32_e64 v1, v1, v105, s1
	v_cndmask_b32_e64 v0, v0, v104, s1
	ds_read2_b64 v[104:107], v110 offset0:2 offset1:3
	ds_read2_b64 v[114:117], v110 offset0:4 offset1:5
	v_mul_f64 v[98:99], v[0:1], v[98:99]
	ds_read2_b64 v[118:121], v110 offset0:6 offset1:7
	ds_read2_b64 v[122:125], v110 offset0:8 offset1:9
	;; [unrolled: 1-line block ×21, first 2 shown]
	ds_read_b64 v[0:1], v110 offset:384
	s_waitcnt lgkmcnt(23)
	v_fma_f64 v[96:97], -v[98:99], v[104:105], v[96:97]
	v_fma_f64 v[94:95], -v[98:99], v[106:107], v[94:95]
	s_waitcnt lgkmcnt(22)
	v_fma_f64 v[92:93], -v[98:99], v[114:115], v[92:93]
	v_fma_f64 v[88:89], -v[98:99], v[116:117], v[88:89]
	;; [unrolled: 3-line block ×23, first 2 shown]
	s_waitcnt lgkmcnt(0)
	v_fma_f64 v[102:103], -v[98:99], v[0:1], v[102:103]
.LBB96_29:
	s_or_b32 exec_lo, exec_lo, s2
	v_lshl_add_u32 v0, v113, 3, v110
	s_barrier
	buffer_gl0_inv
	v_mov_b32_e32 v104, 2
	ds_write_b64 v0, v[96:97]
	s_waitcnt lgkmcnt(0)
	s_barrier
	buffer_gl0_inv
	ds_read_b64 v[0:1], v110 offset:16
	s_cmp_lt_i32 s7, 4
	s_mov_b32 s2, 3
	s_cbranch_scc1 .LBB96_32
; %bb.30:
	v_add3_u32 v105, v111, 0, 24
	v_mov_b32_e32 v104, 2
.LBB96_31:                              ; =>This Inner Loop Header: Depth=1
	ds_read_b64 v[106:107], v105
	v_add_nc_u32_e32 v105, 8, v105
	s_waitcnt lgkmcnt(0)
	v_cmp_lt_f64_e64 vcc_lo, |v[0:1]|, |v[106:107]|
	v_cndmask_b32_e32 v1, v1, v107, vcc_lo
	v_cndmask_b32_e32 v0, v0, v106, vcc_lo
	v_cndmask_b32_e64 v104, v104, s2, vcc_lo
	s_add_i32 s2, s2, 1
	s_cmp_lg_u32 s7, s2
	s_cbranch_scc1 .LBB96_31
.LBB96_32:
	v_cndmask_b32_e64 v105, 2, 1, s0
	v_cndmask_b32_e64 v106, 0, 1, s0
	s_mov_b32 s0, exec_lo
	v_cndmask_b32_e64 v107, v105, v106, s1
	s_waitcnt lgkmcnt(0)
	v_cmpx_eq_f64_e32 0, v[0:1]
	s_xor_b32 s0, exec_lo, s0
; %bb.33:
	v_cmp_ne_u32_e32 vcc_lo, 0, v107
	v_cndmask_b32_e32 v107, 3, v107, vcc_lo
; %bb.34:
	s_andn2_saveexec_b32 s0, s0
	s_cbranch_execz .LBB96_36
; %bb.35:
	v_div_scale_f64 v[105:106], null, v[0:1], v[0:1], 1.0
	v_rcp_f64_e32 v[114:115], v[105:106]
	v_fma_f64 v[116:117], -v[105:106], v[114:115], 1.0
	v_fma_f64 v[114:115], v[114:115], v[116:117], v[114:115]
	v_fma_f64 v[116:117], -v[105:106], v[114:115], 1.0
	v_fma_f64 v[114:115], v[114:115], v[116:117], v[114:115]
	v_div_scale_f64 v[116:117], vcc_lo, 1.0, v[0:1], 1.0
	v_mul_f64 v[118:119], v[116:117], v[114:115]
	v_fma_f64 v[105:106], -v[105:106], v[118:119], v[116:117]
	v_div_fmas_f64 v[105:106], v[105:106], v[114:115], v[118:119]
	v_div_fixup_f64 v[0:1], v[105:106], v[0:1], 1.0
.LBB96_36:
	s_or_b32 exec_lo, exec_lo, s0
	s_mov_b32 s0, exec_lo
	v_cmpx_ne_u32_e64 v113, v104
	s_xor_b32 s0, exec_lo, s0
	s_cbranch_execz .LBB96_42
; %bb.37:
	s_mov_b32 s1, exec_lo
	v_cmpx_eq_u32_e32 2, v113
	s_cbranch_execz .LBB96_41
; %bb.38:
	v_cmp_ne_u32_e32 vcc_lo, 2, v104
	s_xor_b32 s2, s6, -1
	s_and_b32 s3, s2, vcc_lo
	s_and_saveexec_b32 s2, s3
	s_cbranch_execz .LBB96_40
; %bb.39:
	v_ashrrev_i32_e32 v105, 31, v104
	v_lshlrev_b64 v[105:106], 2, v[104:105]
	v_add_co_u32 v105, vcc_lo, v4, v105
	v_add_co_ci_u32_e64 v106, null, v5, v106, vcc_lo
	s_clause 0x1
	global_load_dword v112, v[105:106], off
	global_load_dword v113, v[4:5], off offset:8
	s_waitcnt vmcnt(1)
	global_store_dword v[4:5], v112, off offset:8
	s_waitcnt vmcnt(0)
	global_store_dword v[105:106], v113, off
.LBB96_40:
	s_or_b32 exec_lo, exec_lo, s2
	v_mov_b32_e32 v112, v104
	v_mov_b32_e32 v113, v104
.LBB96_41:
	s_or_b32 exec_lo, exec_lo, s1
.LBB96_42:
	s_andn2_saveexec_b32 s0, s0
	s_cbranch_execz .LBB96_44
; %bb.43:
	v_mov_b32_e32 v113, 2
	ds_write2_b64 v110, v[94:95], v[92:93] offset0:3 offset1:4
	ds_write2_b64 v110, v[88:89], v[90:91] offset0:5 offset1:6
	;; [unrolled: 1-line block ×23, first 2 shown]
.LBB96_44:
	s_or_b32 exec_lo, exec_lo, s0
	s_mov_b32 s0, exec_lo
	s_waitcnt lgkmcnt(0)
	s_waitcnt_vscnt null, 0x0
	s_barrier
	buffer_gl0_inv
	v_cmpx_lt_i32_e32 2, v113
	s_cbranch_execz .LBB96_46
; %bb.45:
	v_mul_f64 v[96:97], v[0:1], v[96:97]
	ds_read2_b64 v[114:117], v110 offset0:3 offset1:4
	ds_read2_b64 v[118:121], v110 offset0:5 offset1:6
	;; [unrolled: 1-line block ×11, first 2 shown]
	s_waitcnt lgkmcnt(10)
	v_fma_f64 v[94:95], -v[96:97], v[114:115], v[94:95]
	v_fma_f64 v[92:93], -v[96:97], v[116:117], v[92:93]
	ds_read2_b64 v[114:117], v110 offset0:25 offset1:26
	s_waitcnt lgkmcnt(10)
	v_fma_f64 v[88:89], -v[96:97], v[118:119], v[88:89]
	v_fma_f64 v[90:91], -v[96:97], v[120:121], v[90:91]
	s_waitcnt lgkmcnt(9)
	v_fma_f64 v[84:85], -v[96:97], v[122:123], v[84:85]
	v_fma_f64 v[86:87], -v[96:97], v[124:125], v[86:87]
	;; [unrolled: 3-line block ×6, first 2 shown]
	ds_read2_b64 v[118:121], v110 offset0:27 offset1:28
	s_waitcnt lgkmcnt(5)
	v_fma_f64 v[64:65], -v[96:97], v[142:143], v[64:65]
	v_fma_f64 v[66:67], -v[96:97], v[144:145], v[66:67]
	ds_read2_b64 v[122:125], v110 offset0:29 offset1:30
	ds_read2_b64 v[126:129], v110 offset0:31 offset1:32
	s_waitcnt lgkmcnt(6)
	v_fma_f64 v[62:63], -v[96:97], v[146:147], v[62:63]
	v_fma_f64 v[60:61], -v[96:97], v[148:149], v[60:61]
	ds_read2_b64 v[130:133], v110 offset0:33 offset1:34
	;; [unrolled: 5-line block ×5, first 2 shown]
	ds_read2_b64 v[154:157], v110 offset0:47 offset1:48
	s_waitcnt lgkmcnt(10)
	v_fma_f64 v[44:45], -v[96:97], v[118:119], v[44:45]
	v_fma_f64 v[46:47], -v[96:97], v[120:121], v[46:47]
	s_waitcnt lgkmcnt(9)
	v_fma_f64 v[42:43], -v[96:97], v[122:123], v[42:43]
	v_fma_f64 v[40:41], -v[96:97], v[124:125], v[40:41]
	;; [unrolled: 3-line block ×11, first 2 shown]
.LBB96_46:
	s_or_b32 exec_lo, exec_lo, s0
	v_lshl_add_u32 v0, v113, 3, v110
	s_barrier
	buffer_gl0_inv
	v_mov_b32_e32 v104, 3
	ds_write_b64 v0, v[94:95]
	s_waitcnt lgkmcnt(0)
	s_barrier
	buffer_gl0_inv
	ds_read_b64 v[0:1], v110 offset:24
	s_cmp_lt_i32 s7, 5
	s_cbranch_scc1 .LBB96_49
; %bb.47:
	v_mov_b32_e32 v104, 3
	v_add3_u32 v105, v111, 0, 32
	s_mov_b32 s0, 4
.LBB96_48:                              ; =>This Inner Loop Header: Depth=1
	ds_read_b64 v[114:115], v105
	v_add_nc_u32_e32 v105, 8, v105
	s_waitcnt lgkmcnt(0)
	v_cmp_lt_f64_e64 vcc_lo, |v[0:1]|, |v[114:115]|
	v_cndmask_b32_e32 v1, v1, v115, vcc_lo
	v_cndmask_b32_e32 v0, v0, v114, vcc_lo
	v_cndmask_b32_e64 v104, v104, s0, vcc_lo
	s_add_i32 s0, s0, 1
	s_cmp_lg_u32 s7, s0
	s_cbranch_scc1 .LBB96_48
.LBB96_49:
	s_mov_b32 s0, exec_lo
	s_waitcnt lgkmcnt(0)
	v_cmpx_eq_f64_e32 0, v[0:1]
	s_xor_b32 s0, exec_lo, s0
; %bb.50:
	v_cmp_ne_u32_e32 vcc_lo, 0, v107
	v_cndmask_b32_e32 v107, 4, v107, vcc_lo
; %bb.51:
	s_andn2_saveexec_b32 s0, s0
	s_cbranch_execz .LBB96_53
; %bb.52:
	v_div_scale_f64 v[105:106], null, v[0:1], v[0:1], 1.0
	v_rcp_f64_e32 v[114:115], v[105:106]
	v_fma_f64 v[116:117], -v[105:106], v[114:115], 1.0
	v_fma_f64 v[114:115], v[114:115], v[116:117], v[114:115]
	v_fma_f64 v[116:117], -v[105:106], v[114:115], 1.0
	v_fma_f64 v[114:115], v[114:115], v[116:117], v[114:115]
	v_div_scale_f64 v[116:117], vcc_lo, 1.0, v[0:1], 1.0
	v_mul_f64 v[118:119], v[116:117], v[114:115]
	v_fma_f64 v[105:106], -v[105:106], v[118:119], v[116:117]
	v_div_fmas_f64 v[105:106], v[105:106], v[114:115], v[118:119]
	v_div_fixup_f64 v[0:1], v[105:106], v[0:1], 1.0
.LBB96_53:
	s_or_b32 exec_lo, exec_lo, s0
	s_mov_b32 s0, exec_lo
	v_cmpx_ne_u32_e64 v113, v104
	s_xor_b32 s0, exec_lo, s0
	s_cbranch_execz .LBB96_59
; %bb.54:
	s_mov_b32 s1, exec_lo
	v_cmpx_eq_u32_e32 3, v113
	s_cbranch_execz .LBB96_58
; %bb.55:
	v_cmp_ne_u32_e32 vcc_lo, 3, v104
	s_xor_b32 s2, s6, -1
	s_and_b32 s3, s2, vcc_lo
	s_and_saveexec_b32 s2, s3
	s_cbranch_execz .LBB96_57
; %bb.56:
	v_ashrrev_i32_e32 v105, 31, v104
	v_lshlrev_b64 v[105:106], 2, v[104:105]
	v_add_co_u32 v105, vcc_lo, v4, v105
	v_add_co_ci_u32_e64 v106, null, v5, v106, vcc_lo
	s_clause 0x1
	global_load_dword v112, v[105:106], off
	global_load_dword v113, v[4:5], off offset:12
	s_waitcnt vmcnt(1)
	global_store_dword v[4:5], v112, off offset:12
	s_waitcnt vmcnt(0)
	global_store_dword v[105:106], v113, off
.LBB96_57:
	s_or_b32 exec_lo, exec_lo, s2
	v_mov_b32_e32 v112, v104
	v_mov_b32_e32 v113, v104
.LBB96_58:
	s_or_b32 exec_lo, exec_lo, s1
.LBB96_59:
	s_andn2_saveexec_b32 s0, s0
	s_cbranch_execz .LBB96_61
; %bb.60:
	v_mov_b32_e32 v104, v92
	v_mov_b32_e32 v105, v93
	;; [unrolled: 1-line block ×12, first 2 shown]
	ds_write2_b64 v110, v[104:105], v[113:114] offset0:4 offset1:5
	ds_write2_b64 v110, v[115:116], v[117:118] offset0:6 offset1:7
	ds_write2_b64 v110, v[119:120], v[121:122] offset0:8 offset1:9
	v_mov_b32_e32 v104, v80
	v_mov_b32_e32 v105, v81
	v_mov_b32_e32 v113, v78
	v_mov_b32_e32 v114, v79
	v_mov_b32_e32 v115, v76
	v_mov_b32_e32 v116, v77
	v_mov_b32_e32 v117, v74
	v_mov_b32_e32 v118, v75
	v_mov_b32_e32 v119, v72
	v_mov_b32_e32 v120, v73
	v_mov_b32_e32 v121, v68
	v_mov_b32_e32 v122, v69
	v_mov_b32_e32 v123, v70
	v_mov_b32_e32 v124, v71
	v_mov_b32_e32 v125, v64
	v_mov_b32_e32 v126, v65
	v_mov_b32_e32 v127, v66
	v_mov_b32_e32 v128, v67
	v_mov_b32_e32 v129, v62
	v_mov_b32_e32 v130, v63
	ds_write2_b64 v110, v[104:105], v[113:114] offset0:10 offset1:11
	ds_write2_b64 v110, v[115:116], v[117:118] offset0:12 offset1:13
	ds_write2_b64 v110, v[119:120], v[121:122] offset0:14 offset1:15
	ds_write2_b64 v110, v[123:124], v[125:126] offset0:16 offset1:17
	ds_write2_b64 v110, v[127:128], v[129:130] offset0:18 offset1:19
	v_mov_b32_e32 v104, v60
	v_mov_b32_e32 v105, v61
	v_mov_b32_e32 v113, v58
	v_mov_b32_e32 v114, v59
	v_mov_b32_e32 v115, v56
	v_mov_b32_e32 v116, v57
	v_mov_b32_e32 v117, v54
	v_mov_b32_e32 v118, v55
	v_mov_b32_e32 v119, v52
	v_mov_b32_e32 v120, v53
	v_mov_b32_e32 v121, v48
	v_mov_b32_e32 v122, v49
	v_mov_b32_e32 v123, v50
	v_mov_b32_e32 v124, v51
	v_mov_b32_e32 v125, v44
	v_mov_b32_e32 v126, v45
	v_mov_b32_e32 v127, v46
	v_mov_b32_e32 v128, v47
	v_mov_b32_e32 v129, v42
	v_mov_b32_e32 v130, v43
	ds_write2_b64 v110, v[104:105], v[113:114] offset0:20 offset1:21
	ds_write2_b64 v110, v[115:116], v[117:118] offset0:22 offset1:23
	;; [unrolled: 25-line block ×3, first 2 shown]
	ds_write2_b64 v110, v[119:120], v[121:122] offset0:34 offset1:35
	ds_write2_b64 v110, v[123:124], v[125:126] offset0:36 offset1:37
	;; [unrolled: 1-line block ×3, first 2 shown]
	v_mov_b32_e32 v104, v20
	v_mov_b32_e32 v105, v21
	;; [unrolled: 1-line block ×8, first 2 shown]
	ds_write2_b64 v110, v[104:105], v[113:114] offset0:40 offset1:41
	v_mov_b32_e32 v113, 3
	v_mov_b32_e32 v119, v12
	;; [unrolled: 1-line block ×9, first 2 shown]
	ds_write2_b64 v110, v[115:116], v[117:118] offset0:42 offset1:43
	ds_write2_b64 v110, v[119:120], v[121:122] offset0:44 offset1:45
	;; [unrolled: 1-line block ×3, first 2 shown]
	ds_write_b64 v110, v[102:103] offset:384
.LBB96_61:
	s_or_b32 exec_lo, exec_lo, s0
	s_mov_b32 s0, exec_lo
	s_waitcnt lgkmcnt(0)
	s_waitcnt_vscnt null, 0x0
	s_barrier
	buffer_gl0_inv
	v_cmpx_lt_i32_e32 3, v113
	s_cbranch_execz .LBB96_63
; %bb.62:
	v_mul_f64 v[94:95], v[0:1], v[94:95]
	ds_read2_b64 v[114:117], v110 offset0:4 offset1:5
	ds_read2_b64 v[118:121], v110 offset0:6 offset1:7
	;; [unrolled: 1-line block ×11, first 2 shown]
	ds_read_b64 v[0:1], v110 offset:384
	s_waitcnt lgkmcnt(11)
	v_fma_f64 v[92:93], -v[94:95], v[114:115], v[92:93]
	v_fma_f64 v[88:89], -v[94:95], v[116:117], v[88:89]
	ds_read2_b64 v[114:117], v110 offset0:26 offset1:27
	s_waitcnt lgkmcnt(11)
	v_fma_f64 v[90:91], -v[94:95], v[118:119], v[90:91]
	v_fma_f64 v[84:85], -v[94:95], v[120:121], v[84:85]
	s_waitcnt lgkmcnt(10)
	v_fma_f64 v[86:87], -v[94:95], v[122:123], v[86:87]
	v_fma_f64 v[82:83], -v[94:95], v[124:125], v[82:83]
	;; [unrolled: 3-line block ×6, first 2 shown]
	ds_read2_b64 v[118:121], v110 offset0:28 offset1:29
	s_waitcnt lgkmcnt(6)
	v_fma_f64 v[66:67], -v[94:95], v[142:143], v[66:67]
	v_fma_f64 v[62:63], -v[94:95], v[144:145], v[62:63]
	ds_read2_b64 v[122:125], v110 offset0:30 offset1:31
	ds_read2_b64 v[126:129], v110 offset0:32 offset1:33
	s_waitcnt lgkmcnt(7)
	v_fma_f64 v[60:61], -v[94:95], v[146:147], v[60:61]
	v_fma_f64 v[58:59], -v[94:95], v[148:149], v[58:59]
	ds_read2_b64 v[130:133], v110 offset0:34 offset1:35
	;; [unrolled: 5-line block ×3, first 2 shown]
	ds_read2_b64 v[142:145], v110 offset0:40 offset1:41
	ds_read2_b64 v[146:149], v110 offset0:42 offset1:43
	;; [unrolled: 1-line block ×3, first 2 shown]
	s_waitcnt lgkmcnt(9)
	v_fma_f64 v[50:51], -v[94:95], v[114:115], v[50:51]
	v_fma_f64 v[44:45], -v[94:95], v[116:117], v[44:45]
	ds_read2_b64 v[114:117], v110 offset0:46 offset1:47
	v_fma_f64 v[52:53], -v[94:95], v[154:155], v[52:53]
	v_fma_f64 v[48:49], -v[94:95], v[156:157], v[48:49]
	s_waitcnt lgkmcnt(9)
	v_fma_f64 v[46:47], -v[94:95], v[118:119], v[46:47]
	v_fma_f64 v[42:43], -v[94:95], v[120:121], v[42:43]
	;; [unrolled: 1-line block ×3, first 2 shown]
	s_waitcnt lgkmcnt(8)
	v_fma_f64 v[40:41], -v[94:95], v[122:123], v[40:41]
	v_fma_f64 v[38:39], -v[94:95], v[124:125], v[38:39]
	s_waitcnt lgkmcnt(7)
	v_fma_f64 v[36:37], -v[94:95], v[126:127], v[36:37]
	v_fma_f64 v[34:35], -v[94:95], v[128:129], v[34:35]
	;; [unrolled: 3-line block ×9, first 2 shown]
.LBB96_63:
	s_or_b32 exec_lo, exec_lo, s0
	v_lshl_add_u32 v0, v113, 3, v110
	s_barrier
	buffer_gl0_inv
	v_mov_b32_e32 v104, 4
	ds_write_b64 v0, v[92:93]
	s_waitcnt lgkmcnt(0)
	s_barrier
	buffer_gl0_inv
	ds_read_b64 v[0:1], v110 offset:32
	s_cmp_lt_i32 s7, 6
	s_cbranch_scc1 .LBB96_66
; %bb.64:
	v_add3_u32 v105, v111, 0, 40
	v_mov_b32_e32 v104, 4
	s_mov_b32 s0, 5
.LBB96_65:                              ; =>This Inner Loop Header: Depth=1
	ds_read_b64 v[114:115], v105
	v_add_nc_u32_e32 v105, 8, v105
	s_waitcnt lgkmcnt(0)
	v_cmp_lt_f64_e64 vcc_lo, |v[0:1]|, |v[114:115]|
	v_cndmask_b32_e32 v1, v1, v115, vcc_lo
	v_cndmask_b32_e32 v0, v0, v114, vcc_lo
	v_cndmask_b32_e64 v104, v104, s0, vcc_lo
	s_add_i32 s0, s0, 1
	s_cmp_lg_u32 s7, s0
	s_cbranch_scc1 .LBB96_65
.LBB96_66:
	s_mov_b32 s0, exec_lo
	s_waitcnt lgkmcnt(0)
	v_cmpx_eq_f64_e32 0, v[0:1]
	s_xor_b32 s0, exec_lo, s0
; %bb.67:
	v_cmp_ne_u32_e32 vcc_lo, 0, v107
	v_cndmask_b32_e32 v107, 5, v107, vcc_lo
; %bb.68:
	s_andn2_saveexec_b32 s0, s0
	s_cbranch_execz .LBB96_70
; %bb.69:
	v_div_scale_f64 v[105:106], null, v[0:1], v[0:1], 1.0
	v_rcp_f64_e32 v[114:115], v[105:106]
	v_fma_f64 v[116:117], -v[105:106], v[114:115], 1.0
	v_fma_f64 v[114:115], v[114:115], v[116:117], v[114:115]
	v_fma_f64 v[116:117], -v[105:106], v[114:115], 1.0
	v_fma_f64 v[114:115], v[114:115], v[116:117], v[114:115]
	v_div_scale_f64 v[116:117], vcc_lo, 1.0, v[0:1], 1.0
	v_mul_f64 v[118:119], v[116:117], v[114:115]
	v_fma_f64 v[105:106], -v[105:106], v[118:119], v[116:117]
	v_div_fmas_f64 v[105:106], v[105:106], v[114:115], v[118:119]
	v_div_fixup_f64 v[0:1], v[105:106], v[0:1], 1.0
.LBB96_70:
	s_or_b32 exec_lo, exec_lo, s0
	s_mov_b32 s0, exec_lo
	v_cmpx_ne_u32_e64 v113, v104
	s_xor_b32 s0, exec_lo, s0
	s_cbranch_execz .LBB96_76
; %bb.71:
	s_mov_b32 s1, exec_lo
	v_cmpx_eq_u32_e32 4, v113
	s_cbranch_execz .LBB96_75
; %bb.72:
	v_cmp_ne_u32_e32 vcc_lo, 4, v104
	s_xor_b32 s2, s6, -1
	s_and_b32 s3, s2, vcc_lo
	s_and_saveexec_b32 s2, s3
	s_cbranch_execz .LBB96_74
; %bb.73:
	v_ashrrev_i32_e32 v105, 31, v104
	v_lshlrev_b64 v[105:106], 2, v[104:105]
	v_add_co_u32 v105, vcc_lo, v4, v105
	v_add_co_ci_u32_e64 v106, null, v5, v106, vcc_lo
	s_clause 0x1
	global_load_dword v112, v[105:106], off
	global_load_dword v113, v[4:5], off offset:16
	s_waitcnt vmcnt(1)
	global_store_dword v[4:5], v112, off offset:16
	s_waitcnt vmcnt(0)
	global_store_dword v[105:106], v113, off
.LBB96_74:
	s_or_b32 exec_lo, exec_lo, s2
	v_mov_b32_e32 v112, v104
	v_mov_b32_e32 v113, v104
.LBB96_75:
	s_or_b32 exec_lo, exec_lo, s1
.LBB96_76:
	s_andn2_saveexec_b32 s0, s0
	s_cbranch_execz .LBB96_78
; %bb.77:
	v_mov_b32_e32 v113, 4
	ds_write2_b64 v110, v[88:89], v[90:91] offset0:5 offset1:6
	ds_write2_b64 v110, v[84:85], v[86:87] offset0:7 offset1:8
	;; [unrolled: 1-line block ×22, first 2 shown]
.LBB96_78:
	s_or_b32 exec_lo, exec_lo, s0
	s_mov_b32 s0, exec_lo
	s_waitcnt lgkmcnt(0)
	s_waitcnt_vscnt null, 0x0
	s_barrier
	buffer_gl0_inv
	v_cmpx_lt_i32_e32 4, v113
	s_cbranch_execz .LBB96_80
; %bb.79:
	v_mul_f64 v[92:93], v[0:1], v[92:93]
	ds_read2_b64 v[114:117], v110 offset0:5 offset1:6
	ds_read2_b64 v[118:121], v110 offset0:7 offset1:8
	;; [unrolled: 1-line block ×11, first 2 shown]
	s_waitcnt lgkmcnt(10)
	v_fma_f64 v[88:89], -v[92:93], v[114:115], v[88:89]
	v_fma_f64 v[90:91], -v[92:93], v[116:117], v[90:91]
	s_waitcnt lgkmcnt(9)
	v_fma_f64 v[84:85], -v[92:93], v[118:119], v[84:85]
	v_fma_f64 v[86:87], -v[92:93], v[120:121], v[86:87]
	;; [unrolled: 3-line block ×6, first 2 shown]
	ds_read2_b64 v[114:117], v110 offset0:27 offset1:28
	ds_read2_b64 v[118:121], v110 offset0:29 offset1:30
	s_waitcnt lgkmcnt(6)
	v_fma_f64 v[64:65], -v[92:93], v[138:139], v[64:65]
	v_fma_f64 v[66:67], -v[92:93], v[140:141], v[66:67]
	s_waitcnt lgkmcnt(5)
	v_fma_f64 v[62:63], -v[92:93], v[142:143], v[62:63]
	ds_read2_b64 v[122:125], v110 offset0:31 offset1:32
	ds_read2_b64 v[126:129], v110 offset0:33 offset1:34
	v_fma_f64 v[60:61], -v[92:93], v[144:145], v[60:61]
	s_waitcnt lgkmcnt(6)
	v_fma_f64 v[58:59], -v[92:93], v[146:147], v[58:59]
	ds_read2_b64 v[130:133], v110 offset0:35 offset1:36
	ds_read2_b64 v[134:137], v110 offset0:37 offset1:38
	;; [unrolled: 5-line block ×4, first 2 shown]
	v_fma_f64 v[50:51], -v[92:93], v[156:157], v[50:51]
	ds_read2_b64 v[154:157], v110 offset0:47 offset1:48
	s_waitcnt lgkmcnt(10)
	v_fma_f64 v[44:45], -v[92:93], v[114:115], v[44:45]
	v_fma_f64 v[46:47], -v[92:93], v[116:117], v[46:47]
	s_waitcnt lgkmcnt(9)
	v_fma_f64 v[42:43], -v[92:93], v[118:119], v[42:43]
	v_fma_f64 v[40:41], -v[92:93], v[120:121], v[40:41]
	;; [unrolled: 3-line block ×11, first 2 shown]
.LBB96_80:
	s_or_b32 exec_lo, exec_lo, s0
	v_lshl_add_u32 v0, v113, 3, v110
	s_barrier
	buffer_gl0_inv
	v_mov_b32_e32 v104, 5
	ds_write_b64 v0, v[88:89]
	s_waitcnt lgkmcnt(0)
	s_barrier
	buffer_gl0_inv
	ds_read_b64 v[0:1], v110 offset:40
	s_cmp_lt_i32 s7, 7
	s_cbranch_scc1 .LBB96_83
; %bb.81:
	v_add3_u32 v105, v111, 0, 48
	v_mov_b32_e32 v104, 5
	s_mov_b32 s0, 6
.LBB96_82:                              ; =>This Inner Loop Header: Depth=1
	ds_read_b64 v[114:115], v105
	v_add_nc_u32_e32 v105, 8, v105
	s_waitcnt lgkmcnt(0)
	v_cmp_lt_f64_e64 vcc_lo, |v[0:1]|, |v[114:115]|
	v_cndmask_b32_e32 v1, v1, v115, vcc_lo
	v_cndmask_b32_e32 v0, v0, v114, vcc_lo
	v_cndmask_b32_e64 v104, v104, s0, vcc_lo
	s_add_i32 s0, s0, 1
	s_cmp_lg_u32 s7, s0
	s_cbranch_scc1 .LBB96_82
.LBB96_83:
	s_mov_b32 s0, exec_lo
	s_waitcnt lgkmcnt(0)
	v_cmpx_eq_f64_e32 0, v[0:1]
	s_xor_b32 s0, exec_lo, s0
; %bb.84:
	v_cmp_ne_u32_e32 vcc_lo, 0, v107
	v_cndmask_b32_e32 v107, 6, v107, vcc_lo
; %bb.85:
	s_andn2_saveexec_b32 s0, s0
	s_cbranch_execz .LBB96_87
; %bb.86:
	v_div_scale_f64 v[105:106], null, v[0:1], v[0:1], 1.0
	v_rcp_f64_e32 v[114:115], v[105:106]
	v_fma_f64 v[116:117], -v[105:106], v[114:115], 1.0
	v_fma_f64 v[114:115], v[114:115], v[116:117], v[114:115]
	v_fma_f64 v[116:117], -v[105:106], v[114:115], 1.0
	v_fma_f64 v[114:115], v[114:115], v[116:117], v[114:115]
	v_div_scale_f64 v[116:117], vcc_lo, 1.0, v[0:1], 1.0
	v_mul_f64 v[118:119], v[116:117], v[114:115]
	v_fma_f64 v[105:106], -v[105:106], v[118:119], v[116:117]
	v_div_fmas_f64 v[105:106], v[105:106], v[114:115], v[118:119]
	v_div_fixup_f64 v[0:1], v[105:106], v[0:1], 1.0
.LBB96_87:
	s_or_b32 exec_lo, exec_lo, s0
	s_mov_b32 s0, exec_lo
	v_cmpx_ne_u32_e64 v113, v104
	s_xor_b32 s0, exec_lo, s0
	s_cbranch_execz .LBB96_93
; %bb.88:
	s_mov_b32 s1, exec_lo
	v_cmpx_eq_u32_e32 5, v113
	s_cbranch_execz .LBB96_92
; %bb.89:
	v_cmp_ne_u32_e32 vcc_lo, 5, v104
	s_xor_b32 s2, s6, -1
	s_and_b32 s3, s2, vcc_lo
	s_and_saveexec_b32 s2, s3
	s_cbranch_execz .LBB96_91
; %bb.90:
	v_ashrrev_i32_e32 v105, 31, v104
	v_lshlrev_b64 v[105:106], 2, v[104:105]
	v_add_co_u32 v105, vcc_lo, v4, v105
	v_add_co_ci_u32_e64 v106, null, v5, v106, vcc_lo
	s_clause 0x1
	global_load_dword v112, v[105:106], off
	global_load_dword v113, v[4:5], off offset:20
	s_waitcnt vmcnt(1)
	global_store_dword v[4:5], v112, off offset:20
	s_waitcnt vmcnt(0)
	global_store_dword v[105:106], v113, off
.LBB96_91:
	s_or_b32 exec_lo, exec_lo, s2
	v_mov_b32_e32 v112, v104
	v_mov_b32_e32 v113, v104
.LBB96_92:
	s_or_b32 exec_lo, exec_lo, s1
.LBB96_93:
	s_andn2_saveexec_b32 s0, s0
	s_cbranch_execz .LBB96_95
; %bb.94:
	v_mov_b32_e32 v104, v90
	v_mov_b32_e32 v105, v91
	;; [unrolled: 1-line block ×8, first 2 shown]
	ds_write2_b64 v110, v[104:105], v[113:114] offset0:6 offset1:7
	ds_write2_b64 v110, v[115:116], v[117:118] offset0:8 offset1:9
	v_mov_b32_e32 v104, v80
	v_mov_b32_e32 v105, v81
	v_mov_b32_e32 v113, v78
	v_mov_b32_e32 v114, v79
	v_mov_b32_e32 v115, v76
	v_mov_b32_e32 v116, v77
	v_mov_b32_e32 v117, v74
	v_mov_b32_e32 v118, v75
	v_mov_b32_e32 v119, v72
	v_mov_b32_e32 v120, v73
	v_mov_b32_e32 v121, v68
	v_mov_b32_e32 v122, v69
	v_mov_b32_e32 v123, v70
	v_mov_b32_e32 v124, v71
	v_mov_b32_e32 v125, v64
	v_mov_b32_e32 v126, v65
	v_mov_b32_e32 v127, v66
	v_mov_b32_e32 v128, v67
	v_mov_b32_e32 v129, v62
	v_mov_b32_e32 v130, v63
	ds_write2_b64 v110, v[104:105], v[113:114] offset0:10 offset1:11
	ds_write2_b64 v110, v[115:116], v[117:118] offset0:12 offset1:13
	ds_write2_b64 v110, v[119:120], v[121:122] offset0:14 offset1:15
	ds_write2_b64 v110, v[123:124], v[125:126] offset0:16 offset1:17
	ds_write2_b64 v110, v[127:128], v[129:130] offset0:18 offset1:19
	v_mov_b32_e32 v104, v60
	v_mov_b32_e32 v105, v61
	v_mov_b32_e32 v113, v58
	v_mov_b32_e32 v114, v59
	v_mov_b32_e32 v115, v56
	v_mov_b32_e32 v116, v57
	v_mov_b32_e32 v117, v54
	v_mov_b32_e32 v118, v55
	v_mov_b32_e32 v119, v52
	v_mov_b32_e32 v120, v53
	v_mov_b32_e32 v121, v48
	v_mov_b32_e32 v122, v49
	v_mov_b32_e32 v123, v50
	v_mov_b32_e32 v124, v51
	v_mov_b32_e32 v125, v44
	v_mov_b32_e32 v126, v45
	v_mov_b32_e32 v127, v46
	v_mov_b32_e32 v128, v47
	v_mov_b32_e32 v129, v42
	v_mov_b32_e32 v130, v43
	ds_write2_b64 v110, v[104:105], v[113:114] offset0:20 offset1:21
	ds_write2_b64 v110, v[115:116], v[117:118] offset0:22 offset1:23
	ds_write2_b64 v110, v[119:120], v[121:122] offset0:24 offset1:25
	;; [unrolled: 25-line block ×3, first 2 shown]
	ds_write2_b64 v110, v[123:124], v[125:126] offset0:36 offset1:37
	ds_write2_b64 v110, v[127:128], v[129:130] offset0:38 offset1:39
	v_mov_b32_e32 v104, v20
	v_mov_b32_e32 v105, v21
	;; [unrolled: 1-line block ×8, first 2 shown]
	ds_write2_b64 v110, v[104:105], v[113:114] offset0:40 offset1:41
	v_mov_b32_e32 v113, 5
	v_mov_b32_e32 v119, v12
	;; [unrolled: 1-line block ×9, first 2 shown]
	ds_write2_b64 v110, v[115:116], v[117:118] offset0:42 offset1:43
	ds_write2_b64 v110, v[119:120], v[121:122] offset0:44 offset1:45
	;; [unrolled: 1-line block ×3, first 2 shown]
	ds_write_b64 v110, v[102:103] offset:384
.LBB96_95:
	s_or_b32 exec_lo, exec_lo, s0
	s_mov_b32 s0, exec_lo
	s_waitcnt lgkmcnt(0)
	s_waitcnt_vscnt null, 0x0
	s_barrier
	buffer_gl0_inv
	v_cmpx_lt_i32_e32 5, v113
	s_cbranch_execz .LBB96_97
; %bb.96:
	v_mul_f64 v[88:89], v[0:1], v[88:89]
	ds_read2_b64 v[114:117], v110 offset0:6 offset1:7
	ds_read2_b64 v[118:121], v110 offset0:8 offset1:9
	;; [unrolled: 1-line block ×11, first 2 shown]
	ds_read_b64 v[0:1], v110 offset:384
	s_waitcnt lgkmcnt(11)
	v_fma_f64 v[90:91], -v[88:89], v[114:115], v[90:91]
	v_fma_f64 v[84:85], -v[88:89], v[116:117], v[84:85]
	s_waitcnt lgkmcnt(10)
	v_fma_f64 v[86:87], -v[88:89], v[118:119], v[86:87]
	v_fma_f64 v[82:83], -v[88:89], v[120:121], v[82:83]
	;; [unrolled: 3-line block ×6, first 2 shown]
	ds_read2_b64 v[114:117], v110 offset0:28 offset1:29
	ds_read2_b64 v[118:121], v110 offset0:30 offset1:31
	s_waitcnt lgkmcnt(7)
	v_fma_f64 v[66:67], -v[88:89], v[138:139], v[66:67]
	v_fma_f64 v[62:63], -v[88:89], v[140:141], v[62:63]
	s_waitcnt lgkmcnt(6)
	v_fma_f64 v[60:61], -v[88:89], v[142:143], v[60:61]
	ds_read2_b64 v[122:125], v110 offset0:32 offset1:33
	ds_read2_b64 v[126:129], v110 offset0:34 offset1:35
	v_fma_f64 v[58:59], -v[88:89], v[144:145], v[58:59]
	s_waitcnt lgkmcnt(7)
	v_fma_f64 v[56:57], -v[88:89], v[146:147], v[56:57]
	ds_read2_b64 v[130:133], v110 offset0:36 offset1:37
	ds_read2_b64 v[134:137], v110 offset0:38 offset1:39
	;; [unrolled: 5-line block ×3, first 2 shown]
	v_fma_f64 v[48:49], -v[88:89], v[152:153], v[48:49]
	ds_read2_b64 v[146:149], v110 offset0:44 offset1:45
	ds_read2_b64 v[150:153], v110 offset0:46 offset1:47
	s_waitcnt lgkmcnt(11)
	v_fma_f64 v[50:51], -v[88:89], v[154:155], v[50:51]
	v_fma_f64 v[44:45], -v[88:89], v[156:157], v[44:45]
	s_waitcnt lgkmcnt(9)
	v_fma_f64 v[46:47], -v[88:89], v[114:115], v[46:47]
	v_fma_f64 v[42:43], -v[88:89], v[116:117], v[42:43]
	s_waitcnt lgkmcnt(8)
	v_fma_f64 v[40:41], -v[88:89], v[118:119], v[40:41]
	v_fma_f64 v[38:39], -v[88:89], v[120:121], v[38:39]
	v_fma_f64 v[102:103], -v[88:89], v[0:1], v[102:103]
	s_waitcnt lgkmcnt(7)
	v_fma_f64 v[36:37], -v[88:89], v[122:123], v[36:37]
	v_fma_f64 v[34:35], -v[88:89], v[124:125], v[34:35]
	s_waitcnt lgkmcnt(6)
	v_fma_f64 v[32:33], -v[88:89], v[126:127], v[32:33]
	;; [unrolled: 3-line block ×8, first 2 shown]
	v_fma_f64 v[6:7], -v[88:89], v[152:153], v[6:7]
.LBB96_97:
	s_or_b32 exec_lo, exec_lo, s0
	v_lshl_add_u32 v0, v113, 3, v110
	s_barrier
	buffer_gl0_inv
	v_mov_b32_e32 v104, 6
	ds_write_b64 v0, v[90:91]
	s_waitcnt lgkmcnt(0)
	s_barrier
	buffer_gl0_inv
	ds_read_b64 v[0:1], v110 offset:48
	s_cmp_lt_i32 s7, 8
	s_cbranch_scc1 .LBB96_100
; %bb.98:
	v_add3_u32 v105, v111, 0, 56
	v_mov_b32_e32 v104, 6
	s_mov_b32 s0, 7
.LBB96_99:                              ; =>This Inner Loop Header: Depth=1
	ds_read_b64 v[114:115], v105
	v_add_nc_u32_e32 v105, 8, v105
	s_waitcnt lgkmcnt(0)
	v_cmp_lt_f64_e64 vcc_lo, |v[0:1]|, |v[114:115]|
	v_cndmask_b32_e32 v1, v1, v115, vcc_lo
	v_cndmask_b32_e32 v0, v0, v114, vcc_lo
	v_cndmask_b32_e64 v104, v104, s0, vcc_lo
	s_add_i32 s0, s0, 1
	s_cmp_lg_u32 s7, s0
	s_cbranch_scc1 .LBB96_99
.LBB96_100:
	s_mov_b32 s0, exec_lo
	s_waitcnt lgkmcnt(0)
	v_cmpx_eq_f64_e32 0, v[0:1]
	s_xor_b32 s0, exec_lo, s0
; %bb.101:
	v_cmp_ne_u32_e32 vcc_lo, 0, v107
	v_cndmask_b32_e32 v107, 7, v107, vcc_lo
; %bb.102:
	s_andn2_saveexec_b32 s0, s0
	s_cbranch_execz .LBB96_104
; %bb.103:
	v_div_scale_f64 v[105:106], null, v[0:1], v[0:1], 1.0
	v_rcp_f64_e32 v[114:115], v[105:106]
	v_fma_f64 v[116:117], -v[105:106], v[114:115], 1.0
	v_fma_f64 v[114:115], v[114:115], v[116:117], v[114:115]
	v_fma_f64 v[116:117], -v[105:106], v[114:115], 1.0
	v_fma_f64 v[114:115], v[114:115], v[116:117], v[114:115]
	v_div_scale_f64 v[116:117], vcc_lo, 1.0, v[0:1], 1.0
	v_mul_f64 v[118:119], v[116:117], v[114:115]
	v_fma_f64 v[105:106], -v[105:106], v[118:119], v[116:117]
	v_div_fmas_f64 v[105:106], v[105:106], v[114:115], v[118:119]
	v_div_fixup_f64 v[0:1], v[105:106], v[0:1], 1.0
.LBB96_104:
	s_or_b32 exec_lo, exec_lo, s0
	s_mov_b32 s0, exec_lo
	v_cmpx_ne_u32_e64 v113, v104
	s_xor_b32 s0, exec_lo, s0
	s_cbranch_execz .LBB96_110
; %bb.105:
	s_mov_b32 s1, exec_lo
	v_cmpx_eq_u32_e32 6, v113
	s_cbranch_execz .LBB96_109
; %bb.106:
	v_cmp_ne_u32_e32 vcc_lo, 6, v104
	s_xor_b32 s2, s6, -1
	s_and_b32 s3, s2, vcc_lo
	s_and_saveexec_b32 s2, s3
	s_cbranch_execz .LBB96_108
; %bb.107:
	v_ashrrev_i32_e32 v105, 31, v104
	v_lshlrev_b64 v[105:106], 2, v[104:105]
	v_add_co_u32 v105, vcc_lo, v4, v105
	v_add_co_ci_u32_e64 v106, null, v5, v106, vcc_lo
	s_clause 0x1
	global_load_dword v112, v[105:106], off
	global_load_dword v113, v[4:5], off offset:24
	s_waitcnt vmcnt(1)
	global_store_dword v[4:5], v112, off offset:24
	s_waitcnt vmcnt(0)
	global_store_dword v[105:106], v113, off
.LBB96_108:
	s_or_b32 exec_lo, exec_lo, s2
	v_mov_b32_e32 v112, v104
	v_mov_b32_e32 v113, v104
.LBB96_109:
	s_or_b32 exec_lo, exec_lo, s1
.LBB96_110:
	s_andn2_saveexec_b32 s0, s0
	s_cbranch_execz .LBB96_112
; %bb.111:
	v_mov_b32_e32 v113, 6
	ds_write2_b64 v110, v[84:85], v[86:87] offset0:7 offset1:8
	ds_write2_b64 v110, v[82:83], v[80:81] offset0:9 offset1:10
	;; [unrolled: 1-line block ×21, first 2 shown]
.LBB96_112:
	s_or_b32 exec_lo, exec_lo, s0
	s_mov_b32 s0, exec_lo
	s_waitcnt lgkmcnt(0)
	s_waitcnt_vscnt null, 0x0
	s_barrier
	buffer_gl0_inv
	v_cmpx_lt_i32_e32 6, v113
	s_cbranch_execz .LBB96_114
; %bb.113:
	v_mul_f64 v[90:91], v[0:1], v[90:91]
	ds_read2_b64 v[114:117], v110 offset0:7 offset1:8
	ds_read2_b64 v[118:121], v110 offset0:9 offset1:10
	;; [unrolled: 1-line block ×11, first 2 shown]
	s_waitcnt lgkmcnt(10)
	v_fma_f64 v[84:85], -v[90:91], v[114:115], v[84:85]
	v_fma_f64 v[86:87], -v[90:91], v[116:117], v[86:87]
	s_waitcnt lgkmcnt(9)
	v_fma_f64 v[82:83], -v[90:91], v[118:119], v[82:83]
	v_fma_f64 v[80:81], -v[90:91], v[120:121], v[80:81]
	;; [unrolled: 3-line block ×6, first 2 shown]
	ds_read2_b64 v[114:117], v110 offset0:29 offset1:30
	ds_read2_b64 v[118:121], v110 offset0:31 offset1:32
	s_waitcnt lgkmcnt(6)
	v_fma_f64 v[62:63], -v[90:91], v[138:139], v[62:63]
	v_fma_f64 v[60:61], -v[90:91], v[140:141], v[60:61]
	ds_read2_b64 v[122:125], v110 offset0:33 offset1:34
	ds_read2_b64 v[126:129], v110 offset0:35 offset1:36
	s_waitcnt lgkmcnt(7)
	v_fma_f64 v[58:59], -v[90:91], v[142:143], v[58:59]
	v_fma_f64 v[56:57], -v[90:91], v[144:145], v[56:57]
	;; [unrolled: 5-line block ×5, first 2 shown]
	s_waitcnt lgkmcnt(9)
	v_fma_f64 v[42:43], -v[90:91], v[114:115], v[42:43]
	v_fma_f64 v[40:41], -v[90:91], v[116:117], v[40:41]
	s_waitcnt lgkmcnt(8)
	v_fma_f64 v[38:39], -v[90:91], v[118:119], v[38:39]
	v_fma_f64 v[36:37], -v[90:91], v[120:121], v[36:37]
	;; [unrolled: 3-line block ×10, first 2 shown]
.LBB96_114:
	s_or_b32 exec_lo, exec_lo, s0
	v_lshl_add_u32 v0, v113, 3, v110
	s_barrier
	buffer_gl0_inv
	v_mov_b32_e32 v104, 7
	ds_write_b64 v0, v[84:85]
	s_waitcnt lgkmcnt(0)
	s_barrier
	buffer_gl0_inv
	ds_read_b64 v[0:1], v110 offset:56
	s_cmp_lt_i32 s7, 9
	s_cbranch_scc1 .LBB96_117
; %bb.115:
	v_add3_u32 v105, v111, 0, 64
	v_mov_b32_e32 v104, 7
	s_mov_b32 s0, 8
.LBB96_116:                             ; =>This Inner Loop Header: Depth=1
	ds_read_b64 v[114:115], v105
	v_add_nc_u32_e32 v105, 8, v105
	s_waitcnt lgkmcnt(0)
	v_cmp_lt_f64_e64 vcc_lo, |v[0:1]|, |v[114:115]|
	v_cndmask_b32_e32 v1, v1, v115, vcc_lo
	v_cndmask_b32_e32 v0, v0, v114, vcc_lo
	v_cndmask_b32_e64 v104, v104, s0, vcc_lo
	s_add_i32 s0, s0, 1
	s_cmp_lg_u32 s7, s0
	s_cbranch_scc1 .LBB96_116
.LBB96_117:
	s_mov_b32 s0, exec_lo
	s_waitcnt lgkmcnt(0)
	v_cmpx_eq_f64_e32 0, v[0:1]
	s_xor_b32 s0, exec_lo, s0
; %bb.118:
	v_cmp_ne_u32_e32 vcc_lo, 0, v107
	v_cndmask_b32_e32 v107, 8, v107, vcc_lo
; %bb.119:
	s_andn2_saveexec_b32 s0, s0
	s_cbranch_execz .LBB96_121
; %bb.120:
	v_div_scale_f64 v[105:106], null, v[0:1], v[0:1], 1.0
	v_rcp_f64_e32 v[114:115], v[105:106]
	v_fma_f64 v[116:117], -v[105:106], v[114:115], 1.0
	v_fma_f64 v[114:115], v[114:115], v[116:117], v[114:115]
	v_fma_f64 v[116:117], -v[105:106], v[114:115], 1.0
	v_fma_f64 v[114:115], v[114:115], v[116:117], v[114:115]
	v_div_scale_f64 v[116:117], vcc_lo, 1.0, v[0:1], 1.0
	v_mul_f64 v[118:119], v[116:117], v[114:115]
	v_fma_f64 v[105:106], -v[105:106], v[118:119], v[116:117]
	v_div_fmas_f64 v[105:106], v[105:106], v[114:115], v[118:119]
	v_div_fixup_f64 v[0:1], v[105:106], v[0:1], 1.0
.LBB96_121:
	s_or_b32 exec_lo, exec_lo, s0
	s_mov_b32 s0, exec_lo
	v_cmpx_ne_u32_e64 v113, v104
	s_xor_b32 s0, exec_lo, s0
	s_cbranch_execz .LBB96_127
; %bb.122:
	s_mov_b32 s1, exec_lo
	v_cmpx_eq_u32_e32 7, v113
	s_cbranch_execz .LBB96_126
; %bb.123:
	v_cmp_ne_u32_e32 vcc_lo, 7, v104
	s_xor_b32 s2, s6, -1
	s_and_b32 s3, s2, vcc_lo
	s_and_saveexec_b32 s2, s3
	s_cbranch_execz .LBB96_125
; %bb.124:
	v_ashrrev_i32_e32 v105, 31, v104
	v_lshlrev_b64 v[105:106], 2, v[104:105]
	v_add_co_u32 v105, vcc_lo, v4, v105
	v_add_co_ci_u32_e64 v106, null, v5, v106, vcc_lo
	s_clause 0x1
	global_load_dword v112, v[105:106], off
	global_load_dword v113, v[4:5], off offset:28
	s_waitcnt vmcnt(1)
	global_store_dword v[4:5], v112, off offset:28
	s_waitcnt vmcnt(0)
	global_store_dword v[105:106], v113, off
.LBB96_125:
	s_or_b32 exec_lo, exec_lo, s2
	v_mov_b32_e32 v112, v104
	v_mov_b32_e32 v113, v104
.LBB96_126:
	s_or_b32 exec_lo, exec_lo, s1
.LBB96_127:
	s_andn2_saveexec_b32 s0, s0
	s_cbranch_execz .LBB96_129
; %bb.128:
	v_mov_b32_e32 v104, v86
	v_mov_b32_e32 v105, v87
	;; [unrolled: 1-line block ×8, first 2 shown]
	ds_write2_b64 v110, v[104:105], v[113:114] offset0:8 offset1:9
	v_mov_b32_e32 v104, v78
	v_mov_b32_e32 v105, v79
	v_mov_b32_e32 v113, v76
	v_mov_b32_e32 v114, v77
	v_mov_b32_e32 v119, v72
	v_mov_b32_e32 v120, v73
	v_mov_b32_e32 v121, v68
	v_mov_b32_e32 v122, v69
	v_mov_b32_e32 v123, v70
	v_mov_b32_e32 v124, v71
	v_mov_b32_e32 v125, v64
	v_mov_b32_e32 v126, v65
	v_mov_b32_e32 v127, v66
	v_mov_b32_e32 v128, v67
	v_mov_b32_e32 v129, v62
	v_mov_b32_e32 v130, v63
	ds_write2_b64 v110, v[115:116], v[104:105] offset0:10 offset1:11
	ds_write2_b64 v110, v[113:114], v[117:118] offset0:12 offset1:13
	ds_write2_b64 v110, v[119:120], v[121:122] offset0:14 offset1:15
	ds_write2_b64 v110, v[123:124], v[125:126] offset0:16 offset1:17
	ds_write2_b64 v110, v[127:128], v[129:130] offset0:18 offset1:19
	v_mov_b32_e32 v104, v60
	v_mov_b32_e32 v105, v61
	v_mov_b32_e32 v113, v58
	v_mov_b32_e32 v114, v59
	v_mov_b32_e32 v115, v56
	v_mov_b32_e32 v116, v57
	v_mov_b32_e32 v117, v54
	v_mov_b32_e32 v118, v55
	v_mov_b32_e32 v119, v52
	v_mov_b32_e32 v120, v53
	v_mov_b32_e32 v121, v48
	v_mov_b32_e32 v122, v49
	v_mov_b32_e32 v123, v50
	v_mov_b32_e32 v124, v51
	v_mov_b32_e32 v125, v44
	v_mov_b32_e32 v126, v45
	v_mov_b32_e32 v127, v46
	v_mov_b32_e32 v128, v47
	v_mov_b32_e32 v129, v42
	v_mov_b32_e32 v130, v43
	ds_write2_b64 v110, v[104:105], v[113:114] offset0:20 offset1:21
	ds_write2_b64 v110, v[115:116], v[117:118] offset0:22 offset1:23
	ds_write2_b64 v110, v[119:120], v[121:122] offset0:24 offset1:25
	ds_write2_b64 v110, v[123:124], v[125:126] offset0:26 offset1:27
	ds_write2_b64 v110, v[127:128], v[129:130] offset0:28 offset1:29
	v_mov_b32_e32 v104, v40
	v_mov_b32_e32 v105, v41
	v_mov_b32_e32 v113, v38
	v_mov_b32_e32 v114, v39
	;; [unrolled: 25-line block ×3, first 2 shown]
	v_mov_b32_e32 v115, v16
	v_mov_b32_e32 v116, v17
	;; [unrolled: 1-line block ×4, first 2 shown]
	ds_write2_b64 v110, v[104:105], v[113:114] offset0:40 offset1:41
	v_mov_b32_e32 v113, 7
	v_mov_b32_e32 v119, v12
	;; [unrolled: 1-line block ×9, first 2 shown]
	ds_write2_b64 v110, v[115:116], v[117:118] offset0:42 offset1:43
	ds_write2_b64 v110, v[119:120], v[121:122] offset0:44 offset1:45
	;; [unrolled: 1-line block ×3, first 2 shown]
	ds_write_b64 v110, v[102:103] offset:384
.LBB96_129:
	s_or_b32 exec_lo, exec_lo, s0
	s_mov_b32 s0, exec_lo
	s_waitcnt lgkmcnt(0)
	s_waitcnt_vscnt null, 0x0
	s_barrier
	buffer_gl0_inv
	v_cmpx_lt_i32_e32 7, v113
	s_cbranch_execz .LBB96_131
; %bb.130:
	v_mul_f64 v[84:85], v[0:1], v[84:85]
	ds_read2_b64 v[114:117], v110 offset0:8 offset1:9
	ds_read2_b64 v[118:121], v110 offset0:10 offset1:11
	;; [unrolled: 1-line block ×11, first 2 shown]
	ds_read_b64 v[0:1], v110 offset:384
	s_waitcnt lgkmcnt(11)
	v_fma_f64 v[86:87], -v[84:85], v[114:115], v[86:87]
	v_fma_f64 v[82:83], -v[84:85], v[116:117], v[82:83]
	s_waitcnt lgkmcnt(10)
	v_fma_f64 v[80:81], -v[84:85], v[118:119], v[80:81]
	v_fma_f64 v[78:79], -v[84:85], v[120:121], v[78:79]
	s_waitcnt lgkmcnt(9)
	v_fma_f64 v[76:77], -v[84:85], v[122:123], v[76:77]
	v_fma_f64 v[74:75], -v[84:85], v[124:125], v[74:75]
	s_waitcnt lgkmcnt(8)
	v_fma_f64 v[72:73], -v[84:85], v[126:127], v[72:73]
	v_fma_f64 v[68:69], -v[84:85], v[128:129], v[68:69]
	s_waitcnt lgkmcnt(7)
	v_fma_f64 v[70:71], -v[84:85], v[130:131], v[70:71]
	v_fma_f64 v[64:65], -v[84:85], v[132:133], v[64:65]
	s_waitcnt lgkmcnt(6)
	v_fma_f64 v[66:67], -v[84:85], v[134:135], v[66:67]
	v_fma_f64 v[62:63], -v[84:85], v[136:137], v[62:63]
	ds_read2_b64 v[114:117], v110 offset0:30 offset1:31
	ds_read2_b64 v[118:121], v110 offset0:32 offset1:33
	s_waitcnt lgkmcnt(7)
	v_fma_f64 v[60:61], -v[84:85], v[138:139], v[60:61]
	v_fma_f64 v[58:59], -v[84:85], v[140:141], v[58:59]
	ds_read2_b64 v[122:125], v110 offset0:34 offset1:35
	ds_read2_b64 v[126:129], v110 offset0:36 offset1:37
	s_waitcnt lgkmcnt(8)
	v_fma_f64 v[56:57], -v[84:85], v[142:143], v[56:57]
	v_fma_f64 v[54:55], -v[84:85], v[144:145], v[54:55]
	;; [unrolled: 5-line block ×3, first 2 shown]
	ds_read2_b64 v[138:141], v110 offset0:42 offset1:43
	ds_read2_b64 v[142:145], v110 offset0:44 offset1:45
	;; [unrolled: 1-line block ×3, first 2 shown]
	s_waitcnt lgkmcnt(11)
	v_fma_f64 v[50:51], -v[84:85], v[150:151], v[50:51]
	v_fma_f64 v[44:45], -v[84:85], v[152:153], v[44:45]
	s_waitcnt lgkmcnt(10)
	v_fma_f64 v[46:47], -v[84:85], v[154:155], v[46:47]
	v_fma_f64 v[42:43], -v[84:85], v[156:157], v[42:43]
	s_waitcnt lgkmcnt(9)
	v_fma_f64 v[102:103], -v[84:85], v[0:1], v[102:103]
	s_waitcnt lgkmcnt(8)
	v_fma_f64 v[40:41], -v[84:85], v[114:115], v[40:41]
	v_fma_f64 v[38:39], -v[84:85], v[116:117], v[38:39]
	s_waitcnt lgkmcnt(7)
	v_fma_f64 v[36:37], -v[84:85], v[118:119], v[36:37]
	;; [unrolled: 3-line block ×9, first 2 shown]
	v_fma_f64 v[6:7], -v[84:85], v[148:149], v[6:7]
.LBB96_131:
	s_or_b32 exec_lo, exec_lo, s0
	v_lshl_add_u32 v0, v113, 3, v110
	s_barrier
	buffer_gl0_inv
	v_mov_b32_e32 v104, 8
	ds_write_b64 v0, v[86:87]
	s_waitcnt lgkmcnt(0)
	s_barrier
	buffer_gl0_inv
	ds_read_b64 v[0:1], v110 offset:64
	s_cmp_lt_i32 s7, 10
	s_cbranch_scc1 .LBB96_134
; %bb.132:
	v_add3_u32 v105, v111, 0, 0x48
	v_mov_b32_e32 v104, 8
	s_mov_b32 s0, 9
.LBB96_133:                             ; =>This Inner Loop Header: Depth=1
	ds_read_b64 v[114:115], v105
	v_add_nc_u32_e32 v105, 8, v105
	s_waitcnt lgkmcnt(0)
	v_cmp_lt_f64_e64 vcc_lo, |v[0:1]|, |v[114:115]|
	v_cndmask_b32_e32 v1, v1, v115, vcc_lo
	v_cndmask_b32_e32 v0, v0, v114, vcc_lo
	v_cndmask_b32_e64 v104, v104, s0, vcc_lo
	s_add_i32 s0, s0, 1
	s_cmp_lg_u32 s7, s0
	s_cbranch_scc1 .LBB96_133
.LBB96_134:
	s_mov_b32 s0, exec_lo
	s_waitcnt lgkmcnt(0)
	v_cmpx_eq_f64_e32 0, v[0:1]
	s_xor_b32 s0, exec_lo, s0
; %bb.135:
	v_cmp_ne_u32_e32 vcc_lo, 0, v107
	v_cndmask_b32_e32 v107, 9, v107, vcc_lo
; %bb.136:
	s_andn2_saveexec_b32 s0, s0
	s_cbranch_execz .LBB96_138
; %bb.137:
	v_div_scale_f64 v[105:106], null, v[0:1], v[0:1], 1.0
	v_rcp_f64_e32 v[114:115], v[105:106]
	v_fma_f64 v[116:117], -v[105:106], v[114:115], 1.0
	v_fma_f64 v[114:115], v[114:115], v[116:117], v[114:115]
	v_fma_f64 v[116:117], -v[105:106], v[114:115], 1.0
	v_fma_f64 v[114:115], v[114:115], v[116:117], v[114:115]
	v_div_scale_f64 v[116:117], vcc_lo, 1.0, v[0:1], 1.0
	v_mul_f64 v[118:119], v[116:117], v[114:115]
	v_fma_f64 v[105:106], -v[105:106], v[118:119], v[116:117]
	v_div_fmas_f64 v[105:106], v[105:106], v[114:115], v[118:119]
	v_div_fixup_f64 v[0:1], v[105:106], v[0:1], 1.0
.LBB96_138:
	s_or_b32 exec_lo, exec_lo, s0
	s_mov_b32 s0, exec_lo
	v_cmpx_ne_u32_e64 v113, v104
	s_xor_b32 s0, exec_lo, s0
	s_cbranch_execz .LBB96_144
; %bb.139:
	s_mov_b32 s1, exec_lo
	v_cmpx_eq_u32_e32 8, v113
	s_cbranch_execz .LBB96_143
; %bb.140:
	v_cmp_ne_u32_e32 vcc_lo, 8, v104
	s_xor_b32 s2, s6, -1
	s_and_b32 s3, s2, vcc_lo
	s_and_saveexec_b32 s2, s3
	s_cbranch_execz .LBB96_142
; %bb.141:
	v_ashrrev_i32_e32 v105, 31, v104
	v_lshlrev_b64 v[105:106], 2, v[104:105]
	v_add_co_u32 v105, vcc_lo, v4, v105
	v_add_co_ci_u32_e64 v106, null, v5, v106, vcc_lo
	s_clause 0x1
	global_load_dword v112, v[105:106], off
	global_load_dword v113, v[4:5], off offset:32
	s_waitcnt vmcnt(1)
	global_store_dword v[4:5], v112, off offset:32
	s_waitcnt vmcnt(0)
	global_store_dword v[105:106], v113, off
.LBB96_142:
	s_or_b32 exec_lo, exec_lo, s2
	v_mov_b32_e32 v112, v104
	v_mov_b32_e32 v113, v104
.LBB96_143:
	s_or_b32 exec_lo, exec_lo, s1
.LBB96_144:
	s_andn2_saveexec_b32 s0, s0
	s_cbranch_execz .LBB96_146
; %bb.145:
	v_mov_b32_e32 v113, 8
	ds_write2_b64 v110, v[82:83], v[80:81] offset0:9 offset1:10
	ds_write2_b64 v110, v[78:79], v[76:77] offset0:11 offset1:12
	;; [unrolled: 1-line block ×20, first 2 shown]
.LBB96_146:
	s_or_b32 exec_lo, exec_lo, s0
	s_mov_b32 s0, exec_lo
	s_waitcnt lgkmcnt(0)
	s_waitcnt_vscnt null, 0x0
	s_barrier
	buffer_gl0_inv
	v_cmpx_lt_i32_e32 8, v113
	s_cbranch_execz .LBB96_148
; %bb.147:
	v_mul_f64 v[86:87], v[0:1], v[86:87]
	ds_read2_b64 v[114:117], v110 offset0:9 offset1:10
	ds_read2_b64 v[118:121], v110 offset0:11 offset1:12
	;; [unrolled: 1-line block ×11, first 2 shown]
	s_waitcnt lgkmcnt(10)
	v_fma_f64 v[82:83], -v[86:87], v[114:115], v[82:83]
	v_fma_f64 v[80:81], -v[86:87], v[116:117], v[80:81]
	s_waitcnt lgkmcnt(9)
	v_fma_f64 v[78:79], -v[86:87], v[118:119], v[78:79]
	v_fma_f64 v[76:77], -v[86:87], v[120:121], v[76:77]
	s_waitcnt lgkmcnt(8)
	v_fma_f64 v[74:75], -v[86:87], v[122:123], v[74:75]
	v_fma_f64 v[72:73], -v[86:87], v[124:125], v[72:73]
	s_waitcnt lgkmcnt(7)
	v_fma_f64 v[68:69], -v[86:87], v[126:127], v[68:69]
	v_fma_f64 v[70:71], -v[86:87], v[128:129], v[70:71]
	s_waitcnt lgkmcnt(6)
	v_fma_f64 v[64:65], -v[86:87], v[130:131], v[64:65]
	v_fma_f64 v[66:67], -v[86:87], v[132:133], v[66:67]
	s_waitcnt lgkmcnt(5)
	v_fma_f64 v[62:63], -v[86:87], v[134:135], v[62:63]
	ds_read2_b64 v[114:117], v110 offset0:31 offset1:32
	ds_read2_b64 v[118:121], v110 offset0:33 offset1:34
	v_fma_f64 v[60:61], -v[86:87], v[136:137], v[60:61]
	s_waitcnt lgkmcnt(6)
	v_fma_f64 v[58:59], -v[86:87], v[138:139], v[58:59]
	ds_read2_b64 v[122:125], v110 offset0:35 offset1:36
	ds_read2_b64 v[126:129], v110 offset0:37 offset1:38
	v_fma_f64 v[56:57], -v[86:87], v[140:141], v[56:57]
	;; [unrolled: 5-line block ×4, first 2 shown]
	ds_read2_b64 v[146:149], v110 offset0:47 offset1:48
	s_waitcnt lgkmcnt(10)
	v_fma_f64 v[44:45], -v[86:87], v[150:151], v[44:45]
	v_fma_f64 v[46:47], -v[86:87], v[152:153], v[46:47]
	s_waitcnt lgkmcnt(9)
	v_fma_f64 v[42:43], -v[86:87], v[154:155], v[42:43]
	v_fma_f64 v[40:41], -v[86:87], v[156:157], v[40:41]
	;; [unrolled: 3-line block ×11, first 2 shown]
.LBB96_148:
	s_or_b32 exec_lo, exec_lo, s0
	v_lshl_add_u32 v0, v113, 3, v110
	s_barrier
	buffer_gl0_inv
	v_mov_b32_e32 v104, 9
	ds_write_b64 v0, v[82:83]
	s_waitcnt lgkmcnt(0)
	s_barrier
	buffer_gl0_inv
	ds_read_b64 v[0:1], v110 offset:72
	s_cmp_lt_i32 s7, 11
	s_cbranch_scc1 .LBB96_151
; %bb.149:
	v_add3_u32 v105, v111, 0, 0x50
	v_mov_b32_e32 v104, 9
	s_mov_b32 s0, 10
.LBB96_150:                             ; =>This Inner Loop Header: Depth=1
	ds_read_b64 v[114:115], v105
	v_add_nc_u32_e32 v105, 8, v105
	s_waitcnt lgkmcnt(0)
	v_cmp_lt_f64_e64 vcc_lo, |v[0:1]|, |v[114:115]|
	v_cndmask_b32_e32 v1, v1, v115, vcc_lo
	v_cndmask_b32_e32 v0, v0, v114, vcc_lo
	v_cndmask_b32_e64 v104, v104, s0, vcc_lo
	s_add_i32 s0, s0, 1
	s_cmp_lg_u32 s7, s0
	s_cbranch_scc1 .LBB96_150
.LBB96_151:
	s_mov_b32 s0, exec_lo
	s_waitcnt lgkmcnt(0)
	v_cmpx_eq_f64_e32 0, v[0:1]
	s_xor_b32 s0, exec_lo, s0
; %bb.152:
	v_cmp_ne_u32_e32 vcc_lo, 0, v107
	v_cndmask_b32_e32 v107, 10, v107, vcc_lo
; %bb.153:
	s_andn2_saveexec_b32 s0, s0
	s_cbranch_execz .LBB96_155
; %bb.154:
	v_div_scale_f64 v[105:106], null, v[0:1], v[0:1], 1.0
	v_rcp_f64_e32 v[114:115], v[105:106]
	v_fma_f64 v[116:117], -v[105:106], v[114:115], 1.0
	v_fma_f64 v[114:115], v[114:115], v[116:117], v[114:115]
	v_fma_f64 v[116:117], -v[105:106], v[114:115], 1.0
	v_fma_f64 v[114:115], v[114:115], v[116:117], v[114:115]
	v_div_scale_f64 v[116:117], vcc_lo, 1.0, v[0:1], 1.0
	v_mul_f64 v[118:119], v[116:117], v[114:115]
	v_fma_f64 v[105:106], -v[105:106], v[118:119], v[116:117]
	v_div_fmas_f64 v[105:106], v[105:106], v[114:115], v[118:119]
	v_div_fixup_f64 v[0:1], v[105:106], v[0:1], 1.0
.LBB96_155:
	s_or_b32 exec_lo, exec_lo, s0
	s_mov_b32 s0, exec_lo
	v_cmpx_ne_u32_e64 v113, v104
	s_xor_b32 s0, exec_lo, s0
	s_cbranch_execz .LBB96_161
; %bb.156:
	s_mov_b32 s1, exec_lo
	v_cmpx_eq_u32_e32 9, v113
	s_cbranch_execz .LBB96_160
; %bb.157:
	v_cmp_ne_u32_e32 vcc_lo, 9, v104
	s_xor_b32 s2, s6, -1
	s_and_b32 s3, s2, vcc_lo
	s_and_saveexec_b32 s2, s3
	s_cbranch_execz .LBB96_159
; %bb.158:
	v_ashrrev_i32_e32 v105, 31, v104
	v_lshlrev_b64 v[105:106], 2, v[104:105]
	v_add_co_u32 v105, vcc_lo, v4, v105
	v_add_co_ci_u32_e64 v106, null, v5, v106, vcc_lo
	s_clause 0x1
	global_load_dword v112, v[105:106], off
	global_load_dword v113, v[4:5], off offset:36
	s_waitcnt vmcnt(1)
	global_store_dword v[4:5], v112, off offset:36
	s_waitcnt vmcnt(0)
	global_store_dword v[105:106], v113, off
.LBB96_159:
	s_or_b32 exec_lo, exec_lo, s2
	v_mov_b32_e32 v112, v104
	v_mov_b32_e32 v113, v104
.LBB96_160:
	s_or_b32 exec_lo, exec_lo, s1
.LBB96_161:
	s_andn2_saveexec_b32 s0, s0
	s_cbranch_execz .LBB96_163
; %bb.162:
	v_mov_b32_e32 v104, v80
	v_mov_b32_e32 v105, v81
	v_mov_b32_e32 v113, v78
	v_mov_b32_e32 v114, v79
	v_mov_b32_e32 v115, v76
	v_mov_b32_e32 v116, v77
	v_mov_b32_e32 v117, v74
	v_mov_b32_e32 v118, v75
	v_mov_b32_e32 v119, v72
	v_mov_b32_e32 v120, v73
	v_mov_b32_e32 v121, v68
	v_mov_b32_e32 v122, v69
	v_mov_b32_e32 v123, v70
	v_mov_b32_e32 v124, v71
	v_mov_b32_e32 v125, v64
	v_mov_b32_e32 v126, v65
	v_mov_b32_e32 v127, v66
	v_mov_b32_e32 v128, v67
	v_mov_b32_e32 v129, v62
	v_mov_b32_e32 v130, v63
	ds_write2_b64 v110, v[104:105], v[113:114] offset0:10 offset1:11
	ds_write2_b64 v110, v[115:116], v[117:118] offset0:12 offset1:13
	ds_write2_b64 v110, v[119:120], v[121:122] offset0:14 offset1:15
	ds_write2_b64 v110, v[123:124], v[125:126] offset0:16 offset1:17
	ds_write2_b64 v110, v[127:128], v[129:130] offset0:18 offset1:19
	v_mov_b32_e32 v104, v60
	v_mov_b32_e32 v105, v61
	v_mov_b32_e32 v113, v58
	v_mov_b32_e32 v114, v59
	v_mov_b32_e32 v115, v56
	v_mov_b32_e32 v116, v57
	v_mov_b32_e32 v117, v54
	v_mov_b32_e32 v118, v55
	v_mov_b32_e32 v119, v52
	v_mov_b32_e32 v120, v53
	v_mov_b32_e32 v121, v48
	v_mov_b32_e32 v122, v49
	v_mov_b32_e32 v123, v50
	v_mov_b32_e32 v124, v51
	v_mov_b32_e32 v125, v44
	v_mov_b32_e32 v126, v45
	v_mov_b32_e32 v127, v46
	v_mov_b32_e32 v128, v47
	v_mov_b32_e32 v129, v42
	v_mov_b32_e32 v130, v43
	ds_write2_b64 v110, v[104:105], v[113:114] offset0:20 offset1:21
	ds_write2_b64 v110, v[115:116], v[117:118] offset0:22 offset1:23
	ds_write2_b64 v110, v[119:120], v[121:122] offset0:24 offset1:25
	ds_write2_b64 v110, v[123:124], v[125:126] offset0:26 offset1:27
	ds_write2_b64 v110, v[127:128], v[129:130] offset0:28 offset1:29
	;; [unrolled: 25-line block ×3, first 2 shown]
	v_mov_b32_e32 v104, v20
	v_mov_b32_e32 v105, v21
	;; [unrolled: 1-line block ×8, first 2 shown]
	ds_write2_b64 v110, v[104:105], v[113:114] offset0:40 offset1:41
	v_mov_b32_e32 v113, 9
	v_mov_b32_e32 v119, v12
	;; [unrolled: 1-line block ×9, first 2 shown]
	ds_write2_b64 v110, v[115:116], v[117:118] offset0:42 offset1:43
	ds_write2_b64 v110, v[119:120], v[121:122] offset0:44 offset1:45
	;; [unrolled: 1-line block ×3, first 2 shown]
	ds_write_b64 v110, v[102:103] offset:384
.LBB96_163:
	s_or_b32 exec_lo, exec_lo, s0
	s_mov_b32 s0, exec_lo
	s_waitcnt lgkmcnt(0)
	s_waitcnt_vscnt null, 0x0
	s_barrier
	buffer_gl0_inv
	v_cmpx_lt_i32_e32 9, v113
	s_cbranch_execz .LBB96_165
; %bb.164:
	v_mul_f64 v[82:83], v[0:1], v[82:83]
	ds_read2_b64 v[114:117], v110 offset0:10 offset1:11
	ds_read2_b64 v[118:121], v110 offset0:12 offset1:13
	;; [unrolled: 1-line block ×11, first 2 shown]
	ds_read_b64 v[0:1], v110 offset:384
	s_waitcnt lgkmcnt(11)
	v_fma_f64 v[80:81], -v[82:83], v[114:115], v[80:81]
	v_fma_f64 v[78:79], -v[82:83], v[116:117], v[78:79]
	s_waitcnt lgkmcnt(10)
	v_fma_f64 v[76:77], -v[82:83], v[118:119], v[76:77]
	v_fma_f64 v[74:75], -v[82:83], v[120:121], v[74:75]
	;; [unrolled: 3-line block ×5, first 2 shown]
	s_waitcnt lgkmcnt(6)
	v_fma_f64 v[60:61], -v[82:83], v[134:135], v[60:61]
	ds_read2_b64 v[114:117], v110 offset0:32 offset1:33
	ds_read2_b64 v[118:121], v110 offset0:34 offset1:35
	v_fma_f64 v[58:59], -v[82:83], v[136:137], v[58:59]
	s_waitcnt lgkmcnt(7)
	v_fma_f64 v[56:57], -v[82:83], v[138:139], v[56:57]
	ds_read2_b64 v[122:125], v110 offset0:36 offset1:37
	ds_read2_b64 v[126:129], v110 offset0:38 offset1:39
	v_fma_f64 v[54:55], -v[82:83], v[140:141], v[54:55]
	;; [unrolled: 5-line block ×3, first 2 shown]
	ds_read2_b64 v[138:141], v110 offset0:44 offset1:45
	ds_read2_b64 v[142:145], v110 offset0:46 offset1:47
	s_waitcnt lgkmcnt(11)
	v_fma_f64 v[50:51], -v[82:83], v[146:147], v[50:51]
	v_fma_f64 v[44:45], -v[82:83], v[148:149], v[44:45]
	s_waitcnt lgkmcnt(10)
	v_fma_f64 v[46:47], -v[82:83], v[150:151], v[46:47]
	v_fma_f64 v[42:43], -v[82:83], v[152:153], v[42:43]
	;; [unrolled: 3-line block ×3, first 2 shown]
	s_waitcnt lgkmcnt(8)
	v_fma_f64 v[102:103], -v[82:83], v[0:1], v[102:103]
	s_waitcnt lgkmcnt(7)
	v_fma_f64 v[36:37], -v[82:83], v[114:115], v[36:37]
	v_fma_f64 v[34:35], -v[82:83], v[116:117], v[34:35]
	s_waitcnt lgkmcnt(6)
	v_fma_f64 v[32:33], -v[82:83], v[118:119], v[32:33]
	;; [unrolled: 3-line block ×8, first 2 shown]
	v_fma_f64 v[6:7], -v[82:83], v[144:145], v[6:7]
.LBB96_165:
	s_or_b32 exec_lo, exec_lo, s0
	v_lshl_add_u32 v0, v113, 3, v110
	s_barrier
	buffer_gl0_inv
	v_mov_b32_e32 v104, 10
	ds_write_b64 v0, v[80:81]
	s_waitcnt lgkmcnt(0)
	s_barrier
	buffer_gl0_inv
	ds_read_b64 v[0:1], v110 offset:80
	s_cmp_lt_i32 s7, 12
	s_cbranch_scc1 .LBB96_168
; %bb.166:
	v_add3_u32 v105, v111, 0, 0x58
	v_mov_b32_e32 v104, 10
	s_mov_b32 s0, 11
.LBB96_167:                             ; =>This Inner Loop Header: Depth=1
	ds_read_b64 v[114:115], v105
	v_add_nc_u32_e32 v105, 8, v105
	s_waitcnt lgkmcnt(0)
	v_cmp_lt_f64_e64 vcc_lo, |v[0:1]|, |v[114:115]|
	v_cndmask_b32_e32 v1, v1, v115, vcc_lo
	v_cndmask_b32_e32 v0, v0, v114, vcc_lo
	v_cndmask_b32_e64 v104, v104, s0, vcc_lo
	s_add_i32 s0, s0, 1
	s_cmp_lg_u32 s7, s0
	s_cbranch_scc1 .LBB96_167
.LBB96_168:
	s_mov_b32 s0, exec_lo
	s_waitcnt lgkmcnt(0)
	v_cmpx_eq_f64_e32 0, v[0:1]
	s_xor_b32 s0, exec_lo, s0
; %bb.169:
	v_cmp_ne_u32_e32 vcc_lo, 0, v107
	v_cndmask_b32_e32 v107, 11, v107, vcc_lo
; %bb.170:
	s_andn2_saveexec_b32 s0, s0
	s_cbranch_execz .LBB96_172
; %bb.171:
	v_div_scale_f64 v[105:106], null, v[0:1], v[0:1], 1.0
	v_rcp_f64_e32 v[114:115], v[105:106]
	v_fma_f64 v[116:117], -v[105:106], v[114:115], 1.0
	v_fma_f64 v[114:115], v[114:115], v[116:117], v[114:115]
	v_fma_f64 v[116:117], -v[105:106], v[114:115], 1.0
	v_fma_f64 v[114:115], v[114:115], v[116:117], v[114:115]
	v_div_scale_f64 v[116:117], vcc_lo, 1.0, v[0:1], 1.0
	v_mul_f64 v[118:119], v[116:117], v[114:115]
	v_fma_f64 v[105:106], -v[105:106], v[118:119], v[116:117]
	v_div_fmas_f64 v[105:106], v[105:106], v[114:115], v[118:119]
	v_div_fixup_f64 v[0:1], v[105:106], v[0:1], 1.0
.LBB96_172:
	s_or_b32 exec_lo, exec_lo, s0
	s_mov_b32 s0, exec_lo
	v_cmpx_ne_u32_e64 v113, v104
	s_xor_b32 s0, exec_lo, s0
	s_cbranch_execz .LBB96_178
; %bb.173:
	s_mov_b32 s1, exec_lo
	v_cmpx_eq_u32_e32 10, v113
	s_cbranch_execz .LBB96_177
; %bb.174:
	v_cmp_ne_u32_e32 vcc_lo, 10, v104
	s_xor_b32 s2, s6, -1
	s_and_b32 s3, s2, vcc_lo
	s_and_saveexec_b32 s2, s3
	s_cbranch_execz .LBB96_176
; %bb.175:
	v_ashrrev_i32_e32 v105, 31, v104
	v_lshlrev_b64 v[105:106], 2, v[104:105]
	v_add_co_u32 v105, vcc_lo, v4, v105
	v_add_co_ci_u32_e64 v106, null, v5, v106, vcc_lo
	s_clause 0x1
	global_load_dword v112, v[105:106], off
	global_load_dword v113, v[4:5], off offset:40
	s_waitcnt vmcnt(1)
	global_store_dword v[4:5], v112, off offset:40
	s_waitcnt vmcnt(0)
	global_store_dword v[105:106], v113, off
.LBB96_176:
	s_or_b32 exec_lo, exec_lo, s2
	v_mov_b32_e32 v112, v104
	v_mov_b32_e32 v113, v104
.LBB96_177:
	s_or_b32 exec_lo, exec_lo, s1
.LBB96_178:
	s_andn2_saveexec_b32 s0, s0
	s_cbranch_execz .LBB96_180
; %bb.179:
	v_mov_b32_e32 v113, 10
	ds_write2_b64 v110, v[78:79], v[76:77] offset0:11 offset1:12
	ds_write2_b64 v110, v[74:75], v[72:73] offset0:13 offset1:14
	;; [unrolled: 1-line block ×19, first 2 shown]
.LBB96_180:
	s_or_b32 exec_lo, exec_lo, s0
	s_mov_b32 s0, exec_lo
	s_waitcnt lgkmcnt(0)
	s_waitcnt_vscnt null, 0x0
	s_barrier
	buffer_gl0_inv
	v_cmpx_lt_i32_e32 10, v113
	s_cbranch_execz .LBB96_182
; %bb.181:
	v_mul_f64 v[80:81], v[0:1], v[80:81]
	ds_read2_b64 v[114:117], v110 offset0:11 offset1:12
	ds_read2_b64 v[118:121], v110 offset0:13 offset1:14
	ds_read2_b64 v[122:125], v110 offset0:15 offset1:16
	ds_read2_b64 v[126:129], v110 offset0:17 offset1:18
	ds_read2_b64 v[130:133], v110 offset0:19 offset1:20
	ds_read2_b64 v[134:137], v110 offset0:21 offset1:22
	ds_read2_b64 v[138:141], v110 offset0:23 offset1:24
	ds_read2_b64 v[142:145], v110 offset0:25 offset1:26
	ds_read2_b64 v[146:149], v110 offset0:27 offset1:28
	ds_read2_b64 v[150:153], v110 offset0:29 offset1:30
	ds_read2_b64 v[154:157], v110 offset0:31 offset1:32
	ds_read2_b64 v[158:161], v110 offset0:33 offset1:34
	s_waitcnt lgkmcnt(11)
	v_fma_f64 v[78:79], -v[80:81], v[114:115], v[78:79]
	v_fma_f64 v[76:77], -v[80:81], v[116:117], v[76:77]
	s_waitcnt lgkmcnt(10)
	v_fma_f64 v[74:75], -v[80:81], v[118:119], v[74:75]
	v_fma_f64 v[72:73], -v[80:81], v[120:121], v[72:73]
	;; [unrolled: 3-line block ×5, first 2 shown]
	s_waitcnt lgkmcnt(6)
	v_fma_f64 v[58:59], -v[80:81], v[134:135], v[58:59]
	ds_read2_b64 v[114:117], v110 offset0:35 offset1:36
	ds_read2_b64 v[118:121], v110 offset0:37 offset1:38
	v_fma_f64 v[56:57], -v[80:81], v[136:137], v[56:57]
	s_waitcnt lgkmcnt(7)
	v_fma_f64 v[54:55], -v[80:81], v[138:139], v[54:55]
	ds_read2_b64 v[122:125], v110 offset0:39 offset1:40
	ds_read2_b64 v[126:129], v110 offset0:41 offset1:42
	v_fma_f64 v[52:53], -v[80:81], v[140:141], v[52:53]
	ds_read2_b64 v[130:133], v110 offset0:43 offset1:44
	ds_read2_b64 v[134:137], v110 offset0:45 offset1:46
	;; [unrolled: 1-line block ×3, first 2 shown]
	s_waitcnt lgkmcnt(11)
	v_fma_f64 v[48:49], -v[80:81], v[142:143], v[48:49]
	v_fma_f64 v[50:51], -v[80:81], v[144:145], v[50:51]
	s_waitcnt lgkmcnt(10)
	v_fma_f64 v[44:45], -v[80:81], v[146:147], v[44:45]
	v_fma_f64 v[46:47], -v[80:81], v[148:149], v[46:47]
	;; [unrolled: 3-line block ×12, first 2 shown]
.LBB96_182:
	s_or_b32 exec_lo, exec_lo, s0
	v_lshl_add_u32 v0, v113, 3, v110
	s_barrier
	buffer_gl0_inv
	v_mov_b32_e32 v104, 11
	ds_write_b64 v0, v[78:79]
	s_waitcnt lgkmcnt(0)
	s_barrier
	buffer_gl0_inv
	ds_read_b64 v[0:1], v110 offset:88
	s_cmp_lt_i32 s7, 13
	s_cbranch_scc1 .LBB96_185
; %bb.183:
	v_add3_u32 v105, v111, 0, 0x60
	v_mov_b32_e32 v104, 11
	s_mov_b32 s0, 12
.LBB96_184:                             ; =>This Inner Loop Header: Depth=1
	ds_read_b64 v[114:115], v105
	v_add_nc_u32_e32 v105, 8, v105
	s_waitcnt lgkmcnt(0)
	v_cmp_lt_f64_e64 vcc_lo, |v[0:1]|, |v[114:115]|
	v_cndmask_b32_e32 v1, v1, v115, vcc_lo
	v_cndmask_b32_e32 v0, v0, v114, vcc_lo
	v_cndmask_b32_e64 v104, v104, s0, vcc_lo
	s_add_i32 s0, s0, 1
	s_cmp_lg_u32 s7, s0
	s_cbranch_scc1 .LBB96_184
.LBB96_185:
	s_mov_b32 s0, exec_lo
	s_waitcnt lgkmcnt(0)
	v_cmpx_eq_f64_e32 0, v[0:1]
	s_xor_b32 s0, exec_lo, s0
; %bb.186:
	v_cmp_ne_u32_e32 vcc_lo, 0, v107
	v_cndmask_b32_e32 v107, 12, v107, vcc_lo
; %bb.187:
	s_andn2_saveexec_b32 s0, s0
	s_cbranch_execz .LBB96_189
; %bb.188:
	v_div_scale_f64 v[105:106], null, v[0:1], v[0:1], 1.0
	v_rcp_f64_e32 v[114:115], v[105:106]
	v_fma_f64 v[116:117], -v[105:106], v[114:115], 1.0
	v_fma_f64 v[114:115], v[114:115], v[116:117], v[114:115]
	v_fma_f64 v[116:117], -v[105:106], v[114:115], 1.0
	v_fma_f64 v[114:115], v[114:115], v[116:117], v[114:115]
	v_div_scale_f64 v[116:117], vcc_lo, 1.0, v[0:1], 1.0
	v_mul_f64 v[118:119], v[116:117], v[114:115]
	v_fma_f64 v[105:106], -v[105:106], v[118:119], v[116:117]
	v_div_fmas_f64 v[105:106], v[105:106], v[114:115], v[118:119]
	v_div_fixup_f64 v[0:1], v[105:106], v[0:1], 1.0
.LBB96_189:
	s_or_b32 exec_lo, exec_lo, s0
	s_mov_b32 s0, exec_lo
	v_cmpx_ne_u32_e64 v113, v104
	s_xor_b32 s0, exec_lo, s0
	s_cbranch_execz .LBB96_195
; %bb.190:
	s_mov_b32 s1, exec_lo
	v_cmpx_eq_u32_e32 11, v113
	s_cbranch_execz .LBB96_194
; %bb.191:
	v_cmp_ne_u32_e32 vcc_lo, 11, v104
	s_xor_b32 s2, s6, -1
	s_and_b32 s3, s2, vcc_lo
	s_and_saveexec_b32 s2, s3
	s_cbranch_execz .LBB96_193
; %bb.192:
	v_ashrrev_i32_e32 v105, 31, v104
	v_lshlrev_b64 v[105:106], 2, v[104:105]
	v_add_co_u32 v105, vcc_lo, v4, v105
	v_add_co_ci_u32_e64 v106, null, v5, v106, vcc_lo
	s_clause 0x1
	global_load_dword v112, v[105:106], off
	global_load_dword v113, v[4:5], off offset:44
	s_waitcnt vmcnt(1)
	global_store_dword v[4:5], v112, off offset:44
	s_waitcnt vmcnt(0)
	global_store_dword v[105:106], v113, off
.LBB96_193:
	s_or_b32 exec_lo, exec_lo, s2
	v_mov_b32_e32 v112, v104
	v_mov_b32_e32 v113, v104
.LBB96_194:
	s_or_b32 exec_lo, exec_lo, s1
.LBB96_195:
	s_andn2_saveexec_b32 s0, s0
	s_cbranch_execz .LBB96_197
; %bb.196:
	v_mov_b32_e32 v104, v76
	v_mov_b32_e32 v105, v77
	v_mov_b32_e32 v113, v74
	v_mov_b32_e32 v114, v75
	v_mov_b32_e32 v115, v72
	v_mov_b32_e32 v116, v73
	v_mov_b32_e32 v117, v68
	v_mov_b32_e32 v118, v69
	v_mov_b32_e32 v119, v70
	v_mov_b32_e32 v120, v71
	v_mov_b32_e32 v121, v64
	v_mov_b32_e32 v122, v65
	v_mov_b32_e32 v123, v66
	v_mov_b32_e32 v124, v67
	v_mov_b32_e32 v125, v62
	v_mov_b32_e32 v126, v63
	ds_write2_b64 v110, v[104:105], v[113:114] offset0:12 offset1:13
	ds_write2_b64 v110, v[115:116], v[117:118] offset0:14 offset1:15
	;; [unrolled: 1-line block ×4, first 2 shown]
	v_mov_b32_e32 v104, v60
	v_mov_b32_e32 v105, v61
	;; [unrolled: 1-line block ×20, first 2 shown]
	ds_write2_b64 v110, v[104:105], v[113:114] offset0:20 offset1:21
	ds_write2_b64 v110, v[115:116], v[117:118] offset0:22 offset1:23
	;; [unrolled: 1-line block ×5, first 2 shown]
	v_mov_b32_e32 v104, v40
	v_mov_b32_e32 v105, v41
	;; [unrolled: 1-line block ×20, first 2 shown]
	ds_write2_b64 v110, v[104:105], v[113:114] offset0:30 offset1:31
	ds_write2_b64 v110, v[115:116], v[117:118] offset0:32 offset1:33
	;; [unrolled: 1-line block ×5, first 2 shown]
	v_mov_b32_e32 v104, v20
	v_mov_b32_e32 v105, v21
	v_mov_b32_e32 v113, v18
	v_mov_b32_e32 v114, v19
	v_mov_b32_e32 v115, v16
	v_mov_b32_e32 v116, v17
	v_mov_b32_e32 v117, v14
	v_mov_b32_e32 v118, v15
	ds_write2_b64 v110, v[104:105], v[113:114] offset0:40 offset1:41
	v_mov_b32_e32 v113, 11
	v_mov_b32_e32 v119, v12
	;; [unrolled: 1-line block ×9, first 2 shown]
	ds_write2_b64 v110, v[115:116], v[117:118] offset0:42 offset1:43
	ds_write2_b64 v110, v[119:120], v[121:122] offset0:44 offset1:45
	ds_write2_b64 v110, v[123:124], v[125:126] offset0:46 offset1:47
	ds_write_b64 v110, v[102:103] offset:384
.LBB96_197:
	s_or_b32 exec_lo, exec_lo, s0
	s_mov_b32 s0, exec_lo
	s_waitcnt lgkmcnt(0)
	s_waitcnt_vscnt null, 0x0
	s_barrier
	buffer_gl0_inv
	v_cmpx_lt_i32_e32 11, v113
	s_cbranch_execz .LBB96_199
; %bb.198:
	v_mul_f64 v[78:79], v[0:1], v[78:79]
	ds_read2_b64 v[114:117], v110 offset0:12 offset1:13
	ds_read2_b64 v[118:121], v110 offset0:14 offset1:15
	;; [unrolled: 1-line block ×12, first 2 shown]
	ds_read_b64 v[0:1], v110 offset:384
	s_waitcnt lgkmcnt(12)
	v_fma_f64 v[76:77], -v[78:79], v[114:115], v[76:77]
	v_fma_f64 v[74:75], -v[78:79], v[116:117], v[74:75]
	s_waitcnt lgkmcnt(11)
	v_fma_f64 v[72:73], -v[78:79], v[118:119], v[72:73]
	v_fma_f64 v[68:69], -v[78:79], v[120:121], v[68:69]
	;; [unrolled: 3-line block ×5, first 2 shown]
	s_waitcnt lgkmcnt(7)
	v_fma_f64 v[56:57], -v[78:79], v[134:135], v[56:57]
	ds_read2_b64 v[114:117], v110 offset0:36 offset1:37
	ds_read2_b64 v[118:121], v110 offset0:38 offset1:39
	v_fma_f64 v[54:55], -v[78:79], v[136:137], v[54:55]
	ds_read2_b64 v[122:125], v110 offset0:40 offset1:41
	ds_read2_b64 v[126:129], v110 offset0:42 offset1:43
	;; [unrolled: 1-line block ×4, first 2 shown]
	s_waitcnt lgkmcnt(12)
	v_fma_f64 v[52:53], -v[78:79], v[138:139], v[52:53]
	v_fma_f64 v[48:49], -v[78:79], v[140:141], v[48:49]
	s_waitcnt lgkmcnt(11)
	v_fma_f64 v[50:51], -v[78:79], v[142:143], v[50:51]
	v_fma_f64 v[44:45], -v[78:79], v[144:145], v[44:45]
	;; [unrolled: 3-line block ×6, first 2 shown]
	s_waitcnt lgkmcnt(6)
	v_fma_f64 v[102:103], -v[78:79], v[0:1], v[102:103]
	s_waitcnt lgkmcnt(5)
	v_fma_f64 v[30:31], -v[78:79], v[114:115], v[30:31]
	v_fma_f64 v[24:25], -v[78:79], v[116:117], v[24:25]
	s_waitcnt lgkmcnt(4)
	v_fma_f64 v[26:27], -v[78:79], v[118:119], v[26:27]
	v_fma_f64 v[22:23], -v[78:79], v[120:121], v[22:23]
	s_waitcnt lgkmcnt(3)
	v_fma_f64 v[20:21], -v[78:79], v[122:123], v[20:21]
	v_fma_f64 v[18:19], -v[78:79], v[124:125], v[18:19]
	s_waitcnt lgkmcnt(2)
	v_fma_f64 v[16:17], -v[78:79], v[126:127], v[16:17]
	v_fma_f64 v[14:15], -v[78:79], v[128:129], v[14:15]
	s_waitcnt lgkmcnt(1)
	v_fma_f64 v[12:13], -v[78:79], v[130:131], v[12:13]
	v_fma_f64 v[8:9], -v[78:79], v[132:133], v[8:9]
	s_waitcnt lgkmcnt(0)
	v_fma_f64 v[10:11], -v[78:79], v[134:135], v[10:11]
	v_fma_f64 v[6:7], -v[78:79], v[136:137], v[6:7]
.LBB96_199:
	s_or_b32 exec_lo, exec_lo, s0
	v_lshl_add_u32 v0, v113, 3, v110
	s_barrier
	buffer_gl0_inv
	v_mov_b32_e32 v104, 12
	ds_write_b64 v0, v[76:77]
	s_waitcnt lgkmcnt(0)
	s_barrier
	buffer_gl0_inv
	ds_read_b64 v[0:1], v110 offset:96
	s_cmp_lt_i32 s7, 14
	s_cbranch_scc1 .LBB96_202
; %bb.200:
	v_add3_u32 v105, v111, 0, 0x68
	v_mov_b32_e32 v104, 12
	s_mov_b32 s0, 13
.LBB96_201:                             ; =>This Inner Loop Header: Depth=1
	ds_read_b64 v[114:115], v105
	v_add_nc_u32_e32 v105, 8, v105
	s_waitcnt lgkmcnt(0)
	v_cmp_lt_f64_e64 vcc_lo, |v[0:1]|, |v[114:115]|
	v_cndmask_b32_e32 v1, v1, v115, vcc_lo
	v_cndmask_b32_e32 v0, v0, v114, vcc_lo
	v_cndmask_b32_e64 v104, v104, s0, vcc_lo
	s_add_i32 s0, s0, 1
	s_cmp_lg_u32 s7, s0
	s_cbranch_scc1 .LBB96_201
.LBB96_202:
	s_mov_b32 s0, exec_lo
	s_waitcnt lgkmcnt(0)
	v_cmpx_eq_f64_e32 0, v[0:1]
	s_xor_b32 s0, exec_lo, s0
; %bb.203:
	v_cmp_ne_u32_e32 vcc_lo, 0, v107
	v_cndmask_b32_e32 v107, 13, v107, vcc_lo
; %bb.204:
	s_andn2_saveexec_b32 s0, s0
	s_cbranch_execz .LBB96_206
; %bb.205:
	v_div_scale_f64 v[105:106], null, v[0:1], v[0:1], 1.0
	v_rcp_f64_e32 v[114:115], v[105:106]
	v_fma_f64 v[116:117], -v[105:106], v[114:115], 1.0
	v_fma_f64 v[114:115], v[114:115], v[116:117], v[114:115]
	v_fma_f64 v[116:117], -v[105:106], v[114:115], 1.0
	v_fma_f64 v[114:115], v[114:115], v[116:117], v[114:115]
	v_div_scale_f64 v[116:117], vcc_lo, 1.0, v[0:1], 1.0
	v_mul_f64 v[118:119], v[116:117], v[114:115]
	v_fma_f64 v[105:106], -v[105:106], v[118:119], v[116:117]
	v_div_fmas_f64 v[105:106], v[105:106], v[114:115], v[118:119]
	v_div_fixup_f64 v[0:1], v[105:106], v[0:1], 1.0
.LBB96_206:
	s_or_b32 exec_lo, exec_lo, s0
	s_mov_b32 s0, exec_lo
	v_cmpx_ne_u32_e64 v113, v104
	s_xor_b32 s0, exec_lo, s0
	s_cbranch_execz .LBB96_212
; %bb.207:
	s_mov_b32 s1, exec_lo
	v_cmpx_eq_u32_e32 12, v113
	s_cbranch_execz .LBB96_211
; %bb.208:
	v_cmp_ne_u32_e32 vcc_lo, 12, v104
	s_xor_b32 s2, s6, -1
	s_and_b32 s3, s2, vcc_lo
	s_and_saveexec_b32 s2, s3
	s_cbranch_execz .LBB96_210
; %bb.209:
	v_ashrrev_i32_e32 v105, 31, v104
	v_lshlrev_b64 v[105:106], 2, v[104:105]
	v_add_co_u32 v105, vcc_lo, v4, v105
	v_add_co_ci_u32_e64 v106, null, v5, v106, vcc_lo
	s_clause 0x1
	global_load_dword v112, v[105:106], off
	global_load_dword v113, v[4:5], off offset:48
	s_waitcnt vmcnt(1)
	global_store_dword v[4:5], v112, off offset:48
	s_waitcnt vmcnt(0)
	global_store_dword v[105:106], v113, off
.LBB96_210:
	s_or_b32 exec_lo, exec_lo, s2
	v_mov_b32_e32 v112, v104
	v_mov_b32_e32 v113, v104
.LBB96_211:
	s_or_b32 exec_lo, exec_lo, s1
.LBB96_212:
	s_andn2_saveexec_b32 s0, s0
	s_cbranch_execz .LBB96_214
; %bb.213:
	v_mov_b32_e32 v113, 12
	ds_write2_b64 v110, v[74:75], v[72:73] offset0:13 offset1:14
	ds_write2_b64 v110, v[68:69], v[70:71] offset0:15 offset1:16
	;; [unrolled: 1-line block ×18, first 2 shown]
.LBB96_214:
	s_or_b32 exec_lo, exec_lo, s0
	s_mov_b32 s0, exec_lo
	s_waitcnt lgkmcnt(0)
	s_waitcnt_vscnt null, 0x0
	s_barrier
	buffer_gl0_inv
	v_cmpx_lt_i32_e32 12, v113
	s_cbranch_execz .LBB96_216
; %bb.215:
	v_mul_f64 v[76:77], v[0:1], v[76:77]
	ds_read2_b64 v[114:117], v110 offset0:13 offset1:14
	ds_read2_b64 v[118:121], v110 offset0:15 offset1:16
	;; [unrolled: 1-line block ×12, first 2 shown]
	s_waitcnt lgkmcnt(11)
	v_fma_f64 v[74:75], -v[76:77], v[114:115], v[74:75]
	v_fma_f64 v[72:73], -v[76:77], v[116:117], v[72:73]
	s_waitcnt lgkmcnt(10)
	v_fma_f64 v[68:69], -v[76:77], v[118:119], v[68:69]
	v_fma_f64 v[70:71], -v[76:77], v[120:121], v[70:71]
	;; [unrolled: 3-line block ×5, first 2 shown]
	ds_read2_b64 v[114:117], v110 offset0:37 offset1:38
	ds_read2_b64 v[118:121], v110 offset0:39 offset1:40
	s_waitcnt lgkmcnt(8)
	v_fma_f64 v[54:55], -v[76:77], v[134:135], v[54:55]
	v_fma_f64 v[52:53], -v[76:77], v[136:137], v[52:53]
	ds_read2_b64 v[122:125], v110 offset0:41 offset1:42
	ds_read2_b64 v[126:129], v110 offset0:43 offset1:44
	;; [unrolled: 1-line block ×4, first 2 shown]
	s_waitcnt lgkmcnt(11)
	v_fma_f64 v[48:49], -v[76:77], v[138:139], v[48:49]
	v_fma_f64 v[50:51], -v[76:77], v[140:141], v[50:51]
	s_waitcnt lgkmcnt(10)
	v_fma_f64 v[44:45], -v[76:77], v[142:143], v[44:45]
	v_fma_f64 v[46:47], -v[76:77], v[144:145], v[46:47]
	;; [unrolled: 3-line block ×12, first 2 shown]
.LBB96_216:
	s_or_b32 exec_lo, exec_lo, s0
	v_lshl_add_u32 v0, v113, 3, v110
	s_barrier
	buffer_gl0_inv
	v_mov_b32_e32 v104, 13
	ds_write_b64 v0, v[74:75]
	s_waitcnt lgkmcnt(0)
	s_barrier
	buffer_gl0_inv
	ds_read_b64 v[0:1], v110 offset:104
	s_cmp_lt_i32 s7, 15
	s_cbranch_scc1 .LBB96_219
; %bb.217:
	v_add3_u32 v105, v111, 0, 0x70
	v_mov_b32_e32 v104, 13
	s_mov_b32 s0, 14
.LBB96_218:                             ; =>This Inner Loop Header: Depth=1
	ds_read_b64 v[114:115], v105
	v_add_nc_u32_e32 v105, 8, v105
	s_waitcnt lgkmcnt(0)
	v_cmp_lt_f64_e64 vcc_lo, |v[0:1]|, |v[114:115]|
	v_cndmask_b32_e32 v1, v1, v115, vcc_lo
	v_cndmask_b32_e32 v0, v0, v114, vcc_lo
	v_cndmask_b32_e64 v104, v104, s0, vcc_lo
	s_add_i32 s0, s0, 1
	s_cmp_lg_u32 s7, s0
	s_cbranch_scc1 .LBB96_218
.LBB96_219:
	s_mov_b32 s0, exec_lo
	s_waitcnt lgkmcnt(0)
	v_cmpx_eq_f64_e32 0, v[0:1]
	s_xor_b32 s0, exec_lo, s0
; %bb.220:
	v_cmp_ne_u32_e32 vcc_lo, 0, v107
	v_cndmask_b32_e32 v107, 14, v107, vcc_lo
; %bb.221:
	s_andn2_saveexec_b32 s0, s0
	s_cbranch_execz .LBB96_223
; %bb.222:
	v_div_scale_f64 v[105:106], null, v[0:1], v[0:1], 1.0
	v_rcp_f64_e32 v[114:115], v[105:106]
	v_fma_f64 v[116:117], -v[105:106], v[114:115], 1.0
	v_fma_f64 v[114:115], v[114:115], v[116:117], v[114:115]
	v_fma_f64 v[116:117], -v[105:106], v[114:115], 1.0
	v_fma_f64 v[114:115], v[114:115], v[116:117], v[114:115]
	v_div_scale_f64 v[116:117], vcc_lo, 1.0, v[0:1], 1.0
	v_mul_f64 v[118:119], v[116:117], v[114:115]
	v_fma_f64 v[105:106], -v[105:106], v[118:119], v[116:117]
	v_div_fmas_f64 v[105:106], v[105:106], v[114:115], v[118:119]
	v_div_fixup_f64 v[0:1], v[105:106], v[0:1], 1.0
.LBB96_223:
	s_or_b32 exec_lo, exec_lo, s0
	s_mov_b32 s0, exec_lo
	v_cmpx_ne_u32_e64 v113, v104
	s_xor_b32 s0, exec_lo, s0
	s_cbranch_execz .LBB96_229
; %bb.224:
	s_mov_b32 s1, exec_lo
	v_cmpx_eq_u32_e32 13, v113
	s_cbranch_execz .LBB96_228
; %bb.225:
	v_cmp_ne_u32_e32 vcc_lo, 13, v104
	s_xor_b32 s2, s6, -1
	s_and_b32 s3, s2, vcc_lo
	s_and_saveexec_b32 s2, s3
	s_cbranch_execz .LBB96_227
; %bb.226:
	v_ashrrev_i32_e32 v105, 31, v104
	v_lshlrev_b64 v[105:106], 2, v[104:105]
	v_add_co_u32 v105, vcc_lo, v4, v105
	v_add_co_ci_u32_e64 v106, null, v5, v106, vcc_lo
	s_clause 0x1
	global_load_dword v112, v[105:106], off
	global_load_dword v113, v[4:5], off offset:52
	s_waitcnt vmcnt(1)
	global_store_dword v[4:5], v112, off offset:52
	s_waitcnt vmcnt(0)
	global_store_dword v[105:106], v113, off
.LBB96_227:
	s_or_b32 exec_lo, exec_lo, s2
	v_mov_b32_e32 v112, v104
	v_mov_b32_e32 v113, v104
.LBB96_228:
	s_or_b32 exec_lo, exec_lo, s1
.LBB96_229:
	s_andn2_saveexec_b32 s0, s0
	s_cbranch_execz .LBB96_231
; %bb.230:
	v_mov_b32_e32 v104, v72
	v_mov_b32_e32 v105, v73
	;; [unrolled: 1-line block ×12, first 2 shown]
	ds_write2_b64 v110, v[104:105], v[113:114] offset0:14 offset1:15
	ds_write2_b64 v110, v[115:116], v[117:118] offset0:16 offset1:17
	;; [unrolled: 1-line block ×3, first 2 shown]
	v_mov_b32_e32 v104, v60
	v_mov_b32_e32 v105, v61
	;; [unrolled: 1-line block ×20, first 2 shown]
	ds_write2_b64 v110, v[104:105], v[113:114] offset0:20 offset1:21
	ds_write2_b64 v110, v[115:116], v[117:118] offset0:22 offset1:23
	;; [unrolled: 1-line block ×5, first 2 shown]
	v_mov_b32_e32 v104, v40
	v_mov_b32_e32 v105, v41
	;; [unrolled: 1-line block ×20, first 2 shown]
	ds_write2_b64 v110, v[104:105], v[113:114] offset0:30 offset1:31
	ds_write2_b64 v110, v[115:116], v[117:118] offset0:32 offset1:33
	ds_write2_b64 v110, v[119:120], v[121:122] offset0:34 offset1:35
	ds_write2_b64 v110, v[123:124], v[125:126] offset0:36 offset1:37
	ds_write2_b64 v110, v[127:128], v[129:130] offset0:38 offset1:39
	v_mov_b32_e32 v104, v20
	v_mov_b32_e32 v105, v21
	v_mov_b32_e32 v113, v18
	v_mov_b32_e32 v114, v19
	v_mov_b32_e32 v115, v16
	v_mov_b32_e32 v116, v17
	v_mov_b32_e32 v117, v14
	v_mov_b32_e32 v118, v15
	ds_write2_b64 v110, v[104:105], v[113:114] offset0:40 offset1:41
	v_mov_b32_e32 v113, 13
	v_mov_b32_e32 v119, v12
	;; [unrolled: 1-line block ×9, first 2 shown]
	ds_write2_b64 v110, v[115:116], v[117:118] offset0:42 offset1:43
	ds_write2_b64 v110, v[119:120], v[121:122] offset0:44 offset1:45
	;; [unrolled: 1-line block ×3, first 2 shown]
	ds_write_b64 v110, v[102:103] offset:384
.LBB96_231:
	s_or_b32 exec_lo, exec_lo, s0
	s_mov_b32 s0, exec_lo
	s_waitcnt lgkmcnt(0)
	s_waitcnt_vscnt null, 0x0
	s_barrier
	buffer_gl0_inv
	v_cmpx_lt_i32_e32 13, v113
	s_cbranch_execz .LBB96_233
; %bb.232:
	v_mul_f64 v[74:75], v[0:1], v[74:75]
	ds_read2_b64 v[114:117], v110 offset0:14 offset1:15
	ds_read2_b64 v[118:121], v110 offset0:16 offset1:17
	;; [unrolled: 1-line block ×12, first 2 shown]
	ds_read_b64 v[0:1], v110 offset:384
	s_waitcnt lgkmcnt(12)
	v_fma_f64 v[72:73], -v[74:75], v[114:115], v[72:73]
	v_fma_f64 v[68:69], -v[74:75], v[116:117], v[68:69]
	s_waitcnt lgkmcnt(11)
	v_fma_f64 v[70:71], -v[74:75], v[118:119], v[70:71]
	v_fma_f64 v[64:65], -v[74:75], v[120:121], v[64:65]
	;; [unrolled: 3-line block ×5, first 2 shown]
	ds_read2_b64 v[114:117], v110 offset0:38 offset1:39
	ds_read2_b64 v[118:121], v110 offset0:40 offset1:41
	ds_read2_b64 v[122:125], v110 offset0:42 offset1:43
	ds_read2_b64 v[126:129], v110 offset0:44 offset1:45
	ds_read2_b64 v[130:133], v110 offset0:46 offset1:47
	s_waitcnt lgkmcnt(12)
	v_fma_f64 v[52:53], -v[74:75], v[134:135], v[52:53]
	v_fma_f64 v[48:49], -v[74:75], v[136:137], v[48:49]
	s_waitcnt lgkmcnt(11)
	v_fma_f64 v[50:51], -v[74:75], v[138:139], v[50:51]
	v_fma_f64 v[44:45], -v[74:75], v[140:141], v[44:45]
	;; [unrolled: 3-line block ×7, first 2 shown]
	s_waitcnt lgkmcnt(5)
	v_fma_f64 v[102:103], -v[74:75], v[0:1], v[102:103]
	s_waitcnt lgkmcnt(4)
	v_fma_f64 v[26:27], -v[74:75], v[114:115], v[26:27]
	v_fma_f64 v[22:23], -v[74:75], v[116:117], v[22:23]
	s_waitcnt lgkmcnt(3)
	v_fma_f64 v[20:21], -v[74:75], v[118:119], v[20:21]
	;; [unrolled: 3-line block ×5, first 2 shown]
	v_fma_f64 v[6:7], -v[74:75], v[132:133], v[6:7]
.LBB96_233:
	s_or_b32 exec_lo, exec_lo, s0
	v_lshl_add_u32 v0, v113, 3, v110
	s_barrier
	buffer_gl0_inv
	v_mov_b32_e32 v104, 14
	ds_write_b64 v0, v[72:73]
	s_waitcnt lgkmcnt(0)
	s_barrier
	buffer_gl0_inv
	ds_read_b64 v[0:1], v110 offset:112
	s_cmp_lt_i32 s7, 16
	s_cbranch_scc1 .LBB96_236
; %bb.234:
	v_add3_u32 v105, v111, 0, 0x78
	v_mov_b32_e32 v104, 14
	s_mov_b32 s0, 15
.LBB96_235:                             ; =>This Inner Loop Header: Depth=1
	ds_read_b64 v[114:115], v105
	v_add_nc_u32_e32 v105, 8, v105
	s_waitcnt lgkmcnt(0)
	v_cmp_lt_f64_e64 vcc_lo, |v[0:1]|, |v[114:115]|
	v_cndmask_b32_e32 v1, v1, v115, vcc_lo
	v_cndmask_b32_e32 v0, v0, v114, vcc_lo
	v_cndmask_b32_e64 v104, v104, s0, vcc_lo
	s_add_i32 s0, s0, 1
	s_cmp_lg_u32 s7, s0
	s_cbranch_scc1 .LBB96_235
.LBB96_236:
	s_mov_b32 s0, exec_lo
	s_waitcnt lgkmcnt(0)
	v_cmpx_eq_f64_e32 0, v[0:1]
	s_xor_b32 s0, exec_lo, s0
; %bb.237:
	v_cmp_ne_u32_e32 vcc_lo, 0, v107
	v_cndmask_b32_e32 v107, 15, v107, vcc_lo
; %bb.238:
	s_andn2_saveexec_b32 s0, s0
	s_cbranch_execz .LBB96_240
; %bb.239:
	v_div_scale_f64 v[105:106], null, v[0:1], v[0:1], 1.0
	v_rcp_f64_e32 v[114:115], v[105:106]
	v_fma_f64 v[116:117], -v[105:106], v[114:115], 1.0
	v_fma_f64 v[114:115], v[114:115], v[116:117], v[114:115]
	v_fma_f64 v[116:117], -v[105:106], v[114:115], 1.0
	v_fma_f64 v[114:115], v[114:115], v[116:117], v[114:115]
	v_div_scale_f64 v[116:117], vcc_lo, 1.0, v[0:1], 1.0
	v_mul_f64 v[118:119], v[116:117], v[114:115]
	v_fma_f64 v[105:106], -v[105:106], v[118:119], v[116:117]
	v_div_fmas_f64 v[105:106], v[105:106], v[114:115], v[118:119]
	v_div_fixup_f64 v[0:1], v[105:106], v[0:1], 1.0
.LBB96_240:
	s_or_b32 exec_lo, exec_lo, s0
	s_mov_b32 s0, exec_lo
	v_cmpx_ne_u32_e64 v113, v104
	s_xor_b32 s0, exec_lo, s0
	s_cbranch_execz .LBB96_246
; %bb.241:
	s_mov_b32 s1, exec_lo
	v_cmpx_eq_u32_e32 14, v113
	s_cbranch_execz .LBB96_245
; %bb.242:
	v_cmp_ne_u32_e32 vcc_lo, 14, v104
	s_xor_b32 s2, s6, -1
	s_and_b32 s3, s2, vcc_lo
	s_and_saveexec_b32 s2, s3
	s_cbranch_execz .LBB96_244
; %bb.243:
	v_ashrrev_i32_e32 v105, 31, v104
	v_lshlrev_b64 v[105:106], 2, v[104:105]
	v_add_co_u32 v105, vcc_lo, v4, v105
	v_add_co_ci_u32_e64 v106, null, v5, v106, vcc_lo
	s_clause 0x1
	global_load_dword v112, v[105:106], off
	global_load_dword v113, v[4:5], off offset:56
	s_waitcnt vmcnt(1)
	global_store_dword v[4:5], v112, off offset:56
	s_waitcnt vmcnt(0)
	global_store_dword v[105:106], v113, off
.LBB96_244:
	s_or_b32 exec_lo, exec_lo, s2
	v_mov_b32_e32 v112, v104
	v_mov_b32_e32 v113, v104
.LBB96_245:
	s_or_b32 exec_lo, exec_lo, s1
.LBB96_246:
	s_andn2_saveexec_b32 s0, s0
	s_cbranch_execz .LBB96_248
; %bb.247:
	v_mov_b32_e32 v113, 14
	ds_write2_b64 v110, v[68:69], v[70:71] offset0:15 offset1:16
	ds_write2_b64 v110, v[64:65], v[66:67] offset0:17 offset1:18
	;; [unrolled: 1-line block ×17, first 2 shown]
.LBB96_248:
	s_or_b32 exec_lo, exec_lo, s0
	s_mov_b32 s0, exec_lo
	s_waitcnt lgkmcnt(0)
	s_waitcnt_vscnt null, 0x0
	s_barrier
	buffer_gl0_inv
	v_cmpx_lt_i32_e32 14, v113
	s_cbranch_execz .LBB96_250
; %bb.249:
	v_mul_f64 v[72:73], v[0:1], v[72:73]
	ds_read2_b64 v[114:117], v110 offset0:15 offset1:16
	ds_read2_b64 v[118:121], v110 offset0:17 offset1:18
	;; [unrolled: 1-line block ×13, first 2 shown]
	s_waitcnt lgkmcnt(12)
	v_fma_f64 v[68:69], -v[72:73], v[114:115], v[68:69]
	v_fma_f64 v[70:71], -v[72:73], v[116:117], v[70:71]
	s_waitcnt lgkmcnt(11)
	v_fma_f64 v[64:65], -v[72:73], v[118:119], v[64:65]
	v_fma_f64 v[66:67], -v[72:73], v[120:121], v[66:67]
	;; [unrolled: 3-line block ×4, first 2 shown]
	ds_read2_b64 v[114:117], v110 offset0:41 offset1:42
	ds_read2_b64 v[118:121], v110 offset0:43 offset1:44
	ds_read2_b64 v[122:125], v110 offset0:45 offset1:46
	ds_read2_b64 v[126:129], v110 offset0:47 offset1:48
	s_waitcnt lgkmcnt(12)
	v_fma_f64 v[54:55], -v[72:73], v[130:131], v[54:55]
	v_fma_f64 v[52:53], -v[72:73], v[132:133], v[52:53]
	s_waitcnt lgkmcnt(11)
	v_fma_f64 v[48:49], -v[72:73], v[134:135], v[48:49]
	v_fma_f64 v[50:51], -v[72:73], v[136:137], v[50:51]
	;; [unrolled: 3-line block ×13, first 2 shown]
.LBB96_250:
	s_or_b32 exec_lo, exec_lo, s0
	v_lshl_add_u32 v0, v113, 3, v110
	s_barrier
	buffer_gl0_inv
	v_mov_b32_e32 v104, 15
	ds_write_b64 v0, v[68:69]
	s_waitcnt lgkmcnt(0)
	s_barrier
	buffer_gl0_inv
	ds_read_b64 v[0:1], v110 offset:120
	s_cmp_lt_i32 s7, 17
	s_cbranch_scc1 .LBB96_253
; %bb.251:
	v_add3_u32 v105, v111, 0, 0x80
	v_mov_b32_e32 v104, 15
	s_mov_b32 s0, 16
.LBB96_252:                             ; =>This Inner Loop Header: Depth=1
	ds_read_b64 v[114:115], v105
	v_add_nc_u32_e32 v105, 8, v105
	s_waitcnt lgkmcnt(0)
	v_cmp_lt_f64_e64 vcc_lo, |v[0:1]|, |v[114:115]|
	v_cndmask_b32_e32 v1, v1, v115, vcc_lo
	v_cndmask_b32_e32 v0, v0, v114, vcc_lo
	v_cndmask_b32_e64 v104, v104, s0, vcc_lo
	s_add_i32 s0, s0, 1
	s_cmp_lg_u32 s7, s0
	s_cbranch_scc1 .LBB96_252
.LBB96_253:
	s_mov_b32 s0, exec_lo
	s_waitcnt lgkmcnt(0)
	v_cmpx_eq_f64_e32 0, v[0:1]
	s_xor_b32 s0, exec_lo, s0
; %bb.254:
	v_cmp_ne_u32_e32 vcc_lo, 0, v107
	v_cndmask_b32_e32 v107, 16, v107, vcc_lo
; %bb.255:
	s_andn2_saveexec_b32 s0, s0
	s_cbranch_execz .LBB96_257
; %bb.256:
	v_div_scale_f64 v[105:106], null, v[0:1], v[0:1], 1.0
	v_rcp_f64_e32 v[114:115], v[105:106]
	v_fma_f64 v[116:117], -v[105:106], v[114:115], 1.0
	v_fma_f64 v[114:115], v[114:115], v[116:117], v[114:115]
	v_fma_f64 v[116:117], -v[105:106], v[114:115], 1.0
	v_fma_f64 v[114:115], v[114:115], v[116:117], v[114:115]
	v_div_scale_f64 v[116:117], vcc_lo, 1.0, v[0:1], 1.0
	v_mul_f64 v[118:119], v[116:117], v[114:115]
	v_fma_f64 v[105:106], -v[105:106], v[118:119], v[116:117]
	v_div_fmas_f64 v[105:106], v[105:106], v[114:115], v[118:119]
	v_div_fixup_f64 v[0:1], v[105:106], v[0:1], 1.0
.LBB96_257:
	s_or_b32 exec_lo, exec_lo, s0
	s_mov_b32 s0, exec_lo
	v_cmpx_ne_u32_e64 v113, v104
	s_xor_b32 s0, exec_lo, s0
	s_cbranch_execz .LBB96_263
; %bb.258:
	s_mov_b32 s1, exec_lo
	v_cmpx_eq_u32_e32 15, v113
	s_cbranch_execz .LBB96_262
; %bb.259:
	v_cmp_ne_u32_e32 vcc_lo, 15, v104
	s_xor_b32 s2, s6, -1
	s_and_b32 s3, s2, vcc_lo
	s_and_saveexec_b32 s2, s3
	s_cbranch_execz .LBB96_261
; %bb.260:
	v_ashrrev_i32_e32 v105, 31, v104
	v_lshlrev_b64 v[105:106], 2, v[104:105]
	v_add_co_u32 v105, vcc_lo, v4, v105
	v_add_co_ci_u32_e64 v106, null, v5, v106, vcc_lo
	s_clause 0x1
	global_load_dword v112, v[105:106], off
	global_load_dword v113, v[4:5], off offset:60
	s_waitcnt vmcnt(1)
	global_store_dword v[4:5], v112, off offset:60
	s_waitcnt vmcnt(0)
	global_store_dword v[105:106], v113, off
.LBB96_261:
	s_or_b32 exec_lo, exec_lo, s2
	v_mov_b32_e32 v112, v104
	v_mov_b32_e32 v113, v104
.LBB96_262:
	s_or_b32 exec_lo, exec_lo, s1
.LBB96_263:
	s_andn2_saveexec_b32 s0, s0
	s_cbranch_execz .LBB96_265
; %bb.264:
	v_mov_b32_e32 v104, v70
	v_mov_b32_e32 v105, v71
	;; [unrolled: 1-line block ×8, first 2 shown]
	ds_write2_b64 v110, v[104:105], v[113:114] offset0:16 offset1:17
	ds_write2_b64 v110, v[115:116], v[117:118] offset0:18 offset1:19
	v_mov_b32_e32 v104, v60
	v_mov_b32_e32 v105, v61
	;; [unrolled: 1-line block ×20, first 2 shown]
	ds_write2_b64 v110, v[104:105], v[113:114] offset0:20 offset1:21
	ds_write2_b64 v110, v[115:116], v[117:118] offset0:22 offset1:23
	;; [unrolled: 1-line block ×5, first 2 shown]
	v_mov_b32_e32 v104, v40
	v_mov_b32_e32 v105, v41
	;; [unrolled: 1-line block ×20, first 2 shown]
	ds_write2_b64 v110, v[104:105], v[113:114] offset0:30 offset1:31
	ds_write2_b64 v110, v[115:116], v[117:118] offset0:32 offset1:33
	;; [unrolled: 1-line block ×5, first 2 shown]
	v_mov_b32_e32 v104, v20
	v_mov_b32_e32 v105, v21
	;; [unrolled: 1-line block ×8, first 2 shown]
	ds_write2_b64 v110, v[104:105], v[113:114] offset0:40 offset1:41
	v_mov_b32_e32 v113, 15
	v_mov_b32_e32 v119, v12
	v_mov_b32_e32 v120, v13
	v_mov_b32_e32 v121, v8
	v_mov_b32_e32 v122, v9
	v_mov_b32_e32 v123, v10
	v_mov_b32_e32 v124, v11
	v_mov_b32_e32 v125, v6
	v_mov_b32_e32 v126, v7
	ds_write2_b64 v110, v[115:116], v[117:118] offset0:42 offset1:43
	ds_write2_b64 v110, v[119:120], v[121:122] offset0:44 offset1:45
	;; [unrolled: 1-line block ×3, first 2 shown]
	ds_write_b64 v110, v[102:103] offset:384
.LBB96_265:
	s_or_b32 exec_lo, exec_lo, s0
	s_mov_b32 s0, exec_lo
	s_waitcnt lgkmcnt(0)
	s_waitcnt_vscnt null, 0x0
	s_barrier
	buffer_gl0_inv
	v_cmpx_lt_i32_e32 15, v113
	s_cbranch_execz .LBB96_267
; %bb.266:
	v_mul_f64 v[68:69], v[0:1], v[68:69]
	ds_read2_b64 v[114:117], v110 offset0:16 offset1:17
	ds_read2_b64 v[118:121], v110 offset0:18 offset1:19
	;; [unrolled: 1-line block ×13, first 2 shown]
	ds_read_b64 v[0:1], v110 offset:384
	s_waitcnt lgkmcnt(13)
	v_fma_f64 v[70:71], -v[68:69], v[114:115], v[70:71]
	v_fma_f64 v[64:65], -v[68:69], v[116:117], v[64:65]
	s_waitcnt lgkmcnt(12)
	v_fma_f64 v[66:67], -v[68:69], v[118:119], v[66:67]
	v_fma_f64 v[62:63], -v[68:69], v[120:121], v[62:63]
	;; [unrolled: 3-line block ×3, first 2 shown]
	ds_read2_b64 v[114:117], v110 offset0:42 offset1:43
	ds_read2_b64 v[118:121], v110 offset0:44 offset1:45
	ds_read2_b64 v[122:125], v110 offset0:46 offset1:47
	s_waitcnt lgkmcnt(13)
	v_fma_f64 v[56:57], -v[68:69], v[126:127], v[56:57]
	v_fma_f64 v[54:55], -v[68:69], v[128:129], v[54:55]
	s_waitcnt lgkmcnt(12)
	v_fma_f64 v[52:53], -v[68:69], v[130:131], v[52:53]
	v_fma_f64 v[48:49], -v[68:69], v[132:133], v[48:49]
	;; [unrolled: 3-line block ×13, first 2 shown]
	v_fma_f64 v[102:103], -v[68:69], v[0:1], v[102:103]
.LBB96_267:
	s_or_b32 exec_lo, exec_lo, s0
	v_lshl_add_u32 v0, v113, 3, v110
	s_barrier
	buffer_gl0_inv
	v_mov_b32_e32 v104, 16
	ds_write_b64 v0, v[70:71]
	s_waitcnt lgkmcnt(0)
	s_barrier
	buffer_gl0_inv
	ds_read_b64 v[0:1], v110 offset:128
	s_cmp_lt_i32 s7, 18
	s_cbranch_scc1 .LBB96_270
; %bb.268:
	v_add3_u32 v105, v111, 0, 0x88
	v_mov_b32_e32 v104, 16
	s_mov_b32 s0, 17
.LBB96_269:                             ; =>This Inner Loop Header: Depth=1
	ds_read_b64 v[114:115], v105
	v_add_nc_u32_e32 v105, 8, v105
	s_waitcnt lgkmcnt(0)
	v_cmp_lt_f64_e64 vcc_lo, |v[0:1]|, |v[114:115]|
	v_cndmask_b32_e32 v1, v1, v115, vcc_lo
	v_cndmask_b32_e32 v0, v0, v114, vcc_lo
	v_cndmask_b32_e64 v104, v104, s0, vcc_lo
	s_add_i32 s0, s0, 1
	s_cmp_lg_u32 s7, s0
	s_cbranch_scc1 .LBB96_269
.LBB96_270:
	s_mov_b32 s0, exec_lo
	s_waitcnt lgkmcnt(0)
	v_cmpx_eq_f64_e32 0, v[0:1]
	s_xor_b32 s0, exec_lo, s0
; %bb.271:
	v_cmp_ne_u32_e32 vcc_lo, 0, v107
	v_cndmask_b32_e32 v107, 17, v107, vcc_lo
; %bb.272:
	s_andn2_saveexec_b32 s0, s0
	s_cbranch_execz .LBB96_274
; %bb.273:
	v_div_scale_f64 v[105:106], null, v[0:1], v[0:1], 1.0
	v_rcp_f64_e32 v[114:115], v[105:106]
	v_fma_f64 v[116:117], -v[105:106], v[114:115], 1.0
	v_fma_f64 v[114:115], v[114:115], v[116:117], v[114:115]
	v_fma_f64 v[116:117], -v[105:106], v[114:115], 1.0
	v_fma_f64 v[114:115], v[114:115], v[116:117], v[114:115]
	v_div_scale_f64 v[116:117], vcc_lo, 1.0, v[0:1], 1.0
	v_mul_f64 v[118:119], v[116:117], v[114:115]
	v_fma_f64 v[105:106], -v[105:106], v[118:119], v[116:117]
	v_div_fmas_f64 v[105:106], v[105:106], v[114:115], v[118:119]
	v_div_fixup_f64 v[0:1], v[105:106], v[0:1], 1.0
.LBB96_274:
	s_or_b32 exec_lo, exec_lo, s0
	s_mov_b32 s0, exec_lo
	v_cmpx_ne_u32_e64 v113, v104
	s_xor_b32 s0, exec_lo, s0
	s_cbranch_execz .LBB96_280
; %bb.275:
	s_mov_b32 s1, exec_lo
	v_cmpx_eq_u32_e32 16, v113
	s_cbranch_execz .LBB96_279
; %bb.276:
	v_cmp_ne_u32_e32 vcc_lo, 16, v104
	s_xor_b32 s2, s6, -1
	s_and_b32 s3, s2, vcc_lo
	s_and_saveexec_b32 s2, s3
	s_cbranch_execz .LBB96_278
; %bb.277:
	v_ashrrev_i32_e32 v105, 31, v104
	v_lshlrev_b64 v[105:106], 2, v[104:105]
	v_add_co_u32 v105, vcc_lo, v4, v105
	v_add_co_ci_u32_e64 v106, null, v5, v106, vcc_lo
	s_clause 0x1
	global_load_dword v112, v[105:106], off
	global_load_dword v113, v[4:5], off offset:64
	s_waitcnt vmcnt(1)
	global_store_dword v[4:5], v112, off offset:64
	s_waitcnt vmcnt(0)
	global_store_dword v[105:106], v113, off
.LBB96_278:
	s_or_b32 exec_lo, exec_lo, s2
	v_mov_b32_e32 v112, v104
	v_mov_b32_e32 v113, v104
.LBB96_279:
	s_or_b32 exec_lo, exec_lo, s1
.LBB96_280:
	s_andn2_saveexec_b32 s0, s0
	s_cbranch_execz .LBB96_282
; %bb.281:
	v_mov_b32_e32 v113, 16
	ds_write2_b64 v110, v[64:65], v[66:67] offset0:17 offset1:18
	ds_write2_b64 v110, v[62:63], v[60:61] offset0:19 offset1:20
	;; [unrolled: 1-line block ×16, first 2 shown]
.LBB96_282:
	s_or_b32 exec_lo, exec_lo, s0
	s_mov_b32 s0, exec_lo
	s_waitcnt lgkmcnt(0)
	s_waitcnt_vscnt null, 0x0
	s_barrier
	buffer_gl0_inv
	v_cmpx_lt_i32_e32 16, v113
	s_cbranch_execz .LBB96_284
; %bb.283:
	v_mul_f64 v[70:71], v[0:1], v[70:71]
	ds_read2_b64 v[114:117], v110 offset0:17 offset1:18
	ds_read2_b64 v[118:121], v110 offset0:19 offset1:20
	;; [unrolled: 1-line block ×13, first 2 shown]
	s_waitcnt lgkmcnt(12)
	v_fma_f64 v[64:65], -v[70:71], v[114:115], v[64:65]
	v_fma_f64 v[66:67], -v[70:71], v[116:117], v[66:67]
	s_waitcnt lgkmcnt(11)
	v_fma_f64 v[62:63], -v[70:71], v[118:119], v[62:63]
	v_fma_f64 v[60:61], -v[70:71], v[120:121], v[60:61]
	;; [unrolled: 3-line block ×3, first 2 shown]
	ds_read2_b64 v[114:117], v110 offset0:43 offset1:44
	ds_read2_b64 v[118:121], v110 offset0:45 offset1:46
	;; [unrolled: 1-line block ×3, first 2 shown]
	s_waitcnt lgkmcnt(12)
	v_fma_f64 v[54:55], -v[70:71], v[126:127], v[54:55]
	v_fma_f64 v[52:53], -v[70:71], v[128:129], v[52:53]
	s_waitcnt lgkmcnt(11)
	v_fma_f64 v[48:49], -v[70:71], v[130:131], v[48:49]
	v_fma_f64 v[50:51], -v[70:71], v[132:133], v[50:51]
	s_waitcnt lgkmcnt(10)
	v_fma_f64 v[44:45], -v[70:71], v[134:135], v[44:45]
	v_fma_f64 v[46:47], -v[70:71], v[136:137], v[46:47]
	s_waitcnt lgkmcnt(9)
	v_fma_f64 v[42:43], -v[70:71], v[138:139], v[42:43]
	v_fma_f64 v[40:41], -v[70:71], v[140:141], v[40:41]
	s_waitcnt lgkmcnt(8)
	v_fma_f64 v[38:39], -v[70:71], v[142:143], v[38:39]
	v_fma_f64 v[36:37], -v[70:71], v[144:145], v[36:37]
	s_waitcnt lgkmcnt(7)
	v_fma_f64 v[34:35], -v[70:71], v[146:147], v[34:35]
	v_fma_f64 v[32:33], -v[70:71], v[148:149], v[32:33]
	s_waitcnt lgkmcnt(6)
	v_fma_f64 v[28:29], -v[70:71], v[150:151], v[28:29]
	v_fma_f64 v[30:31], -v[70:71], v[152:153], v[30:31]
	s_waitcnt lgkmcnt(5)
	v_fma_f64 v[24:25], -v[70:71], v[154:155], v[24:25]
	v_fma_f64 v[26:27], -v[70:71], v[156:157], v[26:27]
	s_waitcnt lgkmcnt(4)
	v_fma_f64 v[22:23], -v[70:71], v[158:159], v[22:23]
	v_fma_f64 v[20:21], -v[70:71], v[160:161], v[20:21]
	s_waitcnt lgkmcnt(3)
	v_fma_f64 v[18:19], -v[70:71], v[162:163], v[18:19]
	v_fma_f64 v[16:17], -v[70:71], v[164:165], v[16:17]
	s_waitcnt lgkmcnt(2)
	v_fma_f64 v[14:15], -v[70:71], v[114:115], v[14:15]
	v_fma_f64 v[12:13], -v[70:71], v[116:117], v[12:13]
	s_waitcnt lgkmcnt(1)
	v_fma_f64 v[8:9], -v[70:71], v[118:119], v[8:9]
	v_fma_f64 v[10:11], -v[70:71], v[120:121], v[10:11]
	s_waitcnt lgkmcnt(0)
	v_fma_f64 v[6:7], -v[70:71], v[122:123], v[6:7]
	v_fma_f64 v[102:103], -v[70:71], v[124:125], v[102:103]
.LBB96_284:
	s_or_b32 exec_lo, exec_lo, s0
	v_lshl_add_u32 v0, v113, 3, v110
	s_barrier
	buffer_gl0_inv
	v_mov_b32_e32 v104, 17
	ds_write_b64 v0, v[64:65]
	s_waitcnt lgkmcnt(0)
	s_barrier
	buffer_gl0_inv
	ds_read_b64 v[0:1], v110 offset:136
	s_cmp_lt_i32 s7, 19
	s_cbranch_scc1 .LBB96_287
; %bb.285:
	v_add3_u32 v105, v111, 0, 0x90
	v_mov_b32_e32 v104, 17
	s_mov_b32 s0, 18
.LBB96_286:                             ; =>This Inner Loop Header: Depth=1
	ds_read_b64 v[114:115], v105
	v_add_nc_u32_e32 v105, 8, v105
	s_waitcnt lgkmcnt(0)
	v_cmp_lt_f64_e64 vcc_lo, |v[0:1]|, |v[114:115]|
	v_cndmask_b32_e32 v1, v1, v115, vcc_lo
	v_cndmask_b32_e32 v0, v0, v114, vcc_lo
	v_cndmask_b32_e64 v104, v104, s0, vcc_lo
	s_add_i32 s0, s0, 1
	s_cmp_lg_u32 s7, s0
	s_cbranch_scc1 .LBB96_286
.LBB96_287:
	s_mov_b32 s0, exec_lo
	s_waitcnt lgkmcnt(0)
	v_cmpx_eq_f64_e32 0, v[0:1]
	s_xor_b32 s0, exec_lo, s0
; %bb.288:
	v_cmp_ne_u32_e32 vcc_lo, 0, v107
	v_cndmask_b32_e32 v107, 18, v107, vcc_lo
; %bb.289:
	s_andn2_saveexec_b32 s0, s0
	s_cbranch_execz .LBB96_291
; %bb.290:
	v_div_scale_f64 v[105:106], null, v[0:1], v[0:1], 1.0
	v_rcp_f64_e32 v[114:115], v[105:106]
	v_fma_f64 v[116:117], -v[105:106], v[114:115], 1.0
	v_fma_f64 v[114:115], v[114:115], v[116:117], v[114:115]
	v_fma_f64 v[116:117], -v[105:106], v[114:115], 1.0
	v_fma_f64 v[114:115], v[114:115], v[116:117], v[114:115]
	v_div_scale_f64 v[116:117], vcc_lo, 1.0, v[0:1], 1.0
	v_mul_f64 v[118:119], v[116:117], v[114:115]
	v_fma_f64 v[105:106], -v[105:106], v[118:119], v[116:117]
	v_div_fmas_f64 v[105:106], v[105:106], v[114:115], v[118:119]
	v_div_fixup_f64 v[0:1], v[105:106], v[0:1], 1.0
.LBB96_291:
	s_or_b32 exec_lo, exec_lo, s0
	s_mov_b32 s0, exec_lo
	v_cmpx_ne_u32_e64 v113, v104
	s_xor_b32 s0, exec_lo, s0
	s_cbranch_execz .LBB96_297
; %bb.292:
	s_mov_b32 s1, exec_lo
	v_cmpx_eq_u32_e32 17, v113
	s_cbranch_execz .LBB96_296
; %bb.293:
	v_cmp_ne_u32_e32 vcc_lo, 17, v104
	s_xor_b32 s2, s6, -1
	s_and_b32 s3, s2, vcc_lo
	s_and_saveexec_b32 s2, s3
	s_cbranch_execz .LBB96_295
; %bb.294:
	v_ashrrev_i32_e32 v105, 31, v104
	v_lshlrev_b64 v[105:106], 2, v[104:105]
	v_add_co_u32 v105, vcc_lo, v4, v105
	v_add_co_ci_u32_e64 v106, null, v5, v106, vcc_lo
	s_clause 0x1
	global_load_dword v112, v[105:106], off
	global_load_dword v113, v[4:5], off offset:68
	s_waitcnt vmcnt(1)
	global_store_dword v[4:5], v112, off offset:68
	s_waitcnt vmcnt(0)
	global_store_dword v[105:106], v113, off
.LBB96_295:
	s_or_b32 exec_lo, exec_lo, s2
	v_mov_b32_e32 v112, v104
	v_mov_b32_e32 v113, v104
.LBB96_296:
	s_or_b32 exec_lo, exec_lo, s1
.LBB96_297:
	s_andn2_saveexec_b32 s0, s0
	s_cbranch_execz .LBB96_299
; %bb.298:
	v_mov_b32_e32 v104, v66
	v_mov_b32_e32 v105, v67
	;; [unrolled: 1-line block ×8, first 2 shown]
	ds_write2_b64 v110, v[104:105], v[113:114] offset0:18 offset1:19
	v_mov_b32_e32 v104, v58
	v_mov_b32_e32 v105, v59
	;; [unrolled: 1-line block ×16, first 2 shown]
	ds_write2_b64 v110, v[115:116], v[104:105] offset0:20 offset1:21
	ds_write2_b64 v110, v[113:114], v[117:118] offset0:22 offset1:23
	;; [unrolled: 1-line block ×5, first 2 shown]
	v_mov_b32_e32 v104, v40
	v_mov_b32_e32 v105, v41
	;; [unrolled: 1-line block ×20, first 2 shown]
	ds_write2_b64 v110, v[104:105], v[113:114] offset0:30 offset1:31
	ds_write2_b64 v110, v[115:116], v[117:118] offset0:32 offset1:33
	;; [unrolled: 1-line block ×5, first 2 shown]
	v_mov_b32_e32 v104, v20
	v_mov_b32_e32 v105, v21
	;; [unrolled: 1-line block ×8, first 2 shown]
	ds_write2_b64 v110, v[104:105], v[113:114] offset0:40 offset1:41
	v_mov_b32_e32 v113, 17
	v_mov_b32_e32 v119, v12
	;; [unrolled: 1-line block ×9, first 2 shown]
	ds_write2_b64 v110, v[115:116], v[117:118] offset0:42 offset1:43
	ds_write2_b64 v110, v[119:120], v[121:122] offset0:44 offset1:45
	;; [unrolled: 1-line block ×3, first 2 shown]
	ds_write_b64 v110, v[102:103] offset:384
.LBB96_299:
	s_or_b32 exec_lo, exec_lo, s0
	s_mov_b32 s0, exec_lo
	s_waitcnt lgkmcnt(0)
	s_waitcnt_vscnt null, 0x0
	s_barrier
	buffer_gl0_inv
	v_cmpx_lt_i32_e32 17, v113
	s_cbranch_execz .LBB96_301
; %bb.300:
	v_mul_f64 v[64:65], v[0:1], v[64:65]
	ds_read2_b64 v[114:117], v110 offset0:18 offset1:19
	ds_read2_b64 v[118:121], v110 offset0:20 offset1:21
	;; [unrolled: 1-line block ×13, first 2 shown]
	ds_read_b64 v[0:1], v110 offset:384
	s_waitcnt lgkmcnt(13)
	v_fma_f64 v[66:67], -v[64:65], v[114:115], v[66:67]
	v_fma_f64 v[62:63], -v[64:65], v[116:117], v[62:63]
	s_waitcnt lgkmcnt(12)
	v_fma_f64 v[60:61], -v[64:65], v[118:119], v[60:61]
	v_fma_f64 v[58:59], -v[64:65], v[120:121], v[58:59]
	ds_read2_b64 v[114:117], v110 offset0:44 offset1:45
	ds_read2_b64 v[118:121], v110 offset0:46 offset1:47
	s_waitcnt lgkmcnt(13)
	v_fma_f64 v[56:57], -v[64:65], v[122:123], v[56:57]
	v_fma_f64 v[54:55], -v[64:65], v[124:125], v[54:55]
	s_waitcnt lgkmcnt(12)
	v_fma_f64 v[52:53], -v[64:65], v[126:127], v[52:53]
	v_fma_f64 v[48:49], -v[64:65], v[128:129], v[48:49]
	;; [unrolled: 3-line block ×13, first 2 shown]
	v_fma_f64 v[102:103], -v[64:65], v[0:1], v[102:103]
.LBB96_301:
	s_or_b32 exec_lo, exec_lo, s0
	v_lshl_add_u32 v0, v113, 3, v110
	s_barrier
	buffer_gl0_inv
	v_mov_b32_e32 v104, 18
	ds_write_b64 v0, v[66:67]
	s_waitcnt lgkmcnt(0)
	s_barrier
	buffer_gl0_inv
	ds_read_b64 v[0:1], v110 offset:144
	s_cmp_lt_i32 s7, 20
	s_cbranch_scc1 .LBB96_304
; %bb.302:
	v_add3_u32 v105, v111, 0, 0x98
	v_mov_b32_e32 v104, 18
	s_mov_b32 s0, 19
.LBB96_303:                             ; =>This Inner Loop Header: Depth=1
	ds_read_b64 v[114:115], v105
	v_add_nc_u32_e32 v105, 8, v105
	s_waitcnt lgkmcnt(0)
	v_cmp_lt_f64_e64 vcc_lo, |v[0:1]|, |v[114:115]|
	v_cndmask_b32_e32 v1, v1, v115, vcc_lo
	v_cndmask_b32_e32 v0, v0, v114, vcc_lo
	v_cndmask_b32_e64 v104, v104, s0, vcc_lo
	s_add_i32 s0, s0, 1
	s_cmp_lg_u32 s7, s0
	s_cbranch_scc1 .LBB96_303
.LBB96_304:
	s_mov_b32 s0, exec_lo
	s_waitcnt lgkmcnt(0)
	v_cmpx_eq_f64_e32 0, v[0:1]
	s_xor_b32 s0, exec_lo, s0
; %bb.305:
	v_cmp_ne_u32_e32 vcc_lo, 0, v107
	v_cndmask_b32_e32 v107, 19, v107, vcc_lo
; %bb.306:
	s_andn2_saveexec_b32 s0, s0
	s_cbranch_execz .LBB96_308
; %bb.307:
	v_div_scale_f64 v[105:106], null, v[0:1], v[0:1], 1.0
	v_rcp_f64_e32 v[114:115], v[105:106]
	v_fma_f64 v[116:117], -v[105:106], v[114:115], 1.0
	v_fma_f64 v[114:115], v[114:115], v[116:117], v[114:115]
	v_fma_f64 v[116:117], -v[105:106], v[114:115], 1.0
	v_fma_f64 v[114:115], v[114:115], v[116:117], v[114:115]
	v_div_scale_f64 v[116:117], vcc_lo, 1.0, v[0:1], 1.0
	v_mul_f64 v[118:119], v[116:117], v[114:115]
	v_fma_f64 v[105:106], -v[105:106], v[118:119], v[116:117]
	v_div_fmas_f64 v[105:106], v[105:106], v[114:115], v[118:119]
	v_div_fixup_f64 v[0:1], v[105:106], v[0:1], 1.0
.LBB96_308:
	s_or_b32 exec_lo, exec_lo, s0
	s_mov_b32 s0, exec_lo
	v_cmpx_ne_u32_e64 v113, v104
	s_xor_b32 s0, exec_lo, s0
	s_cbranch_execz .LBB96_314
; %bb.309:
	s_mov_b32 s1, exec_lo
	v_cmpx_eq_u32_e32 18, v113
	s_cbranch_execz .LBB96_313
; %bb.310:
	v_cmp_ne_u32_e32 vcc_lo, 18, v104
	s_xor_b32 s2, s6, -1
	s_and_b32 s3, s2, vcc_lo
	s_and_saveexec_b32 s2, s3
	s_cbranch_execz .LBB96_312
; %bb.311:
	v_ashrrev_i32_e32 v105, 31, v104
	v_lshlrev_b64 v[105:106], 2, v[104:105]
	v_add_co_u32 v105, vcc_lo, v4, v105
	v_add_co_ci_u32_e64 v106, null, v5, v106, vcc_lo
	s_clause 0x1
	global_load_dword v112, v[105:106], off
	global_load_dword v113, v[4:5], off offset:72
	s_waitcnt vmcnt(1)
	global_store_dword v[4:5], v112, off offset:72
	s_waitcnt vmcnt(0)
	global_store_dword v[105:106], v113, off
.LBB96_312:
	s_or_b32 exec_lo, exec_lo, s2
	v_mov_b32_e32 v112, v104
	v_mov_b32_e32 v113, v104
.LBB96_313:
	s_or_b32 exec_lo, exec_lo, s1
.LBB96_314:
	s_andn2_saveexec_b32 s0, s0
	s_cbranch_execz .LBB96_316
; %bb.315:
	v_mov_b32_e32 v113, 18
	ds_write2_b64 v110, v[62:63], v[60:61] offset0:19 offset1:20
	ds_write2_b64 v110, v[58:59], v[56:57] offset0:21 offset1:22
	;; [unrolled: 1-line block ×15, first 2 shown]
.LBB96_316:
	s_or_b32 exec_lo, exec_lo, s0
	s_mov_b32 s0, exec_lo
	s_waitcnt lgkmcnt(0)
	s_waitcnt_vscnt null, 0x0
	s_barrier
	buffer_gl0_inv
	v_cmpx_lt_i32_e32 18, v113
	s_cbranch_execz .LBB96_318
; %bb.317:
	v_mul_f64 v[66:67], v[0:1], v[66:67]
	ds_read2_b64 v[114:117], v110 offset0:19 offset1:20
	ds_read2_b64 v[118:121], v110 offset0:21 offset1:22
	;; [unrolled: 1-line block ×14, first 2 shown]
	s_waitcnt lgkmcnt(13)
	v_fma_f64 v[62:63], -v[66:67], v[114:115], v[62:63]
	v_fma_f64 v[60:61], -v[66:67], v[116:117], v[60:61]
	ds_read2_b64 v[114:117], v110 offset0:47 offset1:48
	s_waitcnt lgkmcnt(13)
	v_fma_f64 v[58:59], -v[66:67], v[118:119], v[58:59]
	v_fma_f64 v[56:57], -v[66:67], v[120:121], v[56:57]
	s_waitcnt lgkmcnt(12)
	v_fma_f64 v[54:55], -v[66:67], v[122:123], v[54:55]
	v_fma_f64 v[52:53], -v[66:67], v[124:125], v[52:53]
	;; [unrolled: 3-line block ×14, first 2 shown]
.LBB96_318:
	s_or_b32 exec_lo, exec_lo, s0
	v_lshl_add_u32 v0, v113, 3, v110
	s_barrier
	buffer_gl0_inv
	v_mov_b32_e32 v104, 19
	ds_write_b64 v0, v[62:63]
	s_waitcnt lgkmcnt(0)
	s_barrier
	buffer_gl0_inv
	ds_read_b64 v[0:1], v110 offset:152
	s_cmp_lt_i32 s7, 21
	s_cbranch_scc1 .LBB96_321
; %bb.319:
	v_add3_u32 v105, v111, 0, 0xa0
	v_mov_b32_e32 v104, 19
	s_mov_b32 s0, 20
.LBB96_320:                             ; =>This Inner Loop Header: Depth=1
	ds_read_b64 v[114:115], v105
	v_add_nc_u32_e32 v105, 8, v105
	s_waitcnt lgkmcnt(0)
	v_cmp_lt_f64_e64 vcc_lo, |v[0:1]|, |v[114:115]|
	v_cndmask_b32_e32 v1, v1, v115, vcc_lo
	v_cndmask_b32_e32 v0, v0, v114, vcc_lo
	v_cndmask_b32_e64 v104, v104, s0, vcc_lo
	s_add_i32 s0, s0, 1
	s_cmp_lg_u32 s7, s0
	s_cbranch_scc1 .LBB96_320
.LBB96_321:
	s_mov_b32 s0, exec_lo
	s_waitcnt lgkmcnt(0)
	v_cmpx_eq_f64_e32 0, v[0:1]
	s_xor_b32 s0, exec_lo, s0
; %bb.322:
	v_cmp_ne_u32_e32 vcc_lo, 0, v107
	v_cndmask_b32_e32 v107, 20, v107, vcc_lo
; %bb.323:
	s_andn2_saveexec_b32 s0, s0
	s_cbranch_execz .LBB96_325
; %bb.324:
	v_div_scale_f64 v[105:106], null, v[0:1], v[0:1], 1.0
	v_rcp_f64_e32 v[114:115], v[105:106]
	v_fma_f64 v[116:117], -v[105:106], v[114:115], 1.0
	v_fma_f64 v[114:115], v[114:115], v[116:117], v[114:115]
	v_fma_f64 v[116:117], -v[105:106], v[114:115], 1.0
	v_fma_f64 v[114:115], v[114:115], v[116:117], v[114:115]
	v_div_scale_f64 v[116:117], vcc_lo, 1.0, v[0:1], 1.0
	v_mul_f64 v[118:119], v[116:117], v[114:115]
	v_fma_f64 v[105:106], -v[105:106], v[118:119], v[116:117]
	v_div_fmas_f64 v[105:106], v[105:106], v[114:115], v[118:119]
	v_div_fixup_f64 v[0:1], v[105:106], v[0:1], 1.0
.LBB96_325:
	s_or_b32 exec_lo, exec_lo, s0
	s_mov_b32 s0, exec_lo
	v_cmpx_ne_u32_e64 v113, v104
	s_xor_b32 s0, exec_lo, s0
	s_cbranch_execz .LBB96_331
; %bb.326:
	s_mov_b32 s1, exec_lo
	v_cmpx_eq_u32_e32 19, v113
	s_cbranch_execz .LBB96_330
; %bb.327:
	v_cmp_ne_u32_e32 vcc_lo, 19, v104
	s_xor_b32 s2, s6, -1
	s_and_b32 s3, s2, vcc_lo
	s_and_saveexec_b32 s2, s3
	s_cbranch_execz .LBB96_329
; %bb.328:
	v_ashrrev_i32_e32 v105, 31, v104
	v_lshlrev_b64 v[105:106], 2, v[104:105]
	v_add_co_u32 v105, vcc_lo, v4, v105
	v_add_co_ci_u32_e64 v106, null, v5, v106, vcc_lo
	s_clause 0x1
	global_load_dword v112, v[105:106], off
	global_load_dword v113, v[4:5], off offset:76
	s_waitcnt vmcnt(1)
	global_store_dword v[4:5], v112, off offset:76
	s_waitcnt vmcnt(0)
	global_store_dword v[105:106], v113, off
.LBB96_329:
	s_or_b32 exec_lo, exec_lo, s2
	v_mov_b32_e32 v112, v104
	v_mov_b32_e32 v113, v104
.LBB96_330:
	s_or_b32 exec_lo, exec_lo, s1
.LBB96_331:
	s_andn2_saveexec_b32 s0, s0
	s_cbranch_execz .LBB96_333
; %bb.332:
	v_mov_b32_e32 v104, v60
	v_mov_b32_e32 v105, v61
	;; [unrolled: 1-line block ×20, first 2 shown]
	ds_write2_b64 v110, v[104:105], v[113:114] offset0:20 offset1:21
	ds_write2_b64 v110, v[115:116], v[117:118] offset0:22 offset1:23
	;; [unrolled: 1-line block ×5, first 2 shown]
	v_mov_b32_e32 v104, v40
	v_mov_b32_e32 v105, v41
	;; [unrolled: 1-line block ×20, first 2 shown]
	ds_write2_b64 v110, v[104:105], v[113:114] offset0:30 offset1:31
	ds_write2_b64 v110, v[115:116], v[117:118] offset0:32 offset1:33
	;; [unrolled: 1-line block ×5, first 2 shown]
	v_mov_b32_e32 v104, v20
	v_mov_b32_e32 v105, v21
	;; [unrolled: 1-line block ×8, first 2 shown]
	ds_write2_b64 v110, v[104:105], v[113:114] offset0:40 offset1:41
	v_mov_b32_e32 v113, 19
	v_mov_b32_e32 v119, v12
	;; [unrolled: 1-line block ×9, first 2 shown]
	ds_write2_b64 v110, v[115:116], v[117:118] offset0:42 offset1:43
	ds_write2_b64 v110, v[119:120], v[121:122] offset0:44 offset1:45
	;; [unrolled: 1-line block ×3, first 2 shown]
	ds_write_b64 v110, v[102:103] offset:384
.LBB96_333:
	s_or_b32 exec_lo, exec_lo, s0
	s_mov_b32 s0, exec_lo
	s_waitcnt lgkmcnt(0)
	s_waitcnt_vscnt null, 0x0
	s_barrier
	buffer_gl0_inv
	v_cmpx_lt_i32_e32 19, v113
	s_cbranch_execz .LBB96_335
; %bb.334:
	v_mul_f64 v[62:63], v[0:1], v[62:63]
	ds_read2_b64 v[114:117], v110 offset0:20 offset1:21
	ds_read2_b64 v[118:121], v110 offset0:22 offset1:23
	;; [unrolled: 1-line block ×14, first 2 shown]
	ds_read_b64 v[0:1], v110 offset:384
	s_waitcnt lgkmcnt(14)
	v_fma_f64 v[60:61], -v[62:63], v[114:115], v[60:61]
	v_fma_f64 v[58:59], -v[62:63], v[116:117], v[58:59]
	s_waitcnt lgkmcnt(13)
	v_fma_f64 v[56:57], -v[62:63], v[118:119], v[56:57]
	v_fma_f64 v[54:55], -v[62:63], v[120:121], v[54:55]
	;; [unrolled: 3-line block ×14, first 2 shown]
	s_waitcnt lgkmcnt(0)
	v_fma_f64 v[102:103], -v[62:63], v[0:1], v[102:103]
.LBB96_335:
	s_or_b32 exec_lo, exec_lo, s0
	v_lshl_add_u32 v0, v113, 3, v110
	s_barrier
	buffer_gl0_inv
	v_mov_b32_e32 v104, 20
	ds_write_b64 v0, v[60:61]
	s_waitcnt lgkmcnt(0)
	s_barrier
	buffer_gl0_inv
	ds_read_b64 v[0:1], v110 offset:160
	s_cmp_lt_i32 s7, 22
	s_cbranch_scc1 .LBB96_338
; %bb.336:
	v_add3_u32 v105, v111, 0, 0xa8
	v_mov_b32_e32 v104, 20
	s_mov_b32 s0, 21
.LBB96_337:                             ; =>This Inner Loop Header: Depth=1
	ds_read_b64 v[114:115], v105
	v_add_nc_u32_e32 v105, 8, v105
	s_waitcnt lgkmcnt(0)
	v_cmp_lt_f64_e64 vcc_lo, |v[0:1]|, |v[114:115]|
	v_cndmask_b32_e32 v1, v1, v115, vcc_lo
	v_cndmask_b32_e32 v0, v0, v114, vcc_lo
	v_cndmask_b32_e64 v104, v104, s0, vcc_lo
	s_add_i32 s0, s0, 1
	s_cmp_lg_u32 s7, s0
	s_cbranch_scc1 .LBB96_337
.LBB96_338:
	s_mov_b32 s0, exec_lo
	s_waitcnt lgkmcnt(0)
	v_cmpx_eq_f64_e32 0, v[0:1]
	s_xor_b32 s0, exec_lo, s0
; %bb.339:
	v_cmp_ne_u32_e32 vcc_lo, 0, v107
	v_cndmask_b32_e32 v107, 21, v107, vcc_lo
; %bb.340:
	s_andn2_saveexec_b32 s0, s0
	s_cbranch_execz .LBB96_342
; %bb.341:
	v_div_scale_f64 v[105:106], null, v[0:1], v[0:1], 1.0
	v_rcp_f64_e32 v[114:115], v[105:106]
	v_fma_f64 v[116:117], -v[105:106], v[114:115], 1.0
	v_fma_f64 v[114:115], v[114:115], v[116:117], v[114:115]
	v_fma_f64 v[116:117], -v[105:106], v[114:115], 1.0
	v_fma_f64 v[114:115], v[114:115], v[116:117], v[114:115]
	v_div_scale_f64 v[116:117], vcc_lo, 1.0, v[0:1], 1.0
	v_mul_f64 v[118:119], v[116:117], v[114:115]
	v_fma_f64 v[105:106], -v[105:106], v[118:119], v[116:117]
	v_div_fmas_f64 v[105:106], v[105:106], v[114:115], v[118:119]
	v_div_fixup_f64 v[0:1], v[105:106], v[0:1], 1.0
.LBB96_342:
	s_or_b32 exec_lo, exec_lo, s0
	s_mov_b32 s0, exec_lo
	v_cmpx_ne_u32_e64 v113, v104
	s_xor_b32 s0, exec_lo, s0
	s_cbranch_execz .LBB96_348
; %bb.343:
	s_mov_b32 s1, exec_lo
	v_cmpx_eq_u32_e32 20, v113
	s_cbranch_execz .LBB96_347
; %bb.344:
	v_cmp_ne_u32_e32 vcc_lo, 20, v104
	s_xor_b32 s2, s6, -1
	s_and_b32 s3, s2, vcc_lo
	s_and_saveexec_b32 s2, s3
	s_cbranch_execz .LBB96_346
; %bb.345:
	v_ashrrev_i32_e32 v105, 31, v104
	v_lshlrev_b64 v[105:106], 2, v[104:105]
	v_add_co_u32 v105, vcc_lo, v4, v105
	v_add_co_ci_u32_e64 v106, null, v5, v106, vcc_lo
	s_clause 0x1
	global_load_dword v112, v[105:106], off
	global_load_dword v113, v[4:5], off offset:80
	s_waitcnt vmcnt(1)
	global_store_dword v[4:5], v112, off offset:80
	s_waitcnt vmcnt(0)
	global_store_dword v[105:106], v113, off
.LBB96_346:
	s_or_b32 exec_lo, exec_lo, s2
	v_mov_b32_e32 v112, v104
	v_mov_b32_e32 v113, v104
.LBB96_347:
	s_or_b32 exec_lo, exec_lo, s1
.LBB96_348:
	s_andn2_saveexec_b32 s0, s0
	s_cbranch_execz .LBB96_350
; %bb.349:
	v_mov_b32_e32 v113, 20
	ds_write2_b64 v110, v[58:59], v[56:57] offset0:21 offset1:22
	ds_write2_b64 v110, v[54:55], v[52:53] offset0:23 offset1:24
	;; [unrolled: 1-line block ×14, first 2 shown]
.LBB96_350:
	s_or_b32 exec_lo, exec_lo, s0
	s_mov_b32 s0, exec_lo
	s_waitcnt lgkmcnt(0)
	s_waitcnt_vscnt null, 0x0
	s_barrier
	buffer_gl0_inv
	v_cmpx_lt_i32_e32 20, v113
	s_cbranch_execz .LBB96_352
; %bb.351:
	v_mul_f64 v[60:61], v[0:1], v[60:61]
	ds_read2_b64 v[114:117], v110 offset0:21 offset1:22
	ds_read2_b64 v[118:121], v110 offset0:23 offset1:24
	;; [unrolled: 1-line block ×14, first 2 shown]
	s_waitcnt lgkmcnt(13)
	v_fma_f64 v[58:59], -v[60:61], v[114:115], v[58:59]
	v_fma_f64 v[56:57], -v[60:61], v[116:117], v[56:57]
	s_waitcnt lgkmcnt(12)
	v_fma_f64 v[54:55], -v[60:61], v[118:119], v[54:55]
	v_fma_f64 v[52:53], -v[60:61], v[120:121], v[52:53]
	;; [unrolled: 3-line block ×14, first 2 shown]
.LBB96_352:
	s_or_b32 exec_lo, exec_lo, s0
	v_lshl_add_u32 v0, v113, 3, v110
	s_barrier
	buffer_gl0_inv
	v_mov_b32_e32 v104, 21
	ds_write_b64 v0, v[58:59]
	s_waitcnt lgkmcnt(0)
	s_barrier
	buffer_gl0_inv
	ds_read_b64 v[0:1], v110 offset:168
	s_cmp_lt_i32 s7, 23
	s_cbranch_scc1 .LBB96_355
; %bb.353:
	v_add3_u32 v105, v111, 0, 0xb0
	v_mov_b32_e32 v104, 21
	s_mov_b32 s0, 22
.LBB96_354:                             ; =>This Inner Loop Header: Depth=1
	ds_read_b64 v[114:115], v105
	v_add_nc_u32_e32 v105, 8, v105
	s_waitcnt lgkmcnt(0)
	v_cmp_lt_f64_e64 vcc_lo, |v[0:1]|, |v[114:115]|
	v_cndmask_b32_e32 v1, v1, v115, vcc_lo
	v_cndmask_b32_e32 v0, v0, v114, vcc_lo
	v_cndmask_b32_e64 v104, v104, s0, vcc_lo
	s_add_i32 s0, s0, 1
	s_cmp_lg_u32 s7, s0
	s_cbranch_scc1 .LBB96_354
.LBB96_355:
	s_mov_b32 s0, exec_lo
	s_waitcnt lgkmcnt(0)
	v_cmpx_eq_f64_e32 0, v[0:1]
	s_xor_b32 s0, exec_lo, s0
; %bb.356:
	v_cmp_ne_u32_e32 vcc_lo, 0, v107
	v_cndmask_b32_e32 v107, 22, v107, vcc_lo
; %bb.357:
	s_andn2_saveexec_b32 s0, s0
	s_cbranch_execz .LBB96_359
; %bb.358:
	v_div_scale_f64 v[105:106], null, v[0:1], v[0:1], 1.0
	v_rcp_f64_e32 v[114:115], v[105:106]
	v_fma_f64 v[116:117], -v[105:106], v[114:115], 1.0
	v_fma_f64 v[114:115], v[114:115], v[116:117], v[114:115]
	v_fma_f64 v[116:117], -v[105:106], v[114:115], 1.0
	v_fma_f64 v[114:115], v[114:115], v[116:117], v[114:115]
	v_div_scale_f64 v[116:117], vcc_lo, 1.0, v[0:1], 1.0
	v_mul_f64 v[118:119], v[116:117], v[114:115]
	v_fma_f64 v[105:106], -v[105:106], v[118:119], v[116:117]
	v_div_fmas_f64 v[105:106], v[105:106], v[114:115], v[118:119]
	v_div_fixup_f64 v[0:1], v[105:106], v[0:1], 1.0
.LBB96_359:
	s_or_b32 exec_lo, exec_lo, s0
	s_mov_b32 s0, exec_lo
	v_cmpx_ne_u32_e64 v113, v104
	s_xor_b32 s0, exec_lo, s0
	s_cbranch_execz .LBB96_365
; %bb.360:
	s_mov_b32 s1, exec_lo
	v_cmpx_eq_u32_e32 21, v113
	s_cbranch_execz .LBB96_364
; %bb.361:
	v_cmp_ne_u32_e32 vcc_lo, 21, v104
	s_xor_b32 s2, s6, -1
	s_and_b32 s3, s2, vcc_lo
	s_and_saveexec_b32 s2, s3
	s_cbranch_execz .LBB96_363
; %bb.362:
	v_ashrrev_i32_e32 v105, 31, v104
	v_lshlrev_b64 v[105:106], 2, v[104:105]
	v_add_co_u32 v105, vcc_lo, v4, v105
	v_add_co_ci_u32_e64 v106, null, v5, v106, vcc_lo
	s_clause 0x1
	global_load_dword v112, v[105:106], off
	global_load_dword v113, v[4:5], off offset:84
	s_waitcnt vmcnt(1)
	global_store_dword v[4:5], v112, off offset:84
	s_waitcnt vmcnt(0)
	global_store_dword v[105:106], v113, off
.LBB96_363:
	s_or_b32 exec_lo, exec_lo, s2
	v_mov_b32_e32 v112, v104
	v_mov_b32_e32 v113, v104
.LBB96_364:
	s_or_b32 exec_lo, exec_lo, s1
.LBB96_365:
	s_andn2_saveexec_b32 s0, s0
	s_cbranch_execz .LBB96_367
; %bb.366:
	v_mov_b32_e32 v104, v56
	v_mov_b32_e32 v105, v57
	;; [unrolled: 1-line block ×16, first 2 shown]
	ds_write2_b64 v110, v[104:105], v[113:114] offset0:22 offset1:23
	ds_write2_b64 v110, v[115:116], v[117:118] offset0:24 offset1:25
	ds_write2_b64 v110, v[119:120], v[121:122] offset0:26 offset1:27
	ds_write2_b64 v110, v[123:124], v[125:126] offset0:28 offset1:29
	v_mov_b32_e32 v104, v40
	v_mov_b32_e32 v105, v41
	;; [unrolled: 1-line block ×20, first 2 shown]
	ds_write2_b64 v110, v[104:105], v[113:114] offset0:30 offset1:31
	ds_write2_b64 v110, v[115:116], v[117:118] offset0:32 offset1:33
	;; [unrolled: 1-line block ×5, first 2 shown]
	v_mov_b32_e32 v104, v20
	v_mov_b32_e32 v105, v21
	;; [unrolled: 1-line block ×8, first 2 shown]
	ds_write2_b64 v110, v[104:105], v[113:114] offset0:40 offset1:41
	v_mov_b32_e32 v113, 21
	v_mov_b32_e32 v119, v12
	;; [unrolled: 1-line block ×9, first 2 shown]
	ds_write2_b64 v110, v[115:116], v[117:118] offset0:42 offset1:43
	ds_write2_b64 v110, v[119:120], v[121:122] offset0:44 offset1:45
	;; [unrolled: 1-line block ×3, first 2 shown]
	ds_write_b64 v110, v[102:103] offset:384
.LBB96_367:
	s_or_b32 exec_lo, exec_lo, s0
	s_mov_b32 s0, exec_lo
	s_waitcnt lgkmcnt(0)
	s_waitcnt_vscnt null, 0x0
	s_barrier
	buffer_gl0_inv
	v_cmpx_lt_i32_e32 21, v113
	s_cbranch_execz .LBB96_369
; %bb.368:
	v_mul_f64 v[58:59], v[0:1], v[58:59]
	ds_read2_b64 v[114:117], v110 offset0:22 offset1:23
	ds_read2_b64 v[118:121], v110 offset0:24 offset1:25
	;; [unrolled: 1-line block ×13, first 2 shown]
	ds_read_b64 v[0:1], v110 offset:384
	s_waitcnt lgkmcnt(13)
	v_fma_f64 v[56:57], -v[58:59], v[114:115], v[56:57]
	v_fma_f64 v[54:55], -v[58:59], v[116:117], v[54:55]
	s_waitcnt lgkmcnt(12)
	v_fma_f64 v[52:53], -v[58:59], v[118:119], v[52:53]
	v_fma_f64 v[48:49], -v[58:59], v[120:121], v[48:49]
	s_waitcnt lgkmcnt(11)
	v_fma_f64 v[50:51], -v[58:59], v[122:123], v[50:51]
	v_fma_f64 v[44:45], -v[58:59], v[124:125], v[44:45]
	s_waitcnt lgkmcnt(10)
	v_fma_f64 v[46:47], -v[58:59], v[126:127], v[46:47]
	v_fma_f64 v[42:43], -v[58:59], v[128:129], v[42:43]
	s_waitcnt lgkmcnt(9)
	v_fma_f64 v[40:41], -v[58:59], v[130:131], v[40:41]
	v_fma_f64 v[38:39], -v[58:59], v[132:133], v[38:39]
	s_waitcnt lgkmcnt(8)
	v_fma_f64 v[36:37], -v[58:59], v[134:135], v[36:37]
	v_fma_f64 v[34:35], -v[58:59], v[136:137], v[34:35]
	s_waitcnt lgkmcnt(7)
	v_fma_f64 v[32:33], -v[58:59], v[138:139], v[32:33]
	v_fma_f64 v[28:29], -v[58:59], v[140:141], v[28:29]
	s_waitcnt lgkmcnt(6)
	v_fma_f64 v[30:31], -v[58:59], v[142:143], v[30:31]
	v_fma_f64 v[24:25], -v[58:59], v[144:145], v[24:25]
	s_waitcnt lgkmcnt(5)
	v_fma_f64 v[26:27], -v[58:59], v[146:147], v[26:27]
	v_fma_f64 v[22:23], -v[58:59], v[148:149], v[22:23]
	s_waitcnt lgkmcnt(4)
	v_fma_f64 v[20:21], -v[58:59], v[150:151], v[20:21]
	v_fma_f64 v[18:19], -v[58:59], v[152:153], v[18:19]
	s_waitcnt lgkmcnt(3)
	v_fma_f64 v[16:17], -v[58:59], v[154:155], v[16:17]
	v_fma_f64 v[14:15], -v[58:59], v[156:157], v[14:15]
	s_waitcnt lgkmcnt(2)
	v_fma_f64 v[12:13], -v[58:59], v[158:159], v[12:13]
	v_fma_f64 v[8:9], -v[58:59], v[160:161], v[8:9]
	s_waitcnt lgkmcnt(1)
	v_fma_f64 v[10:11], -v[58:59], v[162:163], v[10:11]
	v_fma_f64 v[6:7], -v[58:59], v[164:165], v[6:7]
	s_waitcnt lgkmcnt(0)
	v_fma_f64 v[102:103], -v[58:59], v[0:1], v[102:103]
.LBB96_369:
	s_or_b32 exec_lo, exec_lo, s0
	v_lshl_add_u32 v0, v113, 3, v110
	s_barrier
	buffer_gl0_inv
	v_mov_b32_e32 v104, 22
	ds_write_b64 v0, v[56:57]
	s_waitcnt lgkmcnt(0)
	s_barrier
	buffer_gl0_inv
	ds_read_b64 v[0:1], v110 offset:176
	s_cmp_lt_i32 s7, 24
	s_cbranch_scc1 .LBB96_372
; %bb.370:
	v_add3_u32 v105, v111, 0, 0xb8
	v_mov_b32_e32 v104, 22
	s_mov_b32 s0, 23
.LBB96_371:                             ; =>This Inner Loop Header: Depth=1
	ds_read_b64 v[114:115], v105
	v_add_nc_u32_e32 v105, 8, v105
	s_waitcnt lgkmcnt(0)
	v_cmp_lt_f64_e64 vcc_lo, |v[0:1]|, |v[114:115]|
	v_cndmask_b32_e32 v1, v1, v115, vcc_lo
	v_cndmask_b32_e32 v0, v0, v114, vcc_lo
	v_cndmask_b32_e64 v104, v104, s0, vcc_lo
	s_add_i32 s0, s0, 1
	s_cmp_lg_u32 s7, s0
	s_cbranch_scc1 .LBB96_371
.LBB96_372:
	s_mov_b32 s0, exec_lo
	s_waitcnt lgkmcnt(0)
	v_cmpx_eq_f64_e32 0, v[0:1]
	s_xor_b32 s0, exec_lo, s0
; %bb.373:
	v_cmp_ne_u32_e32 vcc_lo, 0, v107
	v_cndmask_b32_e32 v107, 23, v107, vcc_lo
; %bb.374:
	s_andn2_saveexec_b32 s0, s0
	s_cbranch_execz .LBB96_376
; %bb.375:
	v_div_scale_f64 v[105:106], null, v[0:1], v[0:1], 1.0
	v_rcp_f64_e32 v[114:115], v[105:106]
	v_fma_f64 v[116:117], -v[105:106], v[114:115], 1.0
	v_fma_f64 v[114:115], v[114:115], v[116:117], v[114:115]
	v_fma_f64 v[116:117], -v[105:106], v[114:115], 1.0
	v_fma_f64 v[114:115], v[114:115], v[116:117], v[114:115]
	v_div_scale_f64 v[116:117], vcc_lo, 1.0, v[0:1], 1.0
	v_mul_f64 v[118:119], v[116:117], v[114:115]
	v_fma_f64 v[105:106], -v[105:106], v[118:119], v[116:117]
	v_div_fmas_f64 v[105:106], v[105:106], v[114:115], v[118:119]
	v_div_fixup_f64 v[0:1], v[105:106], v[0:1], 1.0
.LBB96_376:
	s_or_b32 exec_lo, exec_lo, s0
	s_mov_b32 s0, exec_lo
	v_cmpx_ne_u32_e64 v113, v104
	s_xor_b32 s0, exec_lo, s0
	s_cbranch_execz .LBB96_382
; %bb.377:
	s_mov_b32 s1, exec_lo
	v_cmpx_eq_u32_e32 22, v113
	s_cbranch_execz .LBB96_381
; %bb.378:
	v_cmp_ne_u32_e32 vcc_lo, 22, v104
	s_xor_b32 s2, s6, -1
	s_and_b32 s3, s2, vcc_lo
	s_and_saveexec_b32 s2, s3
	s_cbranch_execz .LBB96_380
; %bb.379:
	v_ashrrev_i32_e32 v105, 31, v104
	v_lshlrev_b64 v[105:106], 2, v[104:105]
	v_add_co_u32 v105, vcc_lo, v4, v105
	v_add_co_ci_u32_e64 v106, null, v5, v106, vcc_lo
	s_clause 0x1
	global_load_dword v112, v[105:106], off
	global_load_dword v113, v[4:5], off offset:88
	s_waitcnt vmcnt(1)
	global_store_dword v[4:5], v112, off offset:88
	s_waitcnt vmcnt(0)
	global_store_dword v[105:106], v113, off
.LBB96_380:
	s_or_b32 exec_lo, exec_lo, s2
	v_mov_b32_e32 v112, v104
	v_mov_b32_e32 v113, v104
.LBB96_381:
	s_or_b32 exec_lo, exec_lo, s1
.LBB96_382:
	s_andn2_saveexec_b32 s0, s0
	s_cbranch_execz .LBB96_384
; %bb.383:
	v_mov_b32_e32 v113, 22
	ds_write2_b64 v110, v[54:55], v[52:53] offset0:23 offset1:24
	ds_write2_b64 v110, v[48:49], v[50:51] offset0:25 offset1:26
	;; [unrolled: 1-line block ×13, first 2 shown]
.LBB96_384:
	s_or_b32 exec_lo, exec_lo, s0
	s_mov_b32 s0, exec_lo
	s_waitcnt lgkmcnt(0)
	s_waitcnt_vscnt null, 0x0
	s_barrier
	buffer_gl0_inv
	v_cmpx_lt_i32_e32 22, v113
	s_cbranch_execz .LBB96_386
; %bb.385:
	v_mul_f64 v[56:57], v[0:1], v[56:57]
	ds_read2_b64 v[114:117], v110 offset0:23 offset1:24
	ds_read2_b64 v[118:121], v110 offset0:25 offset1:26
	;; [unrolled: 1-line block ×13, first 2 shown]
	s_waitcnt lgkmcnt(12)
	v_fma_f64 v[54:55], -v[56:57], v[114:115], v[54:55]
	v_fma_f64 v[52:53], -v[56:57], v[116:117], v[52:53]
	s_waitcnt lgkmcnt(11)
	v_fma_f64 v[48:49], -v[56:57], v[118:119], v[48:49]
	v_fma_f64 v[50:51], -v[56:57], v[120:121], v[50:51]
	;; [unrolled: 3-line block ×13, first 2 shown]
.LBB96_386:
	s_or_b32 exec_lo, exec_lo, s0
	v_lshl_add_u32 v0, v113, 3, v110
	s_barrier
	buffer_gl0_inv
	v_mov_b32_e32 v104, 23
	ds_write_b64 v0, v[54:55]
	s_waitcnt lgkmcnt(0)
	s_barrier
	buffer_gl0_inv
	ds_read_b64 v[0:1], v110 offset:184
	s_cmp_lt_i32 s7, 25
	s_cbranch_scc1 .LBB96_389
; %bb.387:
	v_add3_u32 v105, v111, 0, 0xc0
	v_mov_b32_e32 v104, 23
	s_mov_b32 s0, 24
.LBB96_388:                             ; =>This Inner Loop Header: Depth=1
	ds_read_b64 v[114:115], v105
	v_add_nc_u32_e32 v105, 8, v105
	s_waitcnt lgkmcnt(0)
	v_cmp_lt_f64_e64 vcc_lo, |v[0:1]|, |v[114:115]|
	v_cndmask_b32_e32 v1, v1, v115, vcc_lo
	v_cndmask_b32_e32 v0, v0, v114, vcc_lo
	v_cndmask_b32_e64 v104, v104, s0, vcc_lo
	s_add_i32 s0, s0, 1
	s_cmp_lg_u32 s7, s0
	s_cbranch_scc1 .LBB96_388
.LBB96_389:
	s_mov_b32 s0, exec_lo
	s_waitcnt lgkmcnt(0)
	v_cmpx_eq_f64_e32 0, v[0:1]
	s_xor_b32 s0, exec_lo, s0
; %bb.390:
	v_cmp_ne_u32_e32 vcc_lo, 0, v107
	v_cndmask_b32_e32 v107, 24, v107, vcc_lo
; %bb.391:
	s_andn2_saveexec_b32 s0, s0
	s_cbranch_execz .LBB96_393
; %bb.392:
	v_div_scale_f64 v[105:106], null, v[0:1], v[0:1], 1.0
	v_rcp_f64_e32 v[114:115], v[105:106]
	v_fma_f64 v[116:117], -v[105:106], v[114:115], 1.0
	v_fma_f64 v[114:115], v[114:115], v[116:117], v[114:115]
	v_fma_f64 v[116:117], -v[105:106], v[114:115], 1.0
	v_fma_f64 v[114:115], v[114:115], v[116:117], v[114:115]
	v_div_scale_f64 v[116:117], vcc_lo, 1.0, v[0:1], 1.0
	v_mul_f64 v[118:119], v[116:117], v[114:115]
	v_fma_f64 v[105:106], -v[105:106], v[118:119], v[116:117]
	v_div_fmas_f64 v[105:106], v[105:106], v[114:115], v[118:119]
	v_div_fixup_f64 v[0:1], v[105:106], v[0:1], 1.0
.LBB96_393:
	s_or_b32 exec_lo, exec_lo, s0
	s_mov_b32 s0, exec_lo
	v_cmpx_ne_u32_e64 v113, v104
	s_xor_b32 s0, exec_lo, s0
	s_cbranch_execz .LBB96_399
; %bb.394:
	s_mov_b32 s1, exec_lo
	v_cmpx_eq_u32_e32 23, v113
	s_cbranch_execz .LBB96_398
; %bb.395:
	v_cmp_ne_u32_e32 vcc_lo, 23, v104
	s_xor_b32 s2, s6, -1
	s_and_b32 s3, s2, vcc_lo
	s_and_saveexec_b32 s2, s3
	s_cbranch_execz .LBB96_397
; %bb.396:
	v_ashrrev_i32_e32 v105, 31, v104
	v_lshlrev_b64 v[105:106], 2, v[104:105]
	v_add_co_u32 v105, vcc_lo, v4, v105
	v_add_co_ci_u32_e64 v106, null, v5, v106, vcc_lo
	s_clause 0x1
	global_load_dword v112, v[105:106], off
	global_load_dword v113, v[4:5], off offset:92
	s_waitcnt vmcnt(1)
	global_store_dword v[4:5], v112, off offset:92
	s_waitcnt vmcnt(0)
	global_store_dword v[105:106], v113, off
.LBB96_397:
	s_or_b32 exec_lo, exec_lo, s2
	v_mov_b32_e32 v112, v104
	v_mov_b32_e32 v113, v104
.LBB96_398:
	s_or_b32 exec_lo, exec_lo, s1
.LBB96_399:
	s_andn2_saveexec_b32 s0, s0
	s_cbranch_execz .LBB96_401
; %bb.400:
	v_mov_b32_e32 v104, v52
	v_mov_b32_e32 v105, v53
	;; [unrolled: 1-line block ×12, first 2 shown]
	ds_write2_b64 v110, v[104:105], v[113:114] offset0:24 offset1:25
	ds_write2_b64 v110, v[115:116], v[117:118] offset0:26 offset1:27
	;; [unrolled: 1-line block ×3, first 2 shown]
	v_mov_b32_e32 v104, v40
	v_mov_b32_e32 v105, v41
	;; [unrolled: 1-line block ×20, first 2 shown]
	ds_write2_b64 v110, v[104:105], v[113:114] offset0:30 offset1:31
	ds_write2_b64 v110, v[115:116], v[117:118] offset0:32 offset1:33
	;; [unrolled: 1-line block ×5, first 2 shown]
	v_mov_b32_e32 v104, v20
	v_mov_b32_e32 v105, v21
	;; [unrolled: 1-line block ×8, first 2 shown]
	ds_write2_b64 v110, v[104:105], v[113:114] offset0:40 offset1:41
	v_mov_b32_e32 v113, 23
	v_mov_b32_e32 v119, v12
	;; [unrolled: 1-line block ×9, first 2 shown]
	ds_write2_b64 v110, v[115:116], v[117:118] offset0:42 offset1:43
	ds_write2_b64 v110, v[119:120], v[121:122] offset0:44 offset1:45
	;; [unrolled: 1-line block ×3, first 2 shown]
	ds_write_b64 v110, v[102:103] offset:384
.LBB96_401:
	s_or_b32 exec_lo, exec_lo, s0
	s_mov_b32 s0, exec_lo
	s_waitcnt lgkmcnt(0)
	s_waitcnt_vscnt null, 0x0
	s_barrier
	buffer_gl0_inv
	v_cmpx_lt_i32_e32 23, v113
	s_cbranch_execz .LBB96_403
; %bb.402:
	v_mul_f64 v[54:55], v[0:1], v[54:55]
	ds_read2_b64 v[114:117], v110 offset0:24 offset1:25
	ds_read2_b64 v[118:121], v110 offset0:26 offset1:27
	;; [unrolled: 1-line block ×12, first 2 shown]
	ds_read_b64 v[0:1], v110 offset:384
	s_waitcnt lgkmcnt(12)
	v_fma_f64 v[52:53], -v[54:55], v[114:115], v[52:53]
	v_fma_f64 v[48:49], -v[54:55], v[116:117], v[48:49]
	s_waitcnt lgkmcnt(11)
	v_fma_f64 v[50:51], -v[54:55], v[118:119], v[50:51]
	v_fma_f64 v[44:45], -v[54:55], v[120:121], v[44:45]
	;; [unrolled: 3-line block ×12, first 2 shown]
	s_waitcnt lgkmcnt(0)
	v_fma_f64 v[102:103], -v[54:55], v[0:1], v[102:103]
.LBB96_403:
	s_or_b32 exec_lo, exec_lo, s0
	v_lshl_add_u32 v0, v113, 3, v110
	s_barrier
	buffer_gl0_inv
	v_mov_b32_e32 v104, 24
	ds_write_b64 v0, v[52:53]
	s_waitcnt lgkmcnt(0)
	s_barrier
	buffer_gl0_inv
	ds_read_b64 v[0:1], v110 offset:192
	s_cmp_lt_i32 s7, 26
	s_cbranch_scc1 .LBB96_406
; %bb.404:
	v_add3_u32 v105, v111, 0, 0xc8
	v_mov_b32_e32 v104, 24
	s_mov_b32 s0, 25
.LBB96_405:                             ; =>This Inner Loop Header: Depth=1
	ds_read_b64 v[114:115], v105
	v_add_nc_u32_e32 v105, 8, v105
	s_waitcnt lgkmcnt(0)
	v_cmp_lt_f64_e64 vcc_lo, |v[0:1]|, |v[114:115]|
	v_cndmask_b32_e32 v1, v1, v115, vcc_lo
	v_cndmask_b32_e32 v0, v0, v114, vcc_lo
	v_cndmask_b32_e64 v104, v104, s0, vcc_lo
	s_add_i32 s0, s0, 1
	s_cmp_lg_u32 s7, s0
	s_cbranch_scc1 .LBB96_405
.LBB96_406:
	s_mov_b32 s0, exec_lo
	s_waitcnt lgkmcnt(0)
	v_cmpx_eq_f64_e32 0, v[0:1]
	s_xor_b32 s0, exec_lo, s0
; %bb.407:
	v_cmp_ne_u32_e32 vcc_lo, 0, v107
	v_cndmask_b32_e32 v107, 25, v107, vcc_lo
; %bb.408:
	s_andn2_saveexec_b32 s0, s0
	s_cbranch_execz .LBB96_410
; %bb.409:
	v_div_scale_f64 v[105:106], null, v[0:1], v[0:1], 1.0
	v_rcp_f64_e32 v[114:115], v[105:106]
	v_fma_f64 v[116:117], -v[105:106], v[114:115], 1.0
	v_fma_f64 v[114:115], v[114:115], v[116:117], v[114:115]
	v_fma_f64 v[116:117], -v[105:106], v[114:115], 1.0
	v_fma_f64 v[114:115], v[114:115], v[116:117], v[114:115]
	v_div_scale_f64 v[116:117], vcc_lo, 1.0, v[0:1], 1.0
	v_mul_f64 v[118:119], v[116:117], v[114:115]
	v_fma_f64 v[105:106], -v[105:106], v[118:119], v[116:117]
	v_div_fmas_f64 v[105:106], v[105:106], v[114:115], v[118:119]
	v_div_fixup_f64 v[0:1], v[105:106], v[0:1], 1.0
.LBB96_410:
	s_or_b32 exec_lo, exec_lo, s0
	s_mov_b32 s0, exec_lo
	v_cmpx_ne_u32_e64 v113, v104
	s_xor_b32 s0, exec_lo, s0
	s_cbranch_execz .LBB96_416
; %bb.411:
	s_mov_b32 s1, exec_lo
	v_cmpx_eq_u32_e32 24, v113
	s_cbranch_execz .LBB96_415
; %bb.412:
	v_cmp_ne_u32_e32 vcc_lo, 24, v104
	s_xor_b32 s2, s6, -1
	s_and_b32 s3, s2, vcc_lo
	s_and_saveexec_b32 s2, s3
	s_cbranch_execz .LBB96_414
; %bb.413:
	v_ashrrev_i32_e32 v105, 31, v104
	v_lshlrev_b64 v[105:106], 2, v[104:105]
	v_add_co_u32 v105, vcc_lo, v4, v105
	v_add_co_ci_u32_e64 v106, null, v5, v106, vcc_lo
	s_clause 0x1
	global_load_dword v112, v[105:106], off
	global_load_dword v113, v[4:5], off offset:96
	s_waitcnt vmcnt(1)
	global_store_dword v[4:5], v112, off offset:96
	s_waitcnt vmcnt(0)
	global_store_dword v[105:106], v113, off
.LBB96_414:
	s_or_b32 exec_lo, exec_lo, s2
	v_mov_b32_e32 v112, v104
	v_mov_b32_e32 v113, v104
.LBB96_415:
	s_or_b32 exec_lo, exec_lo, s1
.LBB96_416:
	s_andn2_saveexec_b32 s0, s0
	s_cbranch_execz .LBB96_418
; %bb.417:
	v_mov_b32_e32 v113, 24
	ds_write2_b64 v110, v[48:49], v[50:51] offset0:25 offset1:26
	ds_write2_b64 v110, v[44:45], v[46:47] offset0:27 offset1:28
	;; [unrolled: 1-line block ×12, first 2 shown]
.LBB96_418:
	s_or_b32 exec_lo, exec_lo, s0
	s_mov_b32 s0, exec_lo
	s_waitcnt lgkmcnt(0)
	s_waitcnt_vscnt null, 0x0
	s_barrier
	buffer_gl0_inv
	v_cmpx_lt_i32_e32 24, v113
	s_cbranch_execz .LBB96_420
; %bb.419:
	v_mul_f64 v[52:53], v[0:1], v[52:53]
	ds_read2_b64 v[114:117], v110 offset0:25 offset1:26
	ds_read2_b64 v[118:121], v110 offset0:27 offset1:28
	;; [unrolled: 1-line block ×12, first 2 shown]
	s_waitcnt lgkmcnt(11)
	v_fma_f64 v[48:49], -v[52:53], v[114:115], v[48:49]
	v_fma_f64 v[50:51], -v[52:53], v[116:117], v[50:51]
	s_waitcnt lgkmcnt(10)
	v_fma_f64 v[44:45], -v[52:53], v[118:119], v[44:45]
	v_fma_f64 v[46:47], -v[52:53], v[120:121], v[46:47]
	;; [unrolled: 3-line block ×12, first 2 shown]
.LBB96_420:
	s_or_b32 exec_lo, exec_lo, s0
	v_lshl_add_u32 v0, v113, 3, v110
	s_barrier
	buffer_gl0_inv
	v_mov_b32_e32 v104, 25
	ds_write_b64 v0, v[48:49]
	s_waitcnt lgkmcnt(0)
	s_barrier
	buffer_gl0_inv
	ds_read_b64 v[0:1], v110 offset:200
	s_cmp_lt_i32 s7, 27
	s_cbranch_scc1 .LBB96_423
; %bb.421:
	v_add3_u32 v105, v111, 0, 0xd0
	v_mov_b32_e32 v104, 25
	s_mov_b32 s0, 26
.LBB96_422:                             ; =>This Inner Loop Header: Depth=1
	ds_read_b64 v[114:115], v105
	v_add_nc_u32_e32 v105, 8, v105
	s_waitcnt lgkmcnt(0)
	v_cmp_lt_f64_e64 vcc_lo, |v[0:1]|, |v[114:115]|
	v_cndmask_b32_e32 v1, v1, v115, vcc_lo
	v_cndmask_b32_e32 v0, v0, v114, vcc_lo
	v_cndmask_b32_e64 v104, v104, s0, vcc_lo
	s_add_i32 s0, s0, 1
	s_cmp_lg_u32 s7, s0
	s_cbranch_scc1 .LBB96_422
.LBB96_423:
	s_mov_b32 s0, exec_lo
	s_waitcnt lgkmcnt(0)
	v_cmpx_eq_f64_e32 0, v[0:1]
	s_xor_b32 s0, exec_lo, s0
; %bb.424:
	v_cmp_ne_u32_e32 vcc_lo, 0, v107
	v_cndmask_b32_e32 v107, 26, v107, vcc_lo
; %bb.425:
	s_andn2_saveexec_b32 s0, s0
	s_cbranch_execz .LBB96_427
; %bb.426:
	v_div_scale_f64 v[105:106], null, v[0:1], v[0:1], 1.0
	v_rcp_f64_e32 v[114:115], v[105:106]
	v_fma_f64 v[116:117], -v[105:106], v[114:115], 1.0
	v_fma_f64 v[114:115], v[114:115], v[116:117], v[114:115]
	v_fma_f64 v[116:117], -v[105:106], v[114:115], 1.0
	v_fma_f64 v[114:115], v[114:115], v[116:117], v[114:115]
	v_div_scale_f64 v[116:117], vcc_lo, 1.0, v[0:1], 1.0
	v_mul_f64 v[118:119], v[116:117], v[114:115]
	v_fma_f64 v[105:106], -v[105:106], v[118:119], v[116:117]
	v_div_fmas_f64 v[105:106], v[105:106], v[114:115], v[118:119]
	v_div_fixup_f64 v[0:1], v[105:106], v[0:1], 1.0
.LBB96_427:
	s_or_b32 exec_lo, exec_lo, s0
	s_mov_b32 s0, exec_lo
	v_cmpx_ne_u32_e64 v113, v104
	s_xor_b32 s0, exec_lo, s0
	s_cbranch_execz .LBB96_433
; %bb.428:
	s_mov_b32 s1, exec_lo
	v_cmpx_eq_u32_e32 25, v113
	s_cbranch_execz .LBB96_432
; %bb.429:
	v_cmp_ne_u32_e32 vcc_lo, 25, v104
	s_xor_b32 s2, s6, -1
	s_and_b32 s3, s2, vcc_lo
	s_and_saveexec_b32 s2, s3
	s_cbranch_execz .LBB96_431
; %bb.430:
	v_ashrrev_i32_e32 v105, 31, v104
	v_lshlrev_b64 v[105:106], 2, v[104:105]
	v_add_co_u32 v105, vcc_lo, v4, v105
	v_add_co_ci_u32_e64 v106, null, v5, v106, vcc_lo
	s_clause 0x1
	global_load_dword v112, v[105:106], off
	global_load_dword v113, v[4:5], off offset:100
	s_waitcnt vmcnt(1)
	global_store_dword v[4:5], v112, off offset:100
	s_waitcnt vmcnt(0)
	global_store_dword v[105:106], v113, off
.LBB96_431:
	s_or_b32 exec_lo, exec_lo, s2
	v_mov_b32_e32 v112, v104
	v_mov_b32_e32 v113, v104
.LBB96_432:
	s_or_b32 exec_lo, exec_lo, s1
.LBB96_433:
	s_andn2_saveexec_b32 s0, s0
	s_cbranch_execz .LBB96_435
; %bb.434:
	v_mov_b32_e32 v104, v50
	v_mov_b32_e32 v105, v51
	;; [unrolled: 1-line block ×8, first 2 shown]
	ds_write2_b64 v110, v[104:105], v[113:114] offset0:26 offset1:27
	ds_write2_b64 v110, v[115:116], v[117:118] offset0:28 offset1:29
	v_mov_b32_e32 v104, v40
	v_mov_b32_e32 v105, v41
	v_mov_b32_e32 v113, v38
	v_mov_b32_e32 v114, v39
	v_mov_b32_e32 v115, v36
	v_mov_b32_e32 v116, v37
	v_mov_b32_e32 v117, v34
	v_mov_b32_e32 v118, v35
	v_mov_b32_e32 v119, v32
	v_mov_b32_e32 v120, v33
	v_mov_b32_e32 v121, v28
	v_mov_b32_e32 v122, v29
	v_mov_b32_e32 v123, v30
	v_mov_b32_e32 v124, v31
	v_mov_b32_e32 v125, v24
	v_mov_b32_e32 v126, v25
	v_mov_b32_e32 v127, v26
	v_mov_b32_e32 v128, v27
	v_mov_b32_e32 v129, v22
	v_mov_b32_e32 v130, v23
	ds_write2_b64 v110, v[104:105], v[113:114] offset0:30 offset1:31
	ds_write2_b64 v110, v[115:116], v[117:118] offset0:32 offset1:33
	;; [unrolled: 1-line block ×5, first 2 shown]
	v_mov_b32_e32 v104, v20
	v_mov_b32_e32 v105, v21
	v_mov_b32_e32 v113, v18
	v_mov_b32_e32 v114, v19
	v_mov_b32_e32 v115, v16
	v_mov_b32_e32 v116, v17
	v_mov_b32_e32 v117, v14
	v_mov_b32_e32 v118, v15
	ds_write2_b64 v110, v[104:105], v[113:114] offset0:40 offset1:41
	v_mov_b32_e32 v113, 25
	v_mov_b32_e32 v119, v12
	;; [unrolled: 1-line block ×9, first 2 shown]
	ds_write2_b64 v110, v[115:116], v[117:118] offset0:42 offset1:43
	ds_write2_b64 v110, v[119:120], v[121:122] offset0:44 offset1:45
	;; [unrolled: 1-line block ×3, first 2 shown]
	ds_write_b64 v110, v[102:103] offset:384
.LBB96_435:
	s_or_b32 exec_lo, exec_lo, s0
	s_mov_b32 s0, exec_lo
	s_waitcnt lgkmcnt(0)
	s_waitcnt_vscnt null, 0x0
	s_barrier
	buffer_gl0_inv
	v_cmpx_lt_i32_e32 25, v113
	s_cbranch_execz .LBB96_437
; %bb.436:
	v_mul_f64 v[48:49], v[0:1], v[48:49]
	ds_read2_b64 v[114:117], v110 offset0:26 offset1:27
	ds_read2_b64 v[118:121], v110 offset0:28 offset1:29
	;; [unrolled: 1-line block ×11, first 2 shown]
	ds_read_b64 v[0:1], v110 offset:384
	s_waitcnt lgkmcnt(11)
	v_fma_f64 v[50:51], -v[48:49], v[114:115], v[50:51]
	v_fma_f64 v[44:45], -v[48:49], v[116:117], v[44:45]
	s_waitcnt lgkmcnt(10)
	v_fma_f64 v[46:47], -v[48:49], v[118:119], v[46:47]
	v_fma_f64 v[42:43], -v[48:49], v[120:121], v[42:43]
	;; [unrolled: 3-line block ×11, first 2 shown]
	s_waitcnt lgkmcnt(0)
	v_fma_f64 v[102:103], -v[48:49], v[0:1], v[102:103]
.LBB96_437:
	s_or_b32 exec_lo, exec_lo, s0
	v_lshl_add_u32 v0, v113, 3, v110
	s_barrier
	buffer_gl0_inv
	v_mov_b32_e32 v104, 26
	ds_write_b64 v0, v[50:51]
	s_waitcnt lgkmcnt(0)
	s_barrier
	buffer_gl0_inv
	ds_read_b64 v[0:1], v110 offset:208
	s_cmp_lt_i32 s7, 28
	s_cbranch_scc1 .LBB96_440
; %bb.438:
	v_add3_u32 v105, v111, 0, 0xd8
	v_mov_b32_e32 v104, 26
	s_mov_b32 s0, 27
.LBB96_439:                             ; =>This Inner Loop Header: Depth=1
	ds_read_b64 v[114:115], v105
	v_add_nc_u32_e32 v105, 8, v105
	s_waitcnt lgkmcnt(0)
	v_cmp_lt_f64_e64 vcc_lo, |v[0:1]|, |v[114:115]|
	v_cndmask_b32_e32 v1, v1, v115, vcc_lo
	v_cndmask_b32_e32 v0, v0, v114, vcc_lo
	v_cndmask_b32_e64 v104, v104, s0, vcc_lo
	s_add_i32 s0, s0, 1
	s_cmp_lg_u32 s7, s0
	s_cbranch_scc1 .LBB96_439
.LBB96_440:
	s_mov_b32 s0, exec_lo
	s_waitcnt lgkmcnt(0)
	v_cmpx_eq_f64_e32 0, v[0:1]
	s_xor_b32 s0, exec_lo, s0
; %bb.441:
	v_cmp_ne_u32_e32 vcc_lo, 0, v107
	v_cndmask_b32_e32 v107, 27, v107, vcc_lo
; %bb.442:
	s_andn2_saveexec_b32 s0, s0
	s_cbranch_execz .LBB96_444
; %bb.443:
	v_div_scale_f64 v[105:106], null, v[0:1], v[0:1], 1.0
	v_rcp_f64_e32 v[114:115], v[105:106]
	v_fma_f64 v[116:117], -v[105:106], v[114:115], 1.0
	v_fma_f64 v[114:115], v[114:115], v[116:117], v[114:115]
	v_fma_f64 v[116:117], -v[105:106], v[114:115], 1.0
	v_fma_f64 v[114:115], v[114:115], v[116:117], v[114:115]
	v_div_scale_f64 v[116:117], vcc_lo, 1.0, v[0:1], 1.0
	v_mul_f64 v[118:119], v[116:117], v[114:115]
	v_fma_f64 v[105:106], -v[105:106], v[118:119], v[116:117]
	v_div_fmas_f64 v[105:106], v[105:106], v[114:115], v[118:119]
	v_div_fixup_f64 v[0:1], v[105:106], v[0:1], 1.0
.LBB96_444:
	s_or_b32 exec_lo, exec_lo, s0
	s_mov_b32 s0, exec_lo
	v_cmpx_ne_u32_e64 v113, v104
	s_xor_b32 s0, exec_lo, s0
	s_cbranch_execz .LBB96_450
; %bb.445:
	s_mov_b32 s1, exec_lo
	v_cmpx_eq_u32_e32 26, v113
	s_cbranch_execz .LBB96_449
; %bb.446:
	v_cmp_ne_u32_e32 vcc_lo, 26, v104
	s_xor_b32 s2, s6, -1
	s_and_b32 s3, s2, vcc_lo
	s_and_saveexec_b32 s2, s3
	s_cbranch_execz .LBB96_448
; %bb.447:
	v_ashrrev_i32_e32 v105, 31, v104
	v_lshlrev_b64 v[105:106], 2, v[104:105]
	v_add_co_u32 v105, vcc_lo, v4, v105
	v_add_co_ci_u32_e64 v106, null, v5, v106, vcc_lo
	s_clause 0x1
	global_load_dword v112, v[105:106], off
	global_load_dword v113, v[4:5], off offset:104
	s_waitcnt vmcnt(1)
	global_store_dword v[4:5], v112, off offset:104
	s_waitcnt vmcnt(0)
	global_store_dword v[105:106], v113, off
.LBB96_448:
	s_or_b32 exec_lo, exec_lo, s2
	v_mov_b32_e32 v112, v104
	v_mov_b32_e32 v113, v104
.LBB96_449:
	s_or_b32 exec_lo, exec_lo, s1
.LBB96_450:
	s_andn2_saveexec_b32 s0, s0
	s_cbranch_execz .LBB96_452
; %bb.451:
	v_mov_b32_e32 v113, 26
	ds_write2_b64 v110, v[44:45], v[46:47] offset0:27 offset1:28
	ds_write2_b64 v110, v[42:43], v[40:41] offset0:29 offset1:30
	;; [unrolled: 1-line block ×11, first 2 shown]
.LBB96_452:
	s_or_b32 exec_lo, exec_lo, s0
	s_mov_b32 s0, exec_lo
	s_waitcnt lgkmcnt(0)
	s_waitcnt_vscnt null, 0x0
	s_barrier
	buffer_gl0_inv
	v_cmpx_lt_i32_e32 26, v113
	s_cbranch_execz .LBB96_454
; %bb.453:
	v_mul_f64 v[50:51], v[0:1], v[50:51]
	ds_read2_b64 v[114:117], v110 offset0:27 offset1:28
	ds_read2_b64 v[118:121], v110 offset0:29 offset1:30
	;; [unrolled: 1-line block ×11, first 2 shown]
	s_waitcnt lgkmcnt(10)
	v_fma_f64 v[44:45], -v[50:51], v[114:115], v[44:45]
	v_fma_f64 v[46:47], -v[50:51], v[116:117], v[46:47]
	s_waitcnt lgkmcnt(9)
	v_fma_f64 v[42:43], -v[50:51], v[118:119], v[42:43]
	v_fma_f64 v[40:41], -v[50:51], v[120:121], v[40:41]
	;; [unrolled: 3-line block ×11, first 2 shown]
.LBB96_454:
	s_or_b32 exec_lo, exec_lo, s0
	v_lshl_add_u32 v0, v113, 3, v110
	s_barrier
	buffer_gl0_inv
	v_mov_b32_e32 v104, 27
	ds_write_b64 v0, v[44:45]
	s_waitcnt lgkmcnt(0)
	s_barrier
	buffer_gl0_inv
	ds_read_b64 v[0:1], v110 offset:216
	s_cmp_lt_i32 s7, 29
	s_cbranch_scc1 .LBB96_457
; %bb.455:
	v_add3_u32 v105, v111, 0, 0xe0
	v_mov_b32_e32 v104, 27
	s_mov_b32 s0, 28
.LBB96_456:                             ; =>This Inner Loop Header: Depth=1
	ds_read_b64 v[114:115], v105
	v_add_nc_u32_e32 v105, 8, v105
	s_waitcnt lgkmcnt(0)
	v_cmp_lt_f64_e64 vcc_lo, |v[0:1]|, |v[114:115]|
	v_cndmask_b32_e32 v1, v1, v115, vcc_lo
	v_cndmask_b32_e32 v0, v0, v114, vcc_lo
	v_cndmask_b32_e64 v104, v104, s0, vcc_lo
	s_add_i32 s0, s0, 1
	s_cmp_lg_u32 s7, s0
	s_cbranch_scc1 .LBB96_456
.LBB96_457:
	s_mov_b32 s0, exec_lo
	s_waitcnt lgkmcnt(0)
	v_cmpx_eq_f64_e32 0, v[0:1]
	s_xor_b32 s0, exec_lo, s0
; %bb.458:
	v_cmp_ne_u32_e32 vcc_lo, 0, v107
	v_cndmask_b32_e32 v107, 28, v107, vcc_lo
; %bb.459:
	s_andn2_saveexec_b32 s0, s0
	s_cbranch_execz .LBB96_461
; %bb.460:
	v_div_scale_f64 v[105:106], null, v[0:1], v[0:1], 1.0
	v_rcp_f64_e32 v[114:115], v[105:106]
	v_fma_f64 v[116:117], -v[105:106], v[114:115], 1.0
	v_fma_f64 v[114:115], v[114:115], v[116:117], v[114:115]
	v_fma_f64 v[116:117], -v[105:106], v[114:115], 1.0
	v_fma_f64 v[114:115], v[114:115], v[116:117], v[114:115]
	v_div_scale_f64 v[116:117], vcc_lo, 1.0, v[0:1], 1.0
	v_mul_f64 v[118:119], v[116:117], v[114:115]
	v_fma_f64 v[105:106], -v[105:106], v[118:119], v[116:117]
	v_div_fmas_f64 v[105:106], v[105:106], v[114:115], v[118:119]
	v_div_fixup_f64 v[0:1], v[105:106], v[0:1], 1.0
.LBB96_461:
	s_or_b32 exec_lo, exec_lo, s0
	s_mov_b32 s0, exec_lo
	v_cmpx_ne_u32_e64 v113, v104
	s_xor_b32 s0, exec_lo, s0
	s_cbranch_execz .LBB96_467
; %bb.462:
	s_mov_b32 s1, exec_lo
	v_cmpx_eq_u32_e32 27, v113
	s_cbranch_execz .LBB96_466
; %bb.463:
	v_cmp_ne_u32_e32 vcc_lo, 27, v104
	s_xor_b32 s2, s6, -1
	s_and_b32 s3, s2, vcc_lo
	s_and_saveexec_b32 s2, s3
	s_cbranch_execz .LBB96_465
; %bb.464:
	v_ashrrev_i32_e32 v105, 31, v104
	v_lshlrev_b64 v[105:106], 2, v[104:105]
	v_add_co_u32 v105, vcc_lo, v4, v105
	v_add_co_ci_u32_e64 v106, null, v5, v106, vcc_lo
	s_clause 0x1
	global_load_dword v112, v[105:106], off
	global_load_dword v113, v[4:5], off offset:108
	s_waitcnt vmcnt(1)
	global_store_dword v[4:5], v112, off offset:108
	s_waitcnt vmcnt(0)
	global_store_dword v[105:106], v113, off
.LBB96_465:
	s_or_b32 exec_lo, exec_lo, s2
	v_mov_b32_e32 v112, v104
	v_mov_b32_e32 v113, v104
.LBB96_466:
	s_or_b32 exec_lo, exec_lo, s1
.LBB96_467:
	s_andn2_saveexec_b32 s0, s0
	s_cbranch_execz .LBB96_469
; %bb.468:
	v_mov_b32_e32 v104, v46
	v_mov_b32_e32 v105, v47
	;; [unrolled: 1-line block ×8, first 2 shown]
	ds_write2_b64 v110, v[104:105], v[113:114] offset0:28 offset1:29
	v_mov_b32_e32 v104, v38
	v_mov_b32_e32 v105, v39
	;; [unrolled: 1-line block ×16, first 2 shown]
	ds_write2_b64 v110, v[115:116], v[104:105] offset0:30 offset1:31
	ds_write2_b64 v110, v[113:114], v[117:118] offset0:32 offset1:33
	;; [unrolled: 1-line block ×5, first 2 shown]
	v_mov_b32_e32 v104, v20
	v_mov_b32_e32 v105, v21
	;; [unrolled: 1-line block ×8, first 2 shown]
	ds_write2_b64 v110, v[104:105], v[113:114] offset0:40 offset1:41
	v_mov_b32_e32 v113, 27
	v_mov_b32_e32 v119, v12
	;; [unrolled: 1-line block ×9, first 2 shown]
	ds_write2_b64 v110, v[115:116], v[117:118] offset0:42 offset1:43
	ds_write2_b64 v110, v[119:120], v[121:122] offset0:44 offset1:45
	;; [unrolled: 1-line block ×3, first 2 shown]
	ds_write_b64 v110, v[102:103] offset:384
.LBB96_469:
	s_or_b32 exec_lo, exec_lo, s0
	s_mov_b32 s0, exec_lo
	s_waitcnt lgkmcnt(0)
	s_waitcnt_vscnt null, 0x0
	s_barrier
	buffer_gl0_inv
	v_cmpx_lt_i32_e32 27, v113
	s_cbranch_execz .LBB96_471
; %bb.470:
	v_mul_f64 v[44:45], v[0:1], v[44:45]
	ds_read2_b64 v[114:117], v110 offset0:28 offset1:29
	ds_read2_b64 v[118:121], v110 offset0:30 offset1:31
	;; [unrolled: 1-line block ×10, first 2 shown]
	ds_read_b64 v[0:1], v110 offset:384
	s_waitcnt lgkmcnt(10)
	v_fma_f64 v[46:47], -v[44:45], v[114:115], v[46:47]
	v_fma_f64 v[42:43], -v[44:45], v[116:117], v[42:43]
	s_waitcnt lgkmcnt(9)
	v_fma_f64 v[40:41], -v[44:45], v[118:119], v[40:41]
	v_fma_f64 v[38:39], -v[44:45], v[120:121], v[38:39]
	;; [unrolled: 3-line block ×10, first 2 shown]
	s_waitcnt lgkmcnt(0)
	v_fma_f64 v[102:103], -v[44:45], v[0:1], v[102:103]
.LBB96_471:
	s_or_b32 exec_lo, exec_lo, s0
	v_lshl_add_u32 v0, v113, 3, v110
	s_barrier
	buffer_gl0_inv
	v_mov_b32_e32 v104, 28
	ds_write_b64 v0, v[46:47]
	s_waitcnt lgkmcnt(0)
	s_barrier
	buffer_gl0_inv
	ds_read_b64 v[0:1], v110 offset:224
	s_cmp_lt_i32 s7, 30
	s_cbranch_scc1 .LBB96_474
; %bb.472:
	v_add3_u32 v105, v111, 0, 0xe8
	v_mov_b32_e32 v104, 28
	s_mov_b32 s0, 29
.LBB96_473:                             ; =>This Inner Loop Header: Depth=1
	ds_read_b64 v[114:115], v105
	v_add_nc_u32_e32 v105, 8, v105
	s_waitcnt lgkmcnt(0)
	v_cmp_lt_f64_e64 vcc_lo, |v[0:1]|, |v[114:115]|
	v_cndmask_b32_e32 v1, v1, v115, vcc_lo
	v_cndmask_b32_e32 v0, v0, v114, vcc_lo
	v_cndmask_b32_e64 v104, v104, s0, vcc_lo
	s_add_i32 s0, s0, 1
	s_cmp_lg_u32 s7, s0
	s_cbranch_scc1 .LBB96_473
.LBB96_474:
	s_mov_b32 s0, exec_lo
	s_waitcnt lgkmcnt(0)
	v_cmpx_eq_f64_e32 0, v[0:1]
	s_xor_b32 s0, exec_lo, s0
; %bb.475:
	v_cmp_ne_u32_e32 vcc_lo, 0, v107
	v_cndmask_b32_e32 v107, 29, v107, vcc_lo
; %bb.476:
	s_andn2_saveexec_b32 s0, s0
	s_cbranch_execz .LBB96_478
; %bb.477:
	v_div_scale_f64 v[105:106], null, v[0:1], v[0:1], 1.0
	v_rcp_f64_e32 v[114:115], v[105:106]
	v_fma_f64 v[116:117], -v[105:106], v[114:115], 1.0
	v_fma_f64 v[114:115], v[114:115], v[116:117], v[114:115]
	v_fma_f64 v[116:117], -v[105:106], v[114:115], 1.0
	v_fma_f64 v[114:115], v[114:115], v[116:117], v[114:115]
	v_div_scale_f64 v[116:117], vcc_lo, 1.0, v[0:1], 1.0
	v_mul_f64 v[118:119], v[116:117], v[114:115]
	v_fma_f64 v[105:106], -v[105:106], v[118:119], v[116:117]
	v_div_fmas_f64 v[105:106], v[105:106], v[114:115], v[118:119]
	v_div_fixup_f64 v[0:1], v[105:106], v[0:1], 1.0
.LBB96_478:
	s_or_b32 exec_lo, exec_lo, s0
	s_mov_b32 s0, exec_lo
	v_cmpx_ne_u32_e64 v113, v104
	s_xor_b32 s0, exec_lo, s0
	s_cbranch_execz .LBB96_484
; %bb.479:
	s_mov_b32 s1, exec_lo
	v_cmpx_eq_u32_e32 28, v113
	s_cbranch_execz .LBB96_483
; %bb.480:
	v_cmp_ne_u32_e32 vcc_lo, 28, v104
	s_xor_b32 s2, s6, -1
	s_and_b32 s3, s2, vcc_lo
	s_and_saveexec_b32 s2, s3
	s_cbranch_execz .LBB96_482
; %bb.481:
	v_ashrrev_i32_e32 v105, 31, v104
	v_lshlrev_b64 v[105:106], 2, v[104:105]
	v_add_co_u32 v105, vcc_lo, v4, v105
	v_add_co_ci_u32_e64 v106, null, v5, v106, vcc_lo
	s_clause 0x1
	global_load_dword v112, v[105:106], off
	global_load_dword v113, v[4:5], off offset:112
	s_waitcnt vmcnt(1)
	global_store_dword v[4:5], v112, off offset:112
	s_waitcnt vmcnt(0)
	global_store_dword v[105:106], v113, off
.LBB96_482:
	s_or_b32 exec_lo, exec_lo, s2
	v_mov_b32_e32 v112, v104
	v_mov_b32_e32 v113, v104
.LBB96_483:
	s_or_b32 exec_lo, exec_lo, s1
.LBB96_484:
	s_andn2_saveexec_b32 s0, s0
	s_cbranch_execz .LBB96_486
; %bb.485:
	v_mov_b32_e32 v113, 28
	ds_write2_b64 v110, v[42:43], v[40:41] offset0:29 offset1:30
	ds_write2_b64 v110, v[38:39], v[36:37] offset0:31 offset1:32
	;; [unrolled: 1-line block ×10, first 2 shown]
.LBB96_486:
	s_or_b32 exec_lo, exec_lo, s0
	s_mov_b32 s0, exec_lo
	s_waitcnt lgkmcnt(0)
	s_waitcnt_vscnt null, 0x0
	s_barrier
	buffer_gl0_inv
	v_cmpx_lt_i32_e32 28, v113
	s_cbranch_execz .LBB96_488
; %bb.487:
	v_mul_f64 v[46:47], v[0:1], v[46:47]
	ds_read2_b64 v[114:117], v110 offset0:29 offset1:30
	ds_read2_b64 v[118:121], v110 offset0:31 offset1:32
	;; [unrolled: 1-line block ×10, first 2 shown]
	s_waitcnt lgkmcnt(9)
	v_fma_f64 v[42:43], -v[46:47], v[114:115], v[42:43]
	v_fma_f64 v[40:41], -v[46:47], v[116:117], v[40:41]
	s_waitcnt lgkmcnt(8)
	v_fma_f64 v[38:39], -v[46:47], v[118:119], v[38:39]
	v_fma_f64 v[36:37], -v[46:47], v[120:121], v[36:37]
	;; [unrolled: 3-line block ×10, first 2 shown]
.LBB96_488:
	s_or_b32 exec_lo, exec_lo, s0
	v_lshl_add_u32 v0, v113, 3, v110
	s_barrier
	buffer_gl0_inv
	v_mov_b32_e32 v104, 29
	ds_write_b64 v0, v[42:43]
	s_waitcnt lgkmcnt(0)
	s_barrier
	buffer_gl0_inv
	ds_read_b64 v[0:1], v110 offset:232
	s_cmp_lt_i32 s7, 31
	s_cbranch_scc1 .LBB96_491
; %bb.489:
	v_add3_u32 v105, v111, 0, 0xf0
	v_mov_b32_e32 v104, 29
	s_mov_b32 s0, 30
.LBB96_490:                             ; =>This Inner Loop Header: Depth=1
	ds_read_b64 v[114:115], v105
	v_add_nc_u32_e32 v105, 8, v105
	s_waitcnt lgkmcnt(0)
	v_cmp_lt_f64_e64 vcc_lo, |v[0:1]|, |v[114:115]|
	v_cndmask_b32_e32 v1, v1, v115, vcc_lo
	v_cndmask_b32_e32 v0, v0, v114, vcc_lo
	v_cndmask_b32_e64 v104, v104, s0, vcc_lo
	s_add_i32 s0, s0, 1
	s_cmp_lg_u32 s7, s0
	s_cbranch_scc1 .LBB96_490
.LBB96_491:
	s_mov_b32 s0, exec_lo
	s_waitcnt lgkmcnt(0)
	v_cmpx_eq_f64_e32 0, v[0:1]
	s_xor_b32 s0, exec_lo, s0
; %bb.492:
	v_cmp_ne_u32_e32 vcc_lo, 0, v107
	v_cndmask_b32_e32 v107, 30, v107, vcc_lo
; %bb.493:
	s_andn2_saveexec_b32 s0, s0
	s_cbranch_execz .LBB96_495
; %bb.494:
	v_div_scale_f64 v[105:106], null, v[0:1], v[0:1], 1.0
	v_rcp_f64_e32 v[114:115], v[105:106]
	v_fma_f64 v[116:117], -v[105:106], v[114:115], 1.0
	v_fma_f64 v[114:115], v[114:115], v[116:117], v[114:115]
	v_fma_f64 v[116:117], -v[105:106], v[114:115], 1.0
	v_fma_f64 v[114:115], v[114:115], v[116:117], v[114:115]
	v_div_scale_f64 v[116:117], vcc_lo, 1.0, v[0:1], 1.0
	v_mul_f64 v[118:119], v[116:117], v[114:115]
	v_fma_f64 v[105:106], -v[105:106], v[118:119], v[116:117]
	v_div_fmas_f64 v[105:106], v[105:106], v[114:115], v[118:119]
	v_div_fixup_f64 v[0:1], v[105:106], v[0:1], 1.0
.LBB96_495:
	s_or_b32 exec_lo, exec_lo, s0
	s_mov_b32 s0, exec_lo
	v_cmpx_ne_u32_e64 v113, v104
	s_xor_b32 s0, exec_lo, s0
	s_cbranch_execz .LBB96_501
; %bb.496:
	s_mov_b32 s1, exec_lo
	v_cmpx_eq_u32_e32 29, v113
	s_cbranch_execz .LBB96_500
; %bb.497:
	v_cmp_ne_u32_e32 vcc_lo, 29, v104
	s_xor_b32 s2, s6, -1
	s_and_b32 s3, s2, vcc_lo
	s_and_saveexec_b32 s2, s3
	s_cbranch_execz .LBB96_499
; %bb.498:
	v_ashrrev_i32_e32 v105, 31, v104
	v_lshlrev_b64 v[105:106], 2, v[104:105]
	v_add_co_u32 v105, vcc_lo, v4, v105
	v_add_co_ci_u32_e64 v106, null, v5, v106, vcc_lo
	s_clause 0x1
	global_load_dword v112, v[105:106], off
	global_load_dword v113, v[4:5], off offset:116
	s_waitcnt vmcnt(1)
	global_store_dword v[4:5], v112, off offset:116
	s_waitcnt vmcnt(0)
	global_store_dword v[105:106], v113, off
.LBB96_499:
	s_or_b32 exec_lo, exec_lo, s2
	v_mov_b32_e32 v112, v104
	v_mov_b32_e32 v113, v104
.LBB96_500:
	s_or_b32 exec_lo, exec_lo, s1
.LBB96_501:
	s_andn2_saveexec_b32 s0, s0
	s_cbranch_execz .LBB96_503
; %bb.502:
	v_mov_b32_e32 v104, v40
	v_mov_b32_e32 v105, v41
	;; [unrolled: 1-line block ×20, first 2 shown]
	ds_write2_b64 v110, v[104:105], v[113:114] offset0:30 offset1:31
	ds_write2_b64 v110, v[115:116], v[117:118] offset0:32 offset1:33
	;; [unrolled: 1-line block ×5, first 2 shown]
	v_mov_b32_e32 v104, v20
	v_mov_b32_e32 v105, v21
	;; [unrolled: 1-line block ×8, first 2 shown]
	ds_write2_b64 v110, v[104:105], v[113:114] offset0:40 offset1:41
	v_mov_b32_e32 v113, 29
	v_mov_b32_e32 v119, v12
	;; [unrolled: 1-line block ×9, first 2 shown]
	ds_write2_b64 v110, v[115:116], v[117:118] offset0:42 offset1:43
	ds_write2_b64 v110, v[119:120], v[121:122] offset0:44 offset1:45
	;; [unrolled: 1-line block ×3, first 2 shown]
	ds_write_b64 v110, v[102:103] offset:384
.LBB96_503:
	s_or_b32 exec_lo, exec_lo, s0
	s_mov_b32 s0, exec_lo
	s_waitcnt lgkmcnt(0)
	s_waitcnt_vscnt null, 0x0
	s_barrier
	buffer_gl0_inv
	v_cmpx_lt_i32_e32 29, v113
	s_cbranch_execz .LBB96_505
; %bb.504:
	v_mul_f64 v[42:43], v[0:1], v[42:43]
	ds_read2_b64 v[114:117], v110 offset0:30 offset1:31
	ds_read2_b64 v[118:121], v110 offset0:32 offset1:33
	;; [unrolled: 1-line block ×9, first 2 shown]
	ds_read_b64 v[0:1], v110 offset:384
	s_waitcnt lgkmcnt(9)
	v_fma_f64 v[40:41], -v[42:43], v[114:115], v[40:41]
	v_fma_f64 v[38:39], -v[42:43], v[116:117], v[38:39]
	s_waitcnt lgkmcnt(8)
	v_fma_f64 v[36:37], -v[42:43], v[118:119], v[36:37]
	v_fma_f64 v[34:35], -v[42:43], v[120:121], v[34:35]
	;; [unrolled: 3-line block ×9, first 2 shown]
	s_waitcnt lgkmcnt(0)
	v_fma_f64 v[102:103], -v[42:43], v[0:1], v[102:103]
.LBB96_505:
	s_or_b32 exec_lo, exec_lo, s0
	v_lshl_add_u32 v0, v113, 3, v110
	s_barrier
	buffer_gl0_inv
	v_mov_b32_e32 v104, 30
	ds_write_b64 v0, v[40:41]
	s_waitcnt lgkmcnt(0)
	s_barrier
	buffer_gl0_inv
	ds_read_b64 v[0:1], v110 offset:240
	s_cmp_lt_i32 s7, 32
	s_cbranch_scc1 .LBB96_508
; %bb.506:
	v_add3_u32 v105, v111, 0, 0xf8
	v_mov_b32_e32 v104, 30
	s_mov_b32 s0, 31
.LBB96_507:                             ; =>This Inner Loop Header: Depth=1
	ds_read_b64 v[114:115], v105
	v_add_nc_u32_e32 v105, 8, v105
	s_waitcnt lgkmcnt(0)
	v_cmp_lt_f64_e64 vcc_lo, |v[0:1]|, |v[114:115]|
	v_cndmask_b32_e32 v1, v1, v115, vcc_lo
	v_cndmask_b32_e32 v0, v0, v114, vcc_lo
	v_cndmask_b32_e64 v104, v104, s0, vcc_lo
	s_add_i32 s0, s0, 1
	s_cmp_lg_u32 s7, s0
	s_cbranch_scc1 .LBB96_507
.LBB96_508:
	s_mov_b32 s0, exec_lo
	s_waitcnt lgkmcnt(0)
	v_cmpx_eq_f64_e32 0, v[0:1]
	s_xor_b32 s0, exec_lo, s0
; %bb.509:
	v_cmp_ne_u32_e32 vcc_lo, 0, v107
	v_cndmask_b32_e32 v107, 31, v107, vcc_lo
; %bb.510:
	s_andn2_saveexec_b32 s0, s0
	s_cbranch_execz .LBB96_512
; %bb.511:
	v_div_scale_f64 v[105:106], null, v[0:1], v[0:1], 1.0
	v_rcp_f64_e32 v[114:115], v[105:106]
	v_fma_f64 v[116:117], -v[105:106], v[114:115], 1.0
	v_fma_f64 v[114:115], v[114:115], v[116:117], v[114:115]
	v_fma_f64 v[116:117], -v[105:106], v[114:115], 1.0
	v_fma_f64 v[114:115], v[114:115], v[116:117], v[114:115]
	v_div_scale_f64 v[116:117], vcc_lo, 1.0, v[0:1], 1.0
	v_mul_f64 v[118:119], v[116:117], v[114:115]
	v_fma_f64 v[105:106], -v[105:106], v[118:119], v[116:117]
	v_div_fmas_f64 v[105:106], v[105:106], v[114:115], v[118:119]
	v_div_fixup_f64 v[0:1], v[105:106], v[0:1], 1.0
.LBB96_512:
	s_or_b32 exec_lo, exec_lo, s0
	s_mov_b32 s0, exec_lo
	v_cmpx_ne_u32_e64 v113, v104
	s_xor_b32 s0, exec_lo, s0
	s_cbranch_execz .LBB96_518
; %bb.513:
	s_mov_b32 s1, exec_lo
	v_cmpx_eq_u32_e32 30, v113
	s_cbranch_execz .LBB96_517
; %bb.514:
	v_cmp_ne_u32_e32 vcc_lo, 30, v104
	s_xor_b32 s2, s6, -1
	s_and_b32 s3, s2, vcc_lo
	s_and_saveexec_b32 s2, s3
	s_cbranch_execz .LBB96_516
; %bb.515:
	v_ashrrev_i32_e32 v105, 31, v104
	v_lshlrev_b64 v[105:106], 2, v[104:105]
	v_add_co_u32 v105, vcc_lo, v4, v105
	v_add_co_ci_u32_e64 v106, null, v5, v106, vcc_lo
	s_clause 0x1
	global_load_dword v112, v[105:106], off
	global_load_dword v113, v[4:5], off offset:120
	s_waitcnt vmcnt(1)
	global_store_dword v[4:5], v112, off offset:120
	s_waitcnt vmcnt(0)
	global_store_dword v[105:106], v113, off
.LBB96_516:
	s_or_b32 exec_lo, exec_lo, s2
	v_mov_b32_e32 v112, v104
	v_mov_b32_e32 v113, v104
.LBB96_517:
	s_or_b32 exec_lo, exec_lo, s1
.LBB96_518:
	s_andn2_saveexec_b32 s0, s0
	s_cbranch_execz .LBB96_520
; %bb.519:
	v_mov_b32_e32 v113, 30
	ds_write2_b64 v110, v[38:39], v[36:37] offset0:31 offset1:32
	ds_write2_b64 v110, v[34:35], v[32:33] offset0:33 offset1:34
	ds_write2_b64 v110, v[28:29], v[30:31] offset0:35 offset1:36
	ds_write2_b64 v110, v[24:25], v[26:27] offset0:37 offset1:38
	ds_write2_b64 v110, v[22:23], v[20:21] offset0:39 offset1:40
	ds_write2_b64 v110, v[18:19], v[16:17] offset0:41 offset1:42
	ds_write2_b64 v110, v[14:15], v[12:13] offset0:43 offset1:44
	ds_write2_b64 v110, v[8:9], v[10:11] offset0:45 offset1:46
	ds_write2_b64 v110, v[6:7], v[102:103] offset0:47 offset1:48
.LBB96_520:
	s_or_b32 exec_lo, exec_lo, s0
	s_mov_b32 s0, exec_lo
	s_waitcnt lgkmcnt(0)
	s_waitcnt_vscnt null, 0x0
	s_barrier
	buffer_gl0_inv
	v_cmpx_lt_i32_e32 30, v113
	s_cbranch_execz .LBB96_522
; %bb.521:
	v_mul_f64 v[40:41], v[0:1], v[40:41]
	ds_read2_b64 v[114:117], v110 offset0:31 offset1:32
	ds_read2_b64 v[118:121], v110 offset0:33 offset1:34
	;; [unrolled: 1-line block ×9, first 2 shown]
	s_waitcnt lgkmcnt(8)
	v_fma_f64 v[38:39], -v[40:41], v[114:115], v[38:39]
	v_fma_f64 v[36:37], -v[40:41], v[116:117], v[36:37]
	s_waitcnt lgkmcnt(7)
	v_fma_f64 v[34:35], -v[40:41], v[118:119], v[34:35]
	v_fma_f64 v[32:33], -v[40:41], v[120:121], v[32:33]
	;; [unrolled: 3-line block ×9, first 2 shown]
.LBB96_522:
	s_or_b32 exec_lo, exec_lo, s0
	v_lshl_add_u32 v0, v113, 3, v110
	s_barrier
	buffer_gl0_inv
	v_mov_b32_e32 v104, 31
	ds_write_b64 v0, v[38:39]
	s_waitcnt lgkmcnt(0)
	s_barrier
	buffer_gl0_inv
	ds_read_b64 v[0:1], v110 offset:248
	s_cmp_lt_i32 s7, 33
	s_cbranch_scc1 .LBB96_525
; %bb.523:
	v_add3_u32 v105, v111, 0, 0x100
	v_mov_b32_e32 v104, 31
	s_mov_b32 s0, 32
.LBB96_524:                             ; =>This Inner Loop Header: Depth=1
	ds_read_b64 v[114:115], v105
	v_add_nc_u32_e32 v105, 8, v105
	s_waitcnt lgkmcnt(0)
	v_cmp_lt_f64_e64 vcc_lo, |v[0:1]|, |v[114:115]|
	v_cndmask_b32_e32 v1, v1, v115, vcc_lo
	v_cndmask_b32_e32 v0, v0, v114, vcc_lo
	v_cndmask_b32_e64 v104, v104, s0, vcc_lo
	s_add_i32 s0, s0, 1
	s_cmp_lg_u32 s7, s0
	s_cbranch_scc1 .LBB96_524
.LBB96_525:
	s_mov_b32 s0, exec_lo
	s_waitcnt lgkmcnt(0)
	v_cmpx_eq_f64_e32 0, v[0:1]
	s_xor_b32 s0, exec_lo, s0
; %bb.526:
	v_cmp_ne_u32_e32 vcc_lo, 0, v107
	v_cndmask_b32_e32 v107, 32, v107, vcc_lo
; %bb.527:
	s_andn2_saveexec_b32 s0, s0
	s_cbranch_execz .LBB96_529
; %bb.528:
	v_div_scale_f64 v[105:106], null, v[0:1], v[0:1], 1.0
	v_rcp_f64_e32 v[114:115], v[105:106]
	v_fma_f64 v[116:117], -v[105:106], v[114:115], 1.0
	v_fma_f64 v[114:115], v[114:115], v[116:117], v[114:115]
	v_fma_f64 v[116:117], -v[105:106], v[114:115], 1.0
	v_fma_f64 v[114:115], v[114:115], v[116:117], v[114:115]
	v_div_scale_f64 v[116:117], vcc_lo, 1.0, v[0:1], 1.0
	v_mul_f64 v[118:119], v[116:117], v[114:115]
	v_fma_f64 v[105:106], -v[105:106], v[118:119], v[116:117]
	v_div_fmas_f64 v[105:106], v[105:106], v[114:115], v[118:119]
	v_div_fixup_f64 v[0:1], v[105:106], v[0:1], 1.0
.LBB96_529:
	s_or_b32 exec_lo, exec_lo, s0
	s_mov_b32 s0, exec_lo
	v_cmpx_ne_u32_e64 v113, v104
	s_xor_b32 s0, exec_lo, s0
	s_cbranch_execz .LBB96_535
; %bb.530:
	s_mov_b32 s1, exec_lo
	v_cmpx_eq_u32_e32 31, v113
	s_cbranch_execz .LBB96_534
; %bb.531:
	v_cmp_ne_u32_e32 vcc_lo, 31, v104
	s_xor_b32 s2, s6, -1
	s_and_b32 s3, s2, vcc_lo
	s_and_saveexec_b32 s2, s3
	s_cbranch_execz .LBB96_533
; %bb.532:
	v_ashrrev_i32_e32 v105, 31, v104
	v_lshlrev_b64 v[105:106], 2, v[104:105]
	v_add_co_u32 v105, vcc_lo, v4, v105
	v_add_co_ci_u32_e64 v106, null, v5, v106, vcc_lo
	s_clause 0x1
	global_load_dword v112, v[105:106], off
	global_load_dword v113, v[4:5], off offset:124
	s_waitcnt vmcnt(1)
	global_store_dword v[4:5], v112, off offset:124
	s_waitcnt vmcnt(0)
	global_store_dword v[105:106], v113, off
.LBB96_533:
	s_or_b32 exec_lo, exec_lo, s2
	v_mov_b32_e32 v112, v104
	v_mov_b32_e32 v113, v104
.LBB96_534:
	s_or_b32 exec_lo, exec_lo, s1
.LBB96_535:
	s_andn2_saveexec_b32 s0, s0
	s_cbranch_execz .LBB96_537
; %bb.536:
	v_mov_b32_e32 v104, v36
	v_mov_b32_e32 v105, v37
	;; [unrolled: 1-line block ×16, first 2 shown]
	ds_write2_b64 v110, v[104:105], v[113:114] offset0:32 offset1:33
	ds_write2_b64 v110, v[115:116], v[117:118] offset0:34 offset1:35
	ds_write2_b64 v110, v[119:120], v[121:122] offset0:36 offset1:37
	ds_write2_b64 v110, v[123:124], v[125:126] offset0:38 offset1:39
	v_mov_b32_e32 v104, v20
	v_mov_b32_e32 v105, v21
	;; [unrolled: 1-line block ×8, first 2 shown]
	ds_write2_b64 v110, v[104:105], v[113:114] offset0:40 offset1:41
	v_mov_b32_e32 v113, 31
	v_mov_b32_e32 v119, v12
	;; [unrolled: 1-line block ×9, first 2 shown]
	ds_write2_b64 v110, v[115:116], v[117:118] offset0:42 offset1:43
	ds_write2_b64 v110, v[119:120], v[121:122] offset0:44 offset1:45
	;; [unrolled: 1-line block ×3, first 2 shown]
	ds_write_b64 v110, v[102:103] offset:384
.LBB96_537:
	s_or_b32 exec_lo, exec_lo, s0
	s_mov_b32 s0, exec_lo
	s_waitcnt lgkmcnt(0)
	s_waitcnt_vscnt null, 0x0
	s_barrier
	buffer_gl0_inv
	v_cmpx_lt_i32_e32 31, v113
	s_cbranch_execz .LBB96_539
; %bb.538:
	v_mul_f64 v[38:39], v[0:1], v[38:39]
	ds_read2_b64 v[114:117], v110 offset0:32 offset1:33
	ds_read2_b64 v[118:121], v110 offset0:34 offset1:35
	;; [unrolled: 1-line block ×8, first 2 shown]
	ds_read_b64 v[0:1], v110 offset:384
	s_waitcnt lgkmcnt(8)
	v_fma_f64 v[36:37], -v[38:39], v[114:115], v[36:37]
	v_fma_f64 v[34:35], -v[38:39], v[116:117], v[34:35]
	s_waitcnt lgkmcnt(7)
	v_fma_f64 v[32:33], -v[38:39], v[118:119], v[32:33]
	v_fma_f64 v[28:29], -v[38:39], v[120:121], v[28:29]
	;; [unrolled: 3-line block ×8, first 2 shown]
	s_waitcnt lgkmcnt(0)
	v_fma_f64 v[102:103], -v[38:39], v[0:1], v[102:103]
.LBB96_539:
	s_or_b32 exec_lo, exec_lo, s0
	v_lshl_add_u32 v0, v113, 3, v110
	s_barrier
	buffer_gl0_inv
	v_mov_b32_e32 v104, 32
	ds_write_b64 v0, v[36:37]
	s_waitcnt lgkmcnt(0)
	s_barrier
	buffer_gl0_inv
	ds_read_b64 v[0:1], v110 offset:256
	s_cmp_lt_i32 s7, 34
	s_cbranch_scc1 .LBB96_542
; %bb.540:
	v_add3_u32 v105, v111, 0, 0x108
	v_mov_b32_e32 v104, 32
	s_mov_b32 s0, 33
.LBB96_541:                             ; =>This Inner Loop Header: Depth=1
	ds_read_b64 v[114:115], v105
	v_add_nc_u32_e32 v105, 8, v105
	s_waitcnt lgkmcnt(0)
	v_cmp_lt_f64_e64 vcc_lo, |v[0:1]|, |v[114:115]|
	v_cndmask_b32_e32 v1, v1, v115, vcc_lo
	v_cndmask_b32_e32 v0, v0, v114, vcc_lo
	v_cndmask_b32_e64 v104, v104, s0, vcc_lo
	s_add_i32 s0, s0, 1
	s_cmp_lg_u32 s7, s0
	s_cbranch_scc1 .LBB96_541
.LBB96_542:
	s_mov_b32 s0, exec_lo
	s_waitcnt lgkmcnt(0)
	v_cmpx_eq_f64_e32 0, v[0:1]
	s_xor_b32 s0, exec_lo, s0
; %bb.543:
	v_cmp_ne_u32_e32 vcc_lo, 0, v107
	v_cndmask_b32_e32 v107, 33, v107, vcc_lo
; %bb.544:
	s_andn2_saveexec_b32 s0, s0
	s_cbranch_execz .LBB96_546
; %bb.545:
	v_div_scale_f64 v[105:106], null, v[0:1], v[0:1], 1.0
	v_rcp_f64_e32 v[114:115], v[105:106]
	v_fma_f64 v[116:117], -v[105:106], v[114:115], 1.0
	v_fma_f64 v[114:115], v[114:115], v[116:117], v[114:115]
	v_fma_f64 v[116:117], -v[105:106], v[114:115], 1.0
	v_fma_f64 v[114:115], v[114:115], v[116:117], v[114:115]
	v_div_scale_f64 v[116:117], vcc_lo, 1.0, v[0:1], 1.0
	v_mul_f64 v[118:119], v[116:117], v[114:115]
	v_fma_f64 v[105:106], -v[105:106], v[118:119], v[116:117]
	v_div_fmas_f64 v[105:106], v[105:106], v[114:115], v[118:119]
	v_div_fixup_f64 v[0:1], v[105:106], v[0:1], 1.0
.LBB96_546:
	s_or_b32 exec_lo, exec_lo, s0
	s_mov_b32 s0, exec_lo
	v_cmpx_ne_u32_e64 v113, v104
	s_xor_b32 s0, exec_lo, s0
	s_cbranch_execz .LBB96_552
; %bb.547:
	s_mov_b32 s1, exec_lo
	v_cmpx_eq_u32_e32 32, v113
	s_cbranch_execz .LBB96_551
; %bb.548:
	v_cmp_ne_u32_e32 vcc_lo, 32, v104
	s_xor_b32 s2, s6, -1
	s_and_b32 s3, s2, vcc_lo
	s_and_saveexec_b32 s2, s3
	s_cbranch_execz .LBB96_550
; %bb.549:
	v_ashrrev_i32_e32 v105, 31, v104
	v_lshlrev_b64 v[105:106], 2, v[104:105]
	v_add_co_u32 v105, vcc_lo, v4, v105
	v_add_co_ci_u32_e64 v106, null, v5, v106, vcc_lo
	s_clause 0x1
	global_load_dword v112, v[105:106], off
	global_load_dword v113, v[4:5], off offset:128
	s_waitcnt vmcnt(1)
	global_store_dword v[4:5], v112, off offset:128
	s_waitcnt vmcnt(0)
	global_store_dword v[105:106], v113, off
.LBB96_550:
	s_or_b32 exec_lo, exec_lo, s2
	v_mov_b32_e32 v112, v104
	v_mov_b32_e32 v113, v104
.LBB96_551:
	s_or_b32 exec_lo, exec_lo, s1
.LBB96_552:
	s_andn2_saveexec_b32 s0, s0
	s_cbranch_execz .LBB96_554
; %bb.553:
	v_mov_b32_e32 v113, 32
	ds_write2_b64 v110, v[34:35], v[32:33] offset0:33 offset1:34
	ds_write2_b64 v110, v[28:29], v[30:31] offset0:35 offset1:36
	;; [unrolled: 1-line block ×8, first 2 shown]
.LBB96_554:
	s_or_b32 exec_lo, exec_lo, s0
	s_mov_b32 s0, exec_lo
	s_waitcnt lgkmcnt(0)
	s_waitcnt_vscnt null, 0x0
	s_barrier
	buffer_gl0_inv
	v_cmpx_lt_i32_e32 32, v113
	s_cbranch_execz .LBB96_556
; %bb.555:
	v_mul_f64 v[36:37], v[0:1], v[36:37]
	ds_read2_b64 v[114:117], v110 offset0:33 offset1:34
	ds_read2_b64 v[118:121], v110 offset0:35 offset1:36
	;; [unrolled: 1-line block ×8, first 2 shown]
	s_waitcnt lgkmcnt(7)
	v_fma_f64 v[34:35], -v[36:37], v[114:115], v[34:35]
	v_fma_f64 v[32:33], -v[36:37], v[116:117], v[32:33]
	s_waitcnt lgkmcnt(6)
	v_fma_f64 v[28:29], -v[36:37], v[118:119], v[28:29]
	v_fma_f64 v[30:31], -v[36:37], v[120:121], v[30:31]
	;; [unrolled: 3-line block ×8, first 2 shown]
.LBB96_556:
	s_or_b32 exec_lo, exec_lo, s0
	v_lshl_add_u32 v0, v113, 3, v110
	s_barrier
	buffer_gl0_inv
	v_mov_b32_e32 v104, 33
	ds_write_b64 v0, v[34:35]
	s_waitcnt lgkmcnt(0)
	s_barrier
	buffer_gl0_inv
	ds_read_b64 v[0:1], v110 offset:264
	s_cmp_lt_i32 s7, 35
	s_cbranch_scc1 .LBB96_559
; %bb.557:
	v_add3_u32 v105, v111, 0, 0x110
	v_mov_b32_e32 v104, 33
	s_mov_b32 s0, 34
.LBB96_558:                             ; =>This Inner Loop Header: Depth=1
	ds_read_b64 v[114:115], v105
	v_add_nc_u32_e32 v105, 8, v105
	s_waitcnt lgkmcnt(0)
	v_cmp_lt_f64_e64 vcc_lo, |v[0:1]|, |v[114:115]|
	v_cndmask_b32_e32 v1, v1, v115, vcc_lo
	v_cndmask_b32_e32 v0, v0, v114, vcc_lo
	v_cndmask_b32_e64 v104, v104, s0, vcc_lo
	s_add_i32 s0, s0, 1
	s_cmp_lg_u32 s7, s0
	s_cbranch_scc1 .LBB96_558
.LBB96_559:
	s_mov_b32 s0, exec_lo
	s_waitcnt lgkmcnt(0)
	v_cmpx_eq_f64_e32 0, v[0:1]
	s_xor_b32 s0, exec_lo, s0
; %bb.560:
	v_cmp_ne_u32_e32 vcc_lo, 0, v107
	v_cndmask_b32_e32 v107, 34, v107, vcc_lo
; %bb.561:
	s_andn2_saveexec_b32 s0, s0
	s_cbranch_execz .LBB96_563
; %bb.562:
	v_div_scale_f64 v[105:106], null, v[0:1], v[0:1], 1.0
	v_rcp_f64_e32 v[114:115], v[105:106]
	v_fma_f64 v[116:117], -v[105:106], v[114:115], 1.0
	v_fma_f64 v[114:115], v[114:115], v[116:117], v[114:115]
	v_fma_f64 v[116:117], -v[105:106], v[114:115], 1.0
	v_fma_f64 v[114:115], v[114:115], v[116:117], v[114:115]
	v_div_scale_f64 v[116:117], vcc_lo, 1.0, v[0:1], 1.0
	v_mul_f64 v[118:119], v[116:117], v[114:115]
	v_fma_f64 v[105:106], -v[105:106], v[118:119], v[116:117]
	v_div_fmas_f64 v[105:106], v[105:106], v[114:115], v[118:119]
	v_div_fixup_f64 v[0:1], v[105:106], v[0:1], 1.0
.LBB96_563:
	s_or_b32 exec_lo, exec_lo, s0
	s_mov_b32 s0, exec_lo
	v_cmpx_ne_u32_e64 v113, v104
	s_xor_b32 s0, exec_lo, s0
	s_cbranch_execz .LBB96_569
; %bb.564:
	s_mov_b32 s1, exec_lo
	v_cmpx_eq_u32_e32 33, v113
	s_cbranch_execz .LBB96_568
; %bb.565:
	v_cmp_ne_u32_e32 vcc_lo, 33, v104
	s_xor_b32 s2, s6, -1
	s_and_b32 s3, s2, vcc_lo
	s_and_saveexec_b32 s2, s3
	s_cbranch_execz .LBB96_567
; %bb.566:
	v_ashrrev_i32_e32 v105, 31, v104
	v_lshlrev_b64 v[105:106], 2, v[104:105]
	v_add_co_u32 v105, vcc_lo, v4, v105
	v_add_co_ci_u32_e64 v106, null, v5, v106, vcc_lo
	s_clause 0x1
	global_load_dword v112, v[105:106], off
	global_load_dword v113, v[4:5], off offset:132
	s_waitcnt vmcnt(1)
	global_store_dword v[4:5], v112, off offset:132
	s_waitcnt vmcnt(0)
	global_store_dword v[105:106], v113, off
.LBB96_567:
	s_or_b32 exec_lo, exec_lo, s2
	v_mov_b32_e32 v112, v104
	v_mov_b32_e32 v113, v104
.LBB96_568:
	s_or_b32 exec_lo, exec_lo, s1
.LBB96_569:
	s_andn2_saveexec_b32 s0, s0
	s_cbranch_execz .LBB96_571
; %bb.570:
	v_mov_b32_e32 v104, v32
	v_mov_b32_e32 v105, v33
	;; [unrolled: 1-line block ×12, first 2 shown]
	ds_write2_b64 v110, v[104:105], v[113:114] offset0:34 offset1:35
	ds_write2_b64 v110, v[115:116], v[117:118] offset0:36 offset1:37
	;; [unrolled: 1-line block ×3, first 2 shown]
	v_mov_b32_e32 v104, v20
	v_mov_b32_e32 v105, v21
	;; [unrolled: 1-line block ×8, first 2 shown]
	ds_write2_b64 v110, v[104:105], v[113:114] offset0:40 offset1:41
	v_mov_b32_e32 v113, 33
	v_mov_b32_e32 v119, v12
	;; [unrolled: 1-line block ×9, first 2 shown]
	ds_write2_b64 v110, v[115:116], v[117:118] offset0:42 offset1:43
	ds_write2_b64 v110, v[119:120], v[121:122] offset0:44 offset1:45
	;; [unrolled: 1-line block ×3, first 2 shown]
	ds_write_b64 v110, v[102:103] offset:384
.LBB96_571:
	s_or_b32 exec_lo, exec_lo, s0
	s_mov_b32 s0, exec_lo
	s_waitcnt lgkmcnt(0)
	s_waitcnt_vscnt null, 0x0
	s_barrier
	buffer_gl0_inv
	v_cmpx_lt_i32_e32 33, v113
	s_cbranch_execz .LBB96_573
; %bb.572:
	v_mul_f64 v[34:35], v[0:1], v[34:35]
	ds_read2_b64 v[114:117], v110 offset0:34 offset1:35
	ds_read2_b64 v[118:121], v110 offset0:36 offset1:37
	ds_read2_b64 v[122:125], v110 offset0:38 offset1:39
	ds_read2_b64 v[126:129], v110 offset0:40 offset1:41
	ds_read2_b64 v[130:133], v110 offset0:42 offset1:43
	ds_read2_b64 v[134:137], v110 offset0:44 offset1:45
	ds_read2_b64 v[138:141], v110 offset0:46 offset1:47
	ds_read_b64 v[0:1], v110 offset:384
	s_waitcnt lgkmcnt(7)
	v_fma_f64 v[32:33], -v[34:35], v[114:115], v[32:33]
	v_fma_f64 v[28:29], -v[34:35], v[116:117], v[28:29]
	s_waitcnt lgkmcnt(6)
	v_fma_f64 v[30:31], -v[34:35], v[118:119], v[30:31]
	v_fma_f64 v[24:25], -v[34:35], v[120:121], v[24:25]
	;; [unrolled: 3-line block ×7, first 2 shown]
	s_waitcnt lgkmcnt(0)
	v_fma_f64 v[102:103], -v[34:35], v[0:1], v[102:103]
.LBB96_573:
	s_or_b32 exec_lo, exec_lo, s0
	v_lshl_add_u32 v0, v113, 3, v110
	s_barrier
	buffer_gl0_inv
	v_mov_b32_e32 v104, 34
	ds_write_b64 v0, v[32:33]
	s_waitcnt lgkmcnt(0)
	s_barrier
	buffer_gl0_inv
	ds_read_b64 v[0:1], v110 offset:272
	s_cmp_lt_i32 s7, 36
	s_cbranch_scc1 .LBB96_576
; %bb.574:
	v_add3_u32 v105, v111, 0, 0x118
	v_mov_b32_e32 v104, 34
	s_mov_b32 s0, 35
.LBB96_575:                             ; =>This Inner Loop Header: Depth=1
	ds_read_b64 v[114:115], v105
	v_add_nc_u32_e32 v105, 8, v105
	s_waitcnt lgkmcnt(0)
	v_cmp_lt_f64_e64 vcc_lo, |v[0:1]|, |v[114:115]|
	v_cndmask_b32_e32 v1, v1, v115, vcc_lo
	v_cndmask_b32_e32 v0, v0, v114, vcc_lo
	v_cndmask_b32_e64 v104, v104, s0, vcc_lo
	s_add_i32 s0, s0, 1
	s_cmp_lg_u32 s7, s0
	s_cbranch_scc1 .LBB96_575
.LBB96_576:
	s_mov_b32 s0, exec_lo
	s_waitcnt lgkmcnt(0)
	v_cmpx_eq_f64_e32 0, v[0:1]
	s_xor_b32 s0, exec_lo, s0
; %bb.577:
	v_cmp_ne_u32_e32 vcc_lo, 0, v107
	v_cndmask_b32_e32 v107, 35, v107, vcc_lo
; %bb.578:
	s_andn2_saveexec_b32 s0, s0
	s_cbranch_execz .LBB96_580
; %bb.579:
	v_div_scale_f64 v[105:106], null, v[0:1], v[0:1], 1.0
	v_rcp_f64_e32 v[114:115], v[105:106]
	v_fma_f64 v[116:117], -v[105:106], v[114:115], 1.0
	v_fma_f64 v[114:115], v[114:115], v[116:117], v[114:115]
	v_fma_f64 v[116:117], -v[105:106], v[114:115], 1.0
	v_fma_f64 v[114:115], v[114:115], v[116:117], v[114:115]
	v_div_scale_f64 v[116:117], vcc_lo, 1.0, v[0:1], 1.0
	v_mul_f64 v[118:119], v[116:117], v[114:115]
	v_fma_f64 v[105:106], -v[105:106], v[118:119], v[116:117]
	v_div_fmas_f64 v[105:106], v[105:106], v[114:115], v[118:119]
	v_div_fixup_f64 v[0:1], v[105:106], v[0:1], 1.0
.LBB96_580:
	s_or_b32 exec_lo, exec_lo, s0
	s_mov_b32 s0, exec_lo
	v_cmpx_ne_u32_e64 v113, v104
	s_xor_b32 s0, exec_lo, s0
	s_cbranch_execz .LBB96_586
; %bb.581:
	s_mov_b32 s1, exec_lo
	v_cmpx_eq_u32_e32 34, v113
	s_cbranch_execz .LBB96_585
; %bb.582:
	v_cmp_ne_u32_e32 vcc_lo, 34, v104
	s_xor_b32 s2, s6, -1
	s_and_b32 s3, s2, vcc_lo
	s_and_saveexec_b32 s2, s3
	s_cbranch_execz .LBB96_584
; %bb.583:
	v_ashrrev_i32_e32 v105, 31, v104
	v_lshlrev_b64 v[105:106], 2, v[104:105]
	v_add_co_u32 v105, vcc_lo, v4, v105
	v_add_co_ci_u32_e64 v106, null, v5, v106, vcc_lo
	s_clause 0x1
	global_load_dword v112, v[105:106], off
	global_load_dword v113, v[4:5], off offset:136
	s_waitcnt vmcnt(1)
	global_store_dword v[4:5], v112, off offset:136
	s_waitcnt vmcnt(0)
	global_store_dword v[105:106], v113, off
.LBB96_584:
	s_or_b32 exec_lo, exec_lo, s2
	v_mov_b32_e32 v112, v104
	v_mov_b32_e32 v113, v104
.LBB96_585:
	s_or_b32 exec_lo, exec_lo, s1
.LBB96_586:
	s_andn2_saveexec_b32 s0, s0
	s_cbranch_execz .LBB96_588
; %bb.587:
	v_mov_b32_e32 v113, 34
	ds_write2_b64 v110, v[28:29], v[30:31] offset0:35 offset1:36
	ds_write2_b64 v110, v[24:25], v[26:27] offset0:37 offset1:38
	;; [unrolled: 1-line block ×7, first 2 shown]
.LBB96_588:
	s_or_b32 exec_lo, exec_lo, s0
	s_mov_b32 s0, exec_lo
	s_waitcnt lgkmcnt(0)
	s_waitcnt_vscnt null, 0x0
	s_barrier
	buffer_gl0_inv
	v_cmpx_lt_i32_e32 34, v113
	s_cbranch_execz .LBB96_590
; %bb.589:
	v_mul_f64 v[32:33], v[0:1], v[32:33]
	ds_read2_b64 v[114:117], v110 offset0:35 offset1:36
	ds_read2_b64 v[118:121], v110 offset0:37 offset1:38
	ds_read2_b64 v[122:125], v110 offset0:39 offset1:40
	ds_read2_b64 v[126:129], v110 offset0:41 offset1:42
	ds_read2_b64 v[130:133], v110 offset0:43 offset1:44
	ds_read2_b64 v[134:137], v110 offset0:45 offset1:46
	ds_read2_b64 v[138:141], v110 offset0:47 offset1:48
	s_waitcnt lgkmcnt(6)
	v_fma_f64 v[28:29], -v[32:33], v[114:115], v[28:29]
	v_fma_f64 v[30:31], -v[32:33], v[116:117], v[30:31]
	s_waitcnt lgkmcnt(5)
	v_fma_f64 v[24:25], -v[32:33], v[118:119], v[24:25]
	v_fma_f64 v[26:27], -v[32:33], v[120:121], v[26:27]
	;; [unrolled: 3-line block ×7, first 2 shown]
.LBB96_590:
	s_or_b32 exec_lo, exec_lo, s0
	v_lshl_add_u32 v0, v113, 3, v110
	s_barrier
	buffer_gl0_inv
	v_mov_b32_e32 v104, 35
	ds_write_b64 v0, v[28:29]
	s_waitcnt lgkmcnt(0)
	s_barrier
	buffer_gl0_inv
	ds_read_b64 v[0:1], v110 offset:280
	s_cmp_lt_i32 s7, 37
	s_cbranch_scc1 .LBB96_593
; %bb.591:
	v_add3_u32 v105, v111, 0, 0x120
	v_mov_b32_e32 v104, 35
	s_mov_b32 s0, 36
.LBB96_592:                             ; =>This Inner Loop Header: Depth=1
	ds_read_b64 v[114:115], v105
	v_add_nc_u32_e32 v105, 8, v105
	s_waitcnt lgkmcnt(0)
	v_cmp_lt_f64_e64 vcc_lo, |v[0:1]|, |v[114:115]|
	v_cndmask_b32_e32 v1, v1, v115, vcc_lo
	v_cndmask_b32_e32 v0, v0, v114, vcc_lo
	v_cndmask_b32_e64 v104, v104, s0, vcc_lo
	s_add_i32 s0, s0, 1
	s_cmp_lg_u32 s7, s0
	s_cbranch_scc1 .LBB96_592
.LBB96_593:
	s_mov_b32 s0, exec_lo
	s_waitcnt lgkmcnt(0)
	v_cmpx_eq_f64_e32 0, v[0:1]
	s_xor_b32 s0, exec_lo, s0
; %bb.594:
	v_cmp_ne_u32_e32 vcc_lo, 0, v107
	v_cndmask_b32_e32 v107, 36, v107, vcc_lo
; %bb.595:
	s_andn2_saveexec_b32 s0, s0
	s_cbranch_execz .LBB96_597
; %bb.596:
	v_div_scale_f64 v[105:106], null, v[0:1], v[0:1], 1.0
	v_rcp_f64_e32 v[114:115], v[105:106]
	v_fma_f64 v[116:117], -v[105:106], v[114:115], 1.0
	v_fma_f64 v[114:115], v[114:115], v[116:117], v[114:115]
	v_fma_f64 v[116:117], -v[105:106], v[114:115], 1.0
	v_fma_f64 v[114:115], v[114:115], v[116:117], v[114:115]
	v_div_scale_f64 v[116:117], vcc_lo, 1.0, v[0:1], 1.0
	v_mul_f64 v[118:119], v[116:117], v[114:115]
	v_fma_f64 v[105:106], -v[105:106], v[118:119], v[116:117]
	v_div_fmas_f64 v[105:106], v[105:106], v[114:115], v[118:119]
	v_div_fixup_f64 v[0:1], v[105:106], v[0:1], 1.0
.LBB96_597:
	s_or_b32 exec_lo, exec_lo, s0
	s_mov_b32 s0, exec_lo
	v_cmpx_ne_u32_e64 v113, v104
	s_xor_b32 s0, exec_lo, s0
	s_cbranch_execz .LBB96_603
; %bb.598:
	s_mov_b32 s1, exec_lo
	v_cmpx_eq_u32_e32 35, v113
	s_cbranch_execz .LBB96_602
; %bb.599:
	v_cmp_ne_u32_e32 vcc_lo, 35, v104
	s_xor_b32 s2, s6, -1
	s_and_b32 s3, s2, vcc_lo
	s_and_saveexec_b32 s2, s3
	s_cbranch_execz .LBB96_601
; %bb.600:
	v_ashrrev_i32_e32 v105, 31, v104
	v_lshlrev_b64 v[105:106], 2, v[104:105]
	v_add_co_u32 v105, vcc_lo, v4, v105
	v_add_co_ci_u32_e64 v106, null, v5, v106, vcc_lo
	s_clause 0x1
	global_load_dword v112, v[105:106], off
	global_load_dword v113, v[4:5], off offset:140
	s_waitcnt vmcnt(1)
	global_store_dword v[4:5], v112, off offset:140
	s_waitcnt vmcnt(0)
	global_store_dword v[105:106], v113, off
.LBB96_601:
	s_or_b32 exec_lo, exec_lo, s2
	v_mov_b32_e32 v112, v104
	v_mov_b32_e32 v113, v104
.LBB96_602:
	s_or_b32 exec_lo, exec_lo, s1
.LBB96_603:
	s_andn2_saveexec_b32 s0, s0
	s_cbranch_execz .LBB96_605
; %bb.604:
	v_mov_b32_e32 v104, v30
	v_mov_b32_e32 v105, v31
	;; [unrolled: 1-line block ×8, first 2 shown]
	ds_write2_b64 v110, v[104:105], v[113:114] offset0:36 offset1:37
	ds_write2_b64 v110, v[115:116], v[117:118] offset0:38 offset1:39
	v_mov_b32_e32 v104, v20
	v_mov_b32_e32 v105, v21
	;; [unrolled: 1-line block ×8, first 2 shown]
	ds_write2_b64 v110, v[104:105], v[113:114] offset0:40 offset1:41
	v_mov_b32_e32 v113, 35
	v_mov_b32_e32 v119, v12
	;; [unrolled: 1-line block ×9, first 2 shown]
	ds_write2_b64 v110, v[115:116], v[117:118] offset0:42 offset1:43
	ds_write2_b64 v110, v[119:120], v[121:122] offset0:44 offset1:45
	;; [unrolled: 1-line block ×3, first 2 shown]
	ds_write_b64 v110, v[102:103] offset:384
.LBB96_605:
	s_or_b32 exec_lo, exec_lo, s0
	s_mov_b32 s0, exec_lo
	s_waitcnt lgkmcnt(0)
	s_waitcnt_vscnt null, 0x0
	s_barrier
	buffer_gl0_inv
	v_cmpx_lt_i32_e32 35, v113
	s_cbranch_execz .LBB96_607
; %bb.606:
	v_mul_f64 v[28:29], v[0:1], v[28:29]
	ds_read2_b64 v[114:117], v110 offset0:36 offset1:37
	ds_read2_b64 v[118:121], v110 offset0:38 offset1:39
	;; [unrolled: 1-line block ×6, first 2 shown]
	ds_read_b64 v[0:1], v110 offset:384
	s_waitcnt lgkmcnt(6)
	v_fma_f64 v[30:31], -v[28:29], v[114:115], v[30:31]
	v_fma_f64 v[24:25], -v[28:29], v[116:117], v[24:25]
	s_waitcnt lgkmcnt(5)
	v_fma_f64 v[26:27], -v[28:29], v[118:119], v[26:27]
	v_fma_f64 v[22:23], -v[28:29], v[120:121], v[22:23]
	;; [unrolled: 3-line block ×6, first 2 shown]
	s_waitcnt lgkmcnt(0)
	v_fma_f64 v[102:103], -v[28:29], v[0:1], v[102:103]
.LBB96_607:
	s_or_b32 exec_lo, exec_lo, s0
	v_lshl_add_u32 v0, v113, 3, v110
	s_barrier
	buffer_gl0_inv
	v_mov_b32_e32 v104, 36
	ds_write_b64 v0, v[30:31]
	s_waitcnt lgkmcnt(0)
	s_barrier
	buffer_gl0_inv
	ds_read_b64 v[0:1], v110 offset:288
	s_cmp_lt_i32 s7, 38
	s_cbranch_scc1 .LBB96_610
; %bb.608:
	v_add3_u32 v105, v111, 0, 0x128
	v_mov_b32_e32 v104, 36
	s_mov_b32 s0, 37
.LBB96_609:                             ; =>This Inner Loop Header: Depth=1
	ds_read_b64 v[114:115], v105
	v_add_nc_u32_e32 v105, 8, v105
	s_waitcnt lgkmcnt(0)
	v_cmp_lt_f64_e64 vcc_lo, |v[0:1]|, |v[114:115]|
	v_cndmask_b32_e32 v1, v1, v115, vcc_lo
	v_cndmask_b32_e32 v0, v0, v114, vcc_lo
	v_cndmask_b32_e64 v104, v104, s0, vcc_lo
	s_add_i32 s0, s0, 1
	s_cmp_lg_u32 s7, s0
	s_cbranch_scc1 .LBB96_609
.LBB96_610:
	s_mov_b32 s0, exec_lo
	s_waitcnt lgkmcnt(0)
	v_cmpx_eq_f64_e32 0, v[0:1]
	s_xor_b32 s0, exec_lo, s0
; %bb.611:
	v_cmp_ne_u32_e32 vcc_lo, 0, v107
	v_cndmask_b32_e32 v107, 37, v107, vcc_lo
; %bb.612:
	s_andn2_saveexec_b32 s0, s0
	s_cbranch_execz .LBB96_614
; %bb.613:
	v_div_scale_f64 v[105:106], null, v[0:1], v[0:1], 1.0
	v_rcp_f64_e32 v[114:115], v[105:106]
	v_fma_f64 v[116:117], -v[105:106], v[114:115], 1.0
	v_fma_f64 v[114:115], v[114:115], v[116:117], v[114:115]
	v_fma_f64 v[116:117], -v[105:106], v[114:115], 1.0
	v_fma_f64 v[114:115], v[114:115], v[116:117], v[114:115]
	v_div_scale_f64 v[116:117], vcc_lo, 1.0, v[0:1], 1.0
	v_mul_f64 v[118:119], v[116:117], v[114:115]
	v_fma_f64 v[105:106], -v[105:106], v[118:119], v[116:117]
	v_div_fmas_f64 v[105:106], v[105:106], v[114:115], v[118:119]
	v_div_fixup_f64 v[0:1], v[105:106], v[0:1], 1.0
.LBB96_614:
	s_or_b32 exec_lo, exec_lo, s0
	s_mov_b32 s0, exec_lo
	v_cmpx_ne_u32_e64 v113, v104
	s_xor_b32 s0, exec_lo, s0
	s_cbranch_execz .LBB96_620
; %bb.615:
	s_mov_b32 s1, exec_lo
	v_cmpx_eq_u32_e32 36, v113
	s_cbranch_execz .LBB96_619
; %bb.616:
	v_cmp_ne_u32_e32 vcc_lo, 36, v104
	s_xor_b32 s2, s6, -1
	s_and_b32 s3, s2, vcc_lo
	s_and_saveexec_b32 s2, s3
	s_cbranch_execz .LBB96_618
; %bb.617:
	v_ashrrev_i32_e32 v105, 31, v104
	v_lshlrev_b64 v[105:106], 2, v[104:105]
	v_add_co_u32 v105, vcc_lo, v4, v105
	v_add_co_ci_u32_e64 v106, null, v5, v106, vcc_lo
	s_clause 0x1
	global_load_dword v112, v[105:106], off
	global_load_dword v113, v[4:5], off offset:144
	s_waitcnt vmcnt(1)
	global_store_dword v[4:5], v112, off offset:144
	s_waitcnt vmcnt(0)
	global_store_dword v[105:106], v113, off
.LBB96_618:
	s_or_b32 exec_lo, exec_lo, s2
	v_mov_b32_e32 v112, v104
	v_mov_b32_e32 v113, v104
.LBB96_619:
	s_or_b32 exec_lo, exec_lo, s1
.LBB96_620:
	s_andn2_saveexec_b32 s0, s0
	s_cbranch_execz .LBB96_622
; %bb.621:
	v_mov_b32_e32 v113, 36
	ds_write2_b64 v110, v[24:25], v[26:27] offset0:37 offset1:38
	ds_write2_b64 v110, v[22:23], v[20:21] offset0:39 offset1:40
	ds_write2_b64 v110, v[18:19], v[16:17] offset0:41 offset1:42
	ds_write2_b64 v110, v[14:15], v[12:13] offset0:43 offset1:44
	ds_write2_b64 v110, v[8:9], v[10:11] offset0:45 offset1:46
	ds_write2_b64 v110, v[6:7], v[102:103] offset0:47 offset1:48
.LBB96_622:
	s_or_b32 exec_lo, exec_lo, s0
	s_mov_b32 s0, exec_lo
	s_waitcnt lgkmcnt(0)
	s_waitcnt_vscnt null, 0x0
	s_barrier
	buffer_gl0_inv
	v_cmpx_lt_i32_e32 36, v113
	s_cbranch_execz .LBB96_624
; %bb.623:
	v_mul_f64 v[30:31], v[0:1], v[30:31]
	ds_read2_b64 v[114:117], v110 offset0:37 offset1:38
	ds_read2_b64 v[118:121], v110 offset0:39 offset1:40
	;; [unrolled: 1-line block ×6, first 2 shown]
	s_waitcnt lgkmcnt(5)
	v_fma_f64 v[24:25], -v[30:31], v[114:115], v[24:25]
	v_fma_f64 v[26:27], -v[30:31], v[116:117], v[26:27]
	s_waitcnt lgkmcnt(4)
	v_fma_f64 v[22:23], -v[30:31], v[118:119], v[22:23]
	v_fma_f64 v[20:21], -v[30:31], v[120:121], v[20:21]
	;; [unrolled: 3-line block ×6, first 2 shown]
.LBB96_624:
	s_or_b32 exec_lo, exec_lo, s0
	v_lshl_add_u32 v0, v113, 3, v110
	s_barrier
	buffer_gl0_inv
	v_mov_b32_e32 v104, 37
	ds_write_b64 v0, v[24:25]
	s_waitcnt lgkmcnt(0)
	s_barrier
	buffer_gl0_inv
	ds_read_b64 v[0:1], v110 offset:296
	s_cmp_lt_i32 s7, 39
	s_cbranch_scc1 .LBB96_627
; %bb.625:
	v_add3_u32 v105, v111, 0, 0x130
	v_mov_b32_e32 v104, 37
	s_mov_b32 s0, 38
.LBB96_626:                             ; =>This Inner Loop Header: Depth=1
	ds_read_b64 v[114:115], v105
	v_add_nc_u32_e32 v105, 8, v105
	s_waitcnt lgkmcnt(0)
	v_cmp_lt_f64_e64 vcc_lo, |v[0:1]|, |v[114:115]|
	v_cndmask_b32_e32 v1, v1, v115, vcc_lo
	v_cndmask_b32_e32 v0, v0, v114, vcc_lo
	v_cndmask_b32_e64 v104, v104, s0, vcc_lo
	s_add_i32 s0, s0, 1
	s_cmp_lg_u32 s7, s0
	s_cbranch_scc1 .LBB96_626
.LBB96_627:
	s_mov_b32 s0, exec_lo
	s_waitcnt lgkmcnt(0)
	v_cmpx_eq_f64_e32 0, v[0:1]
	s_xor_b32 s0, exec_lo, s0
; %bb.628:
	v_cmp_ne_u32_e32 vcc_lo, 0, v107
	v_cndmask_b32_e32 v107, 38, v107, vcc_lo
; %bb.629:
	s_andn2_saveexec_b32 s0, s0
	s_cbranch_execz .LBB96_631
; %bb.630:
	v_div_scale_f64 v[105:106], null, v[0:1], v[0:1], 1.0
	v_rcp_f64_e32 v[114:115], v[105:106]
	v_fma_f64 v[116:117], -v[105:106], v[114:115], 1.0
	v_fma_f64 v[114:115], v[114:115], v[116:117], v[114:115]
	v_fma_f64 v[116:117], -v[105:106], v[114:115], 1.0
	v_fma_f64 v[114:115], v[114:115], v[116:117], v[114:115]
	v_div_scale_f64 v[116:117], vcc_lo, 1.0, v[0:1], 1.0
	v_mul_f64 v[118:119], v[116:117], v[114:115]
	v_fma_f64 v[105:106], -v[105:106], v[118:119], v[116:117]
	v_div_fmas_f64 v[105:106], v[105:106], v[114:115], v[118:119]
	v_div_fixup_f64 v[0:1], v[105:106], v[0:1], 1.0
.LBB96_631:
	s_or_b32 exec_lo, exec_lo, s0
	s_mov_b32 s0, exec_lo
	v_cmpx_ne_u32_e64 v113, v104
	s_xor_b32 s0, exec_lo, s0
	s_cbranch_execz .LBB96_637
; %bb.632:
	s_mov_b32 s1, exec_lo
	v_cmpx_eq_u32_e32 37, v113
	s_cbranch_execz .LBB96_636
; %bb.633:
	v_cmp_ne_u32_e32 vcc_lo, 37, v104
	s_xor_b32 s2, s6, -1
	s_and_b32 s3, s2, vcc_lo
	s_and_saveexec_b32 s2, s3
	s_cbranch_execz .LBB96_635
; %bb.634:
	v_ashrrev_i32_e32 v105, 31, v104
	v_lshlrev_b64 v[105:106], 2, v[104:105]
	v_add_co_u32 v105, vcc_lo, v4, v105
	v_add_co_ci_u32_e64 v106, null, v5, v106, vcc_lo
	s_clause 0x1
	global_load_dword v112, v[105:106], off
	global_load_dword v113, v[4:5], off offset:148
	s_waitcnt vmcnt(1)
	global_store_dword v[4:5], v112, off offset:148
	s_waitcnt vmcnt(0)
	global_store_dword v[105:106], v113, off
.LBB96_635:
	s_or_b32 exec_lo, exec_lo, s2
	v_mov_b32_e32 v112, v104
	v_mov_b32_e32 v113, v104
.LBB96_636:
	s_or_b32 exec_lo, exec_lo, s1
.LBB96_637:
	s_andn2_saveexec_b32 s0, s0
	s_cbranch_execz .LBB96_639
; %bb.638:
	v_mov_b32_e32 v104, v26
	v_mov_b32_e32 v105, v27
	;; [unrolled: 1-line block ×8, first 2 shown]
	ds_write2_b64 v110, v[104:105], v[113:114] offset0:38 offset1:39
	v_mov_b32_e32 v104, v18
	v_mov_b32_e32 v105, v19
	;; [unrolled: 1-line block ×13, first 2 shown]
	ds_write2_b64 v110, v[115:116], v[104:105] offset0:40 offset1:41
	ds_write2_b64 v110, v[117:118], v[119:120] offset0:42 offset1:43
	;; [unrolled: 1-line block ×4, first 2 shown]
	ds_write_b64 v110, v[102:103] offset:384
.LBB96_639:
	s_or_b32 exec_lo, exec_lo, s0
	s_mov_b32 s0, exec_lo
	s_waitcnt lgkmcnt(0)
	s_waitcnt_vscnt null, 0x0
	s_barrier
	buffer_gl0_inv
	v_cmpx_lt_i32_e32 37, v113
	s_cbranch_execz .LBB96_641
; %bb.640:
	v_mul_f64 v[24:25], v[0:1], v[24:25]
	ds_read2_b64 v[114:117], v110 offset0:38 offset1:39
	ds_read2_b64 v[118:121], v110 offset0:40 offset1:41
	;; [unrolled: 1-line block ×5, first 2 shown]
	ds_read_b64 v[0:1], v110 offset:384
	s_waitcnt lgkmcnt(5)
	v_fma_f64 v[26:27], -v[24:25], v[114:115], v[26:27]
	v_fma_f64 v[22:23], -v[24:25], v[116:117], v[22:23]
	s_waitcnt lgkmcnt(4)
	v_fma_f64 v[20:21], -v[24:25], v[118:119], v[20:21]
	v_fma_f64 v[18:19], -v[24:25], v[120:121], v[18:19]
	;; [unrolled: 3-line block ×5, first 2 shown]
	s_waitcnt lgkmcnt(0)
	v_fma_f64 v[102:103], -v[24:25], v[0:1], v[102:103]
.LBB96_641:
	s_or_b32 exec_lo, exec_lo, s0
	v_lshl_add_u32 v0, v113, 3, v110
	s_barrier
	buffer_gl0_inv
	v_mov_b32_e32 v104, 38
	ds_write_b64 v0, v[26:27]
	s_waitcnt lgkmcnt(0)
	s_barrier
	buffer_gl0_inv
	ds_read_b64 v[0:1], v110 offset:304
	s_cmp_lt_i32 s7, 40
	s_cbranch_scc1 .LBB96_644
; %bb.642:
	v_add3_u32 v105, v111, 0, 0x138
	v_mov_b32_e32 v104, 38
	s_mov_b32 s0, 39
.LBB96_643:                             ; =>This Inner Loop Header: Depth=1
	ds_read_b64 v[114:115], v105
	v_add_nc_u32_e32 v105, 8, v105
	s_waitcnt lgkmcnt(0)
	v_cmp_lt_f64_e64 vcc_lo, |v[0:1]|, |v[114:115]|
	v_cndmask_b32_e32 v1, v1, v115, vcc_lo
	v_cndmask_b32_e32 v0, v0, v114, vcc_lo
	v_cndmask_b32_e64 v104, v104, s0, vcc_lo
	s_add_i32 s0, s0, 1
	s_cmp_lg_u32 s7, s0
	s_cbranch_scc1 .LBB96_643
.LBB96_644:
	s_mov_b32 s0, exec_lo
	s_waitcnt lgkmcnt(0)
	v_cmpx_eq_f64_e32 0, v[0:1]
	s_xor_b32 s0, exec_lo, s0
; %bb.645:
	v_cmp_ne_u32_e32 vcc_lo, 0, v107
	v_cndmask_b32_e32 v107, 39, v107, vcc_lo
; %bb.646:
	s_andn2_saveexec_b32 s0, s0
	s_cbranch_execz .LBB96_648
; %bb.647:
	v_div_scale_f64 v[105:106], null, v[0:1], v[0:1], 1.0
	v_rcp_f64_e32 v[114:115], v[105:106]
	v_fma_f64 v[116:117], -v[105:106], v[114:115], 1.0
	v_fma_f64 v[114:115], v[114:115], v[116:117], v[114:115]
	v_fma_f64 v[116:117], -v[105:106], v[114:115], 1.0
	v_fma_f64 v[114:115], v[114:115], v[116:117], v[114:115]
	v_div_scale_f64 v[116:117], vcc_lo, 1.0, v[0:1], 1.0
	v_mul_f64 v[118:119], v[116:117], v[114:115]
	v_fma_f64 v[105:106], -v[105:106], v[118:119], v[116:117]
	v_div_fmas_f64 v[105:106], v[105:106], v[114:115], v[118:119]
	v_div_fixup_f64 v[0:1], v[105:106], v[0:1], 1.0
.LBB96_648:
	s_or_b32 exec_lo, exec_lo, s0
	s_mov_b32 s0, exec_lo
	v_cmpx_ne_u32_e64 v113, v104
	s_xor_b32 s0, exec_lo, s0
	s_cbranch_execz .LBB96_654
; %bb.649:
	s_mov_b32 s1, exec_lo
	v_cmpx_eq_u32_e32 38, v113
	s_cbranch_execz .LBB96_653
; %bb.650:
	v_cmp_ne_u32_e32 vcc_lo, 38, v104
	s_xor_b32 s2, s6, -1
	s_and_b32 s3, s2, vcc_lo
	s_and_saveexec_b32 s2, s3
	s_cbranch_execz .LBB96_652
; %bb.651:
	v_ashrrev_i32_e32 v105, 31, v104
	v_lshlrev_b64 v[105:106], 2, v[104:105]
	v_add_co_u32 v105, vcc_lo, v4, v105
	v_add_co_ci_u32_e64 v106, null, v5, v106, vcc_lo
	s_clause 0x1
	global_load_dword v112, v[105:106], off
	global_load_dword v113, v[4:5], off offset:152
	s_waitcnt vmcnt(1)
	global_store_dword v[4:5], v112, off offset:152
	s_waitcnt vmcnt(0)
	global_store_dword v[105:106], v113, off
.LBB96_652:
	s_or_b32 exec_lo, exec_lo, s2
	v_mov_b32_e32 v112, v104
	v_mov_b32_e32 v113, v104
.LBB96_653:
	s_or_b32 exec_lo, exec_lo, s1
.LBB96_654:
	s_andn2_saveexec_b32 s0, s0
	s_cbranch_execz .LBB96_656
; %bb.655:
	v_mov_b32_e32 v113, 38
	ds_write2_b64 v110, v[22:23], v[20:21] offset0:39 offset1:40
	ds_write2_b64 v110, v[18:19], v[16:17] offset0:41 offset1:42
	;; [unrolled: 1-line block ×5, first 2 shown]
.LBB96_656:
	s_or_b32 exec_lo, exec_lo, s0
	s_mov_b32 s0, exec_lo
	s_waitcnt lgkmcnt(0)
	s_waitcnt_vscnt null, 0x0
	s_barrier
	buffer_gl0_inv
	v_cmpx_lt_i32_e32 38, v113
	s_cbranch_execz .LBB96_658
; %bb.657:
	v_mul_f64 v[26:27], v[0:1], v[26:27]
	ds_read2_b64 v[114:117], v110 offset0:39 offset1:40
	ds_read2_b64 v[118:121], v110 offset0:41 offset1:42
	;; [unrolled: 1-line block ×5, first 2 shown]
	s_waitcnt lgkmcnt(4)
	v_fma_f64 v[22:23], -v[26:27], v[114:115], v[22:23]
	v_fma_f64 v[20:21], -v[26:27], v[116:117], v[20:21]
	s_waitcnt lgkmcnt(3)
	v_fma_f64 v[18:19], -v[26:27], v[118:119], v[18:19]
	v_fma_f64 v[16:17], -v[26:27], v[120:121], v[16:17]
	;; [unrolled: 3-line block ×5, first 2 shown]
.LBB96_658:
	s_or_b32 exec_lo, exec_lo, s0
	v_lshl_add_u32 v0, v113, 3, v110
	s_barrier
	buffer_gl0_inv
	v_mov_b32_e32 v104, 39
	ds_write_b64 v0, v[22:23]
	s_waitcnt lgkmcnt(0)
	s_barrier
	buffer_gl0_inv
	ds_read_b64 v[0:1], v110 offset:312
	s_cmp_lt_i32 s7, 41
	s_cbranch_scc1 .LBB96_661
; %bb.659:
	v_add3_u32 v105, v111, 0, 0x140
	v_mov_b32_e32 v104, 39
	s_mov_b32 s0, 40
.LBB96_660:                             ; =>This Inner Loop Header: Depth=1
	ds_read_b64 v[114:115], v105
	v_add_nc_u32_e32 v105, 8, v105
	s_waitcnt lgkmcnt(0)
	v_cmp_lt_f64_e64 vcc_lo, |v[0:1]|, |v[114:115]|
	v_cndmask_b32_e32 v1, v1, v115, vcc_lo
	v_cndmask_b32_e32 v0, v0, v114, vcc_lo
	v_cndmask_b32_e64 v104, v104, s0, vcc_lo
	s_add_i32 s0, s0, 1
	s_cmp_lg_u32 s7, s0
	s_cbranch_scc1 .LBB96_660
.LBB96_661:
	s_mov_b32 s0, exec_lo
	s_waitcnt lgkmcnt(0)
	v_cmpx_eq_f64_e32 0, v[0:1]
	s_xor_b32 s0, exec_lo, s0
; %bb.662:
	v_cmp_ne_u32_e32 vcc_lo, 0, v107
	v_cndmask_b32_e32 v107, 40, v107, vcc_lo
; %bb.663:
	s_andn2_saveexec_b32 s0, s0
	s_cbranch_execz .LBB96_665
; %bb.664:
	v_div_scale_f64 v[105:106], null, v[0:1], v[0:1], 1.0
	v_rcp_f64_e32 v[114:115], v[105:106]
	v_fma_f64 v[116:117], -v[105:106], v[114:115], 1.0
	v_fma_f64 v[114:115], v[114:115], v[116:117], v[114:115]
	v_fma_f64 v[116:117], -v[105:106], v[114:115], 1.0
	v_fma_f64 v[114:115], v[114:115], v[116:117], v[114:115]
	v_div_scale_f64 v[116:117], vcc_lo, 1.0, v[0:1], 1.0
	v_mul_f64 v[118:119], v[116:117], v[114:115]
	v_fma_f64 v[105:106], -v[105:106], v[118:119], v[116:117]
	v_div_fmas_f64 v[105:106], v[105:106], v[114:115], v[118:119]
	v_div_fixup_f64 v[0:1], v[105:106], v[0:1], 1.0
.LBB96_665:
	s_or_b32 exec_lo, exec_lo, s0
	s_mov_b32 s0, exec_lo
	v_cmpx_ne_u32_e64 v113, v104
	s_xor_b32 s0, exec_lo, s0
	s_cbranch_execz .LBB96_671
; %bb.666:
	s_mov_b32 s1, exec_lo
	v_cmpx_eq_u32_e32 39, v113
	s_cbranch_execz .LBB96_670
; %bb.667:
	v_cmp_ne_u32_e32 vcc_lo, 39, v104
	s_xor_b32 s2, s6, -1
	s_and_b32 s3, s2, vcc_lo
	s_and_saveexec_b32 s2, s3
	s_cbranch_execz .LBB96_669
; %bb.668:
	v_ashrrev_i32_e32 v105, 31, v104
	v_lshlrev_b64 v[105:106], 2, v[104:105]
	v_add_co_u32 v105, vcc_lo, v4, v105
	v_add_co_ci_u32_e64 v106, null, v5, v106, vcc_lo
	s_clause 0x1
	global_load_dword v112, v[105:106], off
	global_load_dword v113, v[4:5], off offset:156
	s_waitcnt vmcnt(1)
	global_store_dword v[4:5], v112, off offset:156
	s_waitcnt vmcnt(0)
	global_store_dword v[105:106], v113, off
.LBB96_669:
	s_or_b32 exec_lo, exec_lo, s2
	v_mov_b32_e32 v112, v104
	v_mov_b32_e32 v113, v104
.LBB96_670:
	s_or_b32 exec_lo, exec_lo, s1
.LBB96_671:
	s_andn2_saveexec_b32 s0, s0
	s_cbranch_execz .LBB96_673
; %bb.672:
	v_mov_b32_e32 v104, v20
	v_mov_b32_e32 v105, v21
	;; [unrolled: 1-line block ×8, first 2 shown]
	ds_write2_b64 v110, v[104:105], v[113:114] offset0:40 offset1:41
	v_mov_b32_e32 v113, 39
	v_mov_b32_e32 v119, v12
	;; [unrolled: 1-line block ×9, first 2 shown]
	ds_write2_b64 v110, v[115:116], v[117:118] offset0:42 offset1:43
	ds_write2_b64 v110, v[119:120], v[121:122] offset0:44 offset1:45
	;; [unrolled: 1-line block ×3, first 2 shown]
	ds_write_b64 v110, v[102:103] offset:384
.LBB96_673:
	s_or_b32 exec_lo, exec_lo, s0
	s_mov_b32 s0, exec_lo
	s_waitcnt lgkmcnt(0)
	s_waitcnt_vscnt null, 0x0
	s_barrier
	buffer_gl0_inv
	v_cmpx_lt_i32_e32 39, v113
	s_cbranch_execz .LBB96_675
; %bb.674:
	v_mul_f64 v[22:23], v[0:1], v[22:23]
	ds_read2_b64 v[114:117], v110 offset0:40 offset1:41
	ds_read2_b64 v[118:121], v110 offset0:42 offset1:43
	;; [unrolled: 1-line block ×4, first 2 shown]
	ds_read_b64 v[0:1], v110 offset:384
	s_waitcnt lgkmcnt(4)
	v_fma_f64 v[20:21], -v[22:23], v[114:115], v[20:21]
	v_fma_f64 v[18:19], -v[22:23], v[116:117], v[18:19]
	s_waitcnt lgkmcnt(3)
	v_fma_f64 v[16:17], -v[22:23], v[118:119], v[16:17]
	v_fma_f64 v[14:15], -v[22:23], v[120:121], v[14:15]
	;; [unrolled: 3-line block ×4, first 2 shown]
	s_waitcnt lgkmcnt(0)
	v_fma_f64 v[102:103], -v[22:23], v[0:1], v[102:103]
.LBB96_675:
	s_or_b32 exec_lo, exec_lo, s0
	v_lshl_add_u32 v0, v113, 3, v110
	s_barrier
	buffer_gl0_inv
	v_mov_b32_e32 v104, 40
	ds_write_b64 v0, v[20:21]
	s_waitcnt lgkmcnt(0)
	s_barrier
	buffer_gl0_inv
	ds_read_b64 v[0:1], v110 offset:320
	s_cmp_lt_i32 s7, 42
	s_cbranch_scc1 .LBB96_678
; %bb.676:
	v_add3_u32 v105, v111, 0, 0x148
	v_mov_b32_e32 v104, 40
	s_mov_b32 s0, 41
.LBB96_677:                             ; =>This Inner Loop Header: Depth=1
	ds_read_b64 v[114:115], v105
	v_add_nc_u32_e32 v105, 8, v105
	s_waitcnt lgkmcnt(0)
	v_cmp_lt_f64_e64 vcc_lo, |v[0:1]|, |v[114:115]|
	v_cndmask_b32_e32 v1, v1, v115, vcc_lo
	v_cndmask_b32_e32 v0, v0, v114, vcc_lo
	v_cndmask_b32_e64 v104, v104, s0, vcc_lo
	s_add_i32 s0, s0, 1
	s_cmp_lg_u32 s7, s0
	s_cbranch_scc1 .LBB96_677
.LBB96_678:
	s_mov_b32 s0, exec_lo
	s_waitcnt lgkmcnt(0)
	v_cmpx_eq_f64_e32 0, v[0:1]
	s_xor_b32 s0, exec_lo, s0
; %bb.679:
	v_cmp_ne_u32_e32 vcc_lo, 0, v107
	v_cndmask_b32_e32 v107, 41, v107, vcc_lo
; %bb.680:
	s_andn2_saveexec_b32 s0, s0
	s_cbranch_execz .LBB96_682
; %bb.681:
	v_div_scale_f64 v[105:106], null, v[0:1], v[0:1], 1.0
	v_rcp_f64_e32 v[114:115], v[105:106]
	v_fma_f64 v[116:117], -v[105:106], v[114:115], 1.0
	v_fma_f64 v[114:115], v[114:115], v[116:117], v[114:115]
	v_fma_f64 v[116:117], -v[105:106], v[114:115], 1.0
	v_fma_f64 v[114:115], v[114:115], v[116:117], v[114:115]
	v_div_scale_f64 v[116:117], vcc_lo, 1.0, v[0:1], 1.0
	v_mul_f64 v[118:119], v[116:117], v[114:115]
	v_fma_f64 v[105:106], -v[105:106], v[118:119], v[116:117]
	v_div_fmas_f64 v[105:106], v[105:106], v[114:115], v[118:119]
	v_div_fixup_f64 v[0:1], v[105:106], v[0:1], 1.0
.LBB96_682:
	s_or_b32 exec_lo, exec_lo, s0
	s_mov_b32 s0, exec_lo
	v_cmpx_ne_u32_e64 v113, v104
	s_xor_b32 s0, exec_lo, s0
	s_cbranch_execz .LBB96_688
; %bb.683:
	s_mov_b32 s1, exec_lo
	v_cmpx_eq_u32_e32 40, v113
	s_cbranch_execz .LBB96_687
; %bb.684:
	v_cmp_ne_u32_e32 vcc_lo, 40, v104
	s_xor_b32 s2, s6, -1
	s_and_b32 s3, s2, vcc_lo
	s_and_saveexec_b32 s2, s3
	s_cbranch_execz .LBB96_686
; %bb.685:
	v_ashrrev_i32_e32 v105, 31, v104
	v_lshlrev_b64 v[105:106], 2, v[104:105]
	v_add_co_u32 v105, vcc_lo, v4, v105
	v_add_co_ci_u32_e64 v106, null, v5, v106, vcc_lo
	s_clause 0x1
	global_load_dword v112, v[105:106], off
	global_load_dword v113, v[4:5], off offset:160
	s_waitcnt vmcnt(1)
	global_store_dword v[4:5], v112, off offset:160
	s_waitcnt vmcnt(0)
	global_store_dword v[105:106], v113, off
.LBB96_686:
	s_or_b32 exec_lo, exec_lo, s2
	v_mov_b32_e32 v112, v104
	v_mov_b32_e32 v113, v104
.LBB96_687:
	s_or_b32 exec_lo, exec_lo, s1
.LBB96_688:
	s_andn2_saveexec_b32 s0, s0
	s_cbranch_execz .LBB96_690
; %bb.689:
	v_mov_b32_e32 v113, 40
	ds_write2_b64 v110, v[18:19], v[16:17] offset0:41 offset1:42
	ds_write2_b64 v110, v[14:15], v[12:13] offset0:43 offset1:44
	;; [unrolled: 1-line block ×4, first 2 shown]
.LBB96_690:
	s_or_b32 exec_lo, exec_lo, s0
	s_mov_b32 s0, exec_lo
	s_waitcnt lgkmcnt(0)
	s_waitcnt_vscnt null, 0x0
	s_barrier
	buffer_gl0_inv
	v_cmpx_lt_i32_e32 40, v113
	s_cbranch_execz .LBB96_692
; %bb.691:
	v_mul_f64 v[20:21], v[0:1], v[20:21]
	ds_read2_b64 v[114:117], v110 offset0:41 offset1:42
	ds_read2_b64 v[118:121], v110 offset0:43 offset1:44
	;; [unrolled: 1-line block ×4, first 2 shown]
	s_waitcnt lgkmcnt(3)
	v_fma_f64 v[18:19], -v[20:21], v[114:115], v[18:19]
	v_fma_f64 v[16:17], -v[20:21], v[116:117], v[16:17]
	s_waitcnt lgkmcnt(2)
	v_fma_f64 v[14:15], -v[20:21], v[118:119], v[14:15]
	v_fma_f64 v[12:13], -v[20:21], v[120:121], v[12:13]
	;; [unrolled: 3-line block ×4, first 2 shown]
.LBB96_692:
	s_or_b32 exec_lo, exec_lo, s0
	v_lshl_add_u32 v0, v113, 3, v110
	s_barrier
	buffer_gl0_inv
	v_mov_b32_e32 v104, 41
	ds_write_b64 v0, v[18:19]
	s_waitcnt lgkmcnt(0)
	s_barrier
	buffer_gl0_inv
	ds_read_b64 v[0:1], v110 offset:328
	s_cmp_lt_i32 s7, 43
	s_cbranch_scc1 .LBB96_695
; %bb.693:
	v_add3_u32 v105, v111, 0, 0x150
	v_mov_b32_e32 v104, 41
	s_mov_b32 s0, 42
.LBB96_694:                             ; =>This Inner Loop Header: Depth=1
	ds_read_b64 v[114:115], v105
	v_add_nc_u32_e32 v105, 8, v105
	s_waitcnt lgkmcnt(0)
	v_cmp_lt_f64_e64 vcc_lo, |v[0:1]|, |v[114:115]|
	v_cndmask_b32_e32 v1, v1, v115, vcc_lo
	v_cndmask_b32_e32 v0, v0, v114, vcc_lo
	v_cndmask_b32_e64 v104, v104, s0, vcc_lo
	s_add_i32 s0, s0, 1
	s_cmp_lg_u32 s7, s0
	s_cbranch_scc1 .LBB96_694
.LBB96_695:
	s_mov_b32 s0, exec_lo
	s_waitcnt lgkmcnt(0)
	v_cmpx_eq_f64_e32 0, v[0:1]
	s_xor_b32 s0, exec_lo, s0
; %bb.696:
	v_cmp_ne_u32_e32 vcc_lo, 0, v107
	v_cndmask_b32_e32 v107, 42, v107, vcc_lo
; %bb.697:
	s_andn2_saveexec_b32 s0, s0
	s_cbranch_execz .LBB96_699
; %bb.698:
	v_div_scale_f64 v[105:106], null, v[0:1], v[0:1], 1.0
	v_rcp_f64_e32 v[114:115], v[105:106]
	v_fma_f64 v[116:117], -v[105:106], v[114:115], 1.0
	v_fma_f64 v[114:115], v[114:115], v[116:117], v[114:115]
	v_fma_f64 v[116:117], -v[105:106], v[114:115], 1.0
	v_fma_f64 v[114:115], v[114:115], v[116:117], v[114:115]
	v_div_scale_f64 v[116:117], vcc_lo, 1.0, v[0:1], 1.0
	v_mul_f64 v[118:119], v[116:117], v[114:115]
	v_fma_f64 v[105:106], -v[105:106], v[118:119], v[116:117]
	v_div_fmas_f64 v[105:106], v[105:106], v[114:115], v[118:119]
	v_div_fixup_f64 v[0:1], v[105:106], v[0:1], 1.0
.LBB96_699:
	s_or_b32 exec_lo, exec_lo, s0
	s_mov_b32 s0, exec_lo
	v_cmpx_ne_u32_e64 v113, v104
	s_xor_b32 s0, exec_lo, s0
	s_cbranch_execz .LBB96_705
; %bb.700:
	s_mov_b32 s1, exec_lo
	v_cmpx_eq_u32_e32 41, v113
	s_cbranch_execz .LBB96_704
; %bb.701:
	v_cmp_ne_u32_e32 vcc_lo, 41, v104
	s_xor_b32 s2, s6, -1
	s_and_b32 s3, s2, vcc_lo
	s_and_saveexec_b32 s2, s3
	s_cbranch_execz .LBB96_703
; %bb.702:
	v_ashrrev_i32_e32 v105, 31, v104
	v_lshlrev_b64 v[105:106], 2, v[104:105]
	v_add_co_u32 v105, vcc_lo, v4, v105
	v_add_co_ci_u32_e64 v106, null, v5, v106, vcc_lo
	s_clause 0x1
	global_load_dword v112, v[105:106], off
	global_load_dword v113, v[4:5], off offset:164
	s_waitcnt vmcnt(1)
	global_store_dword v[4:5], v112, off offset:164
	s_waitcnt vmcnt(0)
	global_store_dword v[105:106], v113, off
.LBB96_703:
	s_or_b32 exec_lo, exec_lo, s2
	v_mov_b32_e32 v112, v104
	v_mov_b32_e32 v113, v104
.LBB96_704:
	s_or_b32 exec_lo, exec_lo, s1
.LBB96_705:
	s_andn2_saveexec_b32 s0, s0
	s_cbranch_execz .LBB96_707
; %bb.706:
	v_mov_b32_e32 v104, v16
	v_mov_b32_e32 v105, v17
	;; [unrolled: 1-line block ×13, first 2 shown]
	ds_write2_b64 v110, v[104:105], v[114:115] offset0:42 offset1:43
	ds_write2_b64 v110, v[116:117], v[118:119] offset0:44 offset1:45
	;; [unrolled: 1-line block ×3, first 2 shown]
	ds_write_b64 v110, v[102:103] offset:384
.LBB96_707:
	s_or_b32 exec_lo, exec_lo, s0
	s_mov_b32 s0, exec_lo
	s_waitcnt lgkmcnt(0)
	s_waitcnt_vscnt null, 0x0
	s_barrier
	buffer_gl0_inv
	v_cmpx_lt_i32_e32 41, v113
	s_cbranch_execz .LBB96_709
; %bb.708:
	v_mul_f64 v[18:19], v[0:1], v[18:19]
	ds_read2_b64 v[114:117], v110 offset0:42 offset1:43
	ds_read2_b64 v[118:121], v110 offset0:44 offset1:45
	;; [unrolled: 1-line block ×3, first 2 shown]
	ds_read_b64 v[0:1], v110 offset:384
	s_waitcnt lgkmcnt(3)
	v_fma_f64 v[16:17], -v[18:19], v[114:115], v[16:17]
	v_fma_f64 v[14:15], -v[18:19], v[116:117], v[14:15]
	s_waitcnt lgkmcnt(2)
	v_fma_f64 v[12:13], -v[18:19], v[118:119], v[12:13]
	v_fma_f64 v[8:9], -v[18:19], v[120:121], v[8:9]
	;; [unrolled: 3-line block ×3, first 2 shown]
	s_waitcnt lgkmcnt(0)
	v_fma_f64 v[102:103], -v[18:19], v[0:1], v[102:103]
.LBB96_709:
	s_or_b32 exec_lo, exec_lo, s0
	v_lshl_add_u32 v0, v113, 3, v110
	s_barrier
	buffer_gl0_inv
	v_mov_b32_e32 v104, 42
	ds_write_b64 v0, v[16:17]
	s_waitcnt lgkmcnt(0)
	s_barrier
	buffer_gl0_inv
	ds_read_b64 v[0:1], v110 offset:336
	s_cmp_lt_i32 s7, 44
	s_cbranch_scc1 .LBB96_712
; %bb.710:
	v_add3_u32 v105, v111, 0, 0x158
	v_mov_b32_e32 v104, 42
	s_mov_b32 s0, 43
.LBB96_711:                             ; =>This Inner Loop Header: Depth=1
	ds_read_b64 v[114:115], v105
	v_add_nc_u32_e32 v105, 8, v105
	s_waitcnt lgkmcnt(0)
	v_cmp_lt_f64_e64 vcc_lo, |v[0:1]|, |v[114:115]|
	v_cndmask_b32_e32 v1, v1, v115, vcc_lo
	v_cndmask_b32_e32 v0, v0, v114, vcc_lo
	v_cndmask_b32_e64 v104, v104, s0, vcc_lo
	s_add_i32 s0, s0, 1
	s_cmp_lg_u32 s7, s0
	s_cbranch_scc1 .LBB96_711
.LBB96_712:
	s_mov_b32 s0, exec_lo
	s_waitcnt lgkmcnt(0)
	v_cmpx_eq_f64_e32 0, v[0:1]
	s_xor_b32 s0, exec_lo, s0
; %bb.713:
	v_cmp_ne_u32_e32 vcc_lo, 0, v107
	v_cndmask_b32_e32 v107, 43, v107, vcc_lo
; %bb.714:
	s_andn2_saveexec_b32 s0, s0
	s_cbranch_execz .LBB96_716
; %bb.715:
	v_div_scale_f64 v[105:106], null, v[0:1], v[0:1], 1.0
	v_rcp_f64_e32 v[114:115], v[105:106]
	v_fma_f64 v[116:117], -v[105:106], v[114:115], 1.0
	v_fma_f64 v[114:115], v[114:115], v[116:117], v[114:115]
	v_fma_f64 v[116:117], -v[105:106], v[114:115], 1.0
	v_fma_f64 v[114:115], v[114:115], v[116:117], v[114:115]
	v_div_scale_f64 v[116:117], vcc_lo, 1.0, v[0:1], 1.0
	v_mul_f64 v[118:119], v[116:117], v[114:115]
	v_fma_f64 v[105:106], -v[105:106], v[118:119], v[116:117]
	v_div_fmas_f64 v[105:106], v[105:106], v[114:115], v[118:119]
	v_div_fixup_f64 v[0:1], v[105:106], v[0:1], 1.0
.LBB96_716:
	s_or_b32 exec_lo, exec_lo, s0
	s_mov_b32 s0, exec_lo
	v_cmpx_ne_u32_e64 v113, v104
	s_xor_b32 s0, exec_lo, s0
	s_cbranch_execz .LBB96_722
; %bb.717:
	s_mov_b32 s1, exec_lo
	v_cmpx_eq_u32_e32 42, v113
	s_cbranch_execz .LBB96_721
; %bb.718:
	v_cmp_ne_u32_e32 vcc_lo, 42, v104
	s_xor_b32 s2, s6, -1
	s_and_b32 s3, s2, vcc_lo
	s_and_saveexec_b32 s2, s3
	s_cbranch_execz .LBB96_720
; %bb.719:
	v_ashrrev_i32_e32 v105, 31, v104
	v_lshlrev_b64 v[105:106], 2, v[104:105]
	v_add_co_u32 v105, vcc_lo, v4, v105
	v_add_co_ci_u32_e64 v106, null, v5, v106, vcc_lo
	s_clause 0x1
	global_load_dword v112, v[105:106], off
	global_load_dword v113, v[4:5], off offset:168
	s_waitcnt vmcnt(1)
	global_store_dword v[4:5], v112, off offset:168
	s_waitcnt vmcnt(0)
	global_store_dword v[105:106], v113, off
.LBB96_720:
	s_or_b32 exec_lo, exec_lo, s2
	v_mov_b32_e32 v112, v104
	v_mov_b32_e32 v113, v104
.LBB96_721:
	s_or_b32 exec_lo, exec_lo, s1
.LBB96_722:
	s_andn2_saveexec_b32 s0, s0
	s_cbranch_execz .LBB96_724
; %bb.723:
	v_mov_b32_e32 v113, 42
	ds_write2_b64 v110, v[14:15], v[12:13] offset0:43 offset1:44
	ds_write2_b64 v110, v[8:9], v[10:11] offset0:45 offset1:46
	;; [unrolled: 1-line block ×3, first 2 shown]
.LBB96_724:
	s_or_b32 exec_lo, exec_lo, s0
	s_mov_b32 s0, exec_lo
	s_waitcnt lgkmcnt(0)
	s_waitcnt_vscnt null, 0x0
	s_barrier
	buffer_gl0_inv
	v_cmpx_lt_i32_e32 42, v113
	s_cbranch_execz .LBB96_726
; %bb.725:
	v_mul_f64 v[16:17], v[0:1], v[16:17]
	ds_read2_b64 v[114:117], v110 offset0:43 offset1:44
	ds_read2_b64 v[118:121], v110 offset0:45 offset1:46
	;; [unrolled: 1-line block ×3, first 2 shown]
	s_waitcnt lgkmcnt(2)
	v_fma_f64 v[14:15], -v[16:17], v[114:115], v[14:15]
	v_fma_f64 v[12:13], -v[16:17], v[116:117], v[12:13]
	s_waitcnt lgkmcnt(1)
	v_fma_f64 v[8:9], -v[16:17], v[118:119], v[8:9]
	v_fma_f64 v[10:11], -v[16:17], v[120:121], v[10:11]
	;; [unrolled: 3-line block ×3, first 2 shown]
.LBB96_726:
	s_or_b32 exec_lo, exec_lo, s0
	v_lshl_add_u32 v0, v113, 3, v110
	s_barrier
	buffer_gl0_inv
	v_mov_b32_e32 v104, 43
	ds_write_b64 v0, v[14:15]
	s_waitcnt lgkmcnt(0)
	s_barrier
	buffer_gl0_inv
	ds_read_b64 v[0:1], v110 offset:344
	s_cmp_lt_i32 s7, 45
	s_cbranch_scc1 .LBB96_729
; %bb.727:
	v_add3_u32 v105, v111, 0, 0x160
	v_mov_b32_e32 v104, 43
	s_mov_b32 s0, 44
.LBB96_728:                             ; =>This Inner Loop Header: Depth=1
	ds_read_b64 v[114:115], v105
	v_add_nc_u32_e32 v105, 8, v105
	s_waitcnt lgkmcnt(0)
	v_cmp_lt_f64_e64 vcc_lo, |v[0:1]|, |v[114:115]|
	v_cndmask_b32_e32 v1, v1, v115, vcc_lo
	v_cndmask_b32_e32 v0, v0, v114, vcc_lo
	v_cndmask_b32_e64 v104, v104, s0, vcc_lo
	s_add_i32 s0, s0, 1
	s_cmp_lg_u32 s7, s0
	s_cbranch_scc1 .LBB96_728
.LBB96_729:
	s_mov_b32 s0, exec_lo
	s_waitcnt lgkmcnt(0)
	v_cmpx_eq_f64_e32 0, v[0:1]
	s_xor_b32 s0, exec_lo, s0
; %bb.730:
	v_cmp_ne_u32_e32 vcc_lo, 0, v107
	v_cndmask_b32_e32 v107, 44, v107, vcc_lo
; %bb.731:
	s_andn2_saveexec_b32 s0, s0
	s_cbranch_execz .LBB96_733
; %bb.732:
	v_div_scale_f64 v[105:106], null, v[0:1], v[0:1], 1.0
	v_rcp_f64_e32 v[114:115], v[105:106]
	v_fma_f64 v[116:117], -v[105:106], v[114:115], 1.0
	v_fma_f64 v[114:115], v[114:115], v[116:117], v[114:115]
	v_fma_f64 v[116:117], -v[105:106], v[114:115], 1.0
	v_fma_f64 v[114:115], v[114:115], v[116:117], v[114:115]
	v_div_scale_f64 v[116:117], vcc_lo, 1.0, v[0:1], 1.0
	v_mul_f64 v[118:119], v[116:117], v[114:115]
	v_fma_f64 v[105:106], -v[105:106], v[118:119], v[116:117]
	v_div_fmas_f64 v[105:106], v[105:106], v[114:115], v[118:119]
	v_div_fixup_f64 v[0:1], v[105:106], v[0:1], 1.0
.LBB96_733:
	s_or_b32 exec_lo, exec_lo, s0
	s_mov_b32 s0, exec_lo
	v_cmpx_ne_u32_e64 v113, v104
	s_xor_b32 s0, exec_lo, s0
	s_cbranch_execz .LBB96_739
; %bb.734:
	s_mov_b32 s1, exec_lo
	v_cmpx_eq_u32_e32 43, v113
	s_cbranch_execz .LBB96_738
; %bb.735:
	v_cmp_ne_u32_e32 vcc_lo, 43, v104
	s_xor_b32 s2, s6, -1
	s_and_b32 s3, s2, vcc_lo
	s_and_saveexec_b32 s2, s3
	s_cbranch_execz .LBB96_737
; %bb.736:
	v_ashrrev_i32_e32 v105, 31, v104
	v_lshlrev_b64 v[105:106], 2, v[104:105]
	v_add_co_u32 v105, vcc_lo, v4, v105
	v_add_co_ci_u32_e64 v106, null, v5, v106, vcc_lo
	s_clause 0x1
	global_load_dword v112, v[105:106], off
	global_load_dword v113, v[4:5], off offset:172
	s_waitcnt vmcnt(1)
	global_store_dword v[4:5], v112, off offset:172
	s_waitcnt vmcnt(0)
	global_store_dword v[105:106], v113, off
.LBB96_737:
	s_or_b32 exec_lo, exec_lo, s2
	v_mov_b32_e32 v112, v104
	v_mov_b32_e32 v113, v104
.LBB96_738:
	s_or_b32 exec_lo, exec_lo, s1
.LBB96_739:
	s_andn2_saveexec_b32 s0, s0
	s_cbranch_execz .LBB96_741
; %bb.740:
	v_mov_b32_e32 v104, v12
	v_mov_b32_e32 v105, v13
	;; [unrolled: 1-line block ×9, first 2 shown]
	ds_write2_b64 v110, v[104:105], v[114:115] offset0:44 offset1:45
	ds_write2_b64 v110, v[116:117], v[118:119] offset0:46 offset1:47
	ds_write_b64 v110, v[102:103] offset:384
.LBB96_741:
	s_or_b32 exec_lo, exec_lo, s0
	s_mov_b32 s0, exec_lo
	s_waitcnt lgkmcnt(0)
	s_waitcnt_vscnt null, 0x0
	s_barrier
	buffer_gl0_inv
	v_cmpx_lt_i32_e32 43, v113
	s_cbranch_execz .LBB96_743
; %bb.742:
	v_mul_f64 v[14:15], v[0:1], v[14:15]
	ds_read2_b64 v[114:117], v110 offset0:44 offset1:45
	ds_read2_b64 v[118:121], v110 offset0:46 offset1:47
	ds_read_b64 v[0:1], v110 offset:384
	s_waitcnt lgkmcnt(2)
	v_fma_f64 v[12:13], -v[14:15], v[114:115], v[12:13]
	v_fma_f64 v[8:9], -v[14:15], v[116:117], v[8:9]
	s_waitcnt lgkmcnt(1)
	v_fma_f64 v[10:11], -v[14:15], v[118:119], v[10:11]
	v_fma_f64 v[6:7], -v[14:15], v[120:121], v[6:7]
	s_waitcnt lgkmcnt(0)
	v_fma_f64 v[102:103], -v[14:15], v[0:1], v[102:103]
.LBB96_743:
	s_or_b32 exec_lo, exec_lo, s0
	v_lshl_add_u32 v0, v113, 3, v110
	s_barrier
	buffer_gl0_inv
	v_mov_b32_e32 v104, 44
	ds_write_b64 v0, v[12:13]
	s_waitcnt lgkmcnt(0)
	s_barrier
	buffer_gl0_inv
	ds_read_b64 v[0:1], v110 offset:352
	s_cmp_lt_i32 s7, 46
	s_cbranch_scc1 .LBB96_746
; %bb.744:
	v_add3_u32 v105, v111, 0, 0x168
	v_mov_b32_e32 v104, 44
	s_mov_b32 s0, 45
.LBB96_745:                             ; =>This Inner Loop Header: Depth=1
	ds_read_b64 v[114:115], v105
	v_add_nc_u32_e32 v105, 8, v105
	s_waitcnt lgkmcnt(0)
	v_cmp_lt_f64_e64 vcc_lo, |v[0:1]|, |v[114:115]|
	v_cndmask_b32_e32 v1, v1, v115, vcc_lo
	v_cndmask_b32_e32 v0, v0, v114, vcc_lo
	v_cndmask_b32_e64 v104, v104, s0, vcc_lo
	s_add_i32 s0, s0, 1
	s_cmp_lg_u32 s7, s0
	s_cbranch_scc1 .LBB96_745
.LBB96_746:
	s_mov_b32 s0, exec_lo
	s_waitcnt lgkmcnt(0)
	v_cmpx_eq_f64_e32 0, v[0:1]
	s_xor_b32 s0, exec_lo, s0
; %bb.747:
	v_cmp_ne_u32_e32 vcc_lo, 0, v107
	v_cndmask_b32_e32 v107, 45, v107, vcc_lo
; %bb.748:
	s_andn2_saveexec_b32 s0, s0
	s_cbranch_execz .LBB96_750
; %bb.749:
	v_div_scale_f64 v[105:106], null, v[0:1], v[0:1], 1.0
	v_rcp_f64_e32 v[114:115], v[105:106]
	v_fma_f64 v[116:117], -v[105:106], v[114:115], 1.0
	v_fma_f64 v[114:115], v[114:115], v[116:117], v[114:115]
	v_fma_f64 v[116:117], -v[105:106], v[114:115], 1.0
	v_fma_f64 v[114:115], v[114:115], v[116:117], v[114:115]
	v_div_scale_f64 v[116:117], vcc_lo, 1.0, v[0:1], 1.0
	v_mul_f64 v[118:119], v[116:117], v[114:115]
	v_fma_f64 v[105:106], -v[105:106], v[118:119], v[116:117]
	v_div_fmas_f64 v[105:106], v[105:106], v[114:115], v[118:119]
	v_div_fixup_f64 v[0:1], v[105:106], v[0:1], 1.0
.LBB96_750:
	s_or_b32 exec_lo, exec_lo, s0
	s_mov_b32 s0, exec_lo
	v_cmpx_ne_u32_e64 v113, v104
	s_xor_b32 s0, exec_lo, s0
	s_cbranch_execz .LBB96_756
; %bb.751:
	s_mov_b32 s1, exec_lo
	v_cmpx_eq_u32_e32 44, v113
	s_cbranch_execz .LBB96_755
; %bb.752:
	v_cmp_ne_u32_e32 vcc_lo, 44, v104
	s_xor_b32 s2, s6, -1
	s_and_b32 s3, s2, vcc_lo
	s_and_saveexec_b32 s2, s3
	s_cbranch_execz .LBB96_754
; %bb.753:
	v_ashrrev_i32_e32 v105, 31, v104
	v_lshlrev_b64 v[105:106], 2, v[104:105]
	v_add_co_u32 v105, vcc_lo, v4, v105
	v_add_co_ci_u32_e64 v106, null, v5, v106, vcc_lo
	s_clause 0x1
	global_load_dword v112, v[105:106], off
	global_load_dword v113, v[4:5], off offset:176
	s_waitcnt vmcnt(1)
	global_store_dword v[4:5], v112, off offset:176
	s_waitcnt vmcnt(0)
	global_store_dword v[105:106], v113, off
.LBB96_754:
	s_or_b32 exec_lo, exec_lo, s2
	v_mov_b32_e32 v112, v104
	v_mov_b32_e32 v113, v104
.LBB96_755:
	s_or_b32 exec_lo, exec_lo, s1
.LBB96_756:
	s_andn2_saveexec_b32 s0, s0
	s_cbranch_execz .LBB96_758
; %bb.757:
	v_mov_b32_e32 v113, 44
	ds_write2_b64 v110, v[8:9], v[10:11] offset0:45 offset1:46
	ds_write2_b64 v110, v[6:7], v[102:103] offset0:47 offset1:48
.LBB96_758:
	s_or_b32 exec_lo, exec_lo, s0
	s_mov_b32 s0, exec_lo
	s_waitcnt lgkmcnt(0)
	s_waitcnt_vscnt null, 0x0
	s_barrier
	buffer_gl0_inv
	v_cmpx_lt_i32_e32 44, v113
	s_cbranch_execz .LBB96_760
; %bb.759:
	v_mul_f64 v[12:13], v[0:1], v[12:13]
	ds_read2_b64 v[114:117], v110 offset0:45 offset1:46
	ds_read2_b64 v[118:121], v110 offset0:47 offset1:48
	s_waitcnt lgkmcnt(1)
	v_fma_f64 v[8:9], -v[12:13], v[114:115], v[8:9]
	v_fma_f64 v[10:11], -v[12:13], v[116:117], v[10:11]
	s_waitcnt lgkmcnt(0)
	v_fma_f64 v[6:7], -v[12:13], v[118:119], v[6:7]
	v_fma_f64 v[102:103], -v[12:13], v[120:121], v[102:103]
.LBB96_760:
	s_or_b32 exec_lo, exec_lo, s0
	v_lshl_add_u32 v0, v113, 3, v110
	s_barrier
	buffer_gl0_inv
	v_mov_b32_e32 v104, 45
	ds_write_b64 v0, v[8:9]
	s_waitcnt lgkmcnt(0)
	s_barrier
	buffer_gl0_inv
	ds_read_b64 v[0:1], v110 offset:360
	s_cmp_lt_i32 s7, 47
	s_cbranch_scc1 .LBB96_763
; %bb.761:
	v_add3_u32 v105, v111, 0, 0x170
	v_mov_b32_e32 v104, 45
	s_mov_b32 s0, 46
.LBB96_762:                             ; =>This Inner Loop Header: Depth=1
	ds_read_b64 v[114:115], v105
	v_add_nc_u32_e32 v105, 8, v105
	s_waitcnt lgkmcnt(0)
	v_cmp_lt_f64_e64 vcc_lo, |v[0:1]|, |v[114:115]|
	v_cndmask_b32_e32 v1, v1, v115, vcc_lo
	v_cndmask_b32_e32 v0, v0, v114, vcc_lo
	v_cndmask_b32_e64 v104, v104, s0, vcc_lo
	s_add_i32 s0, s0, 1
	s_cmp_lg_u32 s7, s0
	s_cbranch_scc1 .LBB96_762
.LBB96_763:
	s_mov_b32 s0, exec_lo
	s_waitcnt lgkmcnt(0)
	v_cmpx_eq_f64_e32 0, v[0:1]
	s_xor_b32 s0, exec_lo, s0
; %bb.764:
	v_cmp_ne_u32_e32 vcc_lo, 0, v107
	v_cndmask_b32_e32 v107, 46, v107, vcc_lo
; %bb.765:
	s_andn2_saveexec_b32 s0, s0
	s_cbranch_execz .LBB96_767
; %bb.766:
	v_div_scale_f64 v[105:106], null, v[0:1], v[0:1], 1.0
	v_rcp_f64_e32 v[114:115], v[105:106]
	v_fma_f64 v[116:117], -v[105:106], v[114:115], 1.0
	v_fma_f64 v[114:115], v[114:115], v[116:117], v[114:115]
	v_fma_f64 v[116:117], -v[105:106], v[114:115], 1.0
	v_fma_f64 v[114:115], v[114:115], v[116:117], v[114:115]
	v_div_scale_f64 v[116:117], vcc_lo, 1.0, v[0:1], 1.0
	v_mul_f64 v[118:119], v[116:117], v[114:115]
	v_fma_f64 v[105:106], -v[105:106], v[118:119], v[116:117]
	v_div_fmas_f64 v[105:106], v[105:106], v[114:115], v[118:119]
	v_div_fixup_f64 v[0:1], v[105:106], v[0:1], 1.0
.LBB96_767:
	s_or_b32 exec_lo, exec_lo, s0
	s_mov_b32 s0, exec_lo
	v_cmpx_ne_u32_e64 v113, v104
	s_xor_b32 s0, exec_lo, s0
	s_cbranch_execz .LBB96_773
; %bb.768:
	s_mov_b32 s1, exec_lo
	v_cmpx_eq_u32_e32 45, v113
	s_cbranch_execz .LBB96_772
; %bb.769:
	v_cmp_ne_u32_e32 vcc_lo, 45, v104
	s_xor_b32 s2, s6, -1
	s_and_b32 s3, s2, vcc_lo
	s_and_saveexec_b32 s2, s3
	s_cbranch_execz .LBB96_771
; %bb.770:
	v_ashrrev_i32_e32 v105, 31, v104
	v_lshlrev_b64 v[105:106], 2, v[104:105]
	v_add_co_u32 v105, vcc_lo, v4, v105
	v_add_co_ci_u32_e64 v106, null, v5, v106, vcc_lo
	s_clause 0x1
	global_load_dword v112, v[105:106], off
	global_load_dword v113, v[4:5], off offset:180
	s_waitcnt vmcnt(1)
	global_store_dword v[4:5], v112, off offset:180
	s_waitcnt vmcnt(0)
	global_store_dword v[105:106], v113, off
.LBB96_771:
	s_or_b32 exec_lo, exec_lo, s2
	v_mov_b32_e32 v112, v104
	v_mov_b32_e32 v113, v104
.LBB96_772:
	s_or_b32 exec_lo, exec_lo, s1
.LBB96_773:
	s_andn2_saveexec_b32 s0, s0
	s_cbranch_execz .LBB96_775
; %bb.774:
	v_mov_b32_e32 v104, v10
	v_mov_b32_e32 v105, v11
	;; [unrolled: 1-line block ×5, first 2 shown]
	ds_write2_b64 v110, v[104:105], v[114:115] offset0:46 offset1:47
	ds_write_b64 v110, v[102:103] offset:384
.LBB96_775:
	s_or_b32 exec_lo, exec_lo, s0
	s_mov_b32 s0, exec_lo
	s_waitcnt lgkmcnt(0)
	s_waitcnt_vscnt null, 0x0
	s_barrier
	buffer_gl0_inv
	v_cmpx_lt_i32_e32 45, v113
	s_cbranch_execz .LBB96_777
; %bb.776:
	v_mul_f64 v[8:9], v[0:1], v[8:9]
	ds_read2_b64 v[114:117], v110 offset0:46 offset1:47
	ds_read_b64 v[0:1], v110 offset:384
	s_waitcnt lgkmcnt(1)
	v_fma_f64 v[10:11], -v[8:9], v[114:115], v[10:11]
	v_fma_f64 v[6:7], -v[8:9], v[116:117], v[6:7]
	s_waitcnt lgkmcnt(0)
	v_fma_f64 v[102:103], -v[8:9], v[0:1], v[102:103]
.LBB96_777:
	s_or_b32 exec_lo, exec_lo, s0
	v_lshl_add_u32 v0, v113, 3, v110
	s_barrier
	buffer_gl0_inv
	v_mov_b32_e32 v104, 46
	ds_write_b64 v0, v[10:11]
	s_waitcnt lgkmcnt(0)
	s_barrier
	buffer_gl0_inv
	ds_read_b64 v[0:1], v110 offset:368
	s_cmp_lt_i32 s7, 48
	s_cbranch_scc1 .LBB96_780
; %bb.778:
	v_add3_u32 v105, v111, 0, 0x178
	v_mov_b32_e32 v104, 46
	s_mov_b32 s0, 47
.LBB96_779:                             ; =>This Inner Loop Header: Depth=1
	ds_read_b64 v[114:115], v105
	v_add_nc_u32_e32 v105, 8, v105
	s_waitcnt lgkmcnt(0)
	v_cmp_lt_f64_e64 vcc_lo, |v[0:1]|, |v[114:115]|
	v_cndmask_b32_e32 v1, v1, v115, vcc_lo
	v_cndmask_b32_e32 v0, v0, v114, vcc_lo
	v_cndmask_b32_e64 v104, v104, s0, vcc_lo
	s_add_i32 s0, s0, 1
	s_cmp_lg_u32 s7, s0
	s_cbranch_scc1 .LBB96_779
.LBB96_780:
	s_mov_b32 s0, exec_lo
	s_waitcnt lgkmcnt(0)
	v_cmpx_eq_f64_e32 0, v[0:1]
	s_xor_b32 s0, exec_lo, s0
; %bb.781:
	v_cmp_ne_u32_e32 vcc_lo, 0, v107
	v_cndmask_b32_e32 v107, 47, v107, vcc_lo
; %bb.782:
	s_andn2_saveexec_b32 s0, s0
	s_cbranch_execz .LBB96_784
; %bb.783:
	v_div_scale_f64 v[105:106], null, v[0:1], v[0:1], 1.0
	v_rcp_f64_e32 v[114:115], v[105:106]
	v_fma_f64 v[116:117], -v[105:106], v[114:115], 1.0
	v_fma_f64 v[114:115], v[114:115], v[116:117], v[114:115]
	v_fma_f64 v[116:117], -v[105:106], v[114:115], 1.0
	v_fma_f64 v[114:115], v[114:115], v[116:117], v[114:115]
	v_div_scale_f64 v[116:117], vcc_lo, 1.0, v[0:1], 1.0
	v_mul_f64 v[118:119], v[116:117], v[114:115]
	v_fma_f64 v[105:106], -v[105:106], v[118:119], v[116:117]
	v_div_fmas_f64 v[105:106], v[105:106], v[114:115], v[118:119]
	v_div_fixup_f64 v[0:1], v[105:106], v[0:1], 1.0
.LBB96_784:
	s_or_b32 exec_lo, exec_lo, s0
	s_mov_b32 s0, exec_lo
	v_cmpx_ne_u32_e64 v113, v104
	s_xor_b32 s0, exec_lo, s0
	s_cbranch_execz .LBB96_790
; %bb.785:
	s_mov_b32 s1, exec_lo
	v_cmpx_eq_u32_e32 46, v113
	s_cbranch_execz .LBB96_789
; %bb.786:
	v_cmp_ne_u32_e32 vcc_lo, 46, v104
	s_xor_b32 s2, s6, -1
	s_and_b32 s3, s2, vcc_lo
	s_and_saveexec_b32 s2, s3
	s_cbranch_execz .LBB96_788
; %bb.787:
	v_ashrrev_i32_e32 v105, 31, v104
	v_lshlrev_b64 v[105:106], 2, v[104:105]
	v_add_co_u32 v105, vcc_lo, v4, v105
	v_add_co_ci_u32_e64 v106, null, v5, v106, vcc_lo
	s_clause 0x1
	global_load_dword v112, v[105:106], off
	global_load_dword v113, v[4:5], off offset:184
	s_waitcnt vmcnt(1)
	global_store_dword v[4:5], v112, off offset:184
	s_waitcnt vmcnt(0)
	global_store_dword v[105:106], v113, off
.LBB96_788:
	s_or_b32 exec_lo, exec_lo, s2
	v_mov_b32_e32 v112, v104
	v_mov_b32_e32 v113, v104
.LBB96_789:
	s_or_b32 exec_lo, exec_lo, s1
.LBB96_790:
	s_andn2_saveexec_b32 s0, s0
; %bb.791:
	v_mov_b32_e32 v113, 46
	ds_write2_b64 v110, v[6:7], v[102:103] offset0:47 offset1:48
; %bb.792:
	s_or_b32 exec_lo, exec_lo, s0
	s_mov_b32 s0, exec_lo
	s_waitcnt lgkmcnt(0)
	s_waitcnt_vscnt null, 0x0
	s_barrier
	buffer_gl0_inv
	v_cmpx_lt_i32_e32 46, v113
	s_cbranch_execz .LBB96_794
; %bb.793:
	v_mul_f64 v[10:11], v[0:1], v[10:11]
	ds_read2_b64 v[114:117], v110 offset0:47 offset1:48
	s_waitcnt lgkmcnt(0)
	v_fma_f64 v[6:7], -v[10:11], v[114:115], v[6:7]
	v_fma_f64 v[102:103], -v[10:11], v[116:117], v[102:103]
.LBB96_794:
	s_or_b32 exec_lo, exec_lo, s0
	v_lshl_add_u32 v0, v113, 3, v110
	s_barrier
	buffer_gl0_inv
	v_mov_b32_e32 v104, 47
	ds_write_b64 v0, v[6:7]
	s_waitcnt lgkmcnt(0)
	s_barrier
	buffer_gl0_inv
	ds_read_b64 v[0:1], v110 offset:376
	s_cmp_lt_i32 s7, 49
	s_cbranch_scc1 .LBB96_797
; %bb.795:
	v_add3_u32 v105, v111, 0, 0x180
	v_mov_b32_e32 v104, 47
	s_mov_b32 s0, 48
.LBB96_796:                             ; =>This Inner Loop Header: Depth=1
	ds_read_b64 v[114:115], v105
	v_add_nc_u32_e32 v105, 8, v105
	s_waitcnt lgkmcnt(0)
	v_cmp_lt_f64_e64 vcc_lo, |v[0:1]|, |v[114:115]|
	v_cndmask_b32_e32 v1, v1, v115, vcc_lo
	v_cndmask_b32_e32 v0, v0, v114, vcc_lo
	v_cndmask_b32_e64 v104, v104, s0, vcc_lo
	s_add_i32 s0, s0, 1
	s_cmp_lg_u32 s7, s0
	s_cbranch_scc1 .LBB96_796
.LBB96_797:
	s_mov_b32 s0, exec_lo
	s_waitcnt lgkmcnt(0)
	v_cmpx_eq_f64_e32 0, v[0:1]
	s_xor_b32 s0, exec_lo, s0
; %bb.798:
	v_cmp_ne_u32_e32 vcc_lo, 0, v107
	v_cndmask_b32_e32 v107, 48, v107, vcc_lo
; %bb.799:
	s_andn2_saveexec_b32 s0, s0
	s_cbranch_execz .LBB96_801
; %bb.800:
	v_div_scale_f64 v[105:106], null, v[0:1], v[0:1], 1.0
	v_rcp_f64_e32 v[114:115], v[105:106]
	v_fma_f64 v[116:117], -v[105:106], v[114:115], 1.0
	v_fma_f64 v[114:115], v[114:115], v[116:117], v[114:115]
	v_fma_f64 v[116:117], -v[105:106], v[114:115], 1.0
	v_fma_f64 v[114:115], v[114:115], v[116:117], v[114:115]
	v_div_scale_f64 v[116:117], vcc_lo, 1.0, v[0:1], 1.0
	v_mul_f64 v[118:119], v[116:117], v[114:115]
	v_fma_f64 v[105:106], -v[105:106], v[118:119], v[116:117]
	v_div_fmas_f64 v[105:106], v[105:106], v[114:115], v[118:119]
	v_div_fixup_f64 v[0:1], v[105:106], v[0:1], 1.0
.LBB96_801:
	s_or_b32 exec_lo, exec_lo, s0
	s_mov_b32 s0, exec_lo
	v_cmpx_ne_u32_e64 v113, v104
	s_xor_b32 s0, exec_lo, s0
	s_cbranch_execz .LBB96_807
; %bb.802:
	s_mov_b32 s1, exec_lo
	v_cmpx_eq_u32_e32 47, v113
	s_cbranch_execz .LBB96_806
; %bb.803:
	v_cmp_ne_u32_e32 vcc_lo, 47, v104
	s_xor_b32 s2, s6, -1
	s_and_b32 s3, s2, vcc_lo
	s_and_saveexec_b32 s2, s3
	s_cbranch_execz .LBB96_805
; %bb.804:
	v_ashrrev_i32_e32 v105, 31, v104
	v_lshlrev_b64 v[105:106], 2, v[104:105]
	v_add_co_u32 v105, vcc_lo, v4, v105
	v_add_co_ci_u32_e64 v106, null, v5, v106, vcc_lo
	s_clause 0x1
	global_load_dword v112, v[105:106], off
	global_load_dword v113, v[4:5], off offset:188
	s_waitcnt vmcnt(1)
	global_store_dword v[4:5], v112, off offset:188
	s_waitcnt vmcnt(0)
	global_store_dword v[105:106], v113, off
.LBB96_805:
	s_or_b32 exec_lo, exec_lo, s2
	v_mov_b32_e32 v112, v104
	v_mov_b32_e32 v113, v104
.LBB96_806:
	s_or_b32 exec_lo, exec_lo, s1
.LBB96_807:
	s_andn2_saveexec_b32 s0, s0
; %bb.808:
	v_mov_b32_e32 v113, 47
	ds_write_b64 v110, v[102:103] offset:384
; %bb.809:
	s_or_b32 exec_lo, exec_lo, s0
	s_mov_b32 s0, exec_lo
	s_waitcnt lgkmcnt(0)
	s_waitcnt_vscnt null, 0x0
	s_barrier
	buffer_gl0_inv
	v_cmpx_lt_i32_e32 47, v113
	s_cbranch_execz .LBB96_811
; %bb.810:
	v_mul_f64 v[6:7], v[0:1], v[6:7]
	ds_read_b64 v[0:1], v110 offset:384
	s_waitcnt lgkmcnt(0)
	v_fma_f64 v[102:103], -v[6:7], v[0:1], v[102:103]
.LBB96_811:
	s_or_b32 exec_lo, exec_lo, s0
	v_lshl_add_u32 v0, v113, 3, v110
	s_barrier
	buffer_gl0_inv
	v_mov_b32_e32 v104, 48
	ds_write_b64 v0, v[102:103]
	s_waitcnt lgkmcnt(0)
	s_barrier
	buffer_gl0_inv
	ds_read_b64 v[0:1], v110 offset:384
	s_cmp_lt_i32 s7, 50
	s_cbranch_scc1 .LBB96_814
; %bb.812:
	v_add3_u32 v105, v111, 0, 0x188
	v_mov_b32_e32 v104, 48
	s_mov_b32 s0, 49
.LBB96_813:                             ; =>This Inner Loop Header: Depth=1
	ds_read_b64 v[110:111], v105
	v_add_nc_u32_e32 v105, 8, v105
	s_waitcnt lgkmcnt(0)
	v_cmp_lt_f64_e64 vcc_lo, |v[0:1]|, |v[110:111]|
	v_cndmask_b32_e32 v1, v1, v111, vcc_lo
	v_cndmask_b32_e32 v0, v0, v110, vcc_lo
	v_cndmask_b32_e64 v104, v104, s0, vcc_lo
	s_add_i32 s0, s0, 1
	s_cmp_lg_u32 s7, s0
	s_cbranch_scc1 .LBB96_813
.LBB96_814:
	s_mov_b32 s0, exec_lo
	s_waitcnt lgkmcnt(0)
	v_cmpx_eq_f64_e32 0, v[0:1]
	s_xor_b32 s0, exec_lo, s0
; %bb.815:
	v_cmp_ne_u32_e32 vcc_lo, 0, v107
	v_cndmask_b32_e32 v107, 49, v107, vcc_lo
; %bb.816:
	s_andn2_saveexec_b32 s0, s0
	s_cbranch_execz .LBB96_818
; %bb.817:
	v_div_scale_f64 v[105:106], null, v[0:1], v[0:1], 1.0
	v_rcp_f64_e32 v[110:111], v[105:106]
	v_fma_f64 v[114:115], -v[105:106], v[110:111], 1.0
	v_fma_f64 v[110:111], v[110:111], v[114:115], v[110:111]
	v_fma_f64 v[114:115], -v[105:106], v[110:111], 1.0
	v_fma_f64 v[110:111], v[110:111], v[114:115], v[110:111]
	v_div_scale_f64 v[114:115], vcc_lo, 1.0, v[0:1], 1.0
	v_mul_f64 v[116:117], v[114:115], v[110:111]
	v_fma_f64 v[105:106], -v[105:106], v[116:117], v[114:115]
	v_div_fmas_f64 v[105:106], v[105:106], v[110:111], v[116:117]
	v_div_fixup_f64 v[0:1], v[105:106], v[0:1], 1.0
.LBB96_818:
	s_or_b32 exec_lo, exec_lo, s0
	v_mov_b32_e32 v105, 48
	s_mov_b32 s0, exec_lo
	v_cmpx_ne_u32_e64 v113, v104
	s_cbranch_execz .LBB96_824
; %bb.819:
	s_mov_b32 s1, exec_lo
	v_cmpx_eq_u32_e32 48, v113
	s_cbranch_execz .LBB96_823
; %bb.820:
	v_cmp_ne_u32_e32 vcc_lo, 48, v104
	s_xor_b32 s2, s6, -1
	s_and_b32 s3, s2, vcc_lo
	s_and_saveexec_b32 s2, s3
	s_cbranch_execz .LBB96_822
; %bb.821:
	v_ashrrev_i32_e32 v105, 31, v104
	v_lshlrev_b64 v[105:106], 2, v[104:105]
	v_add_co_u32 v105, vcc_lo, v4, v105
	v_add_co_ci_u32_e64 v106, null, v5, v106, vcc_lo
	s_clause 0x1
	global_load_dword v110, v[105:106], off
	global_load_dword v111, v[4:5], off offset:192
	s_waitcnt vmcnt(1)
	global_store_dword v[4:5], v110, off offset:192
	s_waitcnt vmcnt(0)
	global_store_dword v[105:106], v111, off
.LBB96_822:
	s_or_b32 exec_lo, exec_lo, s2
	v_mov_b32_e32 v112, v104
	v_mov_b32_e32 v113, v104
.LBB96_823:
	s_or_b32 exec_lo, exec_lo, s1
	v_mov_b32_e32 v105, v113
.LBB96_824:
	s_or_b32 exec_lo, exec_lo, s0
	s_load_dwordx8 s[0:7], s[4:5], 0x28
	v_ashrrev_i32_e32 v106, 31, v105
	s_mov_b32 s9, exec_lo
	s_waitcnt lgkmcnt(0)
	s_waitcnt_vscnt null, 0x0
	s_barrier
	buffer_gl0_inv
	s_barrier
	buffer_gl0_inv
	v_cmpx_gt_i32_e32 49, v105
	s_cbranch_execz .LBB96_826
; %bb.825:
	v_mul_lo_u32 v104, s5, v2
	v_mul_lo_u32 v110, s4, v3
	v_mad_u64_u32 v[4:5], null, s4, v2, 0
	s_lshl_b64 s[2:3], s[2:3], 2
	v_add3_u32 v5, v5, v110, v104
	v_lshlrev_b64 v[4:5], 2, v[4:5]
	v_add_co_u32 v104, vcc_lo, s0, v4
	v_add_co_ci_u32_e64 v110, null, s1, v5, vcc_lo
	v_lshlrev_b64 v[4:5], 2, v[105:106]
	v_add_co_u32 v104, vcc_lo, v104, s2
	v_add_co_ci_u32_e64 v110, null, s3, v110, vcc_lo
	v_add_co_u32 v4, vcc_lo, v104, v4
	v_add_co_ci_u32_e64 v5, null, v110, v5, vcc_lo
	v_add3_u32 v104, v112, s13, 1
	global_store_dword v[4:5], v104, off
.LBB96_826:
	s_or_b32 exec_lo, exec_lo, s9
	s_mov_b32 s1, exec_lo
	v_cmpx_eq_u32_e32 0, v105
	s_cbranch_execz .LBB96_829
; %bb.827:
	v_lshlrev_b64 v[2:3], 2, v[2:3]
	v_cmp_ne_u32_e64 s0, 0, v107
	v_add_co_u32 v2, vcc_lo, s6, v2
	v_add_co_ci_u32_e64 v3, null, s7, v3, vcc_lo
	global_load_dword v4, v[2:3], off
	s_waitcnt vmcnt(0)
	v_cmp_eq_u32_e32 vcc_lo, 0, v4
	s_and_b32 s0, vcc_lo, s0
	s_and_b32 exec_lo, exec_lo, s0
	s_cbranch_execz .LBB96_829
; %bb.828:
	v_add_nc_u32_e32 v4, s13, v107
	global_store_dword v[2:3], v4, off
.LBB96_829:
	s_or_b32 exec_lo, exec_lo, s1
	v_lshlrev_b64 v[4:5], 3, v[105:106]
	v_mul_f64 v[0:1], v[0:1], v[102:103]
	v_add3_u32 v2, s8, s8, v105
	v_cmp_lt_i32_e32 vcc_lo, 48, v105
	v_add_co_u32 v4, s0, v108, v4
	v_add_nc_u32_e32 v104, s8, v2
	v_add_co_ci_u32_e64 v5, null, v109, v5, s0
	v_add_co_u32 v106, s0, v4, s10
	v_ashrrev_i32_e32 v3, 31, v2
	v_add_co_ci_u32_e64 v107, null, s11, v5, s0
	v_add_nc_u32_e32 v110, s8, v104
	v_ashrrev_i32_e32 v105, 31, v104
	v_lshlrev_b64 v[2:3], 3, v[2:3]
	flat_store_dwordx2 v[4:5], v[100:101]
	flat_store_dwordx2 v[106:107], v[98:99]
	v_add_nc_u32_e32 v98, s8, v110
	v_lshlrev_b64 v[4:5], 3, v[104:105]
	v_cndmask_b32_e32 v1, v103, v1, vcc_lo
	v_cndmask_b32_e32 v0, v102, v0, vcc_lo
	v_add_co_u32 v2, vcc_lo, v108, v2
	v_add_nc_u32_e32 v100, s8, v98
	v_ashrrev_i32_e32 v111, 31, v110
	v_add_co_ci_u32_e64 v3, null, v109, v3, vcc_lo
	v_add_co_u32 v4, vcc_lo, v108, v4
	v_ashrrev_i32_e32 v99, 31, v98
	v_add_co_ci_u32_e64 v5, null, v109, v5, vcc_lo
	v_ashrrev_i32_e32 v101, 31, v100
	v_lshlrev_b64 v[102:103], 3, v[110:111]
	flat_store_dwordx2 v[2:3], v[96:97]
	flat_store_dwordx2 v[4:5], v[94:95]
	v_lshlrev_b64 v[2:3], 3, v[98:99]
	v_add_nc_u32_e32 v96, s8, v100
	v_lshlrev_b64 v[94:95], 3, v[100:101]
	v_add_co_u32 v4, vcc_lo, v108, v102
	v_add_co_ci_u32_e64 v5, null, v109, v103, vcc_lo
	v_add_co_u32 v2, vcc_lo, v108, v2
	v_add_co_ci_u32_e64 v3, null, v109, v3, vcc_lo
	v_add_co_u32 v94, vcc_lo, v108, v94
	v_add_nc_u32_e32 v98, s8, v96
	v_add_co_ci_u32_e64 v95, null, v109, v95, vcc_lo
	v_ashrrev_i32_e32 v97, 31, v96
	flat_store_dwordx2 v[4:5], v[92:93]
	flat_store_dwordx2 v[2:3], v[88:89]
	flat_store_dwordx2 v[94:95], v[90:91]
	v_add_nc_u32_e32 v88, s8, v98
	v_ashrrev_i32_e32 v99, 31, v98
	v_lshlrev_b64 v[4:5], 3, v[96:97]
	v_add_nc_u32_e32 v90, s8, v88
	v_lshlrev_b64 v[2:3], 3, v[98:99]
	v_ashrrev_i32_e32 v89, 31, v88
	v_add_co_u32 v4, vcc_lo, v108, v4
	v_add_nc_u32_e32 v92, s8, v90
	v_add_co_ci_u32_e64 v5, null, v109, v5, vcc_lo
	v_add_co_u32 v2, vcc_lo, v108, v2
	v_ashrrev_i32_e32 v91, 31, v90
	v_add_co_ci_u32_e64 v3, null, v109, v3, vcc_lo
	v_ashrrev_i32_e32 v93, 31, v92
	v_lshlrev_b64 v[88:89], 3, v[88:89]
	flat_store_dwordx2 v[4:5], v[84:85]
	flat_store_dwordx2 v[2:3], v[86:87]
	v_lshlrev_b64 v[2:3], 3, v[90:91]
	v_add_nc_u32_e32 v86, s8, v92
	v_lshlrev_b64 v[84:85], 3, v[92:93]
	v_add_co_u32 v4, vcc_lo, v108, v88
	v_add_co_ci_u32_e64 v5, null, v109, v89, vcc_lo
	v_add_co_u32 v2, vcc_lo, v108, v2
	v_add_co_ci_u32_e64 v3, null, v109, v3, vcc_lo
	v_add_co_u32 v84, vcc_lo, v108, v84
	v_add_nc_u32_e32 v88, s8, v86
	v_add_co_ci_u32_e64 v85, null, v109, v85, vcc_lo
	v_ashrrev_i32_e32 v87, 31, v86
	flat_store_dwordx2 v[4:5], v[82:83]
	flat_store_dwordx2 v[2:3], v[80:81]
	flat_store_dwordx2 v[84:85], v[78:79]
	v_add_nc_u32_e32 v78, s8, v88
	v_ashrrev_i32_e32 v89, 31, v88
	v_lshlrev_b64 v[4:5], 3, v[86:87]
	v_add_nc_u32_e32 v80, s8, v78
	v_lshlrev_b64 v[2:3], 3, v[88:89]
	v_ashrrev_i32_e32 v79, 31, v78
	v_add_co_u32 v4, vcc_lo, v108, v4
	v_add_nc_u32_e32 v82, s8, v80
	;; [unrolled: 30-line block ×7, first 2 shown]
	v_add_co_ci_u32_e64 v5, null, v109, v5, vcc_lo
	v_add_co_u32 v2, vcc_lo, v108, v2
	v_ashrrev_i32_e32 v31, 31, v30
	v_add_co_ci_u32_e64 v3, null, v109, v3, vcc_lo
	v_ashrrev_i32_e32 v33, 31, v32
	v_lshlrev_b64 v[28:29], 3, v[28:29]
	flat_store_dwordx2 v[4:5], v[24:25]
	flat_store_dwordx2 v[2:3], v[26:27]
	v_lshlrev_b64 v[2:3], 3, v[30:31]
	v_add_nc_u32_e32 v26, s8, v32
	v_lshlrev_b64 v[24:25], 3, v[32:33]
	v_add_co_u32 v4, vcc_lo, v108, v28
	v_add_co_ci_u32_e64 v5, null, v109, v29, vcc_lo
	v_add_co_u32 v2, vcc_lo, v108, v2
	v_add_nc_u32_e32 v28, s8, v26
	v_add_co_ci_u32_e64 v3, null, v109, v3, vcc_lo
	v_add_co_u32 v24, vcc_lo, v108, v24
	v_ashrrev_i32_e32 v27, 31, v26
	v_add_co_ci_u32_e64 v25, null, v109, v25, vcc_lo
	v_ashrrev_i32_e32 v29, 31, v28
	flat_store_dwordx2 v[4:5], v[22:23]
	v_lshlrev_b64 v[4:5], 3, v[26:27]
	flat_store_dwordx2 v[2:3], v[20:21]
	flat_store_dwordx2 v[24:25], v[18:19]
	v_add_nc_u32_e32 v18, s8, v28
	v_lshlrev_b64 v[2:3], 3, v[28:29]
	v_add_co_u32 v4, vcc_lo, v108, v4
	v_add_nc_u32_e32 v20, s8, v18
	v_add_co_ci_u32_e64 v5, null, v109, v5, vcc_lo
	v_add_co_u32 v2, vcc_lo, v108, v2
	v_add_co_ci_u32_e64 v3, null, v109, v3, vcc_lo
	v_add_nc_u32_e32 v22, s8, v20
	v_ashrrev_i32_e32 v19, 31, v18
	flat_store_dwordx2 v[4:5], v[16:17]
	flat_store_dwordx2 v[2:3], v[14:15]
	v_ashrrev_i32_e32 v21, 31, v20
	v_add_nc_u32_e32 v14, s8, v22
	v_lshlrev_b64 v[4:5], 3, v[18:19]
	v_ashrrev_i32_e32 v23, 31, v22
	v_lshlrev_b64 v[2:3], 3, v[20:21]
	v_add_nc_u32_e32 v18, s8, v14
	v_ashrrev_i32_e32 v15, 31, v14
	v_lshlrev_b64 v[16:17], 3, v[22:23]
	v_add_co_u32 v4, vcc_lo, v108, v4
	v_ashrrev_i32_e32 v19, 31, v18
	v_lshlrev_b64 v[14:15], 3, v[14:15]
	v_add_co_ci_u32_e64 v5, null, v109, v5, vcc_lo
	v_add_co_u32 v2, vcc_lo, v108, v2
	v_lshlrev_b64 v[18:19], 3, v[18:19]
	v_add_co_ci_u32_e64 v3, null, v109, v3, vcc_lo
	v_add_co_u32 v16, vcc_lo, v108, v16
	v_add_co_ci_u32_e64 v17, null, v109, v17, vcc_lo
	v_add_co_u32 v14, vcc_lo, v108, v14
	;; [unrolled: 2-line block ×3, first 2 shown]
	v_add_co_ci_u32_e64 v19, null, v109, v19, vcc_lo
	flat_store_dwordx2 v[4:5], v[12:13]
	flat_store_dwordx2 v[2:3], v[8:9]
	;; [unrolled: 1-line block ×5, first 2 shown]
.LBB96_830:
	s_endpgm
	.section	.rodata,"a",@progbits
	.p2align	6, 0x0
	.amdhsa_kernel _ZN9rocsolver6v33100L18getf2_small_kernelILi49EdiiPKPdEEvT1_T3_lS5_lPS5_llPT2_S5_S5_S7_l
		.amdhsa_group_segment_fixed_size 0
		.amdhsa_private_segment_fixed_size 0
		.amdhsa_kernarg_size 352
		.amdhsa_user_sgpr_count 6
		.amdhsa_user_sgpr_private_segment_buffer 1
		.amdhsa_user_sgpr_dispatch_ptr 0
		.amdhsa_user_sgpr_queue_ptr 0
		.amdhsa_user_sgpr_kernarg_segment_ptr 1
		.amdhsa_user_sgpr_dispatch_id 0
		.amdhsa_user_sgpr_flat_scratch_init 0
		.amdhsa_user_sgpr_private_segment_size 0
		.amdhsa_wavefront_size32 1
		.amdhsa_uses_dynamic_stack 0
		.amdhsa_system_sgpr_private_segment_wavefront_offset 0
		.amdhsa_system_sgpr_workgroup_id_x 1
		.amdhsa_system_sgpr_workgroup_id_y 1
		.amdhsa_system_sgpr_workgroup_id_z 0
		.amdhsa_system_sgpr_workgroup_info 0
		.amdhsa_system_vgpr_workitem_id 1
		.amdhsa_next_free_vgpr 202
		.amdhsa_next_free_sgpr 14
		.amdhsa_reserve_vcc 1
		.amdhsa_reserve_flat_scratch 1
		.amdhsa_float_round_mode_32 0
		.amdhsa_float_round_mode_16_64 0
		.amdhsa_float_denorm_mode_32 3
		.amdhsa_float_denorm_mode_16_64 3
		.amdhsa_dx10_clamp 1
		.amdhsa_ieee_mode 1
		.amdhsa_fp16_overflow 0
		.amdhsa_workgroup_processor_mode 1
		.amdhsa_memory_ordered 1
		.amdhsa_forward_progress 1
		.amdhsa_shared_vgpr_count 0
		.amdhsa_exception_fp_ieee_invalid_op 0
		.amdhsa_exception_fp_denorm_src 0
		.amdhsa_exception_fp_ieee_div_zero 0
		.amdhsa_exception_fp_ieee_overflow 0
		.amdhsa_exception_fp_ieee_underflow 0
		.amdhsa_exception_fp_ieee_inexact 0
		.amdhsa_exception_int_div_zero 0
	.end_amdhsa_kernel
	.section	.text._ZN9rocsolver6v33100L18getf2_small_kernelILi49EdiiPKPdEEvT1_T3_lS5_lPS5_llPT2_S5_S5_S7_l,"axG",@progbits,_ZN9rocsolver6v33100L18getf2_small_kernelILi49EdiiPKPdEEvT1_T3_lS5_lPS5_llPT2_S5_S5_S7_l,comdat
.Lfunc_end96:
	.size	_ZN9rocsolver6v33100L18getf2_small_kernelILi49EdiiPKPdEEvT1_T3_lS5_lPS5_llPT2_S5_S5_S7_l, .Lfunc_end96-_ZN9rocsolver6v33100L18getf2_small_kernelILi49EdiiPKPdEEvT1_T3_lS5_lPS5_llPT2_S5_S5_S7_l
                                        ; -- End function
	.set _ZN9rocsolver6v33100L18getf2_small_kernelILi49EdiiPKPdEEvT1_T3_lS5_lPS5_llPT2_S5_S5_S7_l.num_vgpr, 202
	.set _ZN9rocsolver6v33100L18getf2_small_kernelILi49EdiiPKPdEEvT1_T3_lS5_lPS5_llPT2_S5_S5_S7_l.num_agpr, 0
	.set _ZN9rocsolver6v33100L18getf2_small_kernelILi49EdiiPKPdEEvT1_T3_lS5_lPS5_llPT2_S5_S5_S7_l.numbered_sgpr, 14
	.set _ZN9rocsolver6v33100L18getf2_small_kernelILi49EdiiPKPdEEvT1_T3_lS5_lPS5_llPT2_S5_S5_S7_l.num_named_barrier, 0
	.set _ZN9rocsolver6v33100L18getf2_small_kernelILi49EdiiPKPdEEvT1_T3_lS5_lPS5_llPT2_S5_S5_S7_l.private_seg_size, 0
	.set _ZN9rocsolver6v33100L18getf2_small_kernelILi49EdiiPKPdEEvT1_T3_lS5_lPS5_llPT2_S5_S5_S7_l.uses_vcc, 1
	.set _ZN9rocsolver6v33100L18getf2_small_kernelILi49EdiiPKPdEEvT1_T3_lS5_lPS5_llPT2_S5_S5_S7_l.uses_flat_scratch, 1
	.set _ZN9rocsolver6v33100L18getf2_small_kernelILi49EdiiPKPdEEvT1_T3_lS5_lPS5_llPT2_S5_S5_S7_l.has_dyn_sized_stack, 0
	.set _ZN9rocsolver6v33100L18getf2_small_kernelILi49EdiiPKPdEEvT1_T3_lS5_lPS5_llPT2_S5_S5_S7_l.has_recursion, 0
	.set _ZN9rocsolver6v33100L18getf2_small_kernelILi49EdiiPKPdEEvT1_T3_lS5_lPS5_llPT2_S5_S5_S7_l.has_indirect_call, 0
	.section	.AMDGPU.csdata,"",@progbits
; Kernel info:
; codeLenInByte = 52496
; TotalNumSgprs: 16
; NumVgprs: 202
; ScratchSize: 0
; MemoryBound: 0
; FloatMode: 240
; IeeeMode: 1
; LDSByteSize: 0 bytes/workgroup (compile time only)
; SGPRBlocks: 0
; VGPRBlocks: 25
; NumSGPRsForWavesPerEU: 16
; NumVGPRsForWavesPerEU: 202
; Occupancy: 4
; WaveLimiterHint : 1
; COMPUTE_PGM_RSRC2:SCRATCH_EN: 0
; COMPUTE_PGM_RSRC2:USER_SGPR: 6
; COMPUTE_PGM_RSRC2:TRAP_HANDLER: 0
; COMPUTE_PGM_RSRC2:TGID_X_EN: 1
; COMPUTE_PGM_RSRC2:TGID_Y_EN: 1
; COMPUTE_PGM_RSRC2:TGID_Z_EN: 0
; COMPUTE_PGM_RSRC2:TIDIG_COMP_CNT: 1
	.section	.text._ZN9rocsolver6v33100L23getf2_npvt_small_kernelILi49EdiiPKPdEEvT1_T3_lS5_lPT2_S5_S5_,"axG",@progbits,_ZN9rocsolver6v33100L23getf2_npvt_small_kernelILi49EdiiPKPdEEvT1_T3_lS5_lPT2_S5_S5_,comdat
	.globl	_ZN9rocsolver6v33100L23getf2_npvt_small_kernelILi49EdiiPKPdEEvT1_T3_lS5_lPT2_S5_S5_ ; -- Begin function _ZN9rocsolver6v33100L23getf2_npvt_small_kernelILi49EdiiPKPdEEvT1_T3_lS5_lPT2_S5_S5_
	.p2align	8
	.type	_ZN9rocsolver6v33100L23getf2_npvt_small_kernelILi49EdiiPKPdEEvT1_T3_lS5_lPT2_S5_S5_,@function
_ZN9rocsolver6v33100L23getf2_npvt_small_kernelILi49EdiiPKPdEEvT1_T3_lS5_lPT2_S5_S5_: ; @_ZN9rocsolver6v33100L23getf2_npvt_small_kernelILi49EdiiPKPdEEvT1_T3_lS5_lPT2_S5_S5_
; %bb.0:
	s_mov_b64 s[14:15], s[2:3]
	s_mov_b64 s[12:13], s[0:1]
	s_add_u32 s12, s12, s8
	s_clause 0x1
	s_load_dword s0, s[4:5], 0x44
	s_load_dwordx2 s[8:9], s[4:5], 0x30
	s_addc_u32 s13, s13, 0
	s_waitcnt lgkmcnt(0)
	s_lshr_b32 s10, s0, 16
	s_mov_b32 s0, exec_lo
	v_mad_u64_u32 v[2:3], null, s7, s10, v[1:2]
	v_cmpx_gt_i32_e64 s8, v2
	s_cbranch_execz .LBB97_248
; %bb.1:
	s_clause 0x1
	s_load_dwordx4 s[0:3], s[4:5], 0x8
	s_load_dword s6, s[4:5], 0x18
	v_ashrrev_i32_e32 v3, 31, v2
	v_lshlrev_b32_e32 v100, 3, v0
	s_mulk_i32 s10, 0x188
	v_lshlrev_b64 v[4:5], 3, v[2:3]
	s_waitcnt lgkmcnt(0)
	v_add_co_u32 v4, vcc_lo, s0, v4
	v_add_co_ci_u32_e64 v5, null, s1, v5, vcc_lo
	v_add3_u32 v6, s6, s6, v0
	s_lshl_b64 s[2:3], s[2:3], 3
	s_ashr_i32 s7, s6, 31
	global_load_dwordx2 v[4:5], v[4:5], off
	s_lshl_b64 s[0:1], s[6:7], 3
	v_add_nc_u32_e32 v8, s6, v6
	v_ashrrev_i32_e32 v7, 31, v6
	v_add_nc_u32_e32 v10, s6, v8
	v_ashrrev_i32_e32 v9, 31, v8
	v_lshlrev_b64 v[6:7], 3, v[6:7]
	v_add_nc_u32_e32 v12, s6, v10
	v_ashrrev_i32_e32 v11, 31, v10
	v_lshlrev_b64 v[8:9], 3, v[8:9]
	;; [unrolled: 3-line block ×16, first 2 shown]
	v_add_nc_u32_e32 v42, s6, v40
	v_lshlrev_b64 v[38:39], 3, v[38:39]
	v_ashrrev_i32_e32 v41, 31, v40
	v_add_nc_u32_e32 v44, s6, v42
	v_ashrrev_i32_e32 v43, 31, v42
	v_lshlrev_b64 v[40:41], 3, v[40:41]
	v_add_nc_u32_e32 v46, s6, v44
	v_ashrrev_i32_e32 v45, 31, v44
	v_lshlrev_b64 v[42:43], 3, v[42:43]
	;; [unrolled: 3-line block ×27, first 2 shown]
	v_add_nc_u32_e32 v98, s6, v96
	v_lshlrev_b64 v[94:95], 3, v[94:95]
	v_ashrrev_i32_e32 v97, 31, v96
	v_ashrrev_i32_e32 v99, 31, v98
	v_lshlrev_b64 v[96:97], 3, v[96:97]
	s_waitcnt vmcnt(0)
	v_add_co_u32 v102, vcc_lo, v4, s2
	v_add_co_ci_u32_e64 v103, null, s3, v5, vcc_lo
	v_lshlrev_b64 v[4:5], 3, v[98:99]
	v_add_co_u32 v6, vcc_lo, v102, v6
	v_add_co_ci_u32_e64 v7, null, v103, v7, vcc_lo
	v_add_co_u32 v8, vcc_lo, v102, v8
	v_add_co_ci_u32_e64 v9, null, v103, v9, vcc_lo
	v_add_co_u32 v10, vcc_lo, v102, v10
	v_add_co_ci_u32_e64 v11, null, v103, v11, vcc_lo
	v_add_co_u32 v104, vcc_lo, v102, v12
	v_add_co_ci_u32_e64 v105, null, v103, v13, vcc_lo
	v_add_co_u32 v98, vcc_lo, v102, v14
	v_add_co_ci_u32_e64 v99, null, v103, v15, vcc_lo
	v_add_co_u32 v12, vcc_lo, v102, v16
	v_add_co_ci_u32_e64 v13, null, v103, v17, vcc_lo
	v_add_co_u32 v106, vcc_lo, v102, v18
	v_add_co_ci_u32_e64 v107, null, v103, v19, vcc_lo
	v_add_co_u32 v17, vcc_lo, v102, v20
	v_add_co_ci_u32_e64 v18, null, v103, v21, vcc_lo
	v_add_co_u32 v19, vcc_lo, v102, v22
	v_add_co_ci_u32_e64 v20, null, v103, v23, vcc_lo
	v_add_co_u32 v21, vcc_lo, v102, v24
	v_add_co_ci_u32_e64 v22, null, v103, v25, vcc_lo
	v_add_co_u32 v23, vcc_lo, v102, v26
	v_add_co_ci_u32_e64 v24, null, v103, v27, vcc_lo
	v_add_co_u32 v25, vcc_lo, v102, v28
	v_add_co_ci_u32_e64 v26, null, v103, v29, vcc_lo
	v_add_co_u32 v27, vcc_lo, v102, v30
	v_add_co_ci_u32_e64 v28, null, v103, v31, vcc_lo
	v_add_co_u32 v29, vcc_lo, v102, v32
	v_add_co_ci_u32_e64 v30, null, v103, v33, vcc_lo
	v_add_co_u32 v31, vcc_lo, v102, v34
	v_add_co_ci_u32_e64 v32, null, v103, v35, vcc_lo
	v_add_co_u32 v33, vcc_lo, v102, v36
	v_add_co_ci_u32_e64 v34, null, v103, v37, vcc_lo
	v_add_co_u32 v38, vcc_lo, v102, v38
	v_add_co_ci_u32_e64 v39, null, v103, v39, vcc_lo
	v_mov_b32_e32 v35, v38
	v_mov_b32_e32 v36, v39
	v_add_co_u32 v39, vcc_lo, v102, v40
	v_add_co_ci_u32_e64 v40, null, v103, v41, vcc_lo
	v_add_co_u32 v37, vcc_lo, v102, v42
	v_add_co_ci_u32_e64 v38, null, v103, v43, vcc_lo
	;; [unrolled: 2-line block ×30, first 2 shown]
	v_mov_b32_e32 v97, v15
	v_mov_b32_e32 v96, v14
	v_add_co_u32 v100, vcc_lo, v96, s0
	v_add_co_ci_u32_e64 v101, null, s1, v97, vcc_lo
	s_clause 0x1
	flat_load_dwordx2 v[160:161], v[96:97]
	flat_load_dwordx2 v[178:179], v[100:101]
	buffer_store_dword v6, off, s[12:15], 0 ; 4-byte Folded Spill
	buffer_store_dword v7, off, s[12:15], 0 offset:4 ; 4-byte Folded Spill
	v_add_co_u32 v15, vcc_lo, v102, v4
	v_add_co_ci_u32_e64 v16, null, v103, v5, vcc_lo
	v_lshlrev_b32_e32 v5, 3, v1
	v_mad_u32_u24 v4, 0x188, v1, 0
	v_cmp_ne_u32_e64 s1, 0, v0
	v_cmp_eq_u32_e64 s0, 0, v0
	v_add3_u32 v1, 0, s10, v5
	flat_load_dwordx2 v[196:197], v[6:7]
	buffer_store_dword v8, off, s[12:15], 0 offset:8 ; 4-byte Folded Spill
	buffer_store_dword v9, off, s[12:15], 0 offset:12 ; 4-byte Folded Spill
	flat_load_dwordx2 v[176:177], v[8:9]
	buffer_store_dword v10, off, s[12:15], 0 offset:16 ; 4-byte Folded Spill
	buffer_store_dword v11, off, s[12:15], 0 offset:20 ; 4-byte Folded Spill
	;; [unrolled: 3-line block ×23, first 2 shown]
	s_clause 0x17
	flat_load_dwordx2 v[124:125], v[49:50]
	flat_load_dwordx2 v[152:153], v[52:53]
	;; [unrolled: 1-line block ×24, first 2 shown]
	s_and_saveexec_b32 s2, s0
	s_cbranch_execz .LBB97_4
; %bb.2:
	s_waitcnt vmcnt(48) lgkmcnt(48)
	ds_write_b64 v1, v[160:161]
	s_waitcnt vmcnt(46) lgkmcnt(47)
	ds_write2_b64 v4, v[178:179], v[196:197] offset0:1 offset1:2
	s_waitcnt vmcnt(44) lgkmcnt(46)
	ds_write2_b64 v4, v[176:177], v[194:195] offset0:3 offset1:4
	;; [unrolled: 2-line block ×24, first 2 shown]
	ds_read_b64 v[200:201], v1
	s_waitcnt lgkmcnt(0)
	v_cmp_neq_f64_e32 vcc_lo, 0, v[200:201]
	s_and_b32 exec_lo, exec_lo, vcc_lo
	s_cbranch_execz .LBB97_4
; %bb.3:
	v_div_scale_f64 v[5:6], null, v[200:201], v[200:201], 1.0
	v_rcp_f64_e32 v[7:8], v[5:6]
	v_fma_f64 v[202:203], -v[5:6], v[7:8], 1.0
	v_fma_f64 v[7:8], v[7:8], v[202:203], v[7:8]
	v_fma_f64 v[202:203], -v[5:6], v[7:8], 1.0
	v_fma_f64 v[7:8], v[7:8], v[202:203], v[7:8]
	v_div_scale_f64 v[202:203], vcc_lo, 1.0, v[200:201], 1.0
	v_mul_f64 v[204:205], v[202:203], v[7:8]
	v_fma_f64 v[5:6], -v[5:6], v[204:205], v[202:203]
	v_div_fmas_f64 v[5:6], v[5:6], v[7:8], v[204:205]
	v_div_fixup_f64 v[5:6], v[5:6], v[200:201], 1.0
	ds_write_b64 v1, v[5:6]
.LBB97_4:
	s_or_b32 exec_lo, exec_lo, s2
	s_waitcnt vmcnt(0) lgkmcnt(0)
	s_waitcnt_vscnt null, 0x0
	s_barrier
	buffer_gl0_inv
	ds_read_b64 v[9:10], v1
	s_and_saveexec_b32 s2, s1
	s_cbranch_execz .LBB97_6
; %bb.5:
	s_waitcnt lgkmcnt(0)
	v_mul_f64 v[160:161], v[9:10], v[160:161]
	ds_read2_b64 v[200:203], v4 offset0:1 offset1:2
	ds_read2_b64 v[204:207], v4 offset0:3 offset1:4
	;; [unrolled: 1-line block ×12, first 2 shown]
	s_waitcnt lgkmcnt(11)
	v_fma_f64 v[178:179], -v[160:161], v[200:201], v[178:179]
	v_fma_f64 v[196:197], -v[160:161], v[202:203], v[196:197]
	ds_read2_b64 v[200:203], v4 offset0:25 offset1:26
	s_waitcnt lgkmcnt(11)
	v_fma_f64 v[176:177], -v[160:161], v[204:205], v[176:177]
	v_fma_f64 v[194:195], -v[160:161], v[206:207], v[194:195]
	s_waitcnt lgkmcnt(10)
	v_fma_f64 v[174:175], -v[160:161], v[208:209], v[174:175]
	v_fma_f64 v[192:193], -v[160:161], v[210:211], v[192:193]
	;; [unrolled: 3-line block ×7, first 2 shown]
	ds_read2_b64 v[204:207], v4 offset0:27 offset1:28
	s_waitcnt lgkmcnt(5)
	v_fma_f64 v[162:163], -v[160:161], v[232:233], v[162:163]
	v_fma_f64 v[180:181], -v[160:161], v[234:235], v[180:181]
	ds_read2_b64 v[208:211], v4 offset0:29 offset1:30
	ds_read2_b64 v[212:215], v4 offset0:31 offset1:32
	s_waitcnt lgkmcnt(6)
	v_fma_f64 v[130:131], -v[160:161], v[236:237], v[130:131]
	v_fma_f64 v[158:159], -v[160:161], v[238:239], v[158:159]
	ds_read2_b64 v[216:219], v4 offset0:33 offset1:34
	;; [unrolled: 5-line block ×3, first 2 shown]
	ds_read2_b64 v[228:231], v4 offset0:39 offset1:40
	ds_read2_b64 v[232:235], v4 offset0:41 offset1:42
	;; [unrolled: 1-line block ×3, first 2 shown]
	s_waitcnt lgkmcnt(9)
	v_fma_f64 v[124:125], -v[160:161], v[200:201], v[124:125]
	v_fma_f64 v[152:153], -v[160:161], v[202:203], v[152:153]
	ds_read2_b64 v[200:203], v4 offset0:45 offset1:46
	ds_read2_b64 v[240:243], v4 offset0:47 offset1:48
	v_fma_f64 v[126:127], -v[160:161], v[244:245], v[126:127]
	v_fma_f64 v[154:155], -v[160:161], v[246:247], v[154:155]
	s_waitcnt lgkmcnt(10)
	v_fma_f64 v[122:123], -v[160:161], v[204:205], v[122:123]
	v_fma_f64 v[150:151], -v[160:161], v[206:207], v[150:151]
	s_waitcnt lgkmcnt(9)
	;; [unrolled: 3-line block ×11, first 2 shown]
	v_fma_f64 v[102:103], -v[160:161], v[240:241], v[102:103]
	v_fma_f64 v[198:199], -v[160:161], v[242:243], v[198:199]
.LBB97_6:
	s_or_b32 exec_lo, exec_lo, s2
	s_mov_b32 s1, exec_lo
	s_waitcnt lgkmcnt(0)
	s_barrier
	buffer_gl0_inv
	v_cmpx_eq_u32_e32 1, v0
	s_cbranch_execz .LBB97_9
; %bb.7:
	v_mov_b32_e32 v5, v196
	v_mov_b32_e32 v6, v197
	;; [unrolled: 1-line block ×12, first 2 shown]
	ds_write_b64 v1, v[178:179]
	ds_write2_b64 v4, v[5:6], v[7:8] offset0:2 offset1:3
	ds_write2_b64 v4, v[200:201], v[202:203] offset0:4 offset1:5
	ds_write2_b64 v4, v[204:205], v[206:207] offset0:6 offset1:7
	v_mov_b32_e32 v5, v190
	v_mov_b32_e32 v6, v191
	v_mov_b32_e32 v7, v170
	v_mov_b32_e32 v8, v171
	v_mov_b32_e32 v200, v188
	v_mov_b32_e32 v201, v189
	v_mov_b32_e32 v202, v168
	v_mov_b32_e32 v203, v169
	v_mov_b32_e32 v204, v186
	v_mov_b32_e32 v205, v187
	v_mov_b32_e32 v206, v166
	v_mov_b32_e32 v207, v167
	v_mov_b32_e32 v208, v184
	v_mov_b32_e32 v209, v185
	v_mov_b32_e32 v210, v164
	v_mov_b32_e32 v211, v165
	v_mov_b32_e32 v212, v182
	v_mov_b32_e32 v213, v183
	v_mov_b32_e32 v214, v162
	v_mov_b32_e32 v215, v163
	ds_write2_b64 v4, v[5:6], v[7:8] offset0:8 offset1:9
	ds_write2_b64 v4, v[200:201], v[202:203] offset0:10 offset1:11
	ds_write2_b64 v4, v[204:205], v[206:207] offset0:12 offset1:13
	ds_write2_b64 v4, v[208:209], v[210:211] offset0:14 offset1:15
	ds_write2_b64 v4, v[212:213], v[214:215] offset0:16 offset1:17
	v_mov_b32_e32 v5, v180
	v_mov_b32_e32 v6, v181
	v_mov_b32_e32 v7, v130
	v_mov_b32_e32 v8, v131
	v_mov_b32_e32 v200, v158
	v_mov_b32_e32 v201, v159
	v_mov_b32_e32 v202, v128
	v_mov_b32_e32 v203, v129
	v_mov_b32_e32 v204, v156
	v_mov_b32_e32 v205, v157
	v_mov_b32_e32 v206, v126
	v_mov_b32_e32 v207, v127
	v_mov_b32_e32 v208, v154
	v_mov_b32_e32 v209, v155
	v_mov_b32_e32 v210, v124
	v_mov_b32_e32 v211, v125
	v_mov_b32_e32 v212, v152
	v_mov_b32_e32 v213, v153
	v_mov_b32_e32 v214, v122
	v_mov_b32_e32 v215, v123
	ds_write2_b64 v4, v[5:6], v[7:8] offset0:18 offset1:19
	ds_write2_b64 v4, v[200:201], v[202:203] offset0:20 offset1:21
	ds_write2_b64 v4, v[204:205], v[206:207] offset0:22 offset1:23
	ds_write2_b64 v4, v[208:209], v[210:211] offset0:24 offset1:25
	ds_write2_b64 v4, v[212:213], v[214:215] offset0:26 offset1:27
	v_mov_b32_e32 v5, v150
	v_mov_b32_e32 v6, v151
	v_mov_b32_e32 v7, v120
	v_mov_b32_e32 v8, v121
	v_mov_b32_e32 v200, v148
	v_mov_b32_e32 v201, v149
	v_mov_b32_e32 v202, v118
	v_mov_b32_e32 v203, v119
	v_mov_b32_e32 v204, v146
	v_mov_b32_e32 v205, v147
	v_mov_b32_e32 v206, v116
	v_mov_b32_e32 v207, v117
	v_mov_b32_e32 v208, v144
	v_mov_b32_e32 v209, v145
	v_mov_b32_e32 v210, v114
	v_mov_b32_e32 v211, v115
	v_mov_b32_e32 v212, v142
	v_mov_b32_e32 v213, v143
	v_mov_b32_e32 v214, v112
	v_mov_b32_e32 v215, v113
	ds_write2_b64 v4, v[5:6], v[7:8] offset0:28 offset1:29
	ds_write2_b64 v4, v[200:201], v[202:203] offset0:30 offset1:31
	ds_write2_b64 v4, v[204:205], v[206:207] offset0:32 offset1:33
	ds_write2_b64 v4, v[208:209], v[210:211] offset0:34 offset1:35
	ds_write2_b64 v4, v[212:213], v[214:215] offset0:36 offset1:37
	v_mov_b32_e32 v5, v140
	v_mov_b32_e32 v6, v141
	v_mov_b32_e32 v7, v110
	v_mov_b32_e32 v8, v111
	v_mov_b32_e32 v200, v138
	v_mov_b32_e32 v201, v139
	v_mov_b32_e32 v202, v108
	v_mov_b32_e32 v203, v109
	v_mov_b32_e32 v204, v136
	v_mov_b32_e32 v205, v137
	v_mov_b32_e32 v206, v106
	v_mov_b32_e32 v207, v107
	v_mov_b32_e32 v208, v134
	v_mov_b32_e32 v209, v135
	v_mov_b32_e32 v210, v104
	v_mov_b32_e32 v211, v105
	v_mov_b32_e32 v212, v132
	v_mov_b32_e32 v213, v133
	v_mov_b32_e32 v214, v102
	v_mov_b32_e32 v215, v103
	ds_write2_b64 v4, v[5:6], v[7:8] offset0:38 offset1:39
	ds_write2_b64 v4, v[200:201], v[202:203] offset0:40 offset1:41
	ds_write2_b64 v4, v[204:205], v[206:207] offset0:42 offset1:43
	ds_write2_b64 v4, v[208:209], v[210:211] offset0:44 offset1:45
	;; [unrolled: 1-line block ×3, first 2 shown]
	ds_write_b64 v4, v[198:199] offset:384
	ds_read_b64 v[200:201], v1
	s_waitcnt lgkmcnt(0)
	v_cmp_neq_f64_e32 vcc_lo, 0, v[200:201]
	s_and_b32 exec_lo, exec_lo, vcc_lo
	s_cbranch_execz .LBB97_9
; %bb.8:
	v_div_scale_f64 v[5:6], null, v[200:201], v[200:201], 1.0
	v_rcp_f64_e32 v[7:8], v[5:6]
	v_fma_f64 v[202:203], -v[5:6], v[7:8], 1.0
	v_fma_f64 v[7:8], v[7:8], v[202:203], v[7:8]
	v_fma_f64 v[202:203], -v[5:6], v[7:8], 1.0
	v_fma_f64 v[7:8], v[7:8], v[202:203], v[7:8]
	v_div_scale_f64 v[202:203], vcc_lo, 1.0, v[200:201], 1.0
	v_mul_f64 v[204:205], v[202:203], v[7:8]
	v_fma_f64 v[5:6], -v[5:6], v[204:205], v[202:203]
	v_div_fmas_f64 v[5:6], v[5:6], v[7:8], v[204:205]
	v_div_fixup_f64 v[5:6], v[5:6], v[200:201], 1.0
	ds_write_b64 v1, v[5:6]
.LBB97_9:
	s_or_b32 exec_lo, exec_lo, s1
	s_waitcnt lgkmcnt(0)
	s_barrier
	buffer_gl0_inv
	ds_read_b64 v[5:6], v1
	s_mov_b32 s1, exec_lo
	s_waitcnt lgkmcnt(0)
	buffer_store_dword v5, off, s[12:15], 0 offset:32 ; 4-byte Folded Spill
	buffer_store_dword v6, off, s[12:15], 0 offset:36 ; 4-byte Folded Spill
	v_cmpx_lt_u32_e32 1, v0
	s_cbranch_execz .LBB97_11
; %bb.10:
	s_clause 0x1
	buffer_load_dword v5, off, s[12:15], 0 offset:32
	buffer_load_dword v6, off, s[12:15], 0 offset:36
	ds_read2_b64 v[200:203], v4 offset0:2 offset1:3
	ds_read2_b64 v[204:207], v4 offset0:4 offset1:5
	;; [unrolled: 1-line block ×12, first 2 shown]
	s_waitcnt vmcnt(0)
	v_mul_f64 v[178:179], v[5:6], v[178:179]
	ds_read_b64 v[5:6], v4 offset:384
	s_waitcnt lgkmcnt(12)
	v_fma_f64 v[196:197], -v[178:179], v[200:201], v[196:197]
	v_fma_f64 v[176:177], -v[178:179], v[202:203], v[176:177]
	ds_read2_b64 v[200:203], v4 offset0:26 offset1:27
	s_waitcnt lgkmcnt(12)
	v_fma_f64 v[194:195], -v[178:179], v[204:205], v[194:195]
	v_fma_f64 v[174:175], -v[178:179], v[206:207], v[174:175]
	s_waitcnt lgkmcnt(11)
	v_fma_f64 v[192:193], -v[178:179], v[208:209], v[192:193]
	v_fma_f64 v[172:173], -v[178:179], v[210:211], v[172:173]
	;; [unrolled: 3-line block ×7, first 2 shown]
	ds_read2_b64 v[204:207], v4 offset0:28 offset1:29
	s_waitcnt lgkmcnt(6)
	v_fma_f64 v[180:181], -v[178:179], v[232:233], v[180:181]
	v_fma_f64 v[130:131], -v[178:179], v[234:235], v[130:131]
	ds_read2_b64 v[208:211], v4 offset0:30 offset1:31
	ds_read2_b64 v[212:215], v4 offset0:32 offset1:33
	s_waitcnt lgkmcnt(7)
	v_fma_f64 v[158:159], -v[178:179], v[236:237], v[158:159]
	v_fma_f64 v[128:129], -v[178:179], v[238:239], v[128:129]
	ds_read2_b64 v[216:219], v4 offset0:34 offset1:35
	ds_read2_b64 v[220:223], v4 offset0:36 offset1:37
	;; [unrolled: 1-line block ×6, first 2 shown]
	s_waitcnt lgkmcnt(9)
	v_fma_f64 v[152:153], -v[178:179], v[200:201], v[152:153]
	v_fma_f64 v[122:123], -v[178:179], v[202:203], v[122:123]
	ds_read2_b64 v[200:203], v4 offset0:46 offset1:47
	v_fma_f64 v[156:157], -v[178:179], v[240:241], v[156:157]
	v_fma_f64 v[126:127], -v[178:179], v[242:243], v[126:127]
	;; [unrolled: 1-line block ×4, first 2 shown]
	s_waitcnt lgkmcnt(9)
	v_fma_f64 v[150:151], -v[178:179], v[204:205], v[150:151]
	v_fma_f64 v[120:121], -v[178:179], v[206:207], v[120:121]
	;; [unrolled: 1-line block ×3, first 2 shown]
	s_waitcnt lgkmcnt(8)
	v_fma_f64 v[148:149], -v[178:179], v[208:209], v[148:149]
	v_fma_f64 v[118:119], -v[178:179], v[210:211], v[118:119]
	s_waitcnt lgkmcnt(7)
	v_fma_f64 v[146:147], -v[178:179], v[212:213], v[146:147]
	v_fma_f64 v[116:117], -v[178:179], v[214:215], v[116:117]
	;; [unrolled: 3-line block ×9, first 2 shown]
.LBB97_11:
	s_or_b32 exec_lo, exec_lo, s1
	s_mov_b32 s1, exec_lo
	s_waitcnt_vscnt null, 0x0
	s_barrier
	buffer_gl0_inv
	v_cmpx_eq_u32_e32 2, v0
	s_cbranch_execz .LBB97_14
; %bb.12:
	ds_write_b64 v1, v[196:197]
	ds_write2_b64 v4, v[176:177], v[194:195] offset0:3 offset1:4
	ds_write2_b64 v4, v[174:175], v[192:193] offset0:5 offset1:6
	;; [unrolled: 1-line block ×23, first 2 shown]
	ds_read_b64 v[200:201], v1
	s_waitcnt lgkmcnt(0)
	v_cmp_neq_f64_e32 vcc_lo, 0, v[200:201]
	s_and_b32 exec_lo, exec_lo, vcc_lo
	s_cbranch_execz .LBB97_14
; %bb.13:
	v_div_scale_f64 v[5:6], null, v[200:201], v[200:201], 1.0
	v_rcp_f64_e32 v[7:8], v[5:6]
	v_fma_f64 v[202:203], -v[5:6], v[7:8], 1.0
	v_fma_f64 v[7:8], v[7:8], v[202:203], v[7:8]
	v_fma_f64 v[202:203], -v[5:6], v[7:8], 1.0
	v_fma_f64 v[7:8], v[7:8], v[202:203], v[7:8]
	v_div_scale_f64 v[202:203], vcc_lo, 1.0, v[200:201], 1.0
	v_mul_f64 v[204:205], v[202:203], v[7:8]
	v_fma_f64 v[5:6], -v[5:6], v[204:205], v[202:203]
	v_div_fmas_f64 v[5:6], v[5:6], v[7:8], v[204:205]
	v_div_fixup_f64 v[5:6], v[5:6], v[200:201], 1.0
	ds_write_b64 v1, v[5:6]
.LBB97_14:
	s_or_b32 exec_lo, exec_lo, s1
	s_waitcnt lgkmcnt(0)
	s_barrier
	buffer_gl0_inv
	ds_read_b64 v[5:6], v1
	s_mov_b32 s1, exec_lo
	s_waitcnt lgkmcnt(0)
	buffer_store_dword v5, off, s[12:15], 0 offset:40 ; 4-byte Folded Spill
	buffer_store_dword v6, off, s[12:15], 0 offset:44 ; 4-byte Folded Spill
	v_cmpx_lt_u32_e32 2, v0
	s_cbranch_execz .LBB97_16
; %bb.15:
	s_clause 0x1
	buffer_load_dword v5, off, s[12:15], 0 offset:40
	buffer_load_dword v6, off, s[12:15], 0 offset:44
	ds_read2_b64 v[200:203], v4 offset0:3 offset1:4
	ds_read2_b64 v[204:207], v4 offset0:5 offset1:6
	;; [unrolled: 1-line block ×11, first 2 shown]
	s_waitcnt vmcnt(0)
	v_mul_f64 v[196:197], v[5:6], v[196:197]
	s_waitcnt lgkmcnt(10)
	v_fma_f64 v[176:177], -v[196:197], v[200:201], v[176:177]
	v_fma_f64 v[194:195], -v[196:197], v[202:203], v[194:195]
	ds_read2_b64 v[200:203], v4 offset0:25 offset1:26
	s_waitcnt lgkmcnt(10)
	v_fma_f64 v[174:175], -v[196:197], v[204:205], v[174:175]
	v_fma_f64 v[192:193], -v[196:197], v[206:207], v[192:193]
	s_waitcnt lgkmcnt(9)
	v_fma_f64 v[172:173], -v[196:197], v[208:209], v[172:173]
	v_fma_f64 v[190:191], -v[196:197], v[210:211], v[190:191]
	;; [unrolled: 3-line block ×6, first 2 shown]
	ds_read2_b64 v[204:207], v4 offset0:27 offset1:28
	s_waitcnt lgkmcnt(5)
	v_fma_f64 v[162:163], -v[196:197], v[228:229], v[162:163]
	v_fma_f64 v[180:181], -v[196:197], v[230:231], v[180:181]
	ds_read2_b64 v[208:211], v4 offset0:29 offset1:30
	ds_read2_b64 v[212:215], v4 offset0:31 offset1:32
	s_waitcnt lgkmcnt(6)
	v_fma_f64 v[130:131], -v[196:197], v[232:233], v[130:131]
	v_fma_f64 v[158:159], -v[196:197], v[234:235], v[158:159]
	ds_read2_b64 v[216:219], v4 offset0:33 offset1:34
	;; [unrolled: 5-line block ×5, first 2 shown]
	ds_read2_b64 v[240:243], v4 offset0:47 offset1:48
	s_waitcnt lgkmcnt(10)
	v_fma_f64 v[122:123], -v[196:197], v[204:205], v[122:123]
	v_fma_f64 v[150:151], -v[196:197], v[206:207], v[150:151]
	s_waitcnt lgkmcnt(9)
	v_fma_f64 v[120:121], -v[196:197], v[208:209], v[120:121]
	v_fma_f64 v[148:149], -v[196:197], v[210:211], v[148:149]
	;; [unrolled: 3-line block ×11, first 2 shown]
.LBB97_16:
	s_or_b32 exec_lo, exec_lo, s1
	s_mov_b32 s1, exec_lo
	s_waitcnt_vscnt null, 0x0
	s_barrier
	buffer_gl0_inv
	v_cmpx_eq_u32_e32 3, v0
	s_cbranch_execz .LBB97_19
; %bb.17:
	v_mov_b32_e32 v5, v194
	v_mov_b32_e32 v6, v195
	;; [unrolled: 1-line block ×8, first 2 shown]
	ds_write_b64 v1, v[176:177]
	ds_write2_b64 v4, v[5:6], v[7:8] offset0:4 offset1:5
	ds_write2_b64 v4, v[200:201], v[202:203] offset0:6 offset1:7
	v_mov_b32_e32 v5, v190
	v_mov_b32_e32 v6, v191
	v_mov_b32_e32 v7, v170
	v_mov_b32_e32 v8, v171
	v_mov_b32_e32 v200, v188
	v_mov_b32_e32 v201, v189
	v_mov_b32_e32 v202, v168
	v_mov_b32_e32 v203, v169
	v_mov_b32_e32 v204, v186
	v_mov_b32_e32 v205, v187
	v_mov_b32_e32 v206, v166
	v_mov_b32_e32 v207, v167
	v_mov_b32_e32 v208, v184
	v_mov_b32_e32 v209, v185
	v_mov_b32_e32 v210, v164
	v_mov_b32_e32 v211, v165
	v_mov_b32_e32 v212, v182
	v_mov_b32_e32 v213, v183
	v_mov_b32_e32 v214, v162
	v_mov_b32_e32 v215, v163
	ds_write2_b64 v4, v[5:6], v[7:8] offset0:8 offset1:9
	ds_write2_b64 v4, v[200:201], v[202:203] offset0:10 offset1:11
	ds_write2_b64 v4, v[204:205], v[206:207] offset0:12 offset1:13
	ds_write2_b64 v4, v[208:209], v[210:211] offset0:14 offset1:15
	ds_write2_b64 v4, v[212:213], v[214:215] offset0:16 offset1:17
	v_mov_b32_e32 v5, v180
	v_mov_b32_e32 v6, v181
	v_mov_b32_e32 v7, v130
	v_mov_b32_e32 v8, v131
	v_mov_b32_e32 v200, v158
	v_mov_b32_e32 v201, v159
	v_mov_b32_e32 v202, v128
	v_mov_b32_e32 v203, v129
	v_mov_b32_e32 v204, v156
	v_mov_b32_e32 v205, v157
	v_mov_b32_e32 v206, v126
	v_mov_b32_e32 v207, v127
	v_mov_b32_e32 v208, v154
	v_mov_b32_e32 v209, v155
	v_mov_b32_e32 v210, v124
	v_mov_b32_e32 v211, v125
	v_mov_b32_e32 v212, v152
	v_mov_b32_e32 v213, v153
	v_mov_b32_e32 v214, v122
	v_mov_b32_e32 v215, v123
	ds_write2_b64 v4, v[5:6], v[7:8] offset0:18 offset1:19
	ds_write2_b64 v4, v[200:201], v[202:203] offset0:20 offset1:21
	ds_write2_b64 v4, v[204:205], v[206:207] offset0:22 offset1:23
	;; [unrolled: 25-line block ×4, first 2 shown]
	ds_write2_b64 v4, v[208:209], v[210:211] offset0:44 offset1:45
	ds_write2_b64 v4, v[212:213], v[214:215] offset0:46 offset1:47
	ds_write_b64 v4, v[198:199] offset:384
	ds_read_b64 v[200:201], v1
	s_waitcnt lgkmcnt(0)
	v_cmp_neq_f64_e32 vcc_lo, 0, v[200:201]
	s_and_b32 exec_lo, exec_lo, vcc_lo
	s_cbranch_execz .LBB97_19
; %bb.18:
	v_div_scale_f64 v[5:6], null, v[200:201], v[200:201], 1.0
	v_rcp_f64_e32 v[7:8], v[5:6]
	v_fma_f64 v[202:203], -v[5:6], v[7:8], 1.0
	v_fma_f64 v[7:8], v[7:8], v[202:203], v[7:8]
	v_fma_f64 v[202:203], -v[5:6], v[7:8], 1.0
	v_fma_f64 v[7:8], v[7:8], v[202:203], v[7:8]
	v_div_scale_f64 v[202:203], vcc_lo, 1.0, v[200:201], 1.0
	v_mul_f64 v[204:205], v[202:203], v[7:8]
	v_fma_f64 v[5:6], -v[5:6], v[204:205], v[202:203]
	v_div_fmas_f64 v[5:6], v[5:6], v[7:8], v[204:205]
	v_div_fixup_f64 v[5:6], v[5:6], v[200:201], 1.0
	ds_write_b64 v1, v[5:6]
.LBB97_19:
	s_or_b32 exec_lo, exec_lo, s1
	s_waitcnt lgkmcnt(0)
	s_barrier
	buffer_gl0_inv
	ds_read_b64 v[5:6], v1
	s_mov_b32 s1, exec_lo
	s_waitcnt lgkmcnt(0)
	buffer_store_dword v5, off, s[12:15], 0 offset:48 ; 4-byte Folded Spill
	buffer_store_dword v6, off, s[12:15], 0 offset:52 ; 4-byte Folded Spill
	v_cmpx_lt_u32_e32 3, v0
	s_cbranch_execz .LBB97_21
; %bb.20:
	s_clause 0x1
	buffer_load_dword v5, off, s[12:15], 0 offset:48
	buffer_load_dword v6, off, s[12:15], 0 offset:52
	ds_read2_b64 v[200:203], v4 offset0:4 offset1:5
	ds_read2_b64 v[204:207], v4 offset0:6 offset1:7
	;; [unrolled: 1-line block ×11, first 2 shown]
	s_waitcnt vmcnt(0)
	v_mul_f64 v[176:177], v[5:6], v[176:177]
	ds_read_b64 v[5:6], v4 offset:384
	s_waitcnt lgkmcnt(11)
	v_fma_f64 v[194:195], -v[176:177], v[200:201], v[194:195]
	v_fma_f64 v[174:175], -v[176:177], v[202:203], v[174:175]
	ds_read2_b64 v[200:203], v4 offset0:26 offset1:27
	s_waitcnt lgkmcnt(11)
	v_fma_f64 v[192:193], -v[176:177], v[204:205], v[192:193]
	v_fma_f64 v[172:173], -v[176:177], v[206:207], v[172:173]
	s_waitcnt lgkmcnt(10)
	v_fma_f64 v[190:191], -v[176:177], v[208:209], v[190:191]
	v_fma_f64 v[170:171], -v[176:177], v[210:211], v[170:171]
	s_waitcnt lgkmcnt(9)
	v_fma_f64 v[188:189], -v[176:177], v[212:213], v[188:189]
	v_fma_f64 v[168:169], -v[176:177], v[214:215], v[168:169]
	s_waitcnt lgkmcnt(8)
	v_fma_f64 v[186:187], -v[176:177], v[216:217], v[186:187]
	v_fma_f64 v[166:167], -v[176:177], v[218:219], v[166:167]
	s_waitcnt lgkmcnt(7)
	v_fma_f64 v[184:185], -v[176:177], v[220:221], v[184:185]
	v_fma_f64 v[164:165], -v[176:177], v[222:223], v[164:165]
	s_waitcnt lgkmcnt(6)
	v_fma_f64 v[182:183], -v[176:177], v[224:225], v[182:183]
	v_fma_f64 v[162:163], -v[176:177], v[226:227], v[162:163]
	ds_read2_b64 v[204:207], v4 offset0:28 offset1:29
	s_waitcnt lgkmcnt(6)
	v_fma_f64 v[180:181], -v[176:177], v[228:229], v[180:181]
	v_fma_f64 v[130:131], -v[176:177], v[230:231], v[130:131]
	ds_read2_b64 v[208:211], v4 offset0:30 offset1:31
	ds_read2_b64 v[212:215], v4 offset0:32 offset1:33
	s_waitcnt lgkmcnt(7)
	v_fma_f64 v[158:159], -v[176:177], v[232:233], v[158:159]
	v_fma_f64 v[128:129], -v[176:177], v[234:235], v[128:129]
	ds_read2_b64 v[216:219], v4 offset0:34 offset1:35
	;; [unrolled: 5-line block ×3, first 2 shown]
	ds_read2_b64 v[228:231], v4 offset0:40 offset1:41
	ds_read2_b64 v[232:235], v4 offset0:42 offset1:43
	;; [unrolled: 1-line block ×3, first 2 shown]
	s_waitcnt lgkmcnt(9)
	v_fma_f64 v[152:153], -v[176:177], v[200:201], v[152:153]
	v_fma_f64 v[122:123], -v[176:177], v[202:203], v[122:123]
	ds_read2_b64 v[200:203], v4 offset0:46 offset1:47
	v_fma_f64 v[154:155], -v[176:177], v[240:241], v[154:155]
	v_fma_f64 v[124:125], -v[176:177], v[242:243], v[124:125]
	s_waitcnt lgkmcnt(9)
	v_fma_f64 v[150:151], -v[176:177], v[204:205], v[150:151]
	v_fma_f64 v[120:121], -v[176:177], v[206:207], v[120:121]
	;; [unrolled: 1-line block ×3, first 2 shown]
	s_waitcnt lgkmcnt(8)
	v_fma_f64 v[148:149], -v[176:177], v[208:209], v[148:149]
	v_fma_f64 v[118:119], -v[176:177], v[210:211], v[118:119]
	s_waitcnt lgkmcnt(7)
	v_fma_f64 v[146:147], -v[176:177], v[212:213], v[146:147]
	v_fma_f64 v[116:117], -v[176:177], v[214:215], v[116:117]
	;; [unrolled: 3-line block ×9, first 2 shown]
.LBB97_21:
	s_or_b32 exec_lo, exec_lo, s1
	s_mov_b32 s1, exec_lo
	s_waitcnt_vscnt null, 0x0
	s_barrier
	buffer_gl0_inv
	v_cmpx_eq_u32_e32 4, v0
	s_cbranch_execz .LBB97_24
; %bb.22:
	ds_write_b64 v1, v[194:195]
	ds_write2_b64 v4, v[174:175], v[192:193] offset0:5 offset1:6
	ds_write2_b64 v4, v[172:173], v[190:191] offset0:7 offset1:8
	;; [unrolled: 1-line block ×22, first 2 shown]
	ds_read_b64 v[200:201], v1
	s_waitcnt lgkmcnt(0)
	v_cmp_neq_f64_e32 vcc_lo, 0, v[200:201]
	s_and_b32 exec_lo, exec_lo, vcc_lo
	s_cbranch_execz .LBB97_24
; %bb.23:
	v_div_scale_f64 v[5:6], null, v[200:201], v[200:201], 1.0
	v_rcp_f64_e32 v[7:8], v[5:6]
	v_fma_f64 v[202:203], -v[5:6], v[7:8], 1.0
	v_fma_f64 v[7:8], v[7:8], v[202:203], v[7:8]
	v_fma_f64 v[202:203], -v[5:6], v[7:8], 1.0
	v_fma_f64 v[7:8], v[7:8], v[202:203], v[7:8]
	v_div_scale_f64 v[202:203], vcc_lo, 1.0, v[200:201], 1.0
	v_mul_f64 v[204:205], v[202:203], v[7:8]
	v_fma_f64 v[5:6], -v[5:6], v[204:205], v[202:203]
	v_div_fmas_f64 v[5:6], v[5:6], v[7:8], v[204:205]
	v_div_fixup_f64 v[5:6], v[5:6], v[200:201], 1.0
	ds_write_b64 v1, v[5:6]
.LBB97_24:
	s_or_b32 exec_lo, exec_lo, s1
	s_waitcnt lgkmcnt(0)
	s_barrier
	buffer_gl0_inv
	ds_read_b64 v[242:243], v1
	s_mov_b32 s1, exec_lo
	v_cmpx_lt_u32_e32 4, v0
	s_cbranch_execz .LBB97_26
; %bb.25:
	s_waitcnt lgkmcnt(0)
	v_mul_f64 v[194:195], v[242:243], v[194:195]
	v_mov_b32_e32 v5, v242
	ds_read2_b64 v[200:203], v4 offset0:5 offset1:6
	ds_read2_b64 v[204:207], v4 offset0:7 offset1:8
	;; [unrolled: 1-line block ×10, first 2 shown]
	v_mov_b32_e32 v6, v243
	ds_read2_b64 v[240:243], v4 offset0:25 offset1:26
	s_waitcnt lgkmcnt(10)
	v_fma_f64 v[174:175], -v[194:195], v[200:201], v[174:175]
	v_fma_f64 v[192:193], -v[194:195], v[202:203], v[192:193]
	s_waitcnt lgkmcnt(9)
	v_fma_f64 v[172:173], -v[194:195], v[204:205], v[172:173]
	v_fma_f64 v[190:191], -v[194:195], v[206:207], v[190:191]
	;; [unrolled: 3-line block ×6, first 2 shown]
	ds_read2_b64 v[200:203], v4 offset0:27 offset1:28
	s_waitcnt lgkmcnt(5)
	v_fma_f64 v[162:163], -v[194:195], v[224:225], v[162:163]
	v_fma_f64 v[180:181], -v[194:195], v[226:227], v[180:181]
	ds_read2_b64 v[204:207], v4 offset0:29 offset1:30
	ds_read2_b64 v[208:211], v4 offset0:31 offset1:32
	s_waitcnt lgkmcnt(6)
	v_fma_f64 v[130:131], -v[194:195], v[228:229], v[130:131]
	v_fma_f64 v[158:159], -v[194:195], v[230:231], v[158:159]
	ds_read2_b64 v[212:215], v4 offset0:33 offset1:34
	;; [unrolled: 5-line block ×5, first 2 shown]
	ds_read2_b64 v[240:243], v4 offset0:47 offset1:48
	s_waitcnt lgkmcnt(10)
	v_fma_f64 v[122:123], -v[194:195], v[200:201], v[122:123]
	v_fma_f64 v[150:151], -v[194:195], v[202:203], v[150:151]
	s_waitcnt lgkmcnt(9)
	v_fma_f64 v[120:121], -v[194:195], v[204:205], v[120:121]
	v_fma_f64 v[148:149], -v[194:195], v[206:207], v[148:149]
	;; [unrolled: 3-line block ×11, first 2 shown]
	v_mov_b32_e32 v243, v6
	v_mov_b32_e32 v242, v5
.LBB97_26:
	s_or_b32 exec_lo, exec_lo, s1
	s_mov_b32 s1, exec_lo
	s_waitcnt lgkmcnt(0)
	s_barrier
	buffer_gl0_inv
	v_cmpx_eq_u32_e32 5, v0
	s_cbranch_execz .LBB97_29
; %bb.27:
	v_mov_b32_e32 v5, v192
	v_mov_b32_e32 v6, v193
	;; [unrolled: 1-line block ×4, first 2 shown]
	ds_write_b64 v1, v[174:175]
	ds_write2_b64 v4, v[5:6], v[7:8] offset0:6 offset1:7
	v_mov_b32_e32 v5, v190
	v_mov_b32_e32 v6, v191
	v_mov_b32_e32 v7, v170
	v_mov_b32_e32 v8, v171
	v_mov_b32_e32 v200, v188
	v_mov_b32_e32 v201, v189
	v_mov_b32_e32 v202, v168
	v_mov_b32_e32 v203, v169
	v_mov_b32_e32 v204, v186
	v_mov_b32_e32 v205, v187
	v_mov_b32_e32 v206, v166
	v_mov_b32_e32 v207, v167
	v_mov_b32_e32 v208, v184
	v_mov_b32_e32 v209, v185
	v_mov_b32_e32 v210, v164
	v_mov_b32_e32 v211, v165
	v_mov_b32_e32 v212, v182
	v_mov_b32_e32 v213, v183
	v_mov_b32_e32 v214, v162
	v_mov_b32_e32 v215, v163
	ds_write2_b64 v4, v[5:6], v[7:8] offset0:8 offset1:9
	ds_write2_b64 v4, v[200:201], v[202:203] offset0:10 offset1:11
	ds_write2_b64 v4, v[204:205], v[206:207] offset0:12 offset1:13
	ds_write2_b64 v4, v[208:209], v[210:211] offset0:14 offset1:15
	ds_write2_b64 v4, v[212:213], v[214:215] offset0:16 offset1:17
	v_mov_b32_e32 v5, v180
	v_mov_b32_e32 v6, v181
	v_mov_b32_e32 v7, v130
	v_mov_b32_e32 v8, v131
	v_mov_b32_e32 v200, v158
	v_mov_b32_e32 v201, v159
	v_mov_b32_e32 v202, v128
	v_mov_b32_e32 v203, v129
	v_mov_b32_e32 v204, v156
	v_mov_b32_e32 v205, v157
	v_mov_b32_e32 v206, v126
	v_mov_b32_e32 v207, v127
	v_mov_b32_e32 v208, v154
	v_mov_b32_e32 v209, v155
	v_mov_b32_e32 v210, v124
	v_mov_b32_e32 v211, v125
	v_mov_b32_e32 v212, v152
	v_mov_b32_e32 v213, v153
	v_mov_b32_e32 v214, v122
	v_mov_b32_e32 v215, v123
	ds_write2_b64 v4, v[5:6], v[7:8] offset0:18 offset1:19
	ds_write2_b64 v4, v[200:201], v[202:203] offset0:20 offset1:21
	ds_write2_b64 v4, v[204:205], v[206:207] offset0:22 offset1:23
	ds_write2_b64 v4, v[208:209], v[210:211] offset0:24 offset1:25
	;; [unrolled: 25-line block ×4, first 2 shown]
	ds_write2_b64 v4, v[212:213], v[214:215] offset0:46 offset1:47
	ds_write_b64 v4, v[198:199] offset:384
	ds_read_b64 v[200:201], v1
	s_waitcnt lgkmcnt(0)
	v_cmp_neq_f64_e32 vcc_lo, 0, v[200:201]
	s_and_b32 exec_lo, exec_lo, vcc_lo
	s_cbranch_execz .LBB97_29
; %bb.28:
	v_div_scale_f64 v[5:6], null, v[200:201], v[200:201], 1.0
	v_rcp_f64_e32 v[7:8], v[5:6]
	v_fma_f64 v[202:203], -v[5:6], v[7:8], 1.0
	v_fma_f64 v[7:8], v[7:8], v[202:203], v[7:8]
	v_fma_f64 v[202:203], -v[5:6], v[7:8], 1.0
	v_fma_f64 v[7:8], v[7:8], v[202:203], v[7:8]
	v_div_scale_f64 v[202:203], vcc_lo, 1.0, v[200:201], 1.0
	v_mul_f64 v[204:205], v[202:203], v[7:8]
	v_fma_f64 v[5:6], -v[5:6], v[204:205], v[202:203]
	v_div_fmas_f64 v[5:6], v[5:6], v[7:8], v[204:205]
	v_div_fixup_f64 v[5:6], v[5:6], v[200:201], 1.0
	ds_write_b64 v1, v[5:6]
.LBB97_29:
	s_or_b32 exec_lo, exec_lo, s1
	s_waitcnt lgkmcnt(0)
	s_barrier
	buffer_gl0_inv
	ds_read_b64 v[244:245], v1
	s_mov_b32 s1, exec_lo
	v_cmpx_lt_u32_e32 5, v0
	s_cbranch_execz .LBB97_31
; %bb.30:
	s_waitcnt lgkmcnt(0)
	v_mul_f64 v[174:175], v[244:245], v[174:175]
	ds_read2_b64 v[200:203], v4 offset0:6 offset1:7
	ds_read_b64 v[5:6], v4 offset:384
	s_waitcnt lgkmcnt(1)
	v_fma_f64 v[192:193], -v[174:175], v[200:201], v[192:193]
	v_fma_f64 v[172:173], -v[174:175], v[202:203], v[172:173]
	ds_read2_b64 v[200:203], v4 offset0:8 offset1:9
	s_waitcnt lgkmcnt(1)
	v_fma_f64 v[198:199], -v[174:175], v[5:6], v[198:199]
	s_waitcnt lgkmcnt(0)
	v_fma_f64 v[190:191], -v[174:175], v[200:201], v[190:191]
	v_fma_f64 v[170:171], -v[174:175], v[202:203], v[170:171]
	ds_read2_b64 v[200:203], v4 offset0:10 offset1:11
	s_waitcnt lgkmcnt(0)
	v_fma_f64 v[188:189], -v[174:175], v[200:201], v[188:189]
	v_fma_f64 v[168:169], -v[174:175], v[202:203], v[168:169]
	ds_read2_b64 v[200:203], v4 offset0:12 offset1:13
	;; [unrolled: 4-line block ×19, first 2 shown]
	s_waitcnt lgkmcnt(0)
	v_fma_f64 v[132:133], -v[174:175], v[200:201], v[132:133]
	v_fma_f64 v[102:103], -v[174:175], v[202:203], v[102:103]
.LBB97_31:
	s_or_b32 exec_lo, exec_lo, s1
	s_mov_b32 s1, exec_lo
	s_waitcnt lgkmcnt(0)
	s_barrier
	buffer_gl0_inv
	v_cmpx_eq_u32_e32 6, v0
	s_cbranch_execz .LBB97_34
; %bb.32:
	ds_write_b64 v1, v[192:193]
	ds_write2_b64 v4, v[172:173], v[190:191] offset0:7 offset1:8
	ds_write2_b64 v4, v[170:171], v[188:189] offset0:9 offset1:10
	;; [unrolled: 1-line block ×21, first 2 shown]
	ds_read_b64 v[200:201], v1
	s_waitcnt lgkmcnt(0)
	v_cmp_neq_f64_e32 vcc_lo, 0, v[200:201]
	s_and_b32 exec_lo, exec_lo, vcc_lo
	s_cbranch_execz .LBB97_34
; %bb.33:
	v_div_scale_f64 v[5:6], null, v[200:201], v[200:201], 1.0
	v_rcp_f64_e32 v[7:8], v[5:6]
	v_fma_f64 v[202:203], -v[5:6], v[7:8], 1.0
	v_fma_f64 v[7:8], v[7:8], v[202:203], v[7:8]
	v_fma_f64 v[202:203], -v[5:6], v[7:8], 1.0
	v_fma_f64 v[7:8], v[7:8], v[202:203], v[7:8]
	v_div_scale_f64 v[202:203], vcc_lo, 1.0, v[200:201], 1.0
	v_mul_f64 v[204:205], v[202:203], v[7:8]
	v_fma_f64 v[5:6], -v[5:6], v[204:205], v[202:203]
	v_div_fmas_f64 v[5:6], v[5:6], v[7:8], v[204:205]
	v_div_fixup_f64 v[5:6], v[5:6], v[200:201], 1.0
	ds_write_b64 v1, v[5:6]
.LBB97_34:
	s_or_b32 exec_lo, exec_lo, s1
	s_waitcnt lgkmcnt(0)
	s_barrier
	buffer_gl0_inv
	ds_read_b64 v[246:247], v1
	s_mov_b32 s1, exec_lo
	v_cmpx_lt_u32_e32 6, v0
	s_cbranch_execz .LBB97_36
; %bb.35:
	s_waitcnt lgkmcnt(0)
	v_mul_f64 v[192:193], v[246:247], v[192:193]
	ds_read2_b64 v[200:203], v4 offset0:7 offset1:8
	s_waitcnt lgkmcnt(0)
	v_fma_f64 v[172:173], -v[192:193], v[200:201], v[172:173]
	v_fma_f64 v[190:191], -v[192:193], v[202:203], v[190:191]
	ds_read2_b64 v[200:203], v4 offset0:9 offset1:10
	s_waitcnt lgkmcnt(0)
	v_fma_f64 v[170:171], -v[192:193], v[200:201], v[170:171]
	v_fma_f64 v[188:189], -v[192:193], v[202:203], v[188:189]
	;; [unrolled: 4-line block ×21, first 2 shown]
.LBB97_36:
	s_or_b32 exec_lo, exec_lo, s1
	s_mov_b32 s1, exec_lo
	s_waitcnt lgkmcnt(0)
	s_barrier
	buffer_gl0_inv
	v_cmpx_eq_u32_e32 7, v0
	s_cbranch_execz .LBB97_39
; %bb.37:
	v_mov_b32_e32 v5, v190
	v_mov_b32_e32 v6, v191
	;; [unrolled: 1-line block ×20, first 2 shown]
	ds_write_b64 v1, v[172:173]
	ds_write2_b64 v4, v[5:6], v[7:8] offset0:8 offset1:9
	ds_write2_b64 v4, v[200:201], v[202:203] offset0:10 offset1:11
	ds_write2_b64 v4, v[204:205], v[206:207] offset0:12 offset1:13
	ds_write2_b64 v4, v[208:209], v[210:211] offset0:14 offset1:15
	ds_write2_b64 v4, v[212:213], v[214:215] offset0:16 offset1:17
	v_mov_b32_e32 v5, v180
	v_mov_b32_e32 v6, v181
	v_mov_b32_e32 v7, v130
	v_mov_b32_e32 v8, v131
	v_mov_b32_e32 v200, v158
	v_mov_b32_e32 v201, v159
	v_mov_b32_e32 v202, v128
	v_mov_b32_e32 v203, v129
	v_mov_b32_e32 v204, v156
	v_mov_b32_e32 v205, v157
	v_mov_b32_e32 v206, v126
	v_mov_b32_e32 v207, v127
	v_mov_b32_e32 v208, v154
	v_mov_b32_e32 v209, v155
	v_mov_b32_e32 v210, v124
	v_mov_b32_e32 v211, v125
	v_mov_b32_e32 v212, v152
	v_mov_b32_e32 v213, v153
	v_mov_b32_e32 v214, v122
	v_mov_b32_e32 v215, v123
	ds_write2_b64 v4, v[5:6], v[7:8] offset0:18 offset1:19
	ds_write2_b64 v4, v[200:201], v[202:203] offset0:20 offset1:21
	ds_write2_b64 v4, v[204:205], v[206:207] offset0:22 offset1:23
	ds_write2_b64 v4, v[208:209], v[210:211] offset0:24 offset1:25
	ds_write2_b64 v4, v[212:213], v[214:215] offset0:26 offset1:27
	v_mov_b32_e32 v5, v150
	v_mov_b32_e32 v6, v151
	v_mov_b32_e32 v7, v120
	v_mov_b32_e32 v8, v121
	v_mov_b32_e32 v200, v148
	v_mov_b32_e32 v201, v149
	v_mov_b32_e32 v202, v118
	v_mov_b32_e32 v203, v119
	v_mov_b32_e32 v204, v146
	v_mov_b32_e32 v205, v147
	v_mov_b32_e32 v206, v116
	v_mov_b32_e32 v207, v117
	v_mov_b32_e32 v208, v144
	v_mov_b32_e32 v209, v145
	v_mov_b32_e32 v210, v114
	v_mov_b32_e32 v211, v115
	v_mov_b32_e32 v212, v142
	v_mov_b32_e32 v213, v143
	v_mov_b32_e32 v214, v112
	v_mov_b32_e32 v215, v113
	;; [unrolled: 25-line block ×3, first 2 shown]
	ds_write2_b64 v4, v[5:6], v[7:8] offset0:38 offset1:39
	ds_write2_b64 v4, v[200:201], v[202:203] offset0:40 offset1:41
	;; [unrolled: 1-line block ×5, first 2 shown]
	ds_write_b64 v4, v[198:199] offset:384
	ds_read_b64 v[200:201], v1
	s_waitcnt lgkmcnt(0)
	v_cmp_neq_f64_e32 vcc_lo, 0, v[200:201]
	s_and_b32 exec_lo, exec_lo, vcc_lo
	s_cbranch_execz .LBB97_39
; %bb.38:
	v_div_scale_f64 v[5:6], null, v[200:201], v[200:201], 1.0
	v_rcp_f64_e32 v[7:8], v[5:6]
	v_fma_f64 v[202:203], -v[5:6], v[7:8], 1.0
	v_fma_f64 v[7:8], v[7:8], v[202:203], v[7:8]
	v_fma_f64 v[202:203], -v[5:6], v[7:8], 1.0
	v_fma_f64 v[7:8], v[7:8], v[202:203], v[7:8]
	v_div_scale_f64 v[202:203], vcc_lo, 1.0, v[200:201], 1.0
	v_mul_f64 v[204:205], v[202:203], v[7:8]
	v_fma_f64 v[5:6], -v[5:6], v[204:205], v[202:203]
	v_div_fmas_f64 v[5:6], v[5:6], v[7:8], v[204:205]
	v_div_fixup_f64 v[5:6], v[5:6], v[200:201], 1.0
	ds_write_b64 v1, v[5:6]
.LBB97_39:
	s_or_b32 exec_lo, exec_lo, s1
	s_waitcnt lgkmcnt(0)
	s_barrier
	buffer_gl0_inv
	ds_read_b64 v[248:249], v1
	s_mov_b32 s1, exec_lo
	v_cmpx_lt_u32_e32 7, v0
	s_cbranch_execz .LBB97_41
; %bb.40:
	s_waitcnt lgkmcnt(0)
	v_mul_f64 v[172:173], v[248:249], v[172:173]
	ds_read2_b64 v[200:203], v4 offset0:8 offset1:9
	ds_read_b64 v[5:6], v4 offset:384
	s_waitcnt lgkmcnt(1)
	v_fma_f64 v[190:191], -v[172:173], v[200:201], v[190:191]
	v_fma_f64 v[170:171], -v[172:173], v[202:203], v[170:171]
	ds_read2_b64 v[200:203], v4 offset0:10 offset1:11
	s_waitcnt lgkmcnt(1)
	v_fma_f64 v[198:199], -v[172:173], v[5:6], v[198:199]
	s_waitcnt lgkmcnt(0)
	v_fma_f64 v[188:189], -v[172:173], v[200:201], v[188:189]
	v_fma_f64 v[168:169], -v[172:173], v[202:203], v[168:169]
	ds_read2_b64 v[200:203], v4 offset0:12 offset1:13
	s_waitcnt lgkmcnt(0)
	v_fma_f64 v[186:187], -v[172:173], v[200:201], v[186:187]
	v_fma_f64 v[166:167], -v[172:173], v[202:203], v[166:167]
	ds_read2_b64 v[200:203], v4 offset0:14 offset1:15
	;; [unrolled: 4-line block ×18, first 2 shown]
	s_waitcnt lgkmcnt(0)
	v_fma_f64 v[132:133], -v[172:173], v[200:201], v[132:133]
	v_fma_f64 v[102:103], -v[172:173], v[202:203], v[102:103]
.LBB97_41:
	s_or_b32 exec_lo, exec_lo, s1
	s_mov_b32 s1, exec_lo
	s_waitcnt lgkmcnt(0)
	s_barrier
	buffer_gl0_inv
	v_cmpx_eq_u32_e32 8, v0
	s_cbranch_execz .LBB97_44
; %bb.42:
	ds_write_b64 v1, v[190:191]
	ds_write2_b64 v4, v[170:171], v[188:189] offset0:9 offset1:10
	ds_write2_b64 v4, v[168:169], v[186:187] offset0:11 offset1:12
	;; [unrolled: 1-line block ×20, first 2 shown]
	ds_read_b64 v[200:201], v1
	s_waitcnt lgkmcnt(0)
	v_cmp_neq_f64_e32 vcc_lo, 0, v[200:201]
	s_and_b32 exec_lo, exec_lo, vcc_lo
	s_cbranch_execz .LBB97_44
; %bb.43:
	v_div_scale_f64 v[5:6], null, v[200:201], v[200:201], 1.0
	v_rcp_f64_e32 v[7:8], v[5:6]
	v_fma_f64 v[202:203], -v[5:6], v[7:8], 1.0
	v_fma_f64 v[7:8], v[7:8], v[202:203], v[7:8]
	v_fma_f64 v[202:203], -v[5:6], v[7:8], 1.0
	v_fma_f64 v[7:8], v[7:8], v[202:203], v[7:8]
	v_div_scale_f64 v[202:203], vcc_lo, 1.0, v[200:201], 1.0
	v_mul_f64 v[204:205], v[202:203], v[7:8]
	v_fma_f64 v[5:6], -v[5:6], v[204:205], v[202:203]
	v_div_fmas_f64 v[5:6], v[5:6], v[7:8], v[204:205]
	v_div_fixup_f64 v[5:6], v[5:6], v[200:201], 1.0
	ds_write_b64 v1, v[5:6]
.LBB97_44:
	s_or_b32 exec_lo, exec_lo, s1
	s_waitcnt lgkmcnt(0)
	s_barrier
	buffer_gl0_inv
	ds_read_b64 v[250:251], v1
	s_mov_b32 s1, exec_lo
	v_cmpx_lt_u32_e32 8, v0
	s_cbranch_execz .LBB97_46
; %bb.45:
	s_waitcnt lgkmcnt(0)
	v_mul_f64 v[190:191], v[250:251], v[190:191]
	ds_read2_b64 v[200:203], v4 offset0:9 offset1:10
	s_waitcnt lgkmcnt(0)
	v_fma_f64 v[170:171], -v[190:191], v[200:201], v[170:171]
	v_fma_f64 v[188:189], -v[190:191], v[202:203], v[188:189]
	ds_read2_b64 v[200:203], v4 offset0:11 offset1:12
	s_waitcnt lgkmcnt(0)
	v_fma_f64 v[168:169], -v[190:191], v[200:201], v[168:169]
	v_fma_f64 v[186:187], -v[190:191], v[202:203], v[186:187]
	;; [unrolled: 4-line block ×20, first 2 shown]
.LBB97_46:
	s_or_b32 exec_lo, exec_lo, s1
	s_mov_b32 s1, exec_lo
	s_waitcnt lgkmcnt(0)
	s_barrier
	buffer_gl0_inv
	v_cmpx_eq_u32_e32 9, v0
	s_cbranch_execz .LBB97_49
; %bb.47:
	v_mov_b32_e32 v5, v188
	v_mov_b32_e32 v6, v189
	;; [unrolled: 1-line block ×16, first 2 shown]
	ds_write_b64 v1, v[170:171]
	ds_write2_b64 v4, v[5:6], v[7:8] offset0:10 offset1:11
	ds_write2_b64 v4, v[200:201], v[202:203] offset0:12 offset1:13
	ds_write2_b64 v4, v[204:205], v[206:207] offset0:14 offset1:15
	ds_write2_b64 v4, v[208:209], v[210:211] offset0:16 offset1:17
	v_mov_b32_e32 v5, v180
	v_mov_b32_e32 v6, v181
	v_mov_b32_e32 v7, v130
	v_mov_b32_e32 v8, v131
	v_mov_b32_e32 v200, v158
	v_mov_b32_e32 v201, v159
	v_mov_b32_e32 v202, v128
	v_mov_b32_e32 v203, v129
	v_mov_b32_e32 v204, v156
	v_mov_b32_e32 v205, v157
	v_mov_b32_e32 v206, v126
	v_mov_b32_e32 v207, v127
	v_mov_b32_e32 v208, v154
	v_mov_b32_e32 v209, v155
	v_mov_b32_e32 v210, v124
	v_mov_b32_e32 v211, v125
	v_mov_b32_e32 v212, v152
	v_mov_b32_e32 v213, v153
	v_mov_b32_e32 v214, v122
	v_mov_b32_e32 v215, v123
	ds_write2_b64 v4, v[5:6], v[7:8] offset0:18 offset1:19
	ds_write2_b64 v4, v[200:201], v[202:203] offset0:20 offset1:21
	ds_write2_b64 v4, v[204:205], v[206:207] offset0:22 offset1:23
	ds_write2_b64 v4, v[208:209], v[210:211] offset0:24 offset1:25
	ds_write2_b64 v4, v[212:213], v[214:215] offset0:26 offset1:27
	v_mov_b32_e32 v5, v150
	v_mov_b32_e32 v6, v151
	v_mov_b32_e32 v7, v120
	v_mov_b32_e32 v8, v121
	v_mov_b32_e32 v200, v148
	v_mov_b32_e32 v201, v149
	v_mov_b32_e32 v202, v118
	v_mov_b32_e32 v203, v119
	v_mov_b32_e32 v204, v146
	v_mov_b32_e32 v205, v147
	v_mov_b32_e32 v206, v116
	v_mov_b32_e32 v207, v117
	v_mov_b32_e32 v208, v144
	v_mov_b32_e32 v209, v145
	v_mov_b32_e32 v210, v114
	v_mov_b32_e32 v211, v115
	v_mov_b32_e32 v212, v142
	v_mov_b32_e32 v213, v143
	v_mov_b32_e32 v214, v112
	v_mov_b32_e32 v215, v113
	ds_write2_b64 v4, v[5:6], v[7:8] offset0:28 offset1:29
	;; [unrolled: 25-line block ×3, first 2 shown]
	ds_write2_b64 v4, v[200:201], v[202:203] offset0:40 offset1:41
	ds_write2_b64 v4, v[204:205], v[206:207] offset0:42 offset1:43
	;; [unrolled: 1-line block ×4, first 2 shown]
	ds_write_b64 v4, v[198:199] offset:384
	ds_read_b64 v[200:201], v1
	s_waitcnt lgkmcnt(0)
	v_cmp_neq_f64_e32 vcc_lo, 0, v[200:201]
	s_and_b32 exec_lo, exec_lo, vcc_lo
	s_cbranch_execz .LBB97_49
; %bb.48:
	v_div_scale_f64 v[5:6], null, v[200:201], v[200:201], 1.0
	v_rcp_f64_e32 v[7:8], v[5:6]
	v_fma_f64 v[202:203], -v[5:6], v[7:8], 1.0
	v_fma_f64 v[7:8], v[7:8], v[202:203], v[7:8]
	v_fma_f64 v[202:203], -v[5:6], v[7:8], 1.0
	v_fma_f64 v[7:8], v[7:8], v[202:203], v[7:8]
	v_div_scale_f64 v[202:203], vcc_lo, 1.0, v[200:201], 1.0
	v_mul_f64 v[204:205], v[202:203], v[7:8]
	v_fma_f64 v[5:6], -v[5:6], v[204:205], v[202:203]
	v_div_fmas_f64 v[5:6], v[5:6], v[7:8], v[204:205]
	v_div_fixup_f64 v[5:6], v[5:6], v[200:201], 1.0
	ds_write_b64 v1, v[5:6]
.LBB97_49:
	s_or_b32 exec_lo, exec_lo, s1
	s_waitcnt lgkmcnt(0)
	s_barrier
	buffer_gl0_inv
	ds_read_b64 v[12:13], v1
	s_mov_b32 s1, exec_lo
	v_cmpx_lt_u32_e32 9, v0
	s_cbranch_execz .LBB97_51
; %bb.50:
	s_waitcnt lgkmcnt(0)
	v_mul_f64 v[170:171], v[12:13], v[170:171]
	ds_read2_b64 v[200:203], v4 offset0:10 offset1:11
	ds_read_b64 v[5:6], v4 offset:384
	s_waitcnt lgkmcnt(1)
	v_fma_f64 v[188:189], -v[170:171], v[200:201], v[188:189]
	v_fma_f64 v[168:169], -v[170:171], v[202:203], v[168:169]
	ds_read2_b64 v[200:203], v4 offset0:12 offset1:13
	s_waitcnt lgkmcnt(1)
	v_fma_f64 v[198:199], -v[170:171], v[5:6], v[198:199]
	s_waitcnt lgkmcnt(0)
	v_fma_f64 v[186:187], -v[170:171], v[200:201], v[186:187]
	v_fma_f64 v[166:167], -v[170:171], v[202:203], v[166:167]
	ds_read2_b64 v[200:203], v4 offset0:14 offset1:15
	s_waitcnt lgkmcnt(0)
	v_fma_f64 v[184:185], -v[170:171], v[200:201], v[184:185]
	v_fma_f64 v[164:165], -v[170:171], v[202:203], v[164:165]
	ds_read2_b64 v[200:203], v4 offset0:16 offset1:17
	s_waitcnt lgkmcnt(0)
	v_fma_f64 v[182:183], -v[170:171], v[200:201], v[182:183]
	v_fma_f64 v[162:163], -v[170:171], v[202:203], v[162:163]
	ds_read2_b64 v[200:203], v4 offset0:18 offset1:19
	s_waitcnt lgkmcnt(0)
	v_fma_f64 v[180:181], -v[170:171], v[200:201], v[180:181]
	v_fma_f64 v[130:131], -v[170:171], v[202:203], v[130:131]
	ds_read2_b64 v[200:203], v4 offset0:20 offset1:21
	s_waitcnt lgkmcnt(0)
	v_fma_f64 v[158:159], -v[170:171], v[200:201], v[158:159]
	v_fma_f64 v[128:129], -v[170:171], v[202:203], v[128:129]
	ds_read2_b64 v[200:203], v4 offset0:22 offset1:23
	s_waitcnt lgkmcnt(0)
	v_fma_f64 v[156:157], -v[170:171], v[200:201], v[156:157]
	v_fma_f64 v[126:127], -v[170:171], v[202:203], v[126:127]
	ds_read2_b64 v[200:203], v4 offset0:24 offset1:25
	s_waitcnt lgkmcnt(0)
	v_fma_f64 v[154:155], -v[170:171], v[200:201], v[154:155]
	v_fma_f64 v[124:125], -v[170:171], v[202:203], v[124:125]
	ds_read2_b64 v[200:203], v4 offset0:26 offset1:27
	s_waitcnt lgkmcnt(0)
	v_fma_f64 v[152:153], -v[170:171], v[200:201], v[152:153]
	v_fma_f64 v[122:123], -v[170:171], v[202:203], v[122:123]
	ds_read2_b64 v[200:203], v4 offset0:28 offset1:29
	s_waitcnt lgkmcnt(0)
	v_fma_f64 v[150:151], -v[170:171], v[200:201], v[150:151]
	v_fma_f64 v[120:121], -v[170:171], v[202:203], v[120:121]
	ds_read2_b64 v[200:203], v4 offset0:30 offset1:31
	s_waitcnt lgkmcnt(0)
	v_fma_f64 v[148:149], -v[170:171], v[200:201], v[148:149]
	v_fma_f64 v[118:119], -v[170:171], v[202:203], v[118:119]
	ds_read2_b64 v[200:203], v4 offset0:32 offset1:33
	s_waitcnt lgkmcnt(0)
	v_fma_f64 v[146:147], -v[170:171], v[200:201], v[146:147]
	v_fma_f64 v[116:117], -v[170:171], v[202:203], v[116:117]
	ds_read2_b64 v[200:203], v4 offset0:34 offset1:35
	s_waitcnt lgkmcnt(0)
	v_fma_f64 v[144:145], -v[170:171], v[200:201], v[144:145]
	v_fma_f64 v[114:115], -v[170:171], v[202:203], v[114:115]
	ds_read2_b64 v[200:203], v4 offset0:36 offset1:37
	s_waitcnt lgkmcnt(0)
	v_fma_f64 v[142:143], -v[170:171], v[200:201], v[142:143]
	v_fma_f64 v[112:113], -v[170:171], v[202:203], v[112:113]
	ds_read2_b64 v[200:203], v4 offset0:38 offset1:39
	s_waitcnt lgkmcnt(0)
	v_fma_f64 v[140:141], -v[170:171], v[200:201], v[140:141]
	v_fma_f64 v[110:111], -v[170:171], v[202:203], v[110:111]
	ds_read2_b64 v[200:203], v4 offset0:40 offset1:41
	s_waitcnt lgkmcnt(0)
	v_fma_f64 v[138:139], -v[170:171], v[200:201], v[138:139]
	v_fma_f64 v[108:109], -v[170:171], v[202:203], v[108:109]
	ds_read2_b64 v[200:203], v4 offset0:42 offset1:43
	s_waitcnt lgkmcnt(0)
	v_fma_f64 v[136:137], -v[170:171], v[200:201], v[136:137]
	v_fma_f64 v[106:107], -v[170:171], v[202:203], v[106:107]
	ds_read2_b64 v[200:203], v4 offset0:44 offset1:45
	s_waitcnt lgkmcnt(0)
	v_fma_f64 v[134:135], -v[170:171], v[200:201], v[134:135]
	v_fma_f64 v[104:105], -v[170:171], v[202:203], v[104:105]
	ds_read2_b64 v[200:203], v4 offset0:46 offset1:47
	s_waitcnt lgkmcnt(0)
	v_fma_f64 v[132:133], -v[170:171], v[200:201], v[132:133]
	v_fma_f64 v[102:103], -v[170:171], v[202:203], v[102:103]
.LBB97_51:
	s_or_b32 exec_lo, exec_lo, s1
	s_mov_b32 s1, exec_lo
	s_waitcnt lgkmcnt(0)
	s_barrier
	buffer_gl0_inv
	v_cmpx_eq_u32_e32 10, v0
	s_cbranch_execz .LBB97_54
; %bb.52:
	ds_write_b64 v1, v[188:189]
	ds_write2_b64 v4, v[168:169], v[186:187] offset0:11 offset1:12
	ds_write2_b64 v4, v[166:167], v[184:185] offset0:13 offset1:14
	;; [unrolled: 1-line block ×19, first 2 shown]
	ds_read_b64 v[200:201], v1
	s_waitcnt lgkmcnt(0)
	v_cmp_neq_f64_e32 vcc_lo, 0, v[200:201]
	s_and_b32 exec_lo, exec_lo, vcc_lo
	s_cbranch_execz .LBB97_54
; %bb.53:
	v_div_scale_f64 v[5:6], null, v[200:201], v[200:201], 1.0
	v_rcp_f64_e32 v[7:8], v[5:6]
	v_fma_f64 v[202:203], -v[5:6], v[7:8], 1.0
	v_fma_f64 v[7:8], v[7:8], v[202:203], v[7:8]
	v_fma_f64 v[202:203], -v[5:6], v[7:8], 1.0
	v_fma_f64 v[7:8], v[7:8], v[202:203], v[7:8]
	v_div_scale_f64 v[202:203], vcc_lo, 1.0, v[200:201], 1.0
	v_mul_f64 v[204:205], v[202:203], v[7:8]
	v_fma_f64 v[5:6], -v[5:6], v[204:205], v[202:203]
	v_div_fmas_f64 v[5:6], v[5:6], v[7:8], v[204:205]
	v_div_fixup_f64 v[5:6], v[5:6], v[200:201], 1.0
	ds_write_b64 v1, v[5:6]
.LBB97_54:
	s_or_b32 exec_lo, exec_lo, s1
	s_waitcnt lgkmcnt(0)
	s_barrier
	buffer_gl0_inv
	ds_read_b64 v[17:18], v1
	s_mov_b32 s1, exec_lo
	v_cmpx_lt_u32_e32 10, v0
	s_cbranch_execz .LBB97_56
; %bb.55:
	s_waitcnt lgkmcnt(0)
	v_mul_f64 v[188:189], v[17:18], v[188:189]
	ds_read2_b64 v[200:203], v4 offset0:11 offset1:12
	s_waitcnt lgkmcnt(0)
	v_fma_f64 v[168:169], -v[188:189], v[200:201], v[168:169]
	v_fma_f64 v[186:187], -v[188:189], v[202:203], v[186:187]
	ds_read2_b64 v[200:203], v4 offset0:13 offset1:14
	s_waitcnt lgkmcnt(0)
	v_fma_f64 v[166:167], -v[188:189], v[200:201], v[166:167]
	v_fma_f64 v[184:185], -v[188:189], v[202:203], v[184:185]
	;; [unrolled: 4-line block ×19, first 2 shown]
.LBB97_56:
	s_or_b32 exec_lo, exec_lo, s1
	s_mov_b32 s1, exec_lo
	s_waitcnt lgkmcnt(0)
	s_barrier
	buffer_gl0_inv
	v_cmpx_eq_u32_e32 11, v0
	s_cbranch_execz .LBB97_59
; %bb.57:
	v_mov_b32_e32 v5, v186
	v_mov_b32_e32 v6, v187
	;; [unrolled: 1-line block ×12, first 2 shown]
	ds_write_b64 v1, v[168:169]
	ds_write2_b64 v4, v[5:6], v[7:8] offset0:12 offset1:13
	ds_write2_b64 v4, v[200:201], v[202:203] offset0:14 offset1:15
	ds_write2_b64 v4, v[204:205], v[206:207] offset0:16 offset1:17
	v_mov_b32_e32 v5, v180
	v_mov_b32_e32 v6, v181
	v_mov_b32_e32 v7, v130
	v_mov_b32_e32 v8, v131
	v_mov_b32_e32 v200, v158
	v_mov_b32_e32 v201, v159
	v_mov_b32_e32 v202, v128
	v_mov_b32_e32 v203, v129
	v_mov_b32_e32 v204, v156
	v_mov_b32_e32 v205, v157
	v_mov_b32_e32 v206, v126
	v_mov_b32_e32 v207, v127
	v_mov_b32_e32 v208, v154
	v_mov_b32_e32 v209, v155
	v_mov_b32_e32 v210, v124
	v_mov_b32_e32 v211, v125
	v_mov_b32_e32 v212, v152
	v_mov_b32_e32 v213, v153
	v_mov_b32_e32 v214, v122
	v_mov_b32_e32 v215, v123
	ds_write2_b64 v4, v[5:6], v[7:8] offset0:18 offset1:19
	ds_write2_b64 v4, v[200:201], v[202:203] offset0:20 offset1:21
	ds_write2_b64 v4, v[204:205], v[206:207] offset0:22 offset1:23
	ds_write2_b64 v4, v[208:209], v[210:211] offset0:24 offset1:25
	ds_write2_b64 v4, v[212:213], v[214:215] offset0:26 offset1:27
	v_mov_b32_e32 v5, v150
	v_mov_b32_e32 v6, v151
	v_mov_b32_e32 v7, v120
	v_mov_b32_e32 v8, v121
	v_mov_b32_e32 v200, v148
	v_mov_b32_e32 v201, v149
	v_mov_b32_e32 v202, v118
	v_mov_b32_e32 v203, v119
	v_mov_b32_e32 v204, v146
	v_mov_b32_e32 v205, v147
	v_mov_b32_e32 v206, v116
	v_mov_b32_e32 v207, v117
	v_mov_b32_e32 v208, v144
	v_mov_b32_e32 v209, v145
	v_mov_b32_e32 v210, v114
	v_mov_b32_e32 v211, v115
	v_mov_b32_e32 v212, v142
	v_mov_b32_e32 v213, v143
	v_mov_b32_e32 v214, v112
	v_mov_b32_e32 v215, v113
	ds_write2_b64 v4, v[5:6], v[7:8] offset0:28 offset1:29
	ds_write2_b64 v4, v[200:201], v[202:203] offset0:30 offset1:31
	;; [unrolled: 25-line block ×3, first 2 shown]
	ds_write2_b64 v4, v[204:205], v[206:207] offset0:42 offset1:43
	ds_write2_b64 v4, v[208:209], v[210:211] offset0:44 offset1:45
	;; [unrolled: 1-line block ×3, first 2 shown]
	ds_write_b64 v4, v[198:199] offset:384
	ds_read_b64 v[200:201], v1
	s_waitcnt lgkmcnt(0)
	v_cmp_neq_f64_e32 vcc_lo, 0, v[200:201]
	s_and_b32 exec_lo, exec_lo, vcc_lo
	s_cbranch_execz .LBB97_59
; %bb.58:
	v_div_scale_f64 v[5:6], null, v[200:201], v[200:201], 1.0
	v_rcp_f64_e32 v[7:8], v[5:6]
	v_fma_f64 v[202:203], -v[5:6], v[7:8], 1.0
	v_fma_f64 v[7:8], v[7:8], v[202:203], v[7:8]
	v_fma_f64 v[202:203], -v[5:6], v[7:8], 1.0
	v_fma_f64 v[7:8], v[7:8], v[202:203], v[7:8]
	v_div_scale_f64 v[202:203], vcc_lo, 1.0, v[200:201], 1.0
	v_mul_f64 v[204:205], v[202:203], v[7:8]
	v_fma_f64 v[5:6], -v[5:6], v[204:205], v[202:203]
	v_div_fmas_f64 v[5:6], v[5:6], v[7:8], v[204:205]
	v_div_fixup_f64 v[5:6], v[5:6], v[200:201], 1.0
	ds_write_b64 v1, v[5:6]
.LBB97_59:
	s_or_b32 exec_lo, exec_lo, s1
	s_waitcnt lgkmcnt(0)
	s_barrier
	buffer_gl0_inv
	ds_read_b64 v[19:20], v1
	s_mov_b32 s1, exec_lo
	v_cmpx_lt_u32_e32 11, v0
	s_cbranch_execz .LBB97_61
; %bb.60:
	s_waitcnt lgkmcnt(0)
	v_mul_f64 v[168:169], v[19:20], v[168:169]
	ds_read2_b64 v[200:203], v4 offset0:12 offset1:13
	ds_read_b64 v[5:6], v4 offset:384
	s_waitcnt lgkmcnt(1)
	v_fma_f64 v[186:187], -v[168:169], v[200:201], v[186:187]
	v_fma_f64 v[166:167], -v[168:169], v[202:203], v[166:167]
	ds_read2_b64 v[200:203], v4 offset0:14 offset1:15
	s_waitcnt lgkmcnt(1)
	v_fma_f64 v[198:199], -v[168:169], v[5:6], v[198:199]
	s_waitcnt lgkmcnt(0)
	v_fma_f64 v[184:185], -v[168:169], v[200:201], v[184:185]
	v_fma_f64 v[164:165], -v[168:169], v[202:203], v[164:165]
	ds_read2_b64 v[200:203], v4 offset0:16 offset1:17
	s_waitcnt lgkmcnt(0)
	v_fma_f64 v[182:183], -v[168:169], v[200:201], v[182:183]
	v_fma_f64 v[162:163], -v[168:169], v[202:203], v[162:163]
	ds_read2_b64 v[200:203], v4 offset0:18 offset1:19
	;; [unrolled: 4-line block ×16, first 2 shown]
	s_waitcnt lgkmcnt(0)
	v_fma_f64 v[132:133], -v[168:169], v[200:201], v[132:133]
	v_fma_f64 v[102:103], -v[168:169], v[202:203], v[102:103]
.LBB97_61:
	s_or_b32 exec_lo, exec_lo, s1
	s_mov_b32 s1, exec_lo
	s_waitcnt lgkmcnt(0)
	s_barrier
	buffer_gl0_inv
	v_cmpx_eq_u32_e32 12, v0
	s_cbranch_execz .LBB97_64
; %bb.62:
	ds_write_b64 v1, v[186:187]
	ds_write2_b64 v4, v[166:167], v[184:185] offset0:13 offset1:14
	ds_write2_b64 v4, v[164:165], v[182:183] offset0:15 offset1:16
	;; [unrolled: 1-line block ×18, first 2 shown]
	ds_read_b64 v[200:201], v1
	s_waitcnt lgkmcnt(0)
	v_cmp_neq_f64_e32 vcc_lo, 0, v[200:201]
	s_and_b32 exec_lo, exec_lo, vcc_lo
	s_cbranch_execz .LBB97_64
; %bb.63:
	v_div_scale_f64 v[5:6], null, v[200:201], v[200:201], 1.0
	v_rcp_f64_e32 v[7:8], v[5:6]
	v_fma_f64 v[202:203], -v[5:6], v[7:8], 1.0
	v_fma_f64 v[7:8], v[7:8], v[202:203], v[7:8]
	v_fma_f64 v[202:203], -v[5:6], v[7:8], 1.0
	v_fma_f64 v[7:8], v[7:8], v[202:203], v[7:8]
	v_div_scale_f64 v[202:203], vcc_lo, 1.0, v[200:201], 1.0
	v_mul_f64 v[204:205], v[202:203], v[7:8]
	v_fma_f64 v[5:6], -v[5:6], v[204:205], v[202:203]
	v_div_fmas_f64 v[5:6], v[5:6], v[7:8], v[204:205]
	v_div_fixup_f64 v[5:6], v[5:6], v[200:201], 1.0
	ds_write_b64 v1, v[5:6]
.LBB97_64:
	s_or_b32 exec_lo, exec_lo, s1
	s_waitcnt lgkmcnt(0)
	s_barrier
	buffer_gl0_inv
	ds_read_b64 v[21:22], v1
	s_mov_b32 s1, exec_lo
	v_cmpx_lt_u32_e32 12, v0
	s_cbranch_execz .LBB97_66
; %bb.65:
	s_waitcnt lgkmcnt(0)
	v_mul_f64 v[186:187], v[21:22], v[186:187]
	ds_read2_b64 v[200:203], v4 offset0:13 offset1:14
	s_waitcnt lgkmcnt(0)
	v_fma_f64 v[166:167], -v[186:187], v[200:201], v[166:167]
	v_fma_f64 v[184:185], -v[186:187], v[202:203], v[184:185]
	ds_read2_b64 v[200:203], v4 offset0:15 offset1:16
	s_waitcnt lgkmcnt(0)
	v_fma_f64 v[164:165], -v[186:187], v[200:201], v[164:165]
	v_fma_f64 v[182:183], -v[186:187], v[202:203], v[182:183]
	;; [unrolled: 4-line block ×18, first 2 shown]
.LBB97_66:
	s_or_b32 exec_lo, exec_lo, s1
	s_mov_b32 s1, exec_lo
	s_waitcnt lgkmcnt(0)
	s_barrier
	buffer_gl0_inv
	v_cmpx_eq_u32_e32 13, v0
	s_cbranch_execz .LBB97_69
; %bb.67:
	v_mov_b32_e32 v5, v184
	v_mov_b32_e32 v6, v185
	;; [unrolled: 1-line block ×8, first 2 shown]
	ds_write_b64 v1, v[166:167]
	ds_write2_b64 v4, v[5:6], v[7:8] offset0:14 offset1:15
	ds_write2_b64 v4, v[200:201], v[202:203] offset0:16 offset1:17
	v_mov_b32_e32 v5, v180
	v_mov_b32_e32 v6, v181
	v_mov_b32_e32 v7, v130
	v_mov_b32_e32 v8, v131
	v_mov_b32_e32 v200, v158
	v_mov_b32_e32 v201, v159
	v_mov_b32_e32 v202, v128
	v_mov_b32_e32 v203, v129
	v_mov_b32_e32 v204, v156
	v_mov_b32_e32 v205, v157
	v_mov_b32_e32 v206, v126
	v_mov_b32_e32 v207, v127
	v_mov_b32_e32 v208, v154
	v_mov_b32_e32 v209, v155
	v_mov_b32_e32 v210, v124
	v_mov_b32_e32 v211, v125
	v_mov_b32_e32 v212, v152
	v_mov_b32_e32 v213, v153
	v_mov_b32_e32 v214, v122
	v_mov_b32_e32 v215, v123
	ds_write2_b64 v4, v[5:6], v[7:8] offset0:18 offset1:19
	ds_write2_b64 v4, v[200:201], v[202:203] offset0:20 offset1:21
	ds_write2_b64 v4, v[204:205], v[206:207] offset0:22 offset1:23
	ds_write2_b64 v4, v[208:209], v[210:211] offset0:24 offset1:25
	ds_write2_b64 v4, v[212:213], v[214:215] offset0:26 offset1:27
	v_mov_b32_e32 v5, v150
	v_mov_b32_e32 v6, v151
	v_mov_b32_e32 v7, v120
	v_mov_b32_e32 v8, v121
	v_mov_b32_e32 v200, v148
	v_mov_b32_e32 v201, v149
	v_mov_b32_e32 v202, v118
	v_mov_b32_e32 v203, v119
	v_mov_b32_e32 v204, v146
	v_mov_b32_e32 v205, v147
	v_mov_b32_e32 v206, v116
	v_mov_b32_e32 v207, v117
	v_mov_b32_e32 v208, v144
	v_mov_b32_e32 v209, v145
	v_mov_b32_e32 v210, v114
	v_mov_b32_e32 v211, v115
	v_mov_b32_e32 v212, v142
	v_mov_b32_e32 v213, v143
	v_mov_b32_e32 v214, v112
	v_mov_b32_e32 v215, v113
	ds_write2_b64 v4, v[5:6], v[7:8] offset0:28 offset1:29
	ds_write2_b64 v4, v[200:201], v[202:203] offset0:30 offset1:31
	ds_write2_b64 v4, v[204:205], v[206:207] offset0:32 offset1:33
	;; [unrolled: 25-line block ×3, first 2 shown]
	ds_write2_b64 v4, v[208:209], v[210:211] offset0:44 offset1:45
	ds_write2_b64 v4, v[212:213], v[214:215] offset0:46 offset1:47
	ds_write_b64 v4, v[198:199] offset:384
	ds_read_b64 v[200:201], v1
	s_waitcnt lgkmcnt(0)
	v_cmp_neq_f64_e32 vcc_lo, 0, v[200:201]
	s_and_b32 exec_lo, exec_lo, vcc_lo
	s_cbranch_execz .LBB97_69
; %bb.68:
	v_div_scale_f64 v[5:6], null, v[200:201], v[200:201], 1.0
	v_rcp_f64_e32 v[7:8], v[5:6]
	v_fma_f64 v[202:203], -v[5:6], v[7:8], 1.0
	v_fma_f64 v[7:8], v[7:8], v[202:203], v[7:8]
	v_fma_f64 v[202:203], -v[5:6], v[7:8], 1.0
	v_fma_f64 v[7:8], v[7:8], v[202:203], v[7:8]
	v_div_scale_f64 v[202:203], vcc_lo, 1.0, v[200:201], 1.0
	v_mul_f64 v[204:205], v[202:203], v[7:8]
	v_fma_f64 v[5:6], -v[5:6], v[204:205], v[202:203]
	v_div_fmas_f64 v[5:6], v[5:6], v[7:8], v[204:205]
	v_div_fixup_f64 v[5:6], v[5:6], v[200:201], 1.0
	ds_write_b64 v1, v[5:6]
.LBB97_69:
	s_or_b32 exec_lo, exec_lo, s1
	s_waitcnt lgkmcnt(0)
	s_barrier
	buffer_gl0_inv
	ds_read_b64 v[23:24], v1
	s_mov_b32 s1, exec_lo
	v_cmpx_lt_u32_e32 13, v0
	s_cbranch_execz .LBB97_71
; %bb.70:
	s_waitcnt lgkmcnt(0)
	v_mul_f64 v[166:167], v[23:24], v[166:167]
	ds_read2_b64 v[200:203], v4 offset0:14 offset1:15
	ds_read_b64 v[5:6], v4 offset:384
	s_waitcnt lgkmcnt(1)
	v_fma_f64 v[184:185], -v[166:167], v[200:201], v[184:185]
	v_fma_f64 v[164:165], -v[166:167], v[202:203], v[164:165]
	ds_read2_b64 v[200:203], v4 offset0:16 offset1:17
	s_waitcnt lgkmcnt(1)
	v_fma_f64 v[198:199], -v[166:167], v[5:6], v[198:199]
	s_waitcnt lgkmcnt(0)
	v_fma_f64 v[182:183], -v[166:167], v[200:201], v[182:183]
	v_fma_f64 v[162:163], -v[166:167], v[202:203], v[162:163]
	ds_read2_b64 v[200:203], v4 offset0:18 offset1:19
	s_waitcnt lgkmcnt(0)
	v_fma_f64 v[180:181], -v[166:167], v[200:201], v[180:181]
	v_fma_f64 v[130:131], -v[166:167], v[202:203], v[130:131]
	ds_read2_b64 v[200:203], v4 offset0:20 offset1:21
	;; [unrolled: 4-line block ×15, first 2 shown]
	s_waitcnt lgkmcnt(0)
	v_fma_f64 v[132:133], -v[166:167], v[200:201], v[132:133]
	v_fma_f64 v[102:103], -v[166:167], v[202:203], v[102:103]
.LBB97_71:
	s_or_b32 exec_lo, exec_lo, s1
	s_mov_b32 s1, exec_lo
	s_waitcnt lgkmcnt(0)
	s_barrier
	buffer_gl0_inv
	v_cmpx_eq_u32_e32 14, v0
	s_cbranch_execz .LBB97_74
; %bb.72:
	ds_write_b64 v1, v[184:185]
	ds_write2_b64 v4, v[164:165], v[182:183] offset0:15 offset1:16
	ds_write2_b64 v4, v[162:163], v[180:181] offset0:17 offset1:18
	;; [unrolled: 1-line block ×17, first 2 shown]
	ds_read_b64 v[200:201], v1
	s_waitcnt lgkmcnt(0)
	v_cmp_neq_f64_e32 vcc_lo, 0, v[200:201]
	s_and_b32 exec_lo, exec_lo, vcc_lo
	s_cbranch_execz .LBB97_74
; %bb.73:
	v_div_scale_f64 v[5:6], null, v[200:201], v[200:201], 1.0
	v_rcp_f64_e32 v[7:8], v[5:6]
	v_fma_f64 v[202:203], -v[5:6], v[7:8], 1.0
	v_fma_f64 v[7:8], v[7:8], v[202:203], v[7:8]
	v_fma_f64 v[202:203], -v[5:6], v[7:8], 1.0
	v_fma_f64 v[7:8], v[7:8], v[202:203], v[7:8]
	v_div_scale_f64 v[202:203], vcc_lo, 1.0, v[200:201], 1.0
	v_mul_f64 v[204:205], v[202:203], v[7:8]
	v_fma_f64 v[5:6], -v[5:6], v[204:205], v[202:203]
	v_div_fmas_f64 v[5:6], v[5:6], v[7:8], v[204:205]
	v_div_fixup_f64 v[5:6], v[5:6], v[200:201], 1.0
	ds_write_b64 v1, v[5:6]
.LBB97_74:
	s_or_b32 exec_lo, exec_lo, s1
	s_waitcnt lgkmcnt(0)
	s_barrier
	buffer_gl0_inv
	ds_read_b64 v[25:26], v1
	s_mov_b32 s1, exec_lo
	v_cmpx_lt_u32_e32 14, v0
	s_cbranch_execz .LBB97_76
; %bb.75:
	s_waitcnt lgkmcnt(0)
	v_mul_f64 v[184:185], v[25:26], v[184:185]
	ds_read2_b64 v[200:203], v4 offset0:15 offset1:16
	s_waitcnt lgkmcnt(0)
	v_fma_f64 v[164:165], -v[184:185], v[200:201], v[164:165]
	v_fma_f64 v[182:183], -v[184:185], v[202:203], v[182:183]
	ds_read2_b64 v[200:203], v4 offset0:17 offset1:18
	s_waitcnt lgkmcnt(0)
	v_fma_f64 v[162:163], -v[184:185], v[200:201], v[162:163]
	v_fma_f64 v[180:181], -v[184:185], v[202:203], v[180:181]
	;; [unrolled: 4-line block ×17, first 2 shown]
.LBB97_76:
	s_or_b32 exec_lo, exec_lo, s1
	s_mov_b32 s1, exec_lo
	s_waitcnt lgkmcnt(0)
	s_barrier
	buffer_gl0_inv
	v_cmpx_eq_u32_e32 15, v0
	s_cbranch_execz .LBB97_79
; %bb.77:
	v_mov_b32_e32 v5, v182
	v_mov_b32_e32 v6, v183
	;; [unrolled: 1-line block ×4, first 2 shown]
	ds_write_b64 v1, v[164:165]
	ds_write2_b64 v4, v[5:6], v[7:8] offset0:16 offset1:17
	v_mov_b32_e32 v5, v180
	v_mov_b32_e32 v6, v181
	v_mov_b32_e32 v7, v130
	v_mov_b32_e32 v8, v131
	v_mov_b32_e32 v200, v158
	v_mov_b32_e32 v201, v159
	v_mov_b32_e32 v202, v128
	v_mov_b32_e32 v203, v129
	v_mov_b32_e32 v204, v156
	v_mov_b32_e32 v205, v157
	v_mov_b32_e32 v206, v126
	v_mov_b32_e32 v207, v127
	v_mov_b32_e32 v208, v154
	v_mov_b32_e32 v209, v155
	v_mov_b32_e32 v210, v124
	v_mov_b32_e32 v211, v125
	v_mov_b32_e32 v212, v152
	v_mov_b32_e32 v213, v153
	v_mov_b32_e32 v214, v122
	v_mov_b32_e32 v215, v123
	ds_write2_b64 v4, v[5:6], v[7:8] offset0:18 offset1:19
	ds_write2_b64 v4, v[200:201], v[202:203] offset0:20 offset1:21
	ds_write2_b64 v4, v[204:205], v[206:207] offset0:22 offset1:23
	ds_write2_b64 v4, v[208:209], v[210:211] offset0:24 offset1:25
	ds_write2_b64 v4, v[212:213], v[214:215] offset0:26 offset1:27
	v_mov_b32_e32 v5, v150
	v_mov_b32_e32 v6, v151
	v_mov_b32_e32 v7, v120
	v_mov_b32_e32 v8, v121
	v_mov_b32_e32 v200, v148
	v_mov_b32_e32 v201, v149
	v_mov_b32_e32 v202, v118
	v_mov_b32_e32 v203, v119
	v_mov_b32_e32 v204, v146
	v_mov_b32_e32 v205, v147
	v_mov_b32_e32 v206, v116
	v_mov_b32_e32 v207, v117
	v_mov_b32_e32 v208, v144
	v_mov_b32_e32 v209, v145
	v_mov_b32_e32 v210, v114
	v_mov_b32_e32 v211, v115
	v_mov_b32_e32 v212, v142
	v_mov_b32_e32 v213, v143
	v_mov_b32_e32 v214, v112
	v_mov_b32_e32 v215, v113
	ds_write2_b64 v4, v[5:6], v[7:8] offset0:28 offset1:29
	ds_write2_b64 v4, v[200:201], v[202:203] offset0:30 offset1:31
	ds_write2_b64 v4, v[204:205], v[206:207] offset0:32 offset1:33
	ds_write2_b64 v4, v[208:209], v[210:211] offset0:34 offset1:35
	;; [unrolled: 25-line block ×3, first 2 shown]
	ds_write2_b64 v4, v[212:213], v[214:215] offset0:46 offset1:47
	ds_write_b64 v4, v[198:199] offset:384
	ds_read_b64 v[200:201], v1
	s_waitcnt lgkmcnt(0)
	v_cmp_neq_f64_e32 vcc_lo, 0, v[200:201]
	s_and_b32 exec_lo, exec_lo, vcc_lo
	s_cbranch_execz .LBB97_79
; %bb.78:
	v_div_scale_f64 v[5:6], null, v[200:201], v[200:201], 1.0
	v_rcp_f64_e32 v[7:8], v[5:6]
	v_fma_f64 v[202:203], -v[5:6], v[7:8], 1.0
	v_fma_f64 v[7:8], v[7:8], v[202:203], v[7:8]
	v_fma_f64 v[202:203], -v[5:6], v[7:8], 1.0
	v_fma_f64 v[7:8], v[7:8], v[202:203], v[7:8]
	v_div_scale_f64 v[202:203], vcc_lo, 1.0, v[200:201], 1.0
	v_mul_f64 v[204:205], v[202:203], v[7:8]
	v_fma_f64 v[5:6], -v[5:6], v[204:205], v[202:203]
	v_div_fmas_f64 v[5:6], v[5:6], v[7:8], v[204:205]
	v_div_fixup_f64 v[5:6], v[5:6], v[200:201], 1.0
	ds_write_b64 v1, v[5:6]
.LBB97_79:
	s_or_b32 exec_lo, exec_lo, s1
	s_waitcnt lgkmcnt(0)
	s_barrier
	buffer_gl0_inv
	ds_read_b64 v[27:28], v1
	s_mov_b32 s1, exec_lo
	v_cmpx_lt_u32_e32 15, v0
	s_cbranch_execz .LBB97_81
; %bb.80:
	s_waitcnt lgkmcnt(0)
	v_mul_f64 v[164:165], v[27:28], v[164:165]
	ds_read2_b64 v[200:203], v4 offset0:16 offset1:17
	ds_read_b64 v[5:6], v4 offset:384
	s_waitcnt lgkmcnt(1)
	v_fma_f64 v[182:183], -v[164:165], v[200:201], v[182:183]
	v_fma_f64 v[162:163], -v[164:165], v[202:203], v[162:163]
	ds_read2_b64 v[200:203], v4 offset0:18 offset1:19
	s_waitcnt lgkmcnt(1)
	v_fma_f64 v[198:199], -v[164:165], v[5:6], v[198:199]
	s_waitcnt lgkmcnt(0)
	v_fma_f64 v[180:181], -v[164:165], v[200:201], v[180:181]
	v_fma_f64 v[130:131], -v[164:165], v[202:203], v[130:131]
	ds_read2_b64 v[200:203], v4 offset0:20 offset1:21
	s_waitcnt lgkmcnt(0)
	v_fma_f64 v[158:159], -v[164:165], v[200:201], v[158:159]
	v_fma_f64 v[128:129], -v[164:165], v[202:203], v[128:129]
	ds_read2_b64 v[200:203], v4 offset0:22 offset1:23
	s_waitcnt lgkmcnt(0)
	v_fma_f64 v[156:157], -v[164:165], v[200:201], v[156:157]
	v_fma_f64 v[126:127], -v[164:165], v[202:203], v[126:127]
	ds_read2_b64 v[200:203], v4 offset0:24 offset1:25
	s_waitcnt lgkmcnt(0)
	v_fma_f64 v[154:155], -v[164:165], v[200:201], v[154:155]
	v_fma_f64 v[124:125], -v[164:165], v[202:203], v[124:125]
	ds_read2_b64 v[200:203], v4 offset0:26 offset1:27
	s_waitcnt lgkmcnt(0)
	v_fma_f64 v[152:153], -v[164:165], v[200:201], v[152:153]
	v_fma_f64 v[122:123], -v[164:165], v[202:203], v[122:123]
	ds_read2_b64 v[200:203], v4 offset0:28 offset1:29
	s_waitcnt lgkmcnt(0)
	v_fma_f64 v[150:151], -v[164:165], v[200:201], v[150:151]
	v_fma_f64 v[120:121], -v[164:165], v[202:203], v[120:121]
	ds_read2_b64 v[200:203], v4 offset0:30 offset1:31
	s_waitcnt lgkmcnt(0)
	v_fma_f64 v[148:149], -v[164:165], v[200:201], v[148:149]
	v_fma_f64 v[118:119], -v[164:165], v[202:203], v[118:119]
	ds_read2_b64 v[200:203], v4 offset0:32 offset1:33
	s_waitcnt lgkmcnt(0)
	v_fma_f64 v[146:147], -v[164:165], v[200:201], v[146:147]
	v_fma_f64 v[116:117], -v[164:165], v[202:203], v[116:117]
	ds_read2_b64 v[200:203], v4 offset0:34 offset1:35
	s_waitcnt lgkmcnt(0)
	v_fma_f64 v[144:145], -v[164:165], v[200:201], v[144:145]
	v_fma_f64 v[114:115], -v[164:165], v[202:203], v[114:115]
	ds_read2_b64 v[200:203], v4 offset0:36 offset1:37
	s_waitcnt lgkmcnt(0)
	v_fma_f64 v[142:143], -v[164:165], v[200:201], v[142:143]
	v_fma_f64 v[112:113], -v[164:165], v[202:203], v[112:113]
	ds_read2_b64 v[200:203], v4 offset0:38 offset1:39
	s_waitcnt lgkmcnt(0)
	v_fma_f64 v[140:141], -v[164:165], v[200:201], v[140:141]
	v_fma_f64 v[110:111], -v[164:165], v[202:203], v[110:111]
	ds_read2_b64 v[200:203], v4 offset0:40 offset1:41
	s_waitcnt lgkmcnt(0)
	v_fma_f64 v[138:139], -v[164:165], v[200:201], v[138:139]
	v_fma_f64 v[108:109], -v[164:165], v[202:203], v[108:109]
	ds_read2_b64 v[200:203], v4 offset0:42 offset1:43
	s_waitcnt lgkmcnt(0)
	v_fma_f64 v[136:137], -v[164:165], v[200:201], v[136:137]
	v_fma_f64 v[106:107], -v[164:165], v[202:203], v[106:107]
	ds_read2_b64 v[200:203], v4 offset0:44 offset1:45
	s_waitcnt lgkmcnt(0)
	v_fma_f64 v[134:135], -v[164:165], v[200:201], v[134:135]
	v_fma_f64 v[104:105], -v[164:165], v[202:203], v[104:105]
	ds_read2_b64 v[200:203], v4 offset0:46 offset1:47
	s_waitcnt lgkmcnt(0)
	v_fma_f64 v[132:133], -v[164:165], v[200:201], v[132:133]
	v_fma_f64 v[102:103], -v[164:165], v[202:203], v[102:103]
.LBB97_81:
	s_or_b32 exec_lo, exec_lo, s1
	s_mov_b32 s1, exec_lo
	s_waitcnt lgkmcnt(0)
	s_barrier
	buffer_gl0_inv
	v_cmpx_eq_u32_e32 16, v0
	s_cbranch_execz .LBB97_84
; %bb.82:
	ds_write_b64 v1, v[182:183]
	ds_write2_b64 v4, v[162:163], v[180:181] offset0:17 offset1:18
	ds_write2_b64 v4, v[130:131], v[158:159] offset0:19 offset1:20
	;; [unrolled: 1-line block ×16, first 2 shown]
	ds_read_b64 v[200:201], v1
	s_waitcnt lgkmcnt(0)
	v_cmp_neq_f64_e32 vcc_lo, 0, v[200:201]
	s_and_b32 exec_lo, exec_lo, vcc_lo
	s_cbranch_execz .LBB97_84
; %bb.83:
	v_div_scale_f64 v[5:6], null, v[200:201], v[200:201], 1.0
	v_rcp_f64_e32 v[7:8], v[5:6]
	v_fma_f64 v[202:203], -v[5:6], v[7:8], 1.0
	v_fma_f64 v[7:8], v[7:8], v[202:203], v[7:8]
	v_fma_f64 v[202:203], -v[5:6], v[7:8], 1.0
	v_fma_f64 v[7:8], v[7:8], v[202:203], v[7:8]
	v_div_scale_f64 v[202:203], vcc_lo, 1.0, v[200:201], 1.0
	v_mul_f64 v[204:205], v[202:203], v[7:8]
	v_fma_f64 v[5:6], -v[5:6], v[204:205], v[202:203]
	v_div_fmas_f64 v[5:6], v[5:6], v[7:8], v[204:205]
	v_div_fixup_f64 v[5:6], v[5:6], v[200:201], 1.0
	ds_write_b64 v1, v[5:6]
.LBB97_84:
	s_or_b32 exec_lo, exec_lo, s1
	s_waitcnt lgkmcnt(0)
	s_barrier
	buffer_gl0_inv
	ds_read_b64 v[29:30], v1
	s_mov_b32 s1, exec_lo
	v_cmpx_lt_u32_e32 16, v0
	s_cbranch_execz .LBB97_86
; %bb.85:
	s_waitcnt lgkmcnt(0)
	v_mul_f64 v[182:183], v[29:30], v[182:183]
	ds_read2_b64 v[200:203], v4 offset0:17 offset1:18
	s_waitcnt lgkmcnt(0)
	v_fma_f64 v[162:163], -v[182:183], v[200:201], v[162:163]
	v_fma_f64 v[180:181], -v[182:183], v[202:203], v[180:181]
	ds_read2_b64 v[200:203], v4 offset0:19 offset1:20
	s_waitcnt lgkmcnt(0)
	v_fma_f64 v[130:131], -v[182:183], v[200:201], v[130:131]
	v_fma_f64 v[158:159], -v[182:183], v[202:203], v[158:159]
	;; [unrolled: 4-line block ×16, first 2 shown]
.LBB97_86:
	s_or_b32 exec_lo, exec_lo, s1
	s_mov_b32 s1, exec_lo
	s_waitcnt lgkmcnt(0)
	s_barrier
	buffer_gl0_inv
	v_cmpx_eq_u32_e32 17, v0
	s_cbranch_execz .LBB97_89
; %bb.87:
	v_mov_b32_e32 v5, v180
	v_mov_b32_e32 v6, v181
	;; [unrolled: 1-line block ×20, first 2 shown]
	ds_write_b64 v1, v[162:163]
	ds_write2_b64 v4, v[5:6], v[7:8] offset0:18 offset1:19
	ds_write2_b64 v4, v[200:201], v[202:203] offset0:20 offset1:21
	;; [unrolled: 1-line block ×5, first 2 shown]
	v_mov_b32_e32 v5, v150
	v_mov_b32_e32 v6, v151
	;; [unrolled: 1-line block ×20, first 2 shown]
	ds_write2_b64 v4, v[5:6], v[7:8] offset0:28 offset1:29
	ds_write2_b64 v4, v[200:201], v[202:203] offset0:30 offset1:31
	;; [unrolled: 1-line block ×5, first 2 shown]
	v_mov_b32_e32 v5, v140
	v_mov_b32_e32 v6, v141
	;; [unrolled: 1-line block ×20, first 2 shown]
	ds_write2_b64 v4, v[5:6], v[7:8] offset0:38 offset1:39
	ds_write2_b64 v4, v[200:201], v[202:203] offset0:40 offset1:41
	;; [unrolled: 1-line block ×5, first 2 shown]
	ds_write_b64 v4, v[198:199] offset:384
	ds_read_b64 v[200:201], v1
	s_waitcnt lgkmcnt(0)
	v_cmp_neq_f64_e32 vcc_lo, 0, v[200:201]
	s_and_b32 exec_lo, exec_lo, vcc_lo
	s_cbranch_execz .LBB97_89
; %bb.88:
	v_div_scale_f64 v[5:6], null, v[200:201], v[200:201], 1.0
	v_rcp_f64_e32 v[7:8], v[5:6]
	v_fma_f64 v[202:203], -v[5:6], v[7:8], 1.0
	v_fma_f64 v[7:8], v[7:8], v[202:203], v[7:8]
	v_fma_f64 v[202:203], -v[5:6], v[7:8], 1.0
	v_fma_f64 v[7:8], v[7:8], v[202:203], v[7:8]
	v_div_scale_f64 v[202:203], vcc_lo, 1.0, v[200:201], 1.0
	v_mul_f64 v[204:205], v[202:203], v[7:8]
	v_fma_f64 v[5:6], -v[5:6], v[204:205], v[202:203]
	v_div_fmas_f64 v[5:6], v[5:6], v[7:8], v[204:205]
	v_div_fixup_f64 v[5:6], v[5:6], v[200:201], 1.0
	ds_write_b64 v1, v[5:6]
.LBB97_89:
	s_or_b32 exec_lo, exec_lo, s1
	s_waitcnt lgkmcnt(0)
	s_barrier
	buffer_gl0_inv
	ds_read_b64 v[31:32], v1
	s_mov_b32 s1, exec_lo
	v_cmpx_lt_u32_e32 17, v0
	s_cbranch_execz .LBB97_91
; %bb.90:
	s_waitcnt lgkmcnt(0)
	v_mul_f64 v[162:163], v[31:32], v[162:163]
	ds_read2_b64 v[200:203], v4 offset0:18 offset1:19
	ds_read_b64 v[5:6], v4 offset:384
	s_waitcnt lgkmcnt(1)
	v_fma_f64 v[180:181], -v[162:163], v[200:201], v[180:181]
	v_fma_f64 v[130:131], -v[162:163], v[202:203], v[130:131]
	ds_read2_b64 v[200:203], v4 offset0:20 offset1:21
	s_waitcnt lgkmcnt(1)
	v_fma_f64 v[198:199], -v[162:163], v[5:6], v[198:199]
	s_waitcnt lgkmcnt(0)
	v_fma_f64 v[158:159], -v[162:163], v[200:201], v[158:159]
	v_fma_f64 v[128:129], -v[162:163], v[202:203], v[128:129]
	ds_read2_b64 v[200:203], v4 offset0:22 offset1:23
	s_waitcnt lgkmcnt(0)
	v_fma_f64 v[156:157], -v[162:163], v[200:201], v[156:157]
	v_fma_f64 v[126:127], -v[162:163], v[202:203], v[126:127]
	ds_read2_b64 v[200:203], v4 offset0:24 offset1:25
	;; [unrolled: 4-line block ×13, first 2 shown]
	s_waitcnt lgkmcnt(0)
	v_fma_f64 v[132:133], -v[162:163], v[200:201], v[132:133]
	v_fma_f64 v[102:103], -v[162:163], v[202:203], v[102:103]
.LBB97_91:
	s_or_b32 exec_lo, exec_lo, s1
	s_mov_b32 s1, exec_lo
	s_waitcnt lgkmcnt(0)
	s_barrier
	buffer_gl0_inv
	v_cmpx_eq_u32_e32 18, v0
	s_cbranch_execz .LBB97_94
; %bb.92:
	ds_write_b64 v1, v[180:181]
	ds_write2_b64 v4, v[130:131], v[158:159] offset0:19 offset1:20
	ds_write2_b64 v4, v[128:129], v[156:157] offset0:21 offset1:22
	ds_write2_b64 v4, v[126:127], v[154:155] offset0:23 offset1:24
	ds_write2_b64 v4, v[124:125], v[152:153] offset0:25 offset1:26
	ds_write2_b64 v4, v[122:123], v[150:151] offset0:27 offset1:28
	ds_write2_b64 v4, v[120:121], v[148:149] offset0:29 offset1:30
	ds_write2_b64 v4, v[118:119], v[146:147] offset0:31 offset1:32
	ds_write2_b64 v4, v[116:117], v[144:145] offset0:33 offset1:34
	ds_write2_b64 v4, v[114:115], v[142:143] offset0:35 offset1:36
	ds_write2_b64 v4, v[112:113], v[140:141] offset0:37 offset1:38
	ds_write2_b64 v4, v[110:111], v[138:139] offset0:39 offset1:40
	ds_write2_b64 v4, v[108:109], v[136:137] offset0:41 offset1:42
	ds_write2_b64 v4, v[106:107], v[134:135] offset0:43 offset1:44
	ds_write2_b64 v4, v[104:105], v[132:133] offset0:45 offset1:46
	ds_write2_b64 v4, v[102:103], v[198:199] offset0:47 offset1:48
	ds_read_b64 v[200:201], v1
	s_waitcnt lgkmcnt(0)
	v_cmp_neq_f64_e32 vcc_lo, 0, v[200:201]
	s_and_b32 exec_lo, exec_lo, vcc_lo
	s_cbranch_execz .LBB97_94
; %bb.93:
	v_div_scale_f64 v[5:6], null, v[200:201], v[200:201], 1.0
	v_rcp_f64_e32 v[7:8], v[5:6]
	v_fma_f64 v[202:203], -v[5:6], v[7:8], 1.0
	v_fma_f64 v[7:8], v[7:8], v[202:203], v[7:8]
	v_fma_f64 v[202:203], -v[5:6], v[7:8], 1.0
	v_fma_f64 v[7:8], v[7:8], v[202:203], v[7:8]
	v_div_scale_f64 v[202:203], vcc_lo, 1.0, v[200:201], 1.0
	v_mul_f64 v[204:205], v[202:203], v[7:8]
	v_fma_f64 v[5:6], -v[5:6], v[204:205], v[202:203]
	v_div_fmas_f64 v[5:6], v[5:6], v[7:8], v[204:205]
	v_div_fixup_f64 v[5:6], v[5:6], v[200:201], 1.0
	ds_write_b64 v1, v[5:6]
.LBB97_94:
	s_or_b32 exec_lo, exec_lo, s1
	s_waitcnt lgkmcnt(0)
	s_barrier
	buffer_gl0_inv
	ds_read_b64 v[33:34], v1
	s_mov_b32 s1, exec_lo
	v_cmpx_lt_u32_e32 18, v0
	s_cbranch_execz .LBB97_96
; %bb.95:
	s_waitcnt lgkmcnt(0)
	v_mul_f64 v[180:181], v[33:34], v[180:181]
	ds_read2_b64 v[200:203], v4 offset0:19 offset1:20
	s_waitcnt lgkmcnt(0)
	v_fma_f64 v[130:131], -v[180:181], v[200:201], v[130:131]
	v_fma_f64 v[158:159], -v[180:181], v[202:203], v[158:159]
	ds_read2_b64 v[200:203], v4 offset0:21 offset1:22
	s_waitcnt lgkmcnt(0)
	v_fma_f64 v[128:129], -v[180:181], v[200:201], v[128:129]
	v_fma_f64 v[156:157], -v[180:181], v[202:203], v[156:157]
	;; [unrolled: 4-line block ×15, first 2 shown]
.LBB97_96:
	s_or_b32 exec_lo, exec_lo, s1
	s_mov_b32 s1, exec_lo
	s_waitcnt lgkmcnt(0)
	s_barrier
	buffer_gl0_inv
	v_cmpx_eq_u32_e32 19, v0
	s_cbranch_execz .LBB97_99
; %bb.97:
	v_mov_b32_e32 v5, v158
	v_mov_b32_e32 v6, v159
	;; [unrolled: 1-line block ×4, first 2 shown]
	ds_write_b64 v1, v[130:131]
	ds_write2_b64 v4, v[5:6], v[7:8] offset0:20 offset1:21
	v_mov_b32_e32 v5, v156
	v_mov_b32_e32 v6, v157
	v_mov_b32_e32 v7, v126
	v_mov_b32_e32 v8, v127
	ds_write2_b64 v4, v[5:6], v[7:8] offset0:22 offset1:23
	v_mov_b32_e32 v5, v154
	v_mov_b32_e32 v6, v155
	v_mov_b32_e32 v7, v124
	v_mov_b32_e32 v8, v125
	;; [unrolled: 5-line block ×13, first 2 shown]
	ds_write2_b64 v4, v[5:6], v[7:8] offset0:46 offset1:47
	ds_write_b64 v4, v[198:199] offset:384
	ds_read_b64 v[200:201], v1
	s_waitcnt lgkmcnt(0)
	v_cmp_neq_f64_e32 vcc_lo, 0, v[200:201]
	s_and_b32 exec_lo, exec_lo, vcc_lo
	s_cbranch_execz .LBB97_99
; %bb.98:
	v_div_scale_f64 v[5:6], null, v[200:201], v[200:201], 1.0
	v_rcp_f64_e32 v[7:8], v[5:6]
	v_fma_f64 v[202:203], -v[5:6], v[7:8], 1.0
	v_fma_f64 v[7:8], v[7:8], v[202:203], v[7:8]
	v_fma_f64 v[202:203], -v[5:6], v[7:8], 1.0
	v_fma_f64 v[7:8], v[7:8], v[202:203], v[7:8]
	v_div_scale_f64 v[202:203], vcc_lo, 1.0, v[200:201], 1.0
	v_mul_f64 v[204:205], v[202:203], v[7:8]
	v_fma_f64 v[5:6], -v[5:6], v[204:205], v[202:203]
	v_div_fmas_f64 v[5:6], v[5:6], v[7:8], v[204:205]
	v_div_fixup_f64 v[5:6], v[5:6], v[200:201], 1.0
	ds_write_b64 v1, v[5:6]
.LBB97_99:
	s_or_b32 exec_lo, exec_lo, s1
	s_waitcnt lgkmcnt(0)
	s_barrier
	buffer_gl0_inv
	ds_read_b64 v[35:36], v1
	s_mov_b32 s1, exec_lo
	v_cmpx_lt_u32_e32 19, v0
	s_cbranch_execz .LBB97_101
; %bb.100:
	s_waitcnt lgkmcnt(0)
	v_mul_f64 v[130:131], v[35:36], v[130:131]
	ds_read2_b64 v[200:203], v4 offset0:20 offset1:21
	ds_read_b64 v[5:6], v4 offset:384
	s_waitcnt lgkmcnt(1)
	v_fma_f64 v[158:159], -v[130:131], v[200:201], v[158:159]
	v_fma_f64 v[128:129], -v[130:131], v[202:203], v[128:129]
	ds_read2_b64 v[200:203], v4 offset0:22 offset1:23
	s_waitcnt lgkmcnt(1)
	v_fma_f64 v[198:199], -v[130:131], v[5:6], v[198:199]
	s_waitcnt lgkmcnt(0)
	v_fma_f64 v[156:157], -v[130:131], v[200:201], v[156:157]
	v_fma_f64 v[126:127], -v[130:131], v[202:203], v[126:127]
	ds_read2_b64 v[200:203], v4 offset0:24 offset1:25
	s_waitcnt lgkmcnt(0)
	v_fma_f64 v[154:155], -v[130:131], v[200:201], v[154:155]
	v_fma_f64 v[124:125], -v[130:131], v[202:203], v[124:125]
	ds_read2_b64 v[200:203], v4 offset0:26 offset1:27
	;; [unrolled: 4-line block ×12, first 2 shown]
	s_waitcnt lgkmcnt(0)
	v_fma_f64 v[132:133], -v[130:131], v[200:201], v[132:133]
	v_fma_f64 v[102:103], -v[130:131], v[202:203], v[102:103]
.LBB97_101:
	s_or_b32 exec_lo, exec_lo, s1
	s_mov_b32 s1, exec_lo
	s_waitcnt lgkmcnt(0)
	s_barrier
	buffer_gl0_inv
	v_cmpx_eq_u32_e32 20, v0
	s_cbranch_execz .LBB97_104
; %bb.102:
	ds_write_b64 v1, v[158:159]
	ds_write2_b64 v4, v[128:129], v[156:157] offset0:21 offset1:22
	ds_write2_b64 v4, v[126:127], v[154:155] offset0:23 offset1:24
	;; [unrolled: 1-line block ×14, first 2 shown]
	ds_read_b64 v[200:201], v1
	s_waitcnt lgkmcnt(0)
	v_cmp_neq_f64_e32 vcc_lo, 0, v[200:201]
	s_and_b32 exec_lo, exec_lo, vcc_lo
	s_cbranch_execz .LBB97_104
; %bb.103:
	v_div_scale_f64 v[5:6], null, v[200:201], v[200:201], 1.0
	v_rcp_f64_e32 v[7:8], v[5:6]
	v_fma_f64 v[202:203], -v[5:6], v[7:8], 1.0
	v_fma_f64 v[7:8], v[7:8], v[202:203], v[7:8]
	v_fma_f64 v[202:203], -v[5:6], v[7:8], 1.0
	v_fma_f64 v[7:8], v[7:8], v[202:203], v[7:8]
	v_div_scale_f64 v[202:203], vcc_lo, 1.0, v[200:201], 1.0
	v_mul_f64 v[204:205], v[202:203], v[7:8]
	v_fma_f64 v[5:6], -v[5:6], v[204:205], v[202:203]
	v_div_fmas_f64 v[5:6], v[5:6], v[7:8], v[204:205]
	v_div_fixup_f64 v[5:6], v[5:6], v[200:201], 1.0
	ds_write_b64 v1, v[5:6]
.LBB97_104:
	s_or_b32 exec_lo, exec_lo, s1
	s_waitcnt lgkmcnt(0)
	s_barrier
	buffer_gl0_inv
	ds_read_b64 v[39:40], v1
	s_mov_b32 s1, exec_lo
	v_cmpx_lt_u32_e32 20, v0
	s_cbranch_execz .LBB97_106
; %bb.105:
	s_waitcnt lgkmcnt(0)
	v_mul_f64 v[158:159], v[39:40], v[158:159]
	ds_read2_b64 v[200:203], v4 offset0:21 offset1:22
	s_waitcnt lgkmcnt(0)
	v_fma_f64 v[128:129], -v[158:159], v[200:201], v[128:129]
	v_fma_f64 v[156:157], -v[158:159], v[202:203], v[156:157]
	ds_read2_b64 v[200:203], v4 offset0:23 offset1:24
	s_waitcnt lgkmcnt(0)
	v_fma_f64 v[126:127], -v[158:159], v[200:201], v[126:127]
	v_fma_f64 v[154:155], -v[158:159], v[202:203], v[154:155]
	;; [unrolled: 4-line block ×14, first 2 shown]
.LBB97_106:
	s_or_b32 exec_lo, exec_lo, s1
	s_mov_b32 s1, exec_lo
	s_waitcnt lgkmcnt(0)
	s_barrier
	buffer_gl0_inv
	v_cmpx_eq_u32_e32 21, v0
	s_cbranch_execz .LBB97_109
; %bb.107:
	v_mov_b32_e32 v5, v156
	v_mov_b32_e32 v6, v157
	;; [unrolled: 1-line block ×4, first 2 shown]
	ds_write_b64 v1, v[128:129]
	ds_write2_b64 v4, v[5:6], v[7:8] offset0:22 offset1:23
	v_mov_b32_e32 v5, v154
	v_mov_b32_e32 v6, v155
	v_mov_b32_e32 v7, v124
	v_mov_b32_e32 v8, v125
	ds_write2_b64 v4, v[5:6], v[7:8] offset0:24 offset1:25
	v_mov_b32_e32 v5, v152
	v_mov_b32_e32 v6, v153
	v_mov_b32_e32 v7, v122
	v_mov_b32_e32 v8, v123
	ds_write2_b64 v4, v[5:6], v[7:8] offset0:26 offset1:27
	v_mov_b32_e32 v5, v150
	v_mov_b32_e32 v6, v151
	v_mov_b32_e32 v7, v120
	v_mov_b32_e32 v8, v121
	ds_write2_b64 v4, v[5:6], v[7:8] offset0:28 offset1:29
	v_mov_b32_e32 v5, v148
	v_mov_b32_e32 v6, v149
	v_mov_b32_e32 v7, v118
	v_mov_b32_e32 v8, v119
	ds_write2_b64 v4, v[5:6], v[7:8] offset0:30 offset1:31
	v_mov_b32_e32 v5, v146
	v_mov_b32_e32 v6, v147
	v_mov_b32_e32 v7, v116
	v_mov_b32_e32 v8, v117
	ds_write2_b64 v4, v[5:6], v[7:8] offset0:32 offset1:33
	v_mov_b32_e32 v5, v144
	v_mov_b32_e32 v6, v145
	v_mov_b32_e32 v7, v114
	v_mov_b32_e32 v8, v115
	ds_write2_b64 v4, v[5:6], v[7:8] offset0:34 offset1:35
	v_mov_b32_e32 v5, v142
	v_mov_b32_e32 v6, v143
	v_mov_b32_e32 v7, v112
	v_mov_b32_e32 v8, v113
	ds_write2_b64 v4, v[5:6], v[7:8] offset0:36 offset1:37
	v_mov_b32_e32 v5, v140
	v_mov_b32_e32 v6, v141
	v_mov_b32_e32 v7, v110
	v_mov_b32_e32 v8, v111
	ds_write2_b64 v4, v[5:6], v[7:8] offset0:38 offset1:39
	v_mov_b32_e32 v5, v138
	v_mov_b32_e32 v6, v139
	v_mov_b32_e32 v7, v108
	v_mov_b32_e32 v8, v109
	ds_write2_b64 v4, v[5:6], v[7:8] offset0:40 offset1:41
	v_mov_b32_e32 v5, v136
	v_mov_b32_e32 v6, v137
	v_mov_b32_e32 v7, v106
	v_mov_b32_e32 v8, v107
	ds_write2_b64 v4, v[5:6], v[7:8] offset0:42 offset1:43
	v_mov_b32_e32 v5, v134
	v_mov_b32_e32 v6, v135
	v_mov_b32_e32 v7, v104
	v_mov_b32_e32 v8, v105
	ds_write2_b64 v4, v[5:6], v[7:8] offset0:44 offset1:45
	v_mov_b32_e32 v5, v132
	v_mov_b32_e32 v6, v133
	v_mov_b32_e32 v7, v102
	v_mov_b32_e32 v8, v103
	ds_write2_b64 v4, v[5:6], v[7:8] offset0:46 offset1:47
	ds_write_b64 v4, v[198:199] offset:384
	ds_read_b64 v[200:201], v1
	s_waitcnt lgkmcnt(0)
	v_cmp_neq_f64_e32 vcc_lo, 0, v[200:201]
	s_and_b32 exec_lo, exec_lo, vcc_lo
	s_cbranch_execz .LBB97_109
; %bb.108:
	v_div_scale_f64 v[5:6], null, v[200:201], v[200:201], 1.0
	v_rcp_f64_e32 v[7:8], v[5:6]
	v_fma_f64 v[202:203], -v[5:6], v[7:8], 1.0
	v_fma_f64 v[7:8], v[7:8], v[202:203], v[7:8]
	v_fma_f64 v[202:203], -v[5:6], v[7:8], 1.0
	v_fma_f64 v[7:8], v[7:8], v[202:203], v[7:8]
	v_div_scale_f64 v[202:203], vcc_lo, 1.0, v[200:201], 1.0
	v_mul_f64 v[204:205], v[202:203], v[7:8]
	v_fma_f64 v[5:6], -v[5:6], v[204:205], v[202:203]
	v_div_fmas_f64 v[5:6], v[5:6], v[7:8], v[204:205]
	v_div_fixup_f64 v[5:6], v[5:6], v[200:201], 1.0
	ds_write_b64 v1, v[5:6]
.LBB97_109:
	s_or_b32 exec_lo, exec_lo, s1
	s_waitcnt lgkmcnt(0)
	s_barrier
	buffer_gl0_inv
	ds_read_b64 v[37:38], v1
	s_mov_b32 s1, exec_lo
	v_cmpx_lt_u32_e32 21, v0
	s_cbranch_execz .LBB97_111
; %bb.110:
	s_waitcnt lgkmcnt(0)
	v_mul_f64 v[128:129], v[37:38], v[128:129]
	ds_read2_b64 v[200:203], v4 offset0:22 offset1:23
	ds_read_b64 v[5:6], v4 offset:384
	s_waitcnt lgkmcnt(1)
	v_fma_f64 v[156:157], -v[128:129], v[200:201], v[156:157]
	v_fma_f64 v[126:127], -v[128:129], v[202:203], v[126:127]
	ds_read2_b64 v[200:203], v4 offset0:24 offset1:25
	s_waitcnt lgkmcnt(1)
	v_fma_f64 v[198:199], -v[128:129], v[5:6], v[198:199]
	s_waitcnt lgkmcnt(0)
	v_fma_f64 v[154:155], -v[128:129], v[200:201], v[154:155]
	v_fma_f64 v[124:125], -v[128:129], v[202:203], v[124:125]
	ds_read2_b64 v[200:203], v4 offset0:26 offset1:27
	s_waitcnt lgkmcnt(0)
	v_fma_f64 v[152:153], -v[128:129], v[200:201], v[152:153]
	v_fma_f64 v[122:123], -v[128:129], v[202:203], v[122:123]
	ds_read2_b64 v[200:203], v4 offset0:28 offset1:29
	;; [unrolled: 4-line block ×11, first 2 shown]
	s_waitcnt lgkmcnt(0)
	v_fma_f64 v[132:133], -v[128:129], v[200:201], v[132:133]
	v_fma_f64 v[102:103], -v[128:129], v[202:203], v[102:103]
.LBB97_111:
	s_or_b32 exec_lo, exec_lo, s1
	s_mov_b32 s1, exec_lo
	s_waitcnt lgkmcnt(0)
	s_barrier
	buffer_gl0_inv
	v_cmpx_eq_u32_e32 22, v0
	s_cbranch_execz .LBB97_114
; %bb.112:
	ds_write_b64 v1, v[156:157]
	ds_write2_b64 v4, v[126:127], v[154:155] offset0:23 offset1:24
	ds_write2_b64 v4, v[124:125], v[152:153] offset0:25 offset1:26
	;; [unrolled: 1-line block ×13, first 2 shown]
	ds_read_b64 v[200:201], v1
	s_waitcnt lgkmcnt(0)
	v_cmp_neq_f64_e32 vcc_lo, 0, v[200:201]
	s_and_b32 exec_lo, exec_lo, vcc_lo
	s_cbranch_execz .LBB97_114
; %bb.113:
	v_div_scale_f64 v[5:6], null, v[200:201], v[200:201], 1.0
	v_rcp_f64_e32 v[7:8], v[5:6]
	v_fma_f64 v[202:203], -v[5:6], v[7:8], 1.0
	v_fma_f64 v[7:8], v[7:8], v[202:203], v[7:8]
	v_fma_f64 v[202:203], -v[5:6], v[7:8], 1.0
	v_fma_f64 v[7:8], v[7:8], v[202:203], v[7:8]
	v_div_scale_f64 v[202:203], vcc_lo, 1.0, v[200:201], 1.0
	v_mul_f64 v[204:205], v[202:203], v[7:8]
	v_fma_f64 v[5:6], -v[5:6], v[204:205], v[202:203]
	v_div_fmas_f64 v[5:6], v[5:6], v[7:8], v[204:205]
	v_div_fixup_f64 v[5:6], v[5:6], v[200:201], 1.0
	ds_write_b64 v1, v[5:6]
.LBB97_114:
	s_or_b32 exec_lo, exec_lo, s1
	s_waitcnt lgkmcnt(0)
	s_barrier
	buffer_gl0_inv
	ds_read_b64 v[41:42], v1
	s_mov_b32 s1, exec_lo
	v_cmpx_lt_u32_e32 22, v0
	s_cbranch_execz .LBB97_116
; %bb.115:
	s_waitcnt lgkmcnt(0)
	v_mul_f64 v[156:157], v[41:42], v[156:157]
	ds_read2_b64 v[200:203], v4 offset0:23 offset1:24
	s_waitcnt lgkmcnt(0)
	v_fma_f64 v[126:127], -v[156:157], v[200:201], v[126:127]
	v_fma_f64 v[154:155], -v[156:157], v[202:203], v[154:155]
	ds_read2_b64 v[200:203], v4 offset0:25 offset1:26
	s_waitcnt lgkmcnt(0)
	v_fma_f64 v[124:125], -v[156:157], v[200:201], v[124:125]
	v_fma_f64 v[152:153], -v[156:157], v[202:203], v[152:153]
	;; [unrolled: 4-line block ×13, first 2 shown]
.LBB97_116:
	s_or_b32 exec_lo, exec_lo, s1
	s_mov_b32 s1, exec_lo
	s_waitcnt lgkmcnt(0)
	s_barrier
	buffer_gl0_inv
	v_cmpx_eq_u32_e32 23, v0
	s_cbranch_execz .LBB97_119
; %bb.117:
	v_mov_b32_e32 v5, v154
	v_mov_b32_e32 v6, v155
	;; [unrolled: 1-line block ×4, first 2 shown]
	ds_write_b64 v1, v[126:127]
	ds_write2_b64 v4, v[5:6], v[7:8] offset0:24 offset1:25
	v_mov_b32_e32 v5, v152
	v_mov_b32_e32 v6, v153
	v_mov_b32_e32 v7, v122
	v_mov_b32_e32 v8, v123
	ds_write2_b64 v4, v[5:6], v[7:8] offset0:26 offset1:27
	v_mov_b32_e32 v5, v150
	v_mov_b32_e32 v6, v151
	v_mov_b32_e32 v7, v120
	v_mov_b32_e32 v8, v121
	;; [unrolled: 5-line block ×11, first 2 shown]
	ds_write2_b64 v4, v[5:6], v[7:8] offset0:46 offset1:47
	ds_write_b64 v4, v[198:199] offset:384
	ds_read_b64 v[200:201], v1
	s_waitcnt lgkmcnt(0)
	v_cmp_neq_f64_e32 vcc_lo, 0, v[200:201]
	s_and_b32 exec_lo, exec_lo, vcc_lo
	s_cbranch_execz .LBB97_119
; %bb.118:
	v_div_scale_f64 v[5:6], null, v[200:201], v[200:201], 1.0
	v_rcp_f64_e32 v[7:8], v[5:6]
	v_fma_f64 v[202:203], -v[5:6], v[7:8], 1.0
	v_fma_f64 v[7:8], v[7:8], v[202:203], v[7:8]
	v_fma_f64 v[202:203], -v[5:6], v[7:8], 1.0
	v_fma_f64 v[7:8], v[7:8], v[202:203], v[7:8]
	v_div_scale_f64 v[202:203], vcc_lo, 1.0, v[200:201], 1.0
	v_mul_f64 v[204:205], v[202:203], v[7:8]
	v_fma_f64 v[5:6], -v[5:6], v[204:205], v[202:203]
	v_div_fmas_f64 v[5:6], v[5:6], v[7:8], v[204:205]
	v_div_fixup_f64 v[5:6], v[5:6], v[200:201], 1.0
	ds_write_b64 v1, v[5:6]
.LBB97_119:
	s_or_b32 exec_lo, exec_lo, s1
	s_waitcnt lgkmcnt(0)
	s_barrier
	buffer_gl0_inv
	ds_read_b64 v[43:44], v1
	s_mov_b32 s1, exec_lo
	v_cmpx_lt_u32_e32 23, v0
	s_cbranch_execz .LBB97_121
; %bb.120:
	s_waitcnt lgkmcnt(0)
	v_mul_f64 v[126:127], v[43:44], v[126:127]
	ds_read2_b64 v[200:203], v4 offset0:24 offset1:25
	ds_read_b64 v[5:6], v4 offset:384
	s_waitcnt lgkmcnt(1)
	v_fma_f64 v[154:155], -v[126:127], v[200:201], v[154:155]
	v_fma_f64 v[124:125], -v[126:127], v[202:203], v[124:125]
	ds_read2_b64 v[200:203], v4 offset0:26 offset1:27
	s_waitcnt lgkmcnt(1)
	v_fma_f64 v[198:199], -v[126:127], v[5:6], v[198:199]
	s_waitcnt lgkmcnt(0)
	v_fma_f64 v[152:153], -v[126:127], v[200:201], v[152:153]
	v_fma_f64 v[122:123], -v[126:127], v[202:203], v[122:123]
	ds_read2_b64 v[200:203], v4 offset0:28 offset1:29
	s_waitcnt lgkmcnt(0)
	v_fma_f64 v[150:151], -v[126:127], v[200:201], v[150:151]
	v_fma_f64 v[120:121], -v[126:127], v[202:203], v[120:121]
	ds_read2_b64 v[200:203], v4 offset0:30 offset1:31
	;; [unrolled: 4-line block ×10, first 2 shown]
	s_waitcnt lgkmcnt(0)
	v_fma_f64 v[132:133], -v[126:127], v[200:201], v[132:133]
	v_fma_f64 v[102:103], -v[126:127], v[202:203], v[102:103]
.LBB97_121:
	s_or_b32 exec_lo, exec_lo, s1
	s_mov_b32 s1, exec_lo
	s_waitcnt lgkmcnt(0)
	s_barrier
	buffer_gl0_inv
	v_cmpx_eq_u32_e32 24, v0
	s_cbranch_execz .LBB97_124
; %bb.122:
	ds_write_b64 v1, v[154:155]
	ds_write2_b64 v4, v[124:125], v[152:153] offset0:25 offset1:26
	ds_write2_b64 v4, v[122:123], v[150:151] offset0:27 offset1:28
	;; [unrolled: 1-line block ×12, first 2 shown]
	ds_read_b64 v[200:201], v1
	s_waitcnt lgkmcnt(0)
	v_cmp_neq_f64_e32 vcc_lo, 0, v[200:201]
	s_and_b32 exec_lo, exec_lo, vcc_lo
	s_cbranch_execz .LBB97_124
; %bb.123:
	v_div_scale_f64 v[5:6], null, v[200:201], v[200:201], 1.0
	v_rcp_f64_e32 v[7:8], v[5:6]
	v_fma_f64 v[202:203], -v[5:6], v[7:8], 1.0
	v_fma_f64 v[7:8], v[7:8], v[202:203], v[7:8]
	v_fma_f64 v[202:203], -v[5:6], v[7:8], 1.0
	v_fma_f64 v[7:8], v[7:8], v[202:203], v[7:8]
	v_div_scale_f64 v[202:203], vcc_lo, 1.0, v[200:201], 1.0
	v_mul_f64 v[204:205], v[202:203], v[7:8]
	v_fma_f64 v[5:6], -v[5:6], v[204:205], v[202:203]
	v_div_fmas_f64 v[5:6], v[5:6], v[7:8], v[204:205]
	v_div_fixup_f64 v[5:6], v[5:6], v[200:201], 1.0
	ds_write_b64 v1, v[5:6]
.LBB97_124:
	s_or_b32 exec_lo, exec_lo, s1
	s_waitcnt lgkmcnt(0)
	s_barrier
	buffer_gl0_inv
	ds_read_b64 v[45:46], v1
	s_mov_b32 s1, exec_lo
	v_cmpx_lt_u32_e32 24, v0
	s_cbranch_execz .LBB97_126
; %bb.125:
	s_waitcnt lgkmcnt(0)
	v_mul_f64 v[154:155], v[45:46], v[154:155]
	ds_read2_b64 v[200:203], v4 offset0:25 offset1:26
	s_waitcnt lgkmcnt(0)
	v_fma_f64 v[124:125], -v[154:155], v[200:201], v[124:125]
	v_fma_f64 v[152:153], -v[154:155], v[202:203], v[152:153]
	ds_read2_b64 v[200:203], v4 offset0:27 offset1:28
	s_waitcnt lgkmcnt(0)
	v_fma_f64 v[122:123], -v[154:155], v[200:201], v[122:123]
	v_fma_f64 v[150:151], -v[154:155], v[202:203], v[150:151]
	;; [unrolled: 4-line block ×12, first 2 shown]
.LBB97_126:
	s_or_b32 exec_lo, exec_lo, s1
	s_mov_b32 s1, exec_lo
	s_waitcnt lgkmcnt(0)
	s_barrier
	buffer_gl0_inv
	v_cmpx_eq_u32_e32 25, v0
	s_cbranch_execz .LBB97_129
; %bb.127:
	v_mov_b32_e32 v5, v152
	v_mov_b32_e32 v6, v153
	;; [unrolled: 1-line block ×4, first 2 shown]
	ds_write_b64 v1, v[124:125]
	ds_write2_b64 v4, v[5:6], v[7:8] offset0:26 offset1:27
	v_mov_b32_e32 v5, v150
	v_mov_b32_e32 v6, v151
	v_mov_b32_e32 v7, v120
	v_mov_b32_e32 v8, v121
	ds_write2_b64 v4, v[5:6], v[7:8] offset0:28 offset1:29
	v_mov_b32_e32 v5, v148
	v_mov_b32_e32 v6, v149
	v_mov_b32_e32 v7, v118
	v_mov_b32_e32 v8, v119
	;; [unrolled: 5-line block ×10, first 2 shown]
	ds_write2_b64 v4, v[5:6], v[7:8] offset0:46 offset1:47
	ds_write_b64 v4, v[198:199] offset:384
	ds_read_b64 v[200:201], v1
	s_waitcnt lgkmcnt(0)
	v_cmp_neq_f64_e32 vcc_lo, 0, v[200:201]
	s_and_b32 exec_lo, exec_lo, vcc_lo
	s_cbranch_execz .LBB97_129
; %bb.128:
	v_div_scale_f64 v[5:6], null, v[200:201], v[200:201], 1.0
	v_rcp_f64_e32 v[7:8], v[5:6]
	v_fma_f64 v[202:203], -v[5:6], v[7:8], 1.0
	v_fma_f64 v[7:8], v[7:8], v[202:203], v[7:8]
	v_fma_f64 v[202:203], -v[5:6], v[7:8], 1.0
	v_fma_f64 v[7:8], v[7:8], v[202:203], v[7:8]
	v_div_scale_f64 v[202:203], vcc_lo, 1.0, v[200:201], 1.0
	v_mul_f64 v[204:205], v[202:203], v[7:8]
	v_fma_f64 v[5:6], -v[5:6], v[204:205], v[202:203]
	v_div_fmas_f64 v[5:6], v[5:6], v[7:8], v[204:205]
	v_div_fixup_f64 v[5:6], v[5:6], v[200:201], 1.0
	ds_write_b64 v1, v[5:6]
.LBB97_129:
	s_or_b32 exec_lo, exec_lo, s1
	s_waitcnt lgkmcnt(0)
	s_barrier
	buffer_gl0_inv
	ds_read_b64 v[49:50], v1
	s_mov_b32 s1, exec_lo
	v_cmpx_lt_u32_e32 25, v0
	s_cbranch_execz .LBB97_131
; %bb.130:
	s_waitcnt lgkmcnt(0)
	v_mul_f64 v[124:125], v[49:50], v[124:125]
	ds_read2_b64 v[200:203], v4 offset0:26 offset1:27
	ds_read_b64 v[5:6], v4 offset:384
	s_waitcnt lgkmcnt(1)
	v_fma_f64 v[152:153], -v[124:125], v[200:201], v[152:153]
	v_fma_f64 v[122:123], -v[124:125], v[202:203], v[122:123]
	ds_read2_b64 v[200:203], v4 offset0:28 offset1:29
	s_waitcnt lgkmcnt(1)
	v_fma_f64 v[198:199], -v[124:125], v[5:6], v[198:199]
	s_waitcnt lgkmcnt(0)
	v_fma_f64 v[150:151], -v[124:125], v[200:201], v[150:151]
	v_fma_f64 v[120:121], -v[124:125], v[202:203], v[120:121]
	ds_read2_b64 v[200:203], v4 offset0:30 offset1:31
	s_waitcnt lgkmcnt(0)
	v_fma_f64 v[148:149], -v[124:125], v[200:201], v[148:149]
	v_fma_f64 v[118:119], -v[124:125], v[202:203], v[118:119]
	ds_read2_b64 v[200:203], v4 offset0:32 offset1:33
	;; [unrolled: 4-line block ×9, first 2 shown]
	s_waitcnt lgkmcnt(0)
	v_fma_f64 v[132:133], -v[124:125], v[200:201], v[132:133]
	v_fma_f64 v[102:103], -v[124:125], v[202:203], v[102:103]
.LBB97_131:
	s_or_b32 exec_lo, exec_lo, s1
	s_mov_b32 s1, exec_lo
	s_waitcnt lgkmcnt(0)
	s_barrier
	buffer_gl0_inv
	v_cmpx_eq_u32_e32 26, v0
	s_cbranch_execz .LBB97_134
; %bb.132:
	ds_write_b64 v1, v[152:153]
	ds_write2_b64 v4, v[122:123], v[150:151] offset0:27 offset1:28
	ds_write2_b64 v4, v[120:121], v[148:149] offset0:29 offset1:30
	;; [unrolled: 1-line block ×11, first 2 shown]
	ds_read_b64 v[200:201], v1
	s_waitcnt lgkmcnt(0)
	v_cmp_neq_f64_e32 vcc_lo, 0, v[200:201]
	s_and_b32 exec_lo, exec_lo, vcc_lo
	s_cbranch_execz .LBB97_134
; %bb.133:
	v_div_scale_f64 v[5:6], null, v[200:201], v[200:201], 1.0
	v_rcp_f64_e32 v[7:8], v[5:6]
	v_fma_f64 v[202:203], -v[5:6], v[7:8], 1.0
	v_fma_f64 v[7:8], v[7:8], v[202:203], v[7:8]
	v_fma_f64 v[202:203], -v[5:6], v[7:8], 1.0
	v_fma_f64 v[7:8], v[7:8], v[202:203], v[7:8]
	v_div_scale_f64 v[202:203], vcc_lo, 1.0, v[200:201], 1.0
	v_mul_f64 v[204:205], v[202:203], v[7:8]
	v_fma_f64 v[5:6], -v[5:6], v[204:205], v[202:203]
	v_div_fmas_f64 v[5:6], v[5:6], v[7:8], v[204:205]
	v_div_fixup_f64 v[5:6], v[5:6], v[200:201], 1.0
	ds_write_b64 v1, v[5:6]
.LBB97_134:
	s_or_b32 exec_lo, exec_lo, s1
	s_waitcnt lgkmcnt(0)
	s_barrier
	buffer_gl0_inv
	ds_read_b64 v[252:253], v1
	s_mov_b32 s1, exec_lo
	v_cmpx_lt_u32_e32 26, v0
	s_cbranch_execz .LBB97_136
; %bb.135:
	s_waitcnt lgkmcnt(0)
	v_mul_f64 v[152:153], v[252:253], v[152:153]
	ds_read2_b64 v[200:203], v4 offset0:27 offset1:28
	s_waitcnt lgkmcnt(0)
	v_fma_f64 v[122:123], -v[152:153], v[200:201], v[122:123]
	v_fma_f64 v[150:151], -v[152:153], v[202:203], v[150:151]
	ds_read2_b64 v[200:203], v4 offset0:29 offset1:30
	s_waitcnt lgkmcnt(0)
	v_fma_f64 v[120:121], -v[152:153], v[200:201], v[120:121]
	v_fma_f64 v[148:149], -v[152:153], v[202:203], v[148:149]
	;; [unrolled: 4-line block ×11, first 2 shown]
.LBB97_136:
	s_or_b32 exec_lo, exec_lo, s1
	s_mov_b32 s1, exec_lo
	s_waitcnt lgkmcnt(0)
	s_barrier
	buffer_gl0_inv
	v_cmpx_eq_u32_e32 27, v0
	s_cbranch_execz .LBB97_139
; %bb.137:
	v_mov_b32_e32 v5, v150
	v_mov_b32_e32 v6, v151
	;; [unrolled: 1-line block ×4, first 2 shown]
	ds_write_b64 v1, v[122:123]
	ds_write2_b64 v4, v[5:6], v[7:8] offset0:28 offset1:29
	v_mov_b32_e32 v5, v148
	v_mov_b32_e32 v6, v149
	v_mov_b32_e32 v7, v118
	v_mov_b32_e32 v8, v119
	ds_write2_b64 v4, v[5:6], v[7:8] offset0:30 offset1:31
	v_mov_b32_e32 v5, v146
	v_mov_b32_e32 v6, v147
	v_mov_b32_e32 v7, v116
	v_mov_b32_e32 v8, v117
	;; [unrolled: 5-line block ×9, first 2 shown]
	ds_write2_b64 v4, v[5:6], v[7:8] offset0:46 offset1:47
	ds_write_b64 v4, v[198:199] offset:384
	ds_read_b64 v[200:201], v1
	s_waitcnt lgkmcnt(0)
	v_cmp_neq_f64_e32 vcc_lo, 0, v[200:201]
	s_and_b32 exec_lo, exec_lo, vcc_lo
	s_cbranch_execz .LBB97_139
; %bb.138:
	v_div_scale_f64 v[5:6], null, v[200:201], v[200:201], 1.0
	v_rcp_f64_e32 v[7:8], v[5:6]
	v_fma_f64 v[202:203], -v[5:6], v[7:8], 1.0
	v_fma_f64 v[7:8], v[7:8], v[202:203], v[7:8]
	v_fma_f64 v[202:203], -v[5:6], v[7:8], 1.0
	v_fma_f64 v[7:8], v[7:8], v[202:203], v[7:8]
	v_div_scale_f64 v[202:203], vcc_lo, 1.0, v[200:201], 1.0
	v_mul_f64 v[204:205], v[202:203], v[7:8]
	v_fma_f64 v[5:6], -v[5:6], v[204:205], v[202:203]
	v_div_fmas_f64 v[5:6], v[5:6], v[7:8], v[204:205]
	v_div_fixup_f64 v[5:6], v[5:6], v[200:201], 1.0
	ds_write_b64 v1, v[5:6]
.LBB97_139:
	s_or_b32 exec_lo, exec_lo, s1
	s_waitcnt lgkmcnt(0)
	s_barrier
	buffer_gl0_inv
	ds_read_b64 v[254:255], v1
	s_mov_b32 s1, exec_lo
	v_cmpx_lt_u32_e32 27, v0
	s_cbranch_execz .LBB97_141
; %bb.140:
	s_waitcnt lgkmcnt(0)
	v_mul_f64 v[122:123], v[254:255], v[122:123]
	ds_read2_b64 v[200:203], v4 offset0:28 offset1:29
	ds_read_b64 v[5:6], v4 offset:384
	s_waitcnt lgkmcnt(1)
	v_fma_f64 v[150:151], -v[122:123], v[200:201], v[150:151]
	v_fma_f64 v[120:121], -v[122:123], v[202:203], v[120:121]
	ds_read2_b64 v[200:203], v4 offset0:30 offset1:31
	s_waitcnt lgkmcnt(1)
	v_fma_f64 v[198:199], -v[122:123], v[5:6], v[198:199]
	s_waitcnt lgkmcnt(0)
	v_fma_f64 v[148:149], -v[122:123], v[200:201], v[148:149]
	v_fma_f64 v[118:119], -v[122:123], v[202:203], v[118:119]
	ds_read2_b64 v[200:203], v4 offset0:32 offset1:33
	s_waitcnt lgkmcnt(0)
	v_fma_f64 v[146:147], -v[122:123], v[200:201], v[146:147]
	v_fma_f64 v[116:117], -v[122:123], v[202:203], v[116:117]
	ds_read2_b64 v[200:203], v4 offset0:34 offset1:35
	;; [unrolled: 4-line block ×8, first 2 shown]
	s_waitcnt lgkmcnt(0)
	v_fma_f64 v[132:133], -v[122:123], v[200:201], v[132:133]
	v_fma_f64 v[102:103], -v[122:123], v[202:203], v[102:103]
.LBB97_141:
	s_or_b32 exec_lo, exec_lo, s1
	s_mov_b32 s1, exec_lo
	s_waitcnt lgkmcnt(0)
	s_barrier
	buffer_gl0_inv
	v_cmpx_eq_u32_e32 28, v0
	s_cbranch_execz .LBB97_144
; %bb.142:
	ds_write_b64 v1, v[150:151]
	ds_write2_b64 v4, v[120:121], v[148:149] offset0:29 offset1:30
	ds_write2_b64 v4, v[118:119], v[146:147] offset0:31 offset1:32
	;; [unrolled: 1-line block ×10, first 2 shown]
	ds_read_b64 v[200:201], v1
	s_waitcnt lgkmcnt(0)
	v_cmp_neq_f64_e32 vcc_lo, 0, v[200:201]
	s_and_b32 exec_lo, exec_lo, vcc_lo
	s_cbranch_execz .LBB97_144
; %bb.143:
	v_div_scale_f64 v[5:6], null, v[200:201], v[200:201], 1.0
	v_rcp_f64_e32 v[7:8], v[5:6]
	v_fma_f64 v[202:203], -v[5:6], v[7:8], 1.0
	v_fma_f64 v[7:8], v[7:8], v[202:203], v[7:8]
	v_fma_f64 v[202:203], -v[5:6], v[7:8], 1.0
	v_fma_f64 v[7:8], v[7:8], v[202:203], v[7:8]
	v_div_scale_f64 v[202:203], vcc_lo, 1.0, v[200:201], 1.0
	v_mul_f64 v[204:205], v[202:203], v[7:8]
	v_fma_f64 v[5:6], -v[5:6], v[204:205], v[202:203]
	v_div_fmas_f64 v[5:6], v[5:6], v[7:8], v[204:205]
	v_div_fixup_f64 v[5:6], v[5:6], v[200:201], 1.0
	ds_write_b64 v1, v[5:6]
.LBB97_144:
	s_or_b32 exec_lo, exec_lo, s1
	s_waitcnt lgkmcnt(0)
	s_barrier
	buffer_gl0_inv
	ds_read_b64 v[200:201], v1
	s_mov_b32 s1, exec_lo
	v_cmpx_lt_u32_e32 28, v0
	s_cbranch_execz .LBB97_146
; %bb.145:
	s_waitcnt lgkmcnt(0)
	v_mul_f64 v[150:151], v[200:201], v[150:151]
	ds_read2_b64 v[202:205], v4 offset0:29 offset1:30
	s_waitcnt lgkmcnt(0)
	v_fma_f64 v[120:121], -v[150:151], v[202:203], v[120:121]
	v_fma_f64 v[148:149], -v[150:151], v[204:205], v[148:149]
	ds_read2_b64 v[202:205], v4 offset0:31 offset1:32
	s_waitcnt lgkmcnt(0)
	v_fma_f64 v[118:119], -v[150:151], v[202:203], v[118:119]
	v_fma_f64 v[146:147], -v[150:151], v[204:205], v[146:147]
	;; [unrolled: 4-line block ×10, first 2 shown]
.LBB97_146:
	s_or_b32 exec_lo, exec_lo, s1
	s_mov_b32 s1, exec_lo
	s_waitcnt lgkmcnt(0)
	s_barrier
	buffer_gl0_inv
	v_cmpx_eq_u32_e32 29, v0
	s_cbranch_execz .LBB97_149
; %bb.147:
	v_mov_b32_e32 v5, v148
	v_mov_b32_e32 v6, v149
	;; [unrolled: 1-line block ×4, first 2 shown]
	ds_write_b64 v1, v[120:121]
	ds_write2_b64 v4, v[5:6], v[7:8] offset0:30 offset1:31
	v_mov_b32_e32 v5, v146
	v_mov_b32_e32 v6, v147
	v_mov_b32_e32 v7, v116
	v_mov_b32_e32 v8, v117
	ds_write2_b64 v4, v[5:6], v[7:8] offset0:32 offset1:33
	v_mov_b32_e32 v5, v144
	v_mov_b32_e32 v6, v145
	v_mov_b32_e32 v7, v114
	v_mov_b32_e32 v8, v115
	;; [unrolled: 5-line block ×8, first 2 shown]
	ds_write2_b64 v4, v[5:6], v[7:8] offset0:46 offset1:47
	ds_write_b64 v4, v[198:199] offset:384
	ds_read_b64 v[202:203], v1
	s_waitcnt lgkmcnt(0)
	v_cmp_neq_f64_e32 vcc_lo, 0, v[202:203]
	s_and_b32 exec_lo, exec_lo, vcc_lo
	s_cbranch_execz .LBB97_149
; %bb.148:
	v_div_scale_f64 v[5:6], null, v[202:203], v[202:203], 1.0
	v_rcp_f64_e32 v[7:8], v[5:6]
	v_fma_f64 v[204:205], -v[5:6], v[7:8], 1.0
	v_fma_f64 v[7:8], v[7:8], v[204:205], v[7:8]
	v_fma_f64 v[204:205], -v[5:6], v[7:8], 1.0
	v_fma_f64 v[7:8], v[7:8], v[204:205], v[7:8]
	v_div_scale_f64 v[204:205], vcc_lo, 1.0, v[202:203], 1.0
	v_mul_f64 v[206:207], v[204:205], v[7:8]
	v_fma_f64 v[5:6], -v[5:6], v[206:207], v[204:205]
	v_div_fmas_f64 v[5:6], v[5:6], v[7:8], v[206:207]
	v_div_fixup_f64 v[5:6], v[5:6], v[202:203], 1.0
	ds_write_b64 v1, v[5:6]
.LBB97_149:
	s_or_b32 exec_lo, exec_lo, s1
	s_waitcnt lgkmcnt(0)
	s_barrier
	buffer_gl0_inv
	ds_read_b64 v[202:203], v1
	s_mov_b32 s1, exec_lo
	v_cmpx_lt_u32_e32 29, v0
	s_cbranch_execz .LBB97_151
; %bb.150:
	s_waitcnt lgkmcnt(0)
	v_mul_f64 v[120:121], v[202:203], v[120:121]
	ds_read2_b64 v[204:207], v4 offset0:30 offset1:31
	ds_read_b64 v[5:6], v4 offset:384
	s_waitcnt lgkmcnt(1)
	v_fma_f64 v[148:149], -v[120:121], v[204:205], v[148:149]
	v_fma_f64 v[118:119], -v[120:121], v[206:207], v[118:119]
	ds_read2_b64 v[204:207], v4 offset0:32 offset1:33
	s_waitcnt lgkmcnt(1)
	v_fma_f64 v[198:199], -v[120:121], v[5:6], v[198:199]
	s_waitcnt lgkmcnt(0)
	v_fma_f64 v[146:147], -v[120:121], v[204:205], v[146:147]
	v_fma_f64 v[116:117], -v[120:121], v[206:207], v[116:117]
	ds_read2_b64 v[204:207], v4 offset0:34 offset1:35
	s_waitcnt lgkmcnt(0)
	v_fma_f64 v[144:145], -v[120:121], v[204:205], v[144:145]
	v_fma_f64 v[114:115], -v[120:121], v[206:207], v[114:115]
	ds_read2_b64 v[204:207], v4 offset0:36 offset1:37
	s_waitcnt lgkmcnt(0)
	v_fma_f64 v[142:143], -v[120:121], v[204:205], v[142:143]
	v_fma_f64 v[112:113], -v[120:121], v[206:207], v[112:113]
	ds_read2_b64 v[204:207], v4 offset0:38 offset1:39
	s_waitcnt lgkmcnt(0)
	v_fma_f64 v[140:141], -v[120:121], v[204:205], v[140:141]
	v_fma_f64 v[110:111], -v[120:121], v[206:207], v[110:111]
	ds_read2_b64 v[204:207], v4 offset0:40 offset1:41
	s_waitcnt lgkmcnt(0)
	v_fma_f64 v[138:139], -v[120:121], v[204:205], v[138:139]
	v_fma_f64 v[108:109], -v[120:121], v[206:207], v[108:109]
	ds_read2_b64 v[204:207], v4 offset0:42 offset1:43
	s_waitcnt lgkmcnt(0)
	v_fma_f64 v[136:137], -v[120:121], v[204:205], v[136:137]
	v_fma_f64 v[106:107], -v[120:121], v[206:207], v[106:107]
	ds_read2_b64 v[204:207], v4 offset0:44 offset1:45
	s_waitcnt lgkmcnt(0)
	v_fma_f64 v[134:135], -v[120:121], v[204:205], v[134:135]
	v_fma_f64 v[104:105], -v[120:121], v[206:207], v[104:105]
	ds_read2_b64 v[204:207], v4 offset0:46 offset1:47
	s_waitcnt lgkmcnt(0)
	v_fma_f64 v[132:133], -v[120:121], v[204:205], v[132:133]
	v_fma_f64 v[102:103], -v[120:121], v[206:207], v[102:103]
.LBB97_151:
	s_or_b32 exec_lo, exec_lo, s1
	s_mov_b32 s1, exec_lo
	s_waitcnt lgkmcnt(0)
	s_barrier
	buffer_gl0_inv
	v_cmpx_eq_u32_e32 30, v0
	s_cbranch_execz .LBB97_154
; %bb.152:
	ds_write_b64 v1, v[148:149]
	ds_write2_b64 v4, v[118:119], v[146:147] offset0:31 offset1:32
	ds_write2_b64 v4, v[116:117], v[144:145] offset0:33 offset1:34
	;; [unrolled: 1-line block ×9, first 2 shown]
	ds_read_b64 v[204:205], v1
	s_waitcnt lgkmcnt(0)
	v_cmp_neq_f64_e32 vcc_lo, 0, v[204:205]
	s_and_b32 exec_lo, exec_lo, vcc_lo
	s_cbranch_execz .LBB97_154
; %bb.153:
	v_div_scale_f64 v[5:6], null, v[204:205], v[204:205], 1.0
	v_rcp_f64_e32 v[7:8], v[5:6]
	v_fma_f64 v[206:207], -v[5:6], v[7:8], 1.0
	v_fma_f64 v[7:8], v[7:8], v[206:207], v[7:8]
	v_fma_f64 v[206:207], -v[5:6], v[7:8], 1.0
	v_fma_f64 v[7:8], v[7:8], v[206:207], v[7:8]
	v_div_scale_f64 v[206:207], vcc_lo, 1.0, v[204:205], 1.0
	v_mul_f64 v[208:209], v[206:207], v[7:8]
	v_fma_f64 v[5:6], -v[5:6], v[208:209], v[206:207]
	v_div_fmas_f64 v[5:6], v[5:6], v[7:8], v[208:209]
	v_div_fixup_f64 v[5:6], v[5:6], v[204:205], 1.0
	ds_write_b64 v1, v[5:6]
.LBB97_154:
	s_or_b32 exec_lo, exec_lo, s1
	s_waitcnt lgkmcnt(0)
	s_barrier
	buffer_gl0_inv
	ds_read_b64 v[204:205], v1
	s_mov_b32 s1, exec_lo
	v_cmpx_lt_u32_e32 30, v0
	s_cbranch_execz .LBB97_156
; %bb.155:
	s_waitcnt lgkmcnt(0)
	v_mul_f64 v[148:149], v[204:205], v[148:149]
	ds_read2_b64 v[206:209], v4 offset0:31 offset1:32
	s_waitcnt lgkmcnt(0)
	v_fma_f64 v[118:119], -v[148:149], v[206:207], v[118:119]
	v_fma_f64 v[146:147], -v[148:149], v[208:209], v[146:147]
	ds_read2_b64 v[206:209], v4 offset0:33 offset1:34
	s_waitcnt lgkmcnt(0)
	v_fma_f64 v[116:117], -v[148:149], v[206:207], v[116:117]
	v_fma_f64 v[144:145], -v[148:149], v[208:209], v[144:145]
	;; [unrolled: 4-line block ×9, first 2 shown]
.LBB97_156:
	s_or_b32 exec_lo, exec_lo, s1
	s_mov_b32 s1, exec_lo
	s_waitcnt lgkmcnt(0)
	s_barrier
	buffer_gl0_inv
	v_cmpx_eq_u32_e32 31, v0
	s_cbranch_execz .LBB97_159
; %bb.157:
	v_mov_b32_e32 v5, v146
	v_mov_b32_e32 v6, v147
	;; [unrolled: 1-line block ×4, first 2 shown]
	ds_write_b64 v1, v[118:119]
	ds_write2_b64 v4, v[5:6], v[7:8] offset0:32 offset1:33
	v_mov_b32_e32 v5, v144
	v_mov_b32_e32 v6, v145
	v_mov_b32_e32 v7, v114
	v_mov_b32_e32 v8, v115
	ds_write2_b64 v4, v[5:6], v[7:8] offset0:34 offset1:35
	v_mov_b32_e32 v5, v142
	v_mov_b32_e32 v6, v143
	v_mov_b32_e32 v7, v112
	v_mov_b32_e32 v8, v113
	;; [unrolled: 5-line block ×7, first 2 shown]
	ds_write2_b64 v4, v[5:6], v[7:8] offset0:46 offset1:47
	ds_write_b64 v4, v[198:199] offset:384
	ds_read_b64 v[206:207], v1
	s_waitcnt lgkmcnt(0)
	v_cmp_neq_f64_e32 vcc_lo, 0, v[206:207]
	s_and_b32 exec_lo, exec_lo, vcc_lo
	s_cbranch_execz .LBB97_159
; %bb.158:
	v_div_scale_f64 v[5:6], null, v[206:207], v[206:207], 1.0
	v_rcp_f64_e32 v[7:8], v[5:6]
	v_fma_f64 v[208:209], -v[5:6], v[7:8], 1.0
	v_fma_f64 v[7:8], v[7:8], v[208:209], v[7:8]
	v_fma_f64 v[208:209], -v[5:6], v[7:8], 1.0
	v_fma_f64 v[7:8], v[7:8], v[208:209], v[7:8]
	v_div_scale_f64 v[208:209], vcc_lo, 1.0, v[206:207], 1.0
	v_mul_f64 v[210:211], v[208:209], v[7:8]
	v_fma_f64 v[5:6], -v[5:6], v[210:211], v[208:209]
	v_div_fmas_f64 v[5:6], v[5:6], v[7:8], v[210:211]
	v_div_fixup_f64 v[5:6], v[5:6], v[206:207], 1.0
	ds_write_b64 v1, v[5:6]
.LBB97_159:
	s_or_b32 exec_lo, exec_lo, s1
	s_waitcnt lgkmcnt(0)
	s_barrier
	buffer_gl0_inv
	ds_read_b64 v[206:207], v1
	s_mov_b32 s1, exec_lo
	v_cmpx_lt_u32_e32 31, v0
	s_cbranch_execz .LBB97_161
; %bb.160:
	s_waitcnt lgkmcnt(0)
	v_mul_f64 v[118:119], v[206:207], v[118:119]
	ds_read2_b64 v[208:211], v4 offset0:32 offset1:33
	ds_read_b64 v[5:6], v4 offset:384
	s_waitcnt lgkmcnt(1)
	v_fma_f64 v[146:147], -v[118:119], v[208:209], v[146:147]
	v_fma_f64 v[116:117], -v[118:119], v[210:211], v[116:117]
	ds_read2_b64 v[208:211], v4 offset0:34 offset1:35
	s_waitcnt lgkmcnt(1)
	v_fma_f64 v[198:199], -v[118:119], v[5:6], v[198:199]
	s_waitcnt lgkmcnt(0)
	v_fma_f64 v[144:145], -v[118:119], v[208:209], v[144:145]
	v_fma_f64 v[114:115], -v[118:119], v[210:211], v[114:115]
	ds_read2_b64 v[208:211], v4 offset0:36 offset1:37
	s_waitcnt lgkmcnt(0)
	v_fma_f64 v[142:143], -v[118:119], v[208:209], v[142:143]
	v_fma_f64 v[112:113], -v[118:119], v[210:211], v[112:113]
	ds_read2_b64 v[208:211], v4 offset0:38 offset1:39
	;; [unrolled: 4-line block ×6, first 2 shown]
	s_waitcnt lgkmcnt(0)
	v_fma_f64 v[132:133], -v[118:119], v[208:209], v[132:133]
	v_fma_f64 v[102:103], -v[118:119], v[210:211], v[102:103]
.LBB97_161:
	s_or_b32 exec_lo, exec_lo, s1
	s_mov_b32 s1, exec_lo
	s_waitcnt lgkmcnt(0)
	s_barrier
	buffer_gl0_inv
	v_cmpx_eq_u32_e32 32, v0
	s_cbranch_execz .LBB97_164
; %bb.162:
	ds_write_b64 v1, v[146:147]
	ds_write2_b64 v4, v[116:117], v[144:145] offset0:33 offset1:34
	ds_write2_b64 v4, v[114:115], v[142:143] offset0:35 offset1:36
	;; [unrolled: 1-line block ×8, first 2 shown]
	ds_read_b64 v[208:209], v1
	s_waitcnt lgkmcnt(0)
	v_cmp_neq_f64_e32 vcc_lo, 0, v[208:209]
	s_and_b32 exec_lo, exec_lo, vcc_lo
	s_cbranch_execz .LBB97_164
; %bb.163:
	v_div_scale_f64 v[5:6], null, v[208:209], v[208:209], 1.0
	v_rcp_f64_e32 v[7:8], v[5:6]
	v_fma_f64 v[210:211], -v[5:6], v[7:8], 1.0
	v_fma_f64 v[7:8], v[7:8], v[210:211], v[7:8]
	v_fma_f64 v[210:211], -v[5:6], v[7:8], 1.0
	v_fma_f64 v[7:8], v[7:8], v[210:211], v[7:8]
	v_div_scale_f64 v[210:211], vcc_lo, 1.0, v[208:209], 1.0
	v_mul_f64 v[212:213], v[210:211], v[7:8]
	v_fma_f64 v[5:6], -v[5:6], v[212:213], v[210:211]
	v_div_fmas_f64 v[5:6], v[5:6], v[7:8], v[212:213]
	v_div_fixup_f64 v[5:6], v[5:6], v[208:209], 1.0
	ds_write_b64 v1, v[5:6]
.LBB97_164:
	s_or_b32 exec_lo, exec_lo, s1
	s_waitcnt lgkmcnt(0)
	s_barrier
	buffer_gl0_inv
	ds_read_b64 v[208:209], v1
	s_mov_b32 s1, exec_lo
	v_cmpx_lt_u32_e32 32, v0
	s_cbranch_execz .LBB97_166
; %bb.165:
	s_waitcnt lgkmcnt(0)
	v_mul_f64 v[146:147], v[208:209], v[146:147]
	ds_read2_b64 v[210:213], v4 offset0:33 offset1:34
	s_waitcnt lgkmcnt(0)
	v_fma_f64 v[116:117], -v[146:147], v[210:211], v[116:117]
	v_fma_f64 v[144:145], -v[146:147], v[212:213], v[144:145]
	ds_read2_b64 v[210:213], v4 offset0:35 offset1:36
	s_waitcnt lgkmcnt(0)
	v_fma_f64 v[114:115], -v[146:147], v[210:211], v[114:115]
	v_fma_f64 v[142:143], -v[146:147], v[212:213], v[142:143]
	;; [unrolled: 4-line block ×8, first 2 shown]
.LBB97_166:
	s_or_b32 exec_lo, exec_lo, s1
	s_mov_b32 s1, exec_lo
	s_waitcnt lgkmcnt(0)
	s_barrier
	buffer_gl0_inv
	v_cmpx_eq_u32_e32 33, v0
	s_cbranch_execz .LBB97_169
; %bb.167:
	v_mov_b32_e32 v5, v144
	v_mov_b32_e32 v6, v145
	;; [unrolled: 1-line block ×4, first 2 shown]
	ds_write_b64 v1, v[116:117]
	ds_write2_b64 v4, v[5:6], v[7:8] offset0:34 offset1:35
	v_mov_b32_e32 v5, v142
	v_mov_b32_e32 v6, v143
	v_mov_b32_e32 v7, v112
	v_mov_b32_e32 v8, v113
	ds_write2_b64 v4, v[5:6], v[7:8] offset0:36 offset1:37
	v_mov_b32_e32 v5, v140
	v_mov_b32_e32 v6, v141
	v_mov_b32_e32 v7, v110
	v_mov_b32_e32 v8, v111
	;; [unrolled: 5-line block ×6, first 2 shown]
	ds_write2_b64 v4, v[5:6], v[7:8] offset0:46 offset1:47
	ds_write_b64 v4, v[198:199] offset:384
	ds_read_b64 v[210:211], v1
	s_waitcnt lgkmcnt(0)
	v_cmp_neq_f64_e32 vcc_lo, 0, v[210:211]
	s_and_b32 exec_lo, exec_lo, vcc_lo
	s_cbranch_execz .LBB97_169
; %bb.168:
	v_div_scale_f64 v[5:6], null, v[210:211], v[210:211], 1.0
	v_rcp_f64_e32 v[7:8], v[5:6]
	v_fma_f64 v[212:213], -v[5:6], v[7:8], 1.0
	v_fma_f64 v[7:8], v[7:8], v[212:213], v[7:8]
	v_fma_f64 v[212:213], -v[5:6], v[7:8], 1.0
	v_fma_f64 v[7:8], v[7:8], v[212:213], v[7:8]
	v_div_scale_f64 v[212:213], vcc_lo, 1.0, v[210:211], 1.0
	v_mul_f64 v[214:215], v[212:213], v[7:8]
	v_fma_f64 v[5:6], -v[5:6], v[214:215], v[212:213]
	v_div_fmas_f64 v[5:6], v[5:6], v[7:8], v[214:215]
	v_div_fixup_f64 v[5:6], v[5:6], v[210:211], 1.0
	ds_write_b64 v1, v[5:6]
.LBB97_169:
	s_or_b32 exec_lo, exec_lo, s1
	s_waitcnt lgkmcnt(0)
	s_barrier
	buffer_gl0_inv
	ds_read_b64 v[210:211], v1
	s_mov_b32 s1, exec_lo
	v_cmpx_lt_u32_e32 33, v0
	s_cbranch_execz .LBB97_171
; %bb.170:
	s_waitcnt lgkmcnt(0)
	v_mul_f64 v[116:117], v[210:211], v[116:117]
	ds_read2_b64 v[212:215], v4 offset0:34 offset1:35
	ds_read_b64 v[5:6], v4 offset:384
	s_waitcnt lgkmcnt(1)
	v_fma_f64 v[144:145], -v[116:117], v[212:213], v[144:145]
	v_fma_f64 v[114:115], -v[116:117], v[214:215], v[114:115]
	ds_read2_b64 v[212:215], v4 offset0:36 offset1:37
	s_waitcnt lgkmcnt(1)
	v_fma_f64 v[198:199], -v[116:117], v[5:6], v[198:199]
	s_waitcnt lgkmcnt(0)
	v_fma_f64 v[142:143], -v[116:117], v[212:213], v[142:143]
	v_fma_f64 v[112:113], -v[116:117], v[214:215], v[112:113]
	ds_read2_b64 v[212:215], v4 offset0:38 offset1:39
	s_waitcnt lgkmcnt(0)
	v_fma_f64 v[140:141], -v[116:117], v[212:213], v[140:141]
	v_fma_f64 v[110:111], -v[116:117], v[214:215], v[110:111]
	ds_read2_b64 v[212:215], v4 offset0:40 offset1:41
	;; [unrolled: 4-line block ×5, first 2 shown]
	s_waitcnt lgkmcnt(0)
	v_fma_f64 v[132:133], -v[116:117], v[212:213], v[132:133]
	v_fma_f64 v[102:103], -v[116:117], v[214:215], v[102:103]
.LBB97_171:
	s_or_b32 exec_lo, exec_lo, s1
	s_mov_b32 s1, exec_lo
	s_waitcnt lgkmcnt(0)
	s_barrier
	buffer_gl0_inv
	v_cmpx_eq_u32_e32 34, v0
	s_cbranch_execz .LBB97_174
; %bb.172:
	ds_write_b64 v1, v[144:145]
	ds_write2_b64 v4, v[114:115], v[142:143] offset0:35 offset1:36
	ds_write2_b64 v4, v[112:113], v[140:141] offset0:37 offset1:38
	;; [unrolled: 1-line block ×7, first 2 shown]
	ds_read_b64 v[212:213], v1
	s_waitcnt lgkmcnt(0)
	v_cmp_neq_f64_e32 vcc_lo, 0, v[212:213]
	s_and_b32 exec_lo, exec_lo, vcc_lo
	s_cbranch_execz .LBB97_174
; %bb.173:
	v_div_scale_f64 v[5:6], null, v[212:213], v[212:213], 1.0
	v_rcp_f64_e32 v[7:8], v[5:6]
	v_fma_f64 v[214:215], -v[5:6], v[7:8], 1.0
	v_fma_f64 v[7:8], v[7:8], v[214:215], v[7:8]
	v_fma_f64 v[214:215], -v[5:6], v[7:8], 1.0
	v_fma_f64 v[7:8], v[7:8], v[214:215], v[7:8]
	v_div_scale_f64 v[214:215], vcc_lo, 1.0, v[212:213], 1.0
	v_mul_f64 v[216:217], v[214:215], v[7:8]
	v_fma_f64 v[5:6], -v[5:6], v[216:217], v[214:215]
	v_div_fmas_f64 v[5:6], v[5:6], v[7:8], v[216:217]
	v_div_fixup_f64 v[5:6], v[5:6], v[212:213], 1.0
	ds_write_b64 v1, v[5:6]
.LBB97_174:
	s_or_b32 exec_lo, exec_lo, s1
	s_waitcnt lgkmcnt(0)
	s_barrier
	buffer_gl0_inv
	ds_read_b64 v[212:213], v1
	s_mov_b32 s1, exec_lo
	v_cmpx_lt_u32_e32 34, v0
	s_cbranch_execz .LBB97_176
; %bb.175:
	s_waitcnt lgkmcnt(0)
	v_mul_f64 v[144:145], v[212:213], v[144:145]
	ds_read2_b64 v[214:217], v4 offset0:35 offset1:36
	s_waitcnt lgkmcnt(0)
	v_fma_f64 v[114:115], -v[144:145], v[214:215], v[114:115]
	v_fma_f64 v[142:143], -v[144:145], v[216:217], v[142:143]
	ds_read2_b64 v[214:217], v4 offset0:37 offset1:38
	s_waitcnt lgkmcnt(0)
	v_fma_f64 v[112:113], -v[144:145], v[214:215], v[112:113]
	v_fma_f64 v[140:141], -v[144:145], v[216:217], v[140:141]
	;; [unrolled: 4-line block ×7, first 2 shown]
.LBB97_176:
	s_or_b32 exec_lo, exec_lo, s1
	s_mov_b32 s1, exec_lo
	s_waitcnt lgkmcnt(0)
	s_barrier
	buffer_gl0_inv
	v_cmpx_eq_u32_e32 35, v0
	s_cbranch_execz .LBB97_179
; %bb.177:
	v_mov_b32_e32 v5, v142
	v_mov_b32_e32 v6, v143
	;; [unrolled: 1-line block ×4, first 2 shown]
	ds_write_b64 v1, v[114:115]
	ds_write2_b64 v4, v[5:6], v[7:8] offset0:36 offset1:37
	v_mov_b32_e32 v5, v140
	v_mov_b32_e32 v6, v141
	v_mov_b32_e32 v7, v110
	v_mov_b32_e32 v8, v111
	ds_write2_b64 v4, v[5:6], v[7:8] offset0:38 offset1:39
	v_mov_b32_e32 v5, v138
	v_mov_b32_e32 v6, v139
	v_mov_b32_e32 v7, v108
	v_mov_b32_e32 v8, v109
	ds_write2_b64 v4, v[5:6], v[7:8] offset0:40 offset1:41
	v_mov_b32_e32 v5, v136
	v_mov_b32_e32 v6, v137
	v_mov_b32_e32 v7, v106
	v_mov_b32_e32 v8, v107
	ds_write2_b64 v4, v[5:6], v[7:8] offset0:42 offset1:43
	v_mov_b32_e32 v5, v134
	v_mov_b32_e32 v6, v135
	v_mov_b32_e32 v7, v104
	v_mov_b32_e32 v8, v105
	ds_write2_b64 v4, v[5:6], v[7:8] offset0:44 offset1:45
	v_mov_b32_e32 v5, v132
	v_mov_b32_e32 v6, v133
	v_mov_b32_e32 v7, v102
	v_mov_b32_e32 v8, v103
	ds_write2_b64 v4, v[5:6], v[7:8] offset0:46 offset1:47
	ds_write_b64 v4, v[198:199] offset:384
	ds_read_b64 v[214:215], v1
	s_waitcnt lgkmcnt(0)
	v_cmp_neq_f64_e32 vcc_lo, 0, v[214:215]
	s_and_b32 exec_lo, exec_lo, vcc_lo
	s_cbranch_execz .LBB97_179
; %bb.178:
	v_div_scale_f64 v[5:6], null, v[214:215], v[214:215], 1.0
	v_rcp_f64_e32 v[7:8], v[5:6]
	v_fma_f64 v[216:217], -v[5:6], v[7:8], 1.0
	v_fma_f64 v[7:8], v[7:8], v[216:217], v[7:8]
	v_fma_f64 v[216:217], -v[5:6], v[7:8], 1.0
	v_fma_f64 v[7:8], v[7:8], v[216:217], v[7:8]
	v_div_scale_f64 v[216:217], vcc_lo, 1.0, v[214:215], 1.0
	v_mul_f64 v[218:219], v[216:217], v[7:8]
	v_fma_f64 v[5:6], -v[5:6], v[218:219], v[216:217]
	v_div_fmas_f64 v[5:6], v[5:6], v[7:8], v[218:219]
	v_div_fixup_f64 v[5:6], v[5:6], v[214:215], 1.0
	ds_write_b64 v1, v[5:6]
.LBB97_179:
	s_or_b32 exec_lo, exec_lo, s1
	s_waitcnt lgkmcnt(0)
	s_barrier
	buffer_gl0_inv
	ds_read_b64 v[214:215], v1
	s_mov_b32 s1, exec_lo
	v_cmpx_lt_u32_e32 35, v0
	s_cbranch_execz .LBB97_181
; %bb.180:
	s_waitcnt lgkmcnt(0)
	v_mul_f64 v[114:115], v[214:215], v[114:115]
	ds_read2_b64 v[216:219], v4 offset0:36 offset1:37
	ds_read_b64 v[5:6], v4 offset:384
	s_waitcnt lgkmcnt(1)
	v_fma_f64 v[142:143], -v[114:115], v[216:217], v[142:143]
	v_fma_f64 v[112:113], -v[114:115], v[218:219], v[112:113]
	ds_read2_b64 v[216:219], v4 offset0:38 offset1:39
	s_waitcnt lgkmcnt(1)
	v_fma_f64 v[198:199], -v[114:115], v[5:6], v[198:199]
	s_waitcnt lgkmcnt(0)
	v_fma_f64 v[140:141], -v[114:115], v[216:217], v[140:141]
	v_fma_f64 v[110:111], -v[114:115], v[218:219], v[110:111]
	ds_read2_b64 v[216:219], v4 offset0:40 offset1:41
	s_waitcnt lgkmcnt(0)
	v_fma_f64 v[138:139], -v[114:115], v[216:217], v[138:139]
	v_fma_f64 v[108:109], -v[114:115], v[218:219], v[108:109]
	ds_read2_b64 v[216:219], v4 offset0:42 offset1:43
	;; [unrolled: 4-line block ×4, first 2 shown]
	s_waitcnt lgkmcnt(0)
	v_fma_f64 v[132:133], -v[114:115], v[216:217], v[132:133]
	v_fma_f64 v[102:103], -v[114:115], v[218:219], v[102:103]
.LBB97_181:
	s_or_b32 exec_lo, exec_lo, s1
	s_mov_b32 s1, exec_lo
	s_waitcnt lgkmcnt(0)
	s_barrier
	buffer_gl0_inv
	v_cmpx_eq_u32_e32 36, v0
	s_cbranch_execz .LBB97_184
; %bb.182:
	ds_write_b64 v1, v[142:143]
	ds_write2_b64 v4, v[112:113], v[140:141] offset0:37 offset1:38
	ds_write2_b64 v4, v[110:111], v[138:139] offset0:39 offset1:40
	;; [unrolled: 1-line block ×6, first 2 shown]
	ds_read_b64 v[216:217], v1
	s_waitcnt lgkmcnt(0)
	v_cmp_neq_f64_e32 vcc_lo, 0, v[216:217]
	s_and_b32 exec_lo, exec_lo, vcc_lo
	s_cbranch_execz .LBB97_184
; %bb.183:
	v_div_scale_f64 v[5:6], null, v[216:217], v[216:217], 1.0
	v_rcp_f64_e32 v[7:8], v[5:6]
	v_fma_f64 v[218:219], -v[5:6], v[7:8], 1.0
	v_fma_f64 v[7:8], v[7:8], v[218:219], v[7:8]
	v_fma_f64 v[218:219], -v[5:6], v[7:8], 1.0
	v_fma_f64 v[7:8], v[7:8], v[218:219], v[7:8]
	v_div_scale_f64 v[218:219], vcc_lo, 1.0, v[216:217], 1.0
	v_mul_f64 v[220:221], v[218:219], v[7:8]
	v_fma_f64 v[5:6], -v[5:6], v[220:221], v[218:219]
	v_div_fmas_f64 v[5:6], v[5:6], v[7:8], v[220:221]
	v_div_fixup_f64 v[5:6], v[5:6], v[216:217], 1.0
	ds_write_b64 v1, v[5:6]
.LBB97_184:
	s_or_b32 exec_lo, exec_lo, s1
	s_waitcnt lgkmcnt(0)
	s_barrier
	buffer_gl0_inv
	ds_read_b64 v[216:217], v1
	s_mov_b32 s1, exec_lo
	v_cmpx_lt_u32_e32 36, v0
	s_cbranch_execz .LBB97_186
; %bb.185:
	s_waitcnt lgkmcnt(0)
	v_mul_f64 v[142:143], v[216:217], v[142:143]
	ds_read2_b64 v[218:221], v4 offset0:37 offset1:38
	s_waitcnt lgkmcnt(0)
	v_fma_f64 v[112:113], -v[142:143], v[218:219], v[112:113]
	v_fma_f64 v[140:141], -v[142:143], v[220:221], v[140:141]
	ds_read2_b64 v[218:221], v4 offset0:39 offset1:40
	s_waitcnt lgkmcnt(0)
	v_fma_f64 v[110:111], -v[142:143], v[218:219], v[110:111]
	v_fma_f64 v[138:139], -v[142:143], v[220:221], v[138:139]
	;; [unrolled: 4-line block ×6, first 2 shown]
.LBB97_186:
	s_or_b32 exec_lo, exec_lo, s1
	s_mov_b32 s1, exec_lo
	s_waitcnt lgkmcnt(0)
	s_barrier
	buffer_gl0_inv
	v_cmpx_eq_u32_e32 37, v0
	s_cbranch_execz .LBB97_189
; %bb.187:
	v_mov_b32_e32 v5, v140
	v_mov_b32_e32 v6, v141
	;; [unrolled: 1-line block ×4, first 2 shown]
	ds_write_b64 v1, v[112:113]
	ds_write2_b64 v4, v[5:6], v[7:8] offset0:38 offset1:39
	v_mov_b32_e32 v5, v138
	v_mov_b32_e32 v6, v139
	v_mov_b32_e32 v7, v108
	v_mov_b32_e32 v8, v109
	ds_write2_b64 v4, v[5:6], v[7:8] offset0:40 offset1:41
	v_mov_b32_e32 v5, v136
	v_mov_b32_e32 v6, v137
	v_mov_b32_e32 v7, v106
	v_mov_b32_e32 v8, v107
	;; [unrolled: 5-line block ×4, first 2 shown]
	ds_write2_b64 v4, v[5:6], v[7:8] offset0:46 offset1:47
	ds_write_b64 v4, v[198:199] offset:384
	ds_read_b64 v[218:219], v1
	s_waitcnt lgkmcnt(0)
	v_cmp_neq_f64_e32 vcc_lo, 0, v[218:219]
	s_and_b32 exec_lo, exec_lo, vcc_lo
	s_cbranch_execz .LBB97_189
; %bb.188:
	v_div_scale_f64 v[5:6], null, v[218:219], v[218:219], 1.0
	v_rcp_f64_e32 v[7:8], v[5:6]
	v_fma_f64 v[220:221], -v[5:6], v[7:8], 1.0
	v_fma_f64 v[7:8], v[7:8], v[220:221], v[7:8]
	v_fma_f64 v[220:221], -v[5:6], v[7:8], 1.0
	v_fma_f64 v[7:8], v[7:8], v[220:221], v[7:8]
	v_div_scale_f64 v[220:221], vcc_lo, 1.0, v[218:219], 1.0
	v_mul_f64 v[222:223], v[220:221], v[7:8]
	v_fma_f64 v[5:6], -v[5:6], v[222:223], v[220:221]
	v_div_fmas_f64 v[5:6], v[5:6], v[7:8], v[222:223]
	v_div_fixup_f64 v[5:6], v[5:6], v[218:219], 1.0
	ds_write_b64 v1, v[5:6]
.LBB97_189:
	s_or_b32 exec_lo, exec_lo, s1
	s_waitcnt lgkmcnt(0)
	s_barrier
	buffer_gl0_inv
	ds_read_b64 v[218:219], v1
	s_mov_b32 s1, exec_lo
	v_cmpx_lt_u32_e32 37, v0
	s_cbranch_execz .LBB97_191
; %bb.190:
	s_waitcnt lgkmcnt(0)
	v_mul_f64 v[112:113], v[218:219], v[112:113]
	ds_read2_b64 v[220:223], v4 offset0:38 offset1:39
	ds_read_b64 v[5:6], v4 offset:384
	s_waitcnt lgkmcnt(1)
	v_fma_f64 v[140:141], -v[112:113], v[220:221], v[140:141]
	v_fma_f64 v[110:111], -v[112:113], v[222:223], v[110:111]
	ds_read2_b64 v[220:223], v4 offset0:40 offset1:41
	s_waitcnt lgkmcnt(1)
	v_fma_f64 v[198:199], -v[112:113], v[5:6], v[198:199]
	s_waitcnt lgkmcnt(0)
	v_fma_f64 v[138:139], -v[112:113], v[220:221], v[138:139]
	v_fma_f64 v[108:109], -v[112:113], v[222:223], v[108:109]
	ds_read2_b64 v[220:223], v4 offset0:42 offset1:43
	s_waitcnt lgkmcnt(0)
	v_fma_f64 v[136:137], -v[112:113], v[220:221], v[136:137]
	v_fma_f64 v[106:107], -v[112:113], v[222:223], v[106:107]
	ds_read2_b64 v[220:223], v4 offset0:44 offset1:45
	s_waitcnt lgkmcnt(0)
	v_fma_f64 v[134:135], -v[112:113], v[220:221], v[134:135]
	v_fma_f64 v[104:105], -v[112:113], v[222:223], v[104:105]
	ds_read2_b64 v[220:223], v4 offset0:46 offset1:47
	s_waitcnt lgkmcnt(0)
	v_fma_f64 v[132:133], -v[112:113], v[220:221], v[132:133]
	v_fma_f64 v[102:103], -v[112:113], v[222:223], v[102:103]
.LBB97_191:
	s_or_b32 exec_lo, exec_lo, s1
	s_mov_b32 s1, exec_lo
	s_waitcnt lgkmcnt(0)
	s_barrier
	buffer_gl0_inv
	v_cmpx_eq_u32_e32 38, v0
	s_cbranch_execz .LBB97_194
; %bb.192:
	ds_write_b64 v1, v[140:141]
	ds_write2_b64 v4, v[110:111], v[138:139] offset0:39 offset1:40
	ds_write2_b64 v4, v[108:109], v[136:137] offset0:41 offset1:42
	;; [unrolled: 1-line block ×5, first 2 shown]
	ds_read_b64 v[220:221], v1
	s_waitcnt lgkmcnt(0)
	v_cmp_neq_f64_e32 vcc_lo, 0, v[220:221]
	s_and_b32 exec_lo, exec_lo, vcc_lo
	s_cbranch_execz .LBB97_194
; %bb.193:
	v_div_scale_f64 v[5:6], null, v[220:221], v[220:221], 1.0
	v_rcp_f64_e32 v[7:8], v[5:6]
	v_fma_f64 v[222:223], -v[5:6], v[7:8], 1.0
	v_fma_f64 v[7:8], v[7:8], v[222:223], v[7:8]
	v_fma_f64 v[222:223], -v[5:6], v[7:8], 1.0
	v_fma_f64 v[7:8], v[7:8], v[222:223], v[7:8]
	v_div_scale_f64 v[222:223], vcc_lo, 1.0, v[220:221], 1.0
	v_mul_f64 v[224:225], v[222:223], v[7:8]
	v_fma_f64 v[5:6], -v[5:6], v[224:225], v[222:223]
	v_div_fmas_f64 v[5:6], v[5:6], v[7:8], v[224:225]
	v_div_fixup_f64 v[5:6], v[5:6], v[220:221], 1.0
	ds_write_b64 v1, v[5:6]
.LBB97_194:
	s_or_b32 exec_lo, exec_lo, s1
	s_waitcnt lgkmcnt(0)
	s_barrier
	buffer_gl0_inv
	ds_read_b64 v[220:221], v1
	s_mov_b32 s1, exec_lo
	v_cmpx_lt_u32_e32 38, v0
	s_cbranch_execz .LBB97_196
; %bb.195:
	s_waitcnt lgkmcnt(0)
	v_mul_f64 v[140:141], v[220:221], v[140:141]
	ds_read2_b64 v[222:225], v4 offset0:39 offset1:40
	s_waitcnt lgkmcnt(0)
	v_fma_f64 v[110:111], -v[140:141], v[222:223], v[110:111]
	v_fma_f64 v[138:139], -v[140:141], v[224:225], v[138:139]
	ds_read2_b64 v[222:225], v4 offset0:41 offset1:42
	s_waitcnt lgkmcnt(0)
	v_fma_f64 v[108:109], -v[140:141], v[222:223], v[108:109]
	v_fma_f64 v[136:137], -v[140:141], v[224:225], v[136:137]
	;; [unrolled: 4-line block ×5, first 2 shown]
.LBB97_196:
	s_or_b32 exec_lo, exec_lo, s1
	s_mov_b32 s1, exec_lo
	s_waitcnt lgkmcnt(0)
	s_barrier
	buffer_gl0_inv
	v_cmpx_eq_u32_e32 39, v0
	s_cbranch_execz .LBB97_199
; %bb.197:
	v_mov_b32_e32 v5, v138
	v_mov_b32_e32 v6, v139
	;; [unrolled: 1-line block ×4, first 2 shown]
	ds_write_b64 v1, v[110:111]
	ds_write2_b64 v4, v[5:6], v[7:8] offset0:40 offset1:41
	v_mov_b32_e32 v5, v136
	v_mov_b32_e32 v6, v137
	v_mov_b32_e32 v7, v106
	v_mov_b32_e32 v8, v107
	ds_write2_b64 v4, v[5:6], v[7:8] offset0:42 offset1:43
	v_mov_b32_e32 v5, v134
	v_mov_b32_e32 v6, v135
	v_mov_b32_e32 v7, v104
	v_mov_b32_e32 v8, v105
	;; [unrolled: 5-line block ×3, first 2 shown]
	ds_write2_b64 v4, v[5:6], v[7:8] offset0:46 offset1:47
	ds_write_b64 v4, v[198:199] offset:384
	ds_read_b64 v[222:223], v1
	s_waitcnt lgkmcnt(0)
	v_cmp_neq_f64_e32 vcc_lo, 0, v[222:223]
	s_and_b32 exec_lo, exec_lo, vcc_lo
	s_cbranch_execz .LBB97_199
; %bb.198:
	v_div_scale_f64 v[5:6], null, v[222:223], v[222:223], 1.0
	v_rcp_f64_e32 v[7:8], v[5:6]
	v_fma_f64 v[224:225], -v[5:6], v[7:8], 1.0
	v_fma_f64 v[7:8], v[7:8], v[224:225], v[7:8]
	v_fma_f64 v[224:225], -v[5:6], v[7:8], 1.0
	v_fma_f64 v[7:8], v[7:8], v[224:225], v[7:8]
	v_div_scale_f64 v[224:225], vcc_lo, 1.0, v[222:223], 1.0
	v_mul_f64 v[226:227], v[224:225], v[7:8]
	v_fma_f64 v[5:6], -v[5:6], v[226:227], v[224:225]
	v_div_fmas_f64 v[5:6], v[5:6], v[7:8], v[226:227]
	v_div_fixup_f64 v[5:6], v[5:6], v[222:223], 1.0
	ds_write_b64 v1, v[5:6]
.LBB97_199:
	s_or_b32 exec_lo, exec_lo, s1
	s_waitcnt lgkmcnt(0)
	s_barrier
	buffer_gl0_inv
	ds_read_b64 v[222:223], v1
	s_mov_b32 s1, exec_lo
	v_cmpx_lt_u32_e32 39, v0
	s_cbranch_execz .LBB97_201
; %bb.200:
	s_waitcnt lgkmcnt(0)
	v_mul_f64 v[110:111], v[222:223], v[110:111]
	ds_read2_b64 v[224:227], v4 offset0:40 offset1:41
	ds_read_b64 v[5:6], v4 offset:384
	s_waitcnt lgkmcnt(1)
	v_fma_f64 v[138:139], -v[110:111], v[224:225], v[138:139]
	v_fma_f64 v[108:109], -v[110:111], v[226:227], v[108:109]
	ds_read2_b64 v[224:227], v4 offset0:42 offset1:43
	s_waitcnt lgkmcnt(1)
	v_fma_f64 v[198:199], -v[110:111], v[5:6], v[198:199]
	s_waitcnt lgkmcnt(0)
	v_fma_f64 v[136:137], -v[110:111], v[224:225], v[136:137]
	v_fma_f64 v[106:107], -v[110:111], v[226:227], v[106:107]
	ds_read2_b64 v[224:227], v4 offset0:44 offset1:45
	s_waitcnt lgkmcnt(0)
	v_fma_f64 v[134:135], -v[110:111], v[224:225], v[134:135]
	v_fma_f64 v[104:105], -v[110:111], v[226:227], v[104:105]
	ds_read2_b64 v[224:227], v4 offset0:46 offset1:47
	s_waitcnt lgkmcnt(0)
	v_fma_f64 v[132:133], -v[110:111], v[224:225], v[132:133]
	v_fma_f64 v[102:103], -v[110:111], v[226:227], v[102:103]
.LBB97_201:
	s_or_b32 exec_lo, exec_lo, s1
	s_mov_b32 s1, exec_lo
	s_waitcnt lgkmcnt(0)
	s_barrier
	buffer_gl0_inv
	v_cmpx_eq_u32_e32 40, v0
	s_cbranch_execz .LBB97_204
; %bb.202:
	ds_write_b64 v1, v[138:139]
	ds_write2_b64 v4, v[108:109], v[136:137] offset0:41 offset1:42
	ds_write2_b64 v4, v[106:107], v[134:135] offset0:43 offset1:44
	;; [unrolled: 1-line block ×4, first 2 shown]
	ds_read_b64 v[224:225], v1
	s_waitcnt lgkmcnt(0)
	v_cmp_neq_f64_e32 vcc_lo, 0, v[224:225]
	s_and_b32 exec_lo, exec_lo, vcc_lo
	s_cbranch_execz .LBB97_204
; %bb.203:
	v_div_scale_f64 v[5:6], null, v[224:225], v[224:225], 1.0
	v_rcp_f64_e32 v[7:8], v[5:6]
	v_fma_f64 v[226:227], -v[5:6], v[7:8], 1.0
	v_fma_f64 v[7:8], v[7:8], v[226:227], v[7:8]
	v_fma_f64 v[226:227], -v[5:6], v[7:8], 1.0
	v_fma_f64 v[7:8], v[7:8], v[226:227], v[7:8]
	v_div_scale_f64 v[226:227], vcc_lo, 1.0, v[224:225], 1.0
	v_mul_f64 v[228:229], v[226:227], v[7:8]
	v_fma_f64 v[5:6], -v[5:6], v[228:229], v[226:227]
	v_div_fmas_f64 v[5:6], v[5:6], v[7:8], v[228:229]
	v_div_fixup_f64 v[5:6], v[5:6], v[224:225], 1.0
	ds_write_b64 v1, v[5:6]
.LBB97_204:
	s_or_b32 exec_lo, exec_lo, s1
	s_waitcnt lgkmcnt(0)
	s_barrier
	buffer_gl0_inv
	ds_read_b64 v[224:225], v1
	s_mov_b32 s1, exec_lo
	v_cmpx_lt_u32_e32 40, v0
	s_cbranch_execz .LBB97_206
; %bb.205:
	s_waitcnt lgkmcnt(0)
	v_mul_f64 v[138:139], v[224:225], v[138:139]
	ds_read2_b64 v[226:229], v4 offset0:41 offset1:42
	s_waitcnt lgkmcnt(0)
	v_fma_f64 v[108:109], -v[138:139], v[226:227], v[108:109]
	v_fma_f64 v[136:137], -v[138:139], v[228:229], v[136:137]
	ds_read2_b64 v[226:229], v4 offset0:43 offset1:44
	s_waitcnt lgkmcnt(0)
	v_fma_f64 v[106:107], -v[138:139], v[226:227], v[106:107]
	v_fma_f64 v[134:135], -v[138:139], v[228:229], v[134:135]
	;; [unrolled: 4-line block ×4, first 2 shown]
.LBB97_206:
	s_or_b32 exec_lo, exec_lo, s1
	s_mov_b32 s1, exec_lo
	s_waitcnt lgkmcnt(0)
	s_barrier
	buffer_gl0_inv
	v_cmpx_eq_u32_e32 41, v0
	s_cbranch_execz .LBB97_209
; %bb.207:
	v_mov_b32_e32 v5, v136
	v_mov_b32_e32 v6, v137
	;; [unrolled: 1-line block ×4, first 2 shown]
	ds_write_b64 v1, v[108:109]
	ds_write2_b64 v4, v[5:6], v[7:8] offset0:42 offset1:43
	v_mov_b32_e32 v5, v134
	v_mov_b32_e32 v6, v135
	;; [unrolled: 1-line block ×4, first 2 shown]
	ds_write2_b64 v4, v[5:6], v[7:8] offset0:44 offset1:45
	v_mov_b32_e32 v5, v132
	v_mov_b32_e32 v6, v133
	;; [unrolled: 1-line block ×4, first 2 shown]
	ds_write2_b64 v4, v[5:6], v[7:8] offset0:46 offset1:47
	ds_write_b64 v4, v[198:199] offset:384
	ds_read_b64 v[226:227], v1
	s_waitcnt lgkmcnt(0)
	v_cmp_neq_f64_e32 vcc_lo, 0, v[226:227]
	s_and_b32 exec_lo, exec_lo, vcc_lo
	s_cbranch_execz .LBB97_209
; %bb.208:
	v_div_scale_f64 v[5:6], null, v[226:227], v[226:227], 1.0
	v_rcp_f64_e32 v[7:8], v[5:6]
	v_fma_f64 v[228:229], -v[5:6], v[7:8], 1.0
	v_fma_f64 v[7:8], v[7:8], v[228:229], v[7:8]
	v_fma_f64 v[228:229], -v[5:6], v[7:8], 1.0
	v_fma_f64 v[7:8], v[7:8], v[228:229], v[7:8]
	v_div_scale_f64 v[228:229], vcc_lo, 1.0, v[226:227], 1.0
	v_mul_f64 v[230:231], v[228:229], v[7:8]
	v_fma_f64 v[5:6], -v[5:6], v[230:231], v[228:229]
	v_div_fmas_f64 v[5:6], v[5:6], v[7:8], v[230:231]
	v_div_fixup_f64 v[5:6], v[5:6], v[226:227], 1.0
	ds_write_b64 v1, v[5:6]
.LBB97_209:
	s_or_b32 exec_lo, exec_lo, s1
	s_waitcnt lgkmcnt(0)
	s_barrier
	buffer_gl0_inv
	ds_read_b64 v[228:229], v1
	s_mov_b32 s1, exec_lo
	v_cmpx_lt_u32_e32 41, v0
	s_cbranch_execz .LBB97_211
; %bb.210:
	s_waitcnt lgkmcnt(0)
	v_mul_f64 v[108:109], v[228:229], v[108:109]
	ds_read2_b64 v[230:233], v4 offset0:42 offset1:43
	ds_read_b64 v[5:6], v4 offset:384
	s_waitcnt lgkmcnt(1)
	v_fma_f64 v[136:137], -v[108:109], v[230:231], v[136:137]
	v_fma_f64 v[106:107], -v[108:109], v[232:233], v[106:107]
	ds_read2_b64 v[230:233], v4 offset0:44 offset1:45
	s_waitcnt lgkmcnt(1)
	v_fma_f64 v[198:199], -v[108:109], v[5:6], v[198:199]
	s_waitcnt lgkmcnt(0)
	v_fma_f64 v[134:135], -v[108:109], v[230:231], v[134:135]
	v_fma_f64 v[104:105], -v[108:109], v[232:233], v[104:105]
	ds_read2_b64 v[230:233], v4 offset0:46 offset1:47
	s_waitcnt lgkmcnt(0)
	v_fma_f64 v[132:133], -v[108:109], v[230:231], v[132:133]
	v_fma_f64 v[102:103], -v[108:109], v[232:233], v[102:103]
.LBB97_211:
	s_or_b32 exec_lo, exec_lo, s1
	s_mov_b32 s1, exec_lo
	s_waitcnt lgkmcnt(0)
	s_barrier
	buffer_gl0_inv
	v_cmpx_eq_u32_e32 42, v0
	s_cbranch_execz .LBB97_214
; %bb.212:
	ds_write_b64 v1, v[136:137]
	ds_write2_b64 v4, v[106:107], v[134:135] offset0:43 offset1:44
	ds_write2_b64 v4, v[104:105], v[132:133] offset0:45 offset1:46
	;; [unrolled: 1-line block ×3, first 2 shown]
	ds_read_b64 v[226:227], v1
	s_waitcnt lgkmcnt(0)
	v_cmp_neq_f64_e32 vcc_lo, 0, v[226:227]
	s_and_b32 exec_lo, exec_lo, vcc_lo
	s_cbranch_execz .LBB97_214
; %bb.213:
	v_div_scale_f64 v[5:6], null, v[226:227], v[226:227], 1.0
	v_rcp_f64_e32 v[7:8], v[5:6]
	v_fma_f64 v[230:231], -v[5:6], v[7:8], 1.0
	v_fma_f64 v[7:8], v[7:8], v[230:231], v[7:8]
	v_fma_f64 v[230:231], -v[5:6], v[7:8], 1.0
	v_fma_f64 v[7:8], v[7:8], v[230:231], v[7:8]
	v_div_scale_f64 v[230:231], vcc_lo, 1.0, v[226:227], 1.0
	v_mul_f64 v[232:233], v[230:231], v[7:8]
	v_fma_f64 v[5:6], -v[5:6], v[232:233], v[230:231]
	v_div_fmas_f64 v[5:6], v[5:6], v[7:8], v[232:233]
	v_div_fixup_f64 v[5:6], v[5:6], v[226:227], 1.0
	ds_write_b64 v1, v[5:6]
.LBB97_214:
	s_or_b32 exec_lo, exec_lo, s1
	s_waitcnt lgkmcnt(0)
	s_barrier
	buffer_gl0_inv
	ds_read_b64 v[230:231], v1
	s_mov_b32 s1, exec_lo
	v_cmpx_lt_u32_e32 42, v0
	s_cbranch_execz .LBB97_216
; %bb.215:
	s_waitcnt lgkmcnt(0)
	v_mul_f64 v[136:137], v[230:231], v[136:137]
	ds_read2_b64 v[232:235], v4 offset0:43 offset1:44
	s_waitcnt lgkmcnt(0)
	v_fma_f64 v[106:107], -v[136:137], v[232:233], v[106:107]
	v_fma_f64 v[134:135], -v[136:137], v[234:235], v[134:135]
	ds_read2_b64 v[232:235], v4 offset0:45 offset1:46
	s_waitcnt lgkmcnt(0)
	v_fma_f64 v[104:105], -v[136:137], v[232:233], v[104:105]
	v_fma_f64 v[132:133], -v[136:137], v[234:235], v[132:133]
	;; [unrolled: 4-line block ×3, first 2 shown]
.LBB97_216:
	s_or_b32 exec_lo, exec_lo, s1
	s_mov_b32 s1, exec_lo
	s_waitcnt lgkmcnt(0)
	s_barrier
	buffer_gl0_inv
	v_cmpx_eq_u32_e32 43, v0
	s_cbranch_execz .LBB97_219
; %bb.217:
	v_mov_b32_e32 v5, v134
	v_mov_b32_e32 v6, v135
	;; [unrolled: 1-line block ×4, first 2 shown]
	ds_write_b64 v1, v[106:107]
	ds_write2_b64 v4, v[5:6], v[7:8] offset0:44 offset1:45
	v_mov_b32_e32 v5, v132
	v_mov_b32_e32 v6, v133
	;; [unrolled: 1-line block ×4, first 2 shown]
	ds_write2_b64 v4, v[5:6], v[7:8] offset0:46 offset1:47
	ds_write_b64 v4, v[198:199] offset:384
	ds_read_b64 v[226:227], v1
	s_waitcnt lgkmcnt(0)
	v_cmp_neq_f64_e32 vcc_lo, 0, v[226:227]
	s_and_b32 exec_lo, exec_lo, vcc_lo
	s_cbranch_execz .LBB97_219
; %bb.218:
	v_div_scale_f64 v[5:6], null, v[226:227], v[226:227], 1.0
	v_rcp_f64_e32 v[7:8], v[5:6]
	v_fma_f64 v[232:233], -v[5:6], v[7:8], 1.0
	v_fma_f64 v[7:8], v[7:8], v[232:233], v[7:8]
	v_fma_f64 v[232:233], -v[5:6], v[7:8], 1.0
	v_fma_f64 v[7:8], v[7:8], v[232:233], v[7:8]
	v_div_scale_f64 v[232:233], vcc_lo, 1.0, v[226:227], 1.0
	v_mul_f64 v[234:235], v[232:233], v[7:8]
	v_fma_f64 v[5:6], -v[5:6], v[234:235], v[232:233]
	v_div_fmas_f64 v[5:6], v[5:6], v[7:8], v[234:235]
	v_div_fixup_f64 v[5:6], v[5:6], v[226:227], 1.0
	ds_write_b64 v1, v[5:6]
.LBB97_219:
	s_or_b32 exec_lo, exec_lo, s1
	s_waitcnt lgkmcnt(0)
	s_barrier
	buffer_gl0_inv
	ds_read_b64 v[232:233], v1
	s_mov_b32 s1, exec_lo
	v_cmpx_lt_u32_e32 43, v0
	s_cbranch_execz .LBB97_221
; %bb.220:
	s_waitcnt lgkmcnt(0)
	v_mul_f64 v[106:107], v[232:233], v[106:107]
	ds_read2_b64 v[234:237], v4 offset0:44 offset1:45
	ds_read_b64 v[5:6], v4 offset:384
	s_waitcnt lgkmcnt(1)
	v_fma_f64 v[134:135], -v[106:107], v[234:235], v[134:135]
	v_fma_f64 v[104:105], -v[106:107], v[236:237], v[104:105]
	ds_read2_b64 v[234:237], v4 offset0:46 offset1:47
	s_waitcnt lgkmcnt(1)
	v_fma_f64 v[198:199], -v[106:107], v[5:6], v[198:199]
	s_waitcnt lgkmcnt(0)
	v_fma_f64 v[132:133], -v[106:107], v[234:235], v[132:133]
	v_fma_f64 v[102:103], -v[106:107], v[236:237], v[102:103]
.LBB97_221:
	s_or_b32 exec_lo, exec_lo, s1
	s_mov_b32 s1, exec_lo
	s_waitcnt lgkmcnt(0)
	s_barrier
	buffer_gl0_inv
	v_cmpx_eq_u32_e32 44, v0
	s_cbranch_execz .LBB97_224
; %bb.222:
	ds_write_b64 v1, v[134:135]
	ds_write2_b64 v4, v[104:105], v[132:133] offset0:45 offset1:46
	ds_write2_b64 v4, v[102:103], v[198:199] offset0:47 offset1:48
	ds_read_b64 v[226:227], v1
	s_waitcnt lgkmcnt(0)
	v_cmp_neq_f64_e32 vcc_lo, 0, v[226:227]
	s_and_b32 exec_lo, exec_lo, vcc_lo
	s_cbranch_execz .LBB97_224
; %bb.223:
	v_div_scale_f64 v[5:6], null, v[226:227], v[226:227], 1.0
	v_rcp_f64_e32 v[7:8], v[5:6]
	v_fma_f64 v[234:235], -v[5:6], v[7:8], 1.0
	v_fma_f64 v[7:8], v[7:8], v[234:235], v[7:8]
	v_fma_f64 v[234:235], -v[5:6], v[7:8], 1.0
	v_fma_f64 v[7:8], v[7:8], v[234:235], v[7:8]
	v_div_scale_f64 v[234:235], vcc_lo, 1.0, v[226:227], 1.0
	v_mul_f64 v[236:237], v[234:235], v[7:8]
	v_fma_f64 v[5:6], -v[5:6], v[236:237], v[234:235]
	v_div_fmas_f64 v[5:6], v[5:6], v[7:8], v[236:237]
	v_div_fixup_f64 v[5:6], v[5:6], v[226:227], 1.0
	ds_write_b64 v1, v[5:6]
.LBB97_224:
	s_or_b32 exec_lo, exec_lo, s1
	s_waitcnt lgkmcnt(0)
	s_barrier
	buffer_gl0_inv
	ds_read_b64 v[234:235], v1
	s_mov_b32 s1, exec_lo
	v_cmpx_lt_u32_e32 44, v0
	s_cbranch_execz .LBB97_226
; %bb.225:
	s_waitcnt lgkmcnt(0)
	v_mul_f64 v[134:135], v[234:235], v[134:135]
	ds_read2_b64 v[236:239], v4 offset0:45 offset1:46
	s_waitcnt lgkmcnt(0)
	v_fma_f64 v[104:105], -v[134:135], v[236:237], v[104:105]
	v_fma_f64 v[132:133], -v[134:135], v[238:239], v[132:133]
	ds_read2_b64 v[236:239], v4 offset0:47 offset1:48
	s_waitcnt lgkmcnt(0)
	v_fma_f64 v[102:103], -v[134:135], v[236:237], v[102:103]
	v_fma_f64 v[198:199], -v[134:135], v[238:239], v[198:199]
.LBB97_226:
	s_or_b32 exec_lo, exec_lo, s1
	s_mov_b32 s1, exec_lo
	s_waitcnt lgkmcnt(0)
	s_barrier
	buffer_gl0_inv
	v_cmpx_eq_u32_e32 45, v0
	s_cbranch_execz .LBB97_229
; %bb.227:
	v_mov_b32_e32 v5, v132
	v_mov_b32_e32 v6, v133
	;; [unrolled: 1-line block ×4, first 2 shown]
	ds_write_b64 v1, v[104:105]
	ds_write2_b64 v4, v[5:6], v[7:8] offset0:46 offset1:47
	ds_write_b64 v4, v[198:199] offset:384
	ds_read_b64 v[226:227], v1
	s_waitcnt lgkmcnt(0)
	v_cmp_neq_f64_e32 vcc_lo, 0, v[226:227]
	s_and_b32 exec_lo, exec_lo, vcc_lo
	s_cbranch_execz .LBB97_229
; %bb.228:
	v_div_scale_f64 v[5:6], null, v[226:227], v[226:227], 1.0
	v_rcp_f64_e32 v[7:8], v[5:6]
	v_fma_f64 v[236:237], -v[5:6], v[7:8], 1.0
	v_fma_f64 v[7:8], v[7:8], v[236:237], v[7:8]
	v_fma_f64 v[236:237], -v[5:6], v[7:8], 1.0
	v_fma_f64 v[7:8], v[7:8], v[236:237], v[7:8]
	v_div_scale_f64 v[236:237], vcc_lo, 1.0, v[226:227], 1.0
	v_mul_f64 v[238:239], v[236:237], v[7:8]
	v_fma_f64 v[5:6], -v[5:6], v[238:239], v[236:237]
	v_div_fmas_f64 v[5:6], v[5:6], v[7:8], v[238:239]
	v_div_fixup_f64 v[5:6], v[5:6], v[226:227], 1.0
	ds_write_b64 v1, v[5:6]
.LBB97_229:
	s_or_b32 exec_lo, exec_lo, s1
	s_waitcnt lgkmcnt(0)
	s_barrier
	buffer_gl0_inv
	ds_read_b64 v[236:237], v1
	s_mov_b32 s1, exec_lo
	v_cmpx_lt_u32_e32 45, v0
	s_cbranch_execz .LBB97_231
; %bb.230:
	s_waitcnt lgkmcnt(0)
	v_mul_f64 v[104:105], v[236:237], v[104:105]
	ds_read2_b64 v[238:241], v4 offset0:46 offset1:47
	ds_read_b64 v[5:6], v4 offset:384
	s_waitcnt lgkmcnt(1)
	v_fma_f64 v[132:133], -v[104:105], v[238:239], v[132:133]
	v_fma_f64 v[102:103], -v[104:105], v[240:241], v[102:103]
	s_waitcnt lgkmcnt(0)
	v_fma_f64 v[198:199], -v[104:105], v[5:6], v[198:199]
.LBB97_231:
	s_or_b32 exec_lo, exec_lo, s1
	s_mov_b32 s1, exec_lo
	s_waitcnt lgkmcnt(0)
	s_barrier
	buffer_gl0_inv
	v_cmpx_eq_u32_e32 46, v0
	s_cbranch_execz .LBB97_234
; %bb.232:
	ds_write_b64 v1, v[132:133]
	ds_write2_b64 v4, v[102:103], v[198:199] offset0:47 offset1:48
	ds_read_b64 v[226:227], v1
	s_waitcnt lgkmcnt(0)
	v_cmp_neq_f64_e32 vcc_lo, 0, v[226:227]
	s_and_b32 exec_lo, exec_lo, vcc_lo
	s_cbranch_execz .LBB97_234
; %bb.233:
	v_div_scale_f64 v[5:6], null, v[226:227], v[226:227], 1.0
	v_rcp_f64_e32 v[7:8], v[5:6]
	v_fma_f64 v[238:239], -v[5:6], v[7:8], 1.0
	v_fma_f64 v[7:8], v[7:8], v[238:239], v[7:8]
	v_fma_f64 v[238:239], -v[5:6], v[7:8], 1.0
	v_fma_f64 v[7:8], v[7:8], v[238:239], v[7:8]
	v_div_scale_f64 v[238:239], vcc_lo, 1.0, v[226:227], 1.0
	v_mul_f64 v[240:241], v[238:239], v[7:8]
	v_fma_f64 v[5:6], -v[5:6], v[240:241], v[238:239]
	v_div_fmas_f64 v[5:6], v[5:6], v[7:8], v[240:241]
	v_div_fixup_f64 v[5:6], v[5:6], v[226:227], 1.0
	ds_write_b64 v1, v[5:6]
.LBB97_234:
	s_or_b32 exec_lo, exec_lo, s1
	s_waitcnt lgkmcnt(0)
	s_barrier
	buffer_gl0_inv
	ds_read_b64 v[238:239], v1
	s_mov_b32 s1, exec_lo
	v_cmpx_lt_u32_e32 46, v0
	s_cbranch_execz .LBB97_236
; %bb.235:
	s_waitcnt lgkmcnt(0)
	v_mul_f64 v[132:133], v[238:239], v[132:133]
	ds_read2_b64 v[5:8], v4 offset0:47 offset1:48
	s_waitcnt lgkmcnt(0)
	v_fma_f64 v[102:103], -v[132:133], v[5:6], v[102:103]
	v_fma_f64 v[198:199], -v[132:133], v[7:8], v[198:199]
.LBB97_236:
	s_or_b32 exec_lo, exec_lo, s1
	s_mov_b32 s1, exec_lo
	s_waitcnt lgkmcnt(0)
	s_barrier
	buffer_gl0_inv
	v_cmpx_eq_u32_e32 47, v0
	s_cbranch_execz .LBB97_239
; %bb.237:
	ds_write_b64 v1, v[102:103]
	ds_write_b64 v4, v[198:199] offset:384
	ds_read_b64 v[226:227], v1
	s_waitcnt lgkmcnt(0)
	v_cmp_neq_f64_e32 vcc_lo, 0, v[226:227]
	s_and_b32 exec_lo, exec_lo, vcc_lo
	s_cbranch_execz .LBB97_239
; %bb.238:
	v_div_scale_f64 v[5:6], null, v[226:227], v[226:227], 1.0
	v_mov_b32_e32 v48, v46
	v_mov_b32_e32 v47, v45
	;; [unrolled: 1-line block ×20, first 2 shown]
	v_rcp_f64_e32 v[7:8], v[5:6]
	v_mov_b32_e32 v28, v26
	v_mov_b32_e32 v27, v25
	;; [unrolled: 1-line block ×23, first 2 shown]
	v_fma_f64 v[240:241], -v[5:6], v[7:8], 1.0
	v_mov_b32_e32 v89, v88
	v_mov_b32_e32 v88, v87
	;; [unrolled: 1-line block ×21, first 2 shown]
	v_fma_f64 v[7:8], v[7:8], v[240:241], v[7:8]
	v_mov_b32_e32 v68, v67
	v_mov_b32_e32 v67, v66
	v_mov_b32_e32 v66, v65
	v_mov_b32_e32 v65, v64
	v_mov_b32_e32 v64, v63
	v_mov_b32_e32 v63, v62
	v_mov_b32_e32 v62, v61
	v_mov_b32_e32 v61, v60
	v_mov_b32_e32 v60, v59
	v_mov_b32_e32 v59, v58
	v_mov_b32_e32 v58, v57
	v_mov_b32_e32 v57, v56
	v_mov_b32_e32 v56, v55
	v_mov_b32_e32 v55, v54
	v_mov_b32_e32 v54, v53
	v_mov_b32_e32 v53, v52
	v_mov_b32_e32 v97, v250
	v_mov_b32_e32 v98, v251
	v_mov_b32_e32 v251, v249
	v_mov_b32_e32 v250, v248
	v_mov_b32_e32 v52, v53
	v_fma_f64 v[240:241], -v[5:6], v[7:8], 1.0
	v_mov_b32_e32 v53, v54
	v_mov_b32_e32 v54, v55
	;; [unrolled: 1-line block ×21, first 2 shown]
	v_fma_f64 v[7:8], v[7:8], v[240:241], v[7:8]
	v_div_scale_f64 v[240:241], vcc_lo, 1.0, v[226:227], 1.0
	v_mov_b32_e32 v73, v74
	v_mov_b32_e32 v74, v75
	;; [unrolled: 1-line block ×20, first 2 shown]
	v_mul_f64 v[9:10], v[240:241], v[7:8]
	v_mov_b32_e32 v89, v90
	v_mov_b32_e32 v90, v91
	;; [unrolled: 1-line block ×16, first 2 shown]
	v_fma_f64 v[5:6], -v[5:6], v[9:10], v[240:241]
	v_div_fmas_f64 v[5:6], v[5:6], v[7:8], v[9:10]
	v_mov_b32_e32 v9, v11
	v_mov_b32_e32 v10, v12
	;; [unrolled: 1-line block ×21, first 2 shown]
	v_div_fixup_f64 v[5:6], v[5:6], v[226:227], 1.0
	v_mov_b32_e32 v34, v36
	v_mov_b32_e32 v35, v39
	;; [unrolled: 1-line block ×13, first 2 shown]
	ds_write_b64 v1, v[5:6]
.LBB97_239:
	s_or_b32 exec_lo, exec_lo, s1
	s_waitcnt lgkmcnt(0)
	s_barrier
	buffer_gl0_inv
	ds_read_b64 v[240:241], v1
	s_mov_b32 s1, exec_lo
	v_cmpx_lt_u32_e32 47, v0
	s_cbranch_execz .LBB97_241
; %bb.240:
	s_waitcnt lgkmcnt(0)
	v_mul_f64 v[102:103], v[240:241], v[102:103]
	ds_read_b64 v[4:5], v4 offset:384
	s_waitcnt lgkmcnt(0)
	v_fma_f64 v[198:199], -v[102:103], v[4:5], v[198:199]
.LBB97_241:
	s_or_b32 exec_lo, exec_lo, s1
	s_mov_b32 s1, exec_lo
	s_waitcnt lgkmcnt(0)
	s_barrier
	buffer_gl0_inv
	v_cmpx_eq_u32_e32 48, v0
	s_cbranch_execz .LBB97_244
; %bb.242:
	v_cmp_neq_f64_e32 vcc_lo, 0, v[198:199]
	ds_write_b64 v1, v[198:199]
	s_and_b32 exec_lo, exec_lo, vcc_lo
	s_cbranch_execz .LBB97_244
; %bb.243:
	v_div_scale_f64 v[4:5], null, v[198:199], v[198:199], 1.0
	v_mov_b32_e32 v227, v10
	v_mov_b32_e32 v226, v9
	v_rcp_f64_e32 v[6:7], v[4:5]
	v_fma_f64 v[8:9], -v[4:5], v[6:7], 1.0
	v_fma_f64 v[6:7], v[6:7], v[8:9], v[6:7]
	v_fma_f64 v[8:9], -v[4:5], v[6:7], 1.0
	v_fma_f64 v[6:7], v[6:7], v[8:9], v[6:7]
	v_div_scale_f64 v[8:9], vcc_lo, 1.0, v[198:199], 1.0
	v_mul_f64 v[10:11], v[8:9], v[6:7]
	v_fma_f64 v[4:5], -v[4:5], v[10:11], v[8:9]
	v_div_fmas_f64 v[4:5], v[4:5], v[6:7], v[10:11]
	v_mov_b32_e32 v9, v226
	v_mov_b32_e32 v10, v227
	v_div_fixup_f64 v[4:5], v[4:5], v[198:199], 1.0
	ds_write_b64 v1, v[4:5]
.LBB97_244:
	s_or_b32 exec_lo, exec_lo, s1
	s_waitcnt lgkmcnt(0)
	s_barrier
	buffer_gl0_inv
	ds_read_b64 v[226:227], v1
	s_waitcnt lgkmcnt(0)
	s_barrier
	buffer_gl0_inv
	s_and_saveexec_b32 s1, s0
	s_cbranch_execz .LBB97_247
; %bb.245:
	s_clause 0x1
	buffer_load_dword v4, off, s[12:15], 0 offset:32
	buffer_load_dword v5, off, s[12:15], 0 offset:36
	v_cmp_eq_f64_e32 vcc_lo, 0, v[9:10]
	s_load_dwordx2 s[2:3], s[4:5], 0x28
	v_cndmask_b32_e64 v1, 0, 1, vcc_lo
	s_waitcnt vmcnt(0)
	v_cmp_neq_f64_e64 s0, 0, v[4:5]
	s_clause 0x1
	buffer_load_dword v4, off, s[12:15], 0 offset:40
	buffer_load_dword v5, off, s[12:15], 0 offset:44
	s_or_b32 vcc_lo, s0, vcc_lo
	v_cndmask_b32_e32 v1, 2, v1, vcc_lo
	v_cmp_eq_u32_e64 s0, 0, v1
	s_waitcnt vmcnt(0)
	v_cmp_eq_f64_e32 vcc_lo, 0, v[4:5]
	s_clause 0x1
	buffer_load_dword v4, off, s[12:15], 0 offset:48
	buffer_load_dword v5, off, s[12:15], 0 offset:52
	s_and_b32 s0, vcc_lo, s0
	v_cndmask_b32_e64 v1, v1, 3, s0
	v_cmp_eq_u32_e64 s0, 0, v1
	s_waitcnt vmcnt(0)
	v_cmp_eq_f64_e32 vcc_lo, 0, v[4:5]
	s_and_b32 s0, vcc_lo, s0
	v_cmp_eq_f64_e32 vcc_lo, 0, v[242:243]
	v_cndmask_b32_e64 v1, v1, 4, s0
	v_cmp_eq_u32_e64 s0, 0, v1
	s_and_b32 s0, vcc_lo, s0
	v_cmp_eq_f64_e32 vcc_lo, 0, v[244:245]
	v_cndmask_b32_e64 v1, v1, 5, s0
	v_cmp_eq_u32_e64 s0, 0, v1
	;; [unrolled: 4-line block ×45, first 2 shown]
	s_and_b32 s0, vcc_lo, s0
	v_cndmask_b32_e64 v4, v1, 49, s0
	v_lshlrev_b64 v[1:2], 2, v[2:3]
	v_cmp_ne_u32_e64 s0, 0, v4
	s_waitcnt lgkmcnt(0)
	v_add_co_u32 v1, vcc_lo, s2, v1
	v_add_co_ci_u32_e64 v2, null, s3, v2, vcc_lo
	global_load_dword v3, v[1:2], off
	s_waitcnt vmcnt(0)
	v_cmp_eq_u32_e32 vcc_lo, 0, v3
	s_and_b32 s0, vcc_lo, s0
	s_and_b32 exec_lo, exec_lo, s0
	s_cbranch_execz .LBB97_247
; %bb.246:
	v_add_nc_u32_e32 v3, s9, v4
	global_store_dword v[1:2], v3, off
.LBB97_247:
	s_or_b32 exec_lo, exec_lo, s1
	flat_store_dwordx2 v[96:97], v[160:161]
	flat_store_dwordx2 v[100:101], v[178:179]
	s_clause 0x1
	buffer_load_dword v3, off, s[12:15], 0
	buffer_load_dword v4, off, s[12:15], 0 offset:4
	v_mul_f64 v[1:2], v[226:227], v[198:199]
	v_cmp_lt_u32_e32 vcc_lo, 48, v0
	v_cndmask_b32_e32 v2, v199, v2, vcc_lo
	v_cndmask_b32_e32 v1, v198, v1, vcc_lo
	s_waitcnt vmcnt(0)
	flat_store_dwordx2 v[3:4], v[196:197]
	s_clause 0x1
	buffer_load_dword v3, off, s[12:15], 0 offset:8
	buffer_load_dword v4, off, s[12:15], 0 offset:12
	s_waitcnt vmcnt(0)
	flat_store_dwordx2 v[3:4], v[176:177]
	s_clause 0x1
	buffer_load_dword v3, off, s[12:15], 0 offset:16
	buffer_load_dword v4, off, s[12:15], 0 offset:20
	;; [unrolled: 5-line block ×23, first 2 shown]
	s_waitcnt vmcnt(0)
	flat_store_dwordx2 v[3:4], v[124:125]
	flat_store_dwordx2 v[52:53], v[152:153]
	;; [unrolled: 1-line block ×24, first 2 shown]
.LBB97_248:
	s_endpgm
	.section	.rodata,"a",@progbits
	.p2align	6, 0x0
	.amdhsa_kernel _ZN9rocsolver6v33100L23getf2_npvt_small_kernelILi49EdiiPKPdEEvT1_T3_lS5_lPT2_S5_S5_
		.amdhsa_group_segment_fixed_size 0
		.amdhsa_private_segment_fixed_size 220
		.amdhsa_kernarg_size 312
		.amdhsa_user_sgpr_count 6
		.amdhsa_user_sgpr_private_segment_buffer 1
		.amdhsa_user_sgpr_dispatch_ptr 0
		.amdhsa_user_sgpr_queue_ptr 0
		.amdhsa_user_sgpr_kernarg_segment_ptr 1
		.amdhsa_user_sgpr_dispatch_id 0
		.amdhsa_user_sgpr_flat_scratch_init 0
		.amdhsa_user_sgpr_private_segment_size 0
		.amdhsa_wavefront_size32 1
		.amdhsa_uses_dynamic_stack 0
		.amdhsa_system_sgpr_private_segment_wavefront_offset 1
		.amdhsa_system_sgpr_workgroup_id_x 1
		.amdhsa_system_sgpr_workgroup_id_y 1
		.amdhsa_system_sgpr_workgroup_id_z 0
		.amdhsa_system_sgpr_workgroup_info 0
		.amdhsa_system_vgpr_workitem_id 1
		.amdhsa_next_free_vgpr 256
		.amdhsa_next_free_sgpr 16
		.amdhsa_reserve_vcc 1
		.amdhsa_reserve_flat_scratch 1
		.amdhsa_float_round_mode_32 0
		.amdhsa_float_round_mode_16_64 0
		.amdhsa_float_denorm_mode_32 3
		.amdhsa_float_denorm_mode_16_64 3
		.amdhsa_dx10_clamp 1
		.amdhsa_ieee_mode 1
		.amdhsa_fp16_overflow 0
		.amdhsa_workgroup_processor_mode 1
		.amdhsa_memory_ordered 1
		.amdhsa_forward_progress 1
		.amdhsa_shared_vgpr_count 0
		.amdhsa_exception_fp_ieee_invalid_op 0
		.amdhsa_exception_fp_denorm_src 0
		.amdhsa_exception_fp_ieee_div_zero 0
		.amdhsa_exception_fp_ieee_overflow 0
		.amdhsa_exception_fp_ieee_underflow 0
		.amdhsa_exception_fp_ieee_inexact 0
		.amdhsa_exception_int_div_zero 0
	.end_amdhsa_kernel
	.section	.text._ZN9rocsolver6v33100L23getf2_npvt_small_kernelILi49EdiiPKPdEEvT1_T3_lS5_lPT2_S5_S5_,"axG",@progbits,_ZN9rocsolver6v33100L23getf2_npvt_small_kernelILi49EdiiPKPdEEvT1_T3_lS5_lPT2_S5_S5_,comdat
.Lfunc_end97:
	.size	_ZN9rocsolver6v33100L23getf2_npvt_small_kernelILi49EdiiPKPdEEvT1_T3_lS5_lPT2_S5_S5_, .Lfunc_end97-_ZN9rocsolver6v33100L23getf2_npvt_small_kernelILi49EdiiPKPdEEvT1_T3_lS5_lPT2_S5_S5_
                                        ; -- End function
	.set _ZN9rocsolver6v33100L23getf2_npvt_small_kernelILi49EdiiPKPdEEvT1_T3_lS5_lPT2_S5_S5_.num_vgpr, 256
	.set _ZN9rocsolver6v33100L23getf2_npvt_small_kernelILi49EdiiPKPdEEvT1_T3_lS5_lPT2_S5_S5_.num_agpr, 0
	.set _ZN9rocsolver6v33100L23getf2_npvt_small_kernelILi49EdiiPKPdEEvT1_T3_lS5_lPT2_S5_S5_.numbered_sgpr, 16
	.set _ZN9rocsolver6v33100L23getf2_npvt_small_kernelILi49EdiiPKPdEEvT1_T3_lS5_lPT2_S5_S5_.num_named_barrier, 0
	.set _ZN9rocsolver6v33100L23getf2_npvt_small_kernelILi49EdiiPKPdEEvT1_T3_lS5_lPT2_S5_S5_.private_seg_size, 220
	.set _ZN9rocsolver6v33100L23getf2_npvt_small_kernelILi49EdiiPKPdEEvT1_T3_lS5_lPT2_S5_S5_.uses_vcc, 1
	.set _ZN9rocsolver6v33100L23getf2_npvt_small_kernelILi49EdiiPKPdEEvT1_T3_lS5_lPT2_S5_S5_.uses_flat_scratch, 1
	.set _ZN9rocsolver6v33100L23getf2_npvt_small_kernelILi49EdiiPKPdEEvT1_T3_lS5_lPT2_S5_S5_.has_dyn_sized_stack, 0
	.set _ZN9rocsolver6v33100L23getf2_npvt_small_kernelILi49EdiiPKPdEEvT1_T3_lS5_lPT2_S5_S5_.has_recursion, 0
	.set _ZN9rocsolver6v33100L23getf2_npvt_small_kernelILi49EdiiPKPdEEvT1_T3_lS5_lPT2_S5_S5_.has_indirect_call, 0
	.section	.AMDGPU.csdata,"",@progbits
; Kernel info:
; codeLenInByte = 41768
; TotalNumSgprs: 18
; NumVgprs: 256
; ScratchSize: 220
; MemoryBound: 0
; FloatMode: 240
; IeeeMode: 1
; LDSByteSize: 0 bytes/workgroup (compile time only)
; SGPRBlocks: 0
; VGPRBlocks: 31
; NumSGPRsForWavesPerEU: 18
; NumVGPRsForWavesPerEU: 256
; Occupancy: 4
; WaveLimiterHint : 1
; COMPUTE_PGM_RSRC2:SCRATCH_EN: 1
; COMPUTE_PGM_RSRC2:USER_SGPR: 6
; COMPUTE_PGM_RSRC2:TRAP_HANDLER: 0
; COMPUTE_PGM_RSRC2:TGID_X_EN: 1
; COMPUTE_PGM_RSRC2:TGID_Y_EN: 1
; COMPUTE_PGM_RSRC2:TGID_Z_EN: 0
; COMPUTE_PGM_RSRC2:TIDIG_COMP_CNT: 1
	.section	.text._ZN9rocsolver6v33100L18getf2_small_kernelILi50EdiiPKPdEEvT1_T3_lS5_lPS5_llPT2_S5_S5_S7_l,"axG",@progbits,_ZN9rocsolver6v33100L18getf2_small_kernelILi50EdiiPKPdEEvT1_T3_lS5_lPS5_llPT2_S5_S5_S7_l,comdat
	.globl	_ZN9rocsolver6v33100L18getf2_small_kernelILi50EdiiPKPdEEvT1_T3_lS5_lPS5_llPT2_S5_S5_S7_l ; -- Begin function _ZN9rocsolver6v33100L18getf2_small_kernelILi50EdiiPKPdEEvT1_T3_lS5_lPS5_llPT2_S5_S5_S7_l
	.p2align	8
	.type	_ZN9rocsolver6v33100L18getf2_small_kernelILi50EdiiPKPdEEvT1_T3_lS5_lPS5_llPT2_S5_S5_S7_l,@function
_ZN9rocsolver6v33100L18getf2_small_kernelILi50EdiiPKPdEEvT1_T3_lS5_lPS5_llPT2_S5_S5_S7_l: ; @_ZN9rocsolver6v33100L18getf2_small_kernelILi50EdiiPKPdEEvT1_T3_lS5_lPS5_llPT2_S5_S5_S7_l
; %bb.0:
	s_clause 0x1
	s_load_dword s0, s[4:5], 0x6c
	s_load_dwordx2 s[12:13], s[4:5], 0x48
	s_waitcnt lgkmcnt(0)
	s_lshr_b32 s0, s0, 16
	v_mad_u64_u32 v[2:3], null, s7, s0, v[1:2]
	s_mov_b32 s0, exec_lo
	v_cmpx_gt_i32_e64 s12, v2
	s_cbranch_execz .LBB98_847
; %bb.1:
	s_clause 0x1
	s_load_dwordx4 s[0:3], s[4:5], 0x8
	s_load_dwordx4 s[8:11], s[4:5], 0x50
	v_ashrrev_i32_e32 v3, 31, v2
	v_lshlrev_b64 v[4:5], 3, v[2:3]
	s_waitcnt lgkmcnt(0)
	v_add_co_u32 v4, vcc_lo, s0, v4
	v_add_co_ci_u32_e64 v5, null, s1, v5, vcc_lo
	s_cmp_eq_u64 s[8:9], 0
	s_cselect_b32 s6, -1, 0
	global_load_dwordx2 v[6:7], v[4:5], off
	v_mov_b32_e32 v4, 0
	v_mov_b32_e32 v5, 0
	s_and_b32 vcc_lo, exec_lo, s6
	s_cbranch_vccnz .LBB98_3
; %bb.2:
	v_mul_lo_u32 v8, s11, v2
	v_mul_lo_u32 v9, s10, v3
	v_mad_u64_u32 v[4:5], null, s10, v2, 0
	v_add3_u32 v5, v5, v9, v8
	v_lshlrev_b64 v[4:5], 2, v[4:5]
	v_add_co_u32 v4, vcc_lo, s8, v4
	v_add_co_ci_u32_e64 v5, null, s9, v5, vcc_lo
.LBB98_3:
	s_clause 0x1
	s_load_dword s8, s[4:5], 0x18
	s_load_dword s7, s[4:5], 0x0
	s_lshl_b64 s[0:1], s[2:3], 3
	v_lshlrev_b32_e32 v154, 3, v0
	s_waitcnt vmcnt(0)
	v_add_co_u32 v110, vcc_lo, v6, s0
	v_add_co_ci_u32_e64 v111, null, s1, v7, vcc_lo
	s_waitcnt lgkmcnt(0)
	v_add3_u32 v8, s8, s8, v0
	s_ashr_i32 s9, s8, 31
	s_max_i32 s0, s7, 50
	s_lshl_b64 s[10:11], s[8:9], 3
	v_mul_lo_u32 v1, s0, v1
	v_add_nc_u32_e32 v10, s8, v8
	v_ashrrev_i32_e32 v9, 31, v8
	s_cmp_lt_i32 s7, 2
	v_ashrrev_i32_e32 v11, 31, v10
	v_add_nc_u32_e32 v12, s8, v10
	v_lshlrev_b64 v[8:9], 3, v[8:9]
	v_lshlrev_b64 v[6:7], 3, v[10:11]
	v_add_nc_u32_e32 v10, s8, v12
	v_ashrrev_i32_e32 v13, 31, v12
	v_add_co_u32 v8, vcc_lo, v110, v8
	v_add_co_ci_u32_e64 v9, null, v111, v9, vcc_lo
	v_add_nc_u32_e32 v14, s8, v10
	v_ashrrev_i32_e32 v11, 31, v10
	v_lshlrev_b64 v[12:13], 3, v[12:13]
	v_add_co_u32 v6, vcc_lo, v110, v6
	v_add_nc_u32_e32 v16, s8, v14
	v_ashrrev_i32_e32 v15, 31, v14
	v_lshlrev_b64 v[10:11], 3, v[10:11]
	v_add_co_ci_u32_e64 v7, null, v111, v7, vcc_lo
	v_add_nc_u32_e32 v18, s8, v16
	v_ashrrev_i32_e32 v17, 31, v16
	v_lshlrev_b64 v[14:15], 3, v[14:15]
	v_add_co_u32 v12, vcc_lo, v110, v12
	v_add_nc_u32_e32 v20, s8, v18
	v_ashrrev_i32_e32 v19, 31, v18
	v_lshlrev_b64 v[16:17], 3, v[16:17]
	v_add_co_ci_u32_e64 v13, null, v111, v13, vcc_lo
	v_add_nc_u32_e32 v22, s8, v20
	v_ashrrev_i32_e32 v21, 31, v20
	v_add_co_u32 v10, vcc_lo, v110, v10
	v_lshlrev_b64 v[18:19], 3, v[18:19]
	v_add_nc_u32_e32 v24, s8, v22
	v_ashrrev_i32_e32 v23, 31, v22
	v_add_co_ci_u32_e64 v11, null, v111, v11, vcc_lo
	v_add_co_u32 v14, vcc_lo, v110, v14
	v_add_nc_u32_e32 v26, s8, v24
	v_ashrrev_i32_e32 v25, 31, v24
	v_lshlrev_b64 v[20:21], 3, v[20:21]
	v_add_co_ci_u32_e64 v15, null, v111, v15, vcc_lo
	v_add_nc_u32_e32 v28, s8, v26
	v_ashrrev_i32_e32 v27, 31, v26
	v_add_co_u32 v16, vcc_lo, v110, v16
	v_lshlrev_b64 v[22:23], 3, v[22:23]
	v_add_nc_u32_e32 v30, s8, v28
	v_ashrrev_i32_e32 v29, 31, v28
	v_add_co_ci_u32_e64 v17, null, v111, v17, vcc_lo
	v_add_co_u32 v18, vcc_lo, v110, v18
	v_add_nc_u32_e32 v32, s8, v30
	v_lshlrev_b64 v[24:25], 3, v[24:25]
	v_ashrrev_i32_e32 v31, 31, v30
	v_add_co_ci_u32_e64 v19, null, v111, v19, vcc_lo
	v_add_nc_u32_e32 v34, s8, v32
	v_add_co_u32 v20, vcc_lo, v110, v20
	v_lshlrev_b64 v[26:27], 3, v[26:27]
	v_ashrrev_i32_e32 v33, 31, v32
	v_add_nc_u32_e32 v36, s8, v34
	v_add_co_ci_u32_e64 v21, null, v111, v21, vcc_lo
	v_add_co_u32 v22, vcc_lo, v110, v22
	v_add_nc_u32_e32 v38, s8, v36
	v_lshlrev_b64 v[28:29], 3, v[28:29]
	v_ashrrev_i32_e32 v35, 31, v34
	v_add_co_ci_u32_e64 v23, null, v111, v23, vcc_lo
	v_add_nc_u32_e32 v40, s8, v38
	v_add_co_u32 v24, vcc_lo, v110, v24
	v_lshlrev_b64 v[30:31], 3, v[30:31]
	v_ashrrev_i32_e32 v37, 31, v36
	v_add_nc_u32_e32 v42, s8, v40
	;; [unrolled: 11-line block ×3, first 2 shown]
	v_add_co_ci_u32_e64 v29, null, v111, v29, vcc_lo
	v_add_co_u32 v30, vcc_lo, v110, v30
	v_add_nc_u32_e32 v50, s8, v48
	v_lshlrev_b64 v[36:37], 3, v[36:37]
	v_ashrrev_i32_e32 v43, 31, v42
	v_add_co_ci_u32_e64 v31, null, v111, v31, vcc_lo
	v_add_nc_u32_e32 v52, s8, v50
	v_add_co_u32 v32, vcc_lo, v110, v32
	v_lshlrev_b64 v[38:39], 3, v[38:39]
	v_ashrrev_i32_e32 v45, 31, v44
	v_add_co_ci_u32_e64 v33, null, v111, v33, vcc_lo
	v_add_co_u32 v34, vcc_lo, v110, v34
	v_lshlrev_b64 v[40:41], 3, v[40:41]
	v_ashrrev_i32_e32 v47, 31, v46
	v_add_co_ci_u32_e64 v35, null, v111, v35, vcc_lo
	v_add_co_u32 v36, vcc_lo, v110, v36
	v_lshlrev_b64 v[42:43], 3, v[42:43]
	v_add_nc_u32_e32 v54, s8, v52
	v_ashrrev_i32_e32 v49, 31, v48
	v_add_co_ci_u32_e64 v37, null, v111, v37, vcc_lo
	v_add_co_u32 v38, vcc_lo, v110, v38
	v_lshlrev_b64 v[44:45], 3, v[44:45]
	v_ashrrev_i32_e32 v51, 31, v50
	v_add_co_ci_u32_e64 v39, null, v111, v39, vcc_lo
	v_add_co_u32 v40, vcc_lo, v110, v40
	v_lshlrev_b64 v[46:47], 3, v[46:47]
	v_ashrrev_i32_e32 v53, 31, v52
	v_add_nc_u32_e32 v56, s8, v54
	v_add_co_ci_u32_e64 v41, null, v111, v41, vcc_lo
	v_add_co_u32 v42, vcc_lo, v110, v42
	v_lshlrev_b64 v[48:49], 3, v[48:49]
	v_ashrrev_i32_e32 v55, 31, v54
	v_add_co_ci_u32_e64 v43, null, v111, v43, vcc_lo
	v_add_co_u32 v44, vcc_lo, v110, v44
	v_lshlrev_b64 v[50:51], 3, v[50:51]
	v_add_co_ci_u32_e64 v45, null, v111, v45, vcc_lo
	v_add_co_u32 v46, vcc_lo, v110, v46
	v_lshlrev_b64 v[52:53], 3, v[52:53]
	v_add_nc_u32_e32 v58, s8, v56
	v_add_co_ci_u32_e64 v47, null, v111, v47, vcc_lo
	v_add_co_u32 v48, vcc_lo, v110, v48
	v_lshlrev_b64 v[54:55], 3, v[54:55]
	v_ashrrev_i32_e32 v57, 31, v56
	v_add_co_ci_u32_e64 v49, null, v111, v49, vcc_lo
	v_add_co_u32 v50, vcc_lo, v110, v50
	v_ashrrev_i32_e32 v59, 31, v58
	v_add_nc_u32_e32 v60, s8, v58
	v_add_co_ci_u32_e64 v51, null, v111, v51, vcc_lo
	v_add_co_u32 v52, vcc_lo, v110, v52
	v_lshlrev_b64 v[56:57], 3, v[56:57]
	v_add_co_ci_u32_e64 v53, null, v111, v53, vcc_lo
	v_add_co_u32 v104, vcc_lo, v110, v54
	v_add_co_ci_u32_e64 v105, null, v111, v55, vcc_lo
	v_lshlrev_b64 v[54:55], 3, v[58:59]
	v_ashrrev_i32_e32 v61, 31, v60
	v_add_nc_u32_e32 v58, s8, v60
	v_add_co_u32 v106, vcc_lo, v110, v56
	v_add_co_ci_u32_e64 v107, null, v111, v57, vcc_lo
	v_lshlrev_b64 v[56:57], 3, v[60:61]
	v_ashrrev_i32_e32 v59, 31, v58
	v_add_nc_u32_e32 v60, s8, v58
	;; [unrolled: 5-line block ×18, first 2 shown]
	v_add_co_u32 v142, vcc_lo, v110, v54
	v_add_co_ci_u32_e64 v143, null, v111, v55, vcc_lo
	v_lshlrev_b64 v[54:55], 3, v[58:59]
	v_add_nc_u32_e32 v58, s8, v60
	v_ashrrev_i32_e32 v61, 31, v60
	v_add_co_u32 v144, vcc_lo, v110, v56
	v_add_co_ci_u32_e64 v145, null, v111, v57, vcc_lo
	v_ashrrev_i32_e32 v59, 31, v58
	v_lshlrev_b64 v[56:57], 3, v[60:61]
	v_add_co_u32 v146, vcc_lo, v110, v54
	v_add_co_ci_u32_e64 v147, null, v111, v55, vcc_lo
	v_lshlrev_b64 v[54:55], 3, v[58:59]
	v_add_nc_u32_e32 v58, s8, v58
	v_add_co_u32 v148, vcc_lo, v110, v56
	v_add_co_ci_u32_e64 v149, null, v111, v57, vcc_lo
	v_ashrrev_i32_e32 v59, 31, v58
	v_add_co_u32 v150, vcc_lo, v110, v54
	v_add_co_ci_u32_e64 v151, null, v111, v55, vcc_lo
	v_add_co_u32 v56, vcc_lo, v110, v154
	v_add_co_ci_u32_e64 v57, null, 0, v111, vcc_lo
	v_lshlrev_b64 v[54:55], 3, v[58:59]
	v_add_co_u32 v58, vcc_lo, v56, s10
	v_add_co_ci_u32_e64 v59, null, s11, v57, vcc_lo
	v_add_co_u32 v152, vcc_lo, v110, v54
	v_add_co_ci_u32_e64 v153, null, v111, v55, vcc_lo
	s_clause 0x31
	flat_load_dwordx2 v[102:103], v[56:57]
	flat_load_dwordx2 v[98:99], v[58:59]
	;; [unrolled: 1-line block ×50, first 2 shown]
	v_lshl_add_u32 v112, v1, 3, 0
	v_lshlrev_b32_e32 v113, 3, v1
	v_mov_b32_e32 v108, 0
	v_add_nc_u32_e32 v106, v112, v154
	s_waitcnt vmcnt(49) lgkmcnt(49)
	ds_write_b64 v106, v[102:103]
	s_waitcnt vmcnt(0) lgkmcnt(0)
	s_barrier
	buffer_gl0_inv
	ds_read_b64 v[106:107], v112
	s_cbranch_scc1 .LBB98_6
; %bb.4:
	v_add3_u32 v1, v113, 0, 8
	v_mov_b32_e32 v108, 0
	s_mov_b32 s0, 1
.LBB98_5:                               ; =>This Inner Loop Header: Depth=1
	ds_read_b64 v[114:115], v1
	v_add_nc_u32_e32 v1, 8, v1
	s_waitcnt lgkmcnt(0)
	v_cmp_lt_f64_e64 vcc_lo, |v[106:107]|, |v[114:115]|
	v_cndmask_b32_e32 v107, v107, v115, vcc_lo
	v_cndmask_b32_e32 v106, v106, v114, vcc_lo
	v_cndmask_b32_e64 v108, v108, s0, vcc_lo
	s_add_i32 s0, s0, 1
	s_cmp_eq_u32 s7, s0
	s_cbranch_scc0 .LBB98_5
.LBB98_6:
	s_mov_b32 s0, exec_lo
                                        ; implicit-def: $vgpr115
	v_cmpx_ne_u32_e64 v0, v108
	s_xor_b32 s0, exec_lo, s0
	s_cbranch_execz .LBB98_12
; %bb.7:
	s_mov_b32 s1, exec_lo
	v_cmpx_eq_u32_e32 0, v0
	s_cbranch_execz .LBB98_11
; %bb.8:
	v_cmp_ne_u32_e32 vcc_lo, 0, v108
	s_xor_b32 s2, s6, -1
	s_and_b32 s3, s2, vcc_lo
	s_and_saveexec_b32 s2, s3
	s_cbranch_execz .LBB98_10
; %bb.9:
	v_ashrrev_i32_e32 v109, 31, v108
	v_lshlrev_b64 v[0:1], 2, v[108:109]
	v_add_co_u32 v0, vcc_lo, v4, v0
	v_add_co_ci_u32_e64 v1, null, v5, v1, vcc_lo
	s_clause 0x1
	global_load_dword v109, v[0:1], off
	global_load_dword v114, v[4:5], off
	s_waitcnt vmcnt(1)
	global_store_dword v[4:5], v109, off
	s_waitcnt vmcnt(0)
	global_store_dword v[0:1], v114, off
.LBB98_10:
	s_or_b32 exec_lo, exec_lo, s2
	v_mov_b32_e32 v0, v108
.LBB98_11:
	s_or_b32 exec_lo, exec_lo, s1
	v_mov_b32_e32 v115, v0
                                        ; implicit-def: $vgpr0
.LBB98_12:
	s_or_saveexec_b32 s0, s0
	v_mov_b32_e32 v114, v115
	s_xor_b32 exec_lo, exec_lo, s0
	s_cbranch_execz .LBB98_14
; %bb.13:
	v_mov_b32_e32 v115, 0
	v_mov_b32_e32 v114, v0
	ds_write2_b64 v112, v[98:99], v[100:101] offset0:1 offset1:2
	ds_write2_b64 v112, v[94:95], v[96:97] offset0:3 offset1:4
	;; [unrolled: 1-line block ×24, first 2 shown]
	ds_write_b64 v112, v[104:105] offset:392
.LBB98_14:
	s_or_b32 exec_lo, exec_lo, s0
	s_waitcnt lgkmcnt(0)
	v_cmp_eq_f64_e64 s0, 0, v[106:107]
	s_mov_b32 s1, exec_lo
	s_waitcnt_vscnt null, 0x0
	s_barrier
	buffer_gl0_inv
	v_cmpx_lt_i32_e32 0, v115
	s_cbranch_execz .LBB98_16
; %bb.15:
	v_div_scale_f64 v[0:1], null, v[106:107], v[106:107], 1.0
	v_div_scale_f64 v[118:119], vcc_lo, 1.0, v[106:107], 1.0
	v_rcp_f64_e32 v[108:109], v[0:1]
	v_fma_f64 v[116:117], -v[0:1], v[108:109], 1.0
	v_fma_f64 v[108:109], v[108:109], v[116:117], v[108:109]
	v_fma_f64 v[116:117], -v[0:1], v[108:109], 1.0
	v_fma_f64 v[108:109], v[108:109], v[116:117], v[108:109]
	v_mul_f64 v[116:117], v[118:119], v[108:109]
	v_fma_f64 v[0:1], -v[0:1], v[116:117], v[118:119]
	v_div_fmas_f64 v[0:1], v[0:1], v[108:109], v[116:117]
	v_div_fixup_f64 v[0:1], v[0:1], v[106:107], 1.0
	v_cndmask_b32_e64 v1, v1, v107, s0
	v_cndmask_b32_e64 v0, v0, v106, s0
	ds_read2_b64 v[106:109], v112 offset0:1 offset1:2
	ds_read2_b64 v[116:119], v112 offset0:3 offset1:4
	;; [unrolled: 1-line block ×20, first 2 shown]
	v_mul_f64 v[102:103], v[0:1], v[102:103]
	s_waitcnt lgkmcnt(19)
	v_fma_f64 v[98:99], -v[102:103], v[106:107], v[98:99]
	v_fma_f64 v[100:101], -v[102:103], v[108:109], v[100:101]
	ds_read2_b64 v[106:109], v112 offset0:41 offset1:42
	ds_read2_b64 v[192:195], v112 offset0:43 offset1:44
	s_waitcnt lgkmcnt(20)
	v_fma_f64 v[94:95], -v[102:103], v[116:117], v[94:95]
	v_fma_f64 v[96:97], -v[102:103], v[118:119], v[96:97]
	s_waitcnt lgkmcnt(19)
	v_fma_f64 v[92:93], -v[102:103], v[120:121], v[92:93]
	v_fma_f64 v[90:91], -v[102:103], v[122:123], v[90:91]
	ds_read2_b64 v[116:119], v112 offset0:45 offset1:46
	ds_read2_b64 v[120:123], v112 offset0:47 offset1:48
	ds_read_b64 v[0:1], v112 offset:392
	s_waitcnt lgkmcnt(21)
	v_fma_f64 v[88:89], -v[102:103], v[124:125], v[88:89]
	v_fma_f64 v[86:87], -v[102:103], v[126:127], v[86:87]
	s_waitcnt lgkmcnt(20)
	v_fma_f64 v[84:85], -v[102:103], v[128:129], v[84:85]
	v_fma_f64 v[82:83], -v[102:103], v[130:131], v[82:83]
	;; [unrolled: 3-line block ×21, first 2 shown]
	s_waitcnt lgkmcnt(0)
	v_fma_f64 v[104:105], -v[102:103], v[0:1], v[104:105]
.LBB98_16:
	s_or_b32 exec_lo, exec_lo, s1
	v_lshl_add_u32 v0, v115, 3, v112
	s_barrier
	buffer_gl0_inv
	v_mov_b32_e32 v106, 1
	ds_write_b64 v0, v[98:99]
	s_waitcnt lgkmcnt(0)
	s_barrier
	buffer_gl0_inv
	ds_read_b64 v[0:1], v112 offset:8
	s_cmp_lt_i32 s7, 3
	s_cbranch_scc1 .LBB98_19
; %bb.17:
	v_add3_u32 v107, v113, 0, 16
	v_mov_b32_e32 v106, 1
	s_mov_b32 s1, 2
.LBB98_18:                              ; =>This Inner Loop Header: Depth=1
	ds_read_b64 v[108:109], v107
	v_add_nc_u32_e32 v107, 8, v107
	s_waitcnt lgkmcnt(0)
	v_cmp_lt_f64_e64 vcc_lo, |v[0:1]|, |v[108:109]|
	v_cndmask_b32_e32 v1, v1, v109, vcc_lo
	v_cndmask_b32_e32 v0, v0, v108, vcc_lo
	v_cndmask_b32_e64 v106, v106, s1, vcc_lo
	s_add_i32 s1, s1, 1
	s_cmp_lg_u32 s7, s1
	s_cbranch_scc1 .LBB98_18
.LBB98_19:
	s_mov_b32 s1, exec_lo
	v_cmpx_ne_u32_e64 v115, v106
	s_xor_b32 s1, exec_lo, s1
	s_cbranch_execz .LBB98_25
; %bb.20:
	s_mov_b32 s2, exec_lo
	v_cmpx_eq_u32_e32 1, v115
	s_cbranch_execz .LBB98_24
; %bb.21:
	v_cmp_ne_u32_e32 vcc_lo, 1, v106
	s_xor_b32 s3, s6, -1
	s_and_b32 s9, s3, vcc_lo
	s_and_saveexec_b32 s3, s9
	s_cbranch_execz .LBB98_23
; %bb.22:
	v_ashrrev_i32_e32 v107, 31, v106
	v_lshlrev_b64 v[107:108], 2, v[106:107]
	v_add_co_u32 v107, vcc_lo, v4, v107
	v_add_co_ci_u32_e64 v108, null, v5, v108, vcc_lo
	s_clause 0x1
	global_load_dword v109, v[107:108], off
	global_load_dword v114, v[4:5], off offset:4
	s_waitcnt vmcnt(1)
	global_store_dword v[4:5], v109, off offset:4
	s_waitcnt vmcnt(0)
	global_store_dword v[107:108], v114, off
.LBB98_23:
	s_or_b32 exec_lo, exec_lo, s3
	v_mov_b32_e32 v114, v106
	v_mov_b32_e32 v115, v106
.LBB98_24:
	s_or_b32 exec_lo, exec_lo, s2
.LBB98_25:
	s_andn2_saveexec_b32 s1, s1
	s_cbranch_execz .LBB98_27
; %bb.26:
	v_mov_b32_e32 v106, v100
	v_mov_b32_e32 v107, v101
	v_mov_b32_e32 v108, v94
	v_mov_b32_e32 v109, v95
	v_mov_b32_e32 v115, v96
	v_mov_b32_e32 v116, v97
	v_mov_b32_e32 v117, v92
	v_mov_b32_e32 v118, v93
	v_mov_b32_e32 v119, v90
	v_mov_b32_e32 v120, v91
	v_mov_b32_e32 v121, v88
	v_mov_b32_e32 v122, v89
	v_mov_b32_e32 v123, v86
	v_mov_b32_e32 v124, v87
	v_mov_b32_e32 v125, v84
	v_mov_b32_e32 v126, v85
	v_mov_b32_e32 v127, v82
	v_mov_b32_e32 v128, v83
	v_mov_b32_e32 v129, v78
	v_mov_b32_e32 v130, v79
	ds_write2_b64 v112, v[106:107], v[108:109] offset0:2 offset1:3
	ds_write2_b64 v112, v[115:116], v[117:118] offset0:4 offset1:5
	ds_write2_b64 v112, v[119:120], v[121:122] offset0:6 offset1:7
	ds_write2_b64 v112, v[123:124], v[125:126] offset0:8 offset1:9
	ds_write2_b64 v112, v[127:128], v[129:130] offset0:10 offset1:11
	v_mov_b32_e32 v106, v80
	v_mov_b32_e32 v107, v81
	v_mov_b32_e32 v108, v74
	v_mov_b32_e32 v109, v75
	v_mov_b32_e32 v115, v76
	v_mov_b32_e32 v116, v77
	v_mov_b32_e32 v117, v72
	v_mov_b32_e32 v118, v73
	v_mov_b32_e32 v119, v70
	v_mov_b32_e32 v120, v71
	v_mov_b32_e32 v121, v68
	v_mov_b32_e32 v122, v69
	v_mov_b32_e32 v123, v66
	v_mov_b32_e32 v124, v67
	v_mov_b32_e32 v125, v64
	v_mov_b32_e32 v126, v65
	v_mov_b32_e32 v127, v62
	v_mov_b32_e32 v128, v63
	v_mov_b32_e32 v129, v58
	v_mov_b32_e32 v130, v59
	ds_write2_b64 v112, v[106:107], v[108:109] offset0:12 offset1:13
	ds_write2_b64 v112, v[115:116], v[117:118] offset0:14 offset1:15
	ds_write2_b64 v112, v[119:120], v[121:122] offset0:16 offset1:17
	ds_write2_b64 v112, v[123:124], v[125:126] offset0:18 offset1:19
	ds_write2_b64 v112, v[127:128], v[129:130] offset0:20 offset1:21
	;; [unrolled: 25-line block ×4, first 2 shown]
	v_mov_b32_e32 v106, v20
	v_mov_b32_e32 v107, v21
	;; [unrolled: 1-line block ×15, first 2 shown]
	ds_write2_b64 v112, v[106:107], v[108:109] offset0:42 offset1:43
	ds_write2_b64 v112, v[116:117], v[118:119] offset0:44 offset1:45
	;; [unrolled: 1-line block ×4, first 2 shown]
.LBB98_27:
	s_or_b32 exec_lo, exec_lo, s1
	s_waitcnt lgkmcnt(0)
	v_cmp_neq_f64_e64 s1, 0, v[0:1]
	s_mov_b32 s2, exec_lo
	s_waitcnt_vscnt null, 0x0
	s_barrier
	buffer_gl0_inv
	v_cmpx_lt_i32_e32 1, v115
	s_cbranch_execz .LBB98_29
; %bb.28:
	v_div_scale_f64 v[106:107], null, v[0:1], v[0:1], 1.0
	v_div_scale_f64 v[118:119], vcc_lo, 1.0, v[0:1], 1.0
	v_rcp_f64_e32 v[108:109], v[106:107]
	v_fma_f64 v[116:117], -v[106:107], v[108:109], 1.0
	v_fma_f64 v[108:109], v[108:109], v[116:117], v[108:109]
	v_fma_f64 v[116:117], -v[106:107], v[108:109], 1.0
	v_fma_f64 v[108:109], v[108:109], v[116:117], v[108:109]
	v_mul_f64 v[116:117], v[118:119], v[108:109]
	v_fma_f64 v[106:107], -v[106:107], v[116:117], v[118:119]
	v_div_fmas_f64 v[106:107], v[106:107], v[108:109], v[116:117]
	v_div_fixup_f64 v[106:107], v[106:107], v[0:1], 1.0
	v_cndmask_b32_e64 v1, v1, v107, s1
	v_cndmask_b32_e64 v0, v0, v106, s1
	ds_read2_b64 v[106:109], v112 offset0:2 offset1:3
	ds_read2_b64 v[116:119], v112 offset0:4 offset1:5
	;; [unrolled: 1-line block ×24, first 2 shown]
	v_mul_f64 v[98:99], v[0:1], v[98:99]
	s_waitcnt lgkmcnt(23)
	v_fma_f64 v[100:101], -v[98:99], v[106:107], v[100:101]
	v_fma_f64 v[94:95], -v[98:99], v[108:109], v[94:95]
	s_waitcnt lgkmcnt(22)
	v_fma_f64 v[96:97], -v[98:99], v[116:117], v[96:97]
	v_fma_f64 v[92:93], -v[98:99], v[118:119], v[92:93]
	;; [unrolled: 3-line block ×24, first 2 shown]
.LBB98_29:
	s_or_b32 exec_lo, exec_lo, s2
	v_lshl_add_u32 v0, v115, 3, v112
	s_barrier
	buffer_gl0_inv
	v_mov_b32_e32 v106, 2
	ds_write_b64 v0, v[100:101]
	s_waitcnt lgkmcnt(0)
	s_barrier
	buffer_gl0_inv
	ds_read_b64 v[0:1], v112 offset:16
	s_cmp_lt_i32 s7, 4
	s_mov_b32 s2, 3
	s_cbranch_scc1 .LBB98_32
; %bb.30:
	v_add3_u32 v107, v113, 0, 24
	v_mov_b32_e32 v106, 2
.LBB98_31:                              ; =>This Inner Loop Header: Depth=1
	ds_read_b64 v[108:109], v107
	v_add_nc_u32_e32 v107, 8, v107
	s_waitcnt lgkmcnt(0)
	v_cmp_lt_f64_e64 vcc_lo, |v[0:1]|, |v[108:109]|
	v_cndmask_b32_e32 v1, v1, v109, vcc_lo
	v_cndmask_b32_e32 v0, v0, v108, vcc_lo
	v_cndmask_b32_e64 v106, v106, s2, vcc_lo
	s_add_i32 s2, s2, 1
	s_cmp_lg_u32 s7, s2
	s_cbranch_scc1 .LBB98_31
.LBB98_32:
	v_cndmask_b32_e64 v107, 2, 1, s0
	v_cndmask_b32_e64 v108, 0, 1, s0
	s_mov_b32 s0, exec_lo
	v_cndmask_b32_e64 v109, v107, v108, s1
	s_waitcnt lgkmcnt(0)
	v_cmpx_eq_f64_e32 0, v[0:1]
	s_xor_b32 s0, exec_lo, s0
; %bb.33:
	v_cmp_ne_u32_e32 vcc_lo, 0, v109
	v_cndmask_b32_e32 v109, 3, v109, vcc_lo
; %bb.34:
	s_andn2_saveexec_b32 s0, s0
	s_cbranch_execz .LBB98_36
; %bb.35:
	v_div_scale_f64 v[107:108], null, v[0:1], v[0:1], 1.0
	v_rcp_f64_e32 v[116:117], v[107:108]
	v_fma_f64 v[118:119], -v[107:108], v[116:117], 1.0
	v_fma_f64 v[116:117], v[116:117], v[118:119], v[116:117]
	v_fma_f64 v[118:119], -v[107:108], v[116:117], 1.0
	v_fma_f64 v[116:117], v[116:117], v[118:119], v[116:117]
	v_div_scale_f64 v[118:119], vcc_lo, 1.0, v[0:1], 1.0
	v_mul_f64 v[120:121], v[118:119], v[116:117]
	v_fma_f64 v[107:108], -v[107:108], v[120:121], v[118:119]
	v_div_fmas_f64 v[107:108], v[107:108], v[116:117], v[120:121]
	v_div_fixup_f64 v[0:1], v[107:108], v[0:1], 1.0
.LBB98_36:
	s_or_b32 exec_lo, exec_lo, s0
	s_mov_b32 s0, exec_lo
	v_cmpx_ne_u32_e64 v115, v106
	s_xor_b32 s0, exec_lo, s0
	s_cbranch_execz .LBB98_42
; %bb.37:
	s_mov_b32 s1, exec_lo
	v_cmpx_eq_u32_e32 2, v115
	s_cbranch_execz .LBB98_41
; %bb.38:
	v_cmp_ne_u32_e32 vcc_lo, 2, v106
	s_xor_b32 s2, s6, -1
	s_and_b32 s3, s2, vcc_lo
	s_and_saveexec_b32 s2, s3
	s_cbranch_execz .LBB98_40
; %bb.39:
	v_ashrrev_i32_e32 v107, 31, v106
	v_lshlrev_b64 v[107:108], 2, v[106:107]
	v_add_co_u32 v107, vcc_lo, v4, v107
	v_add_co_ci_u32_e64 v108, null, v5, v108, vcc_lo
	s_clause 0x1
	global_load_dword v114, v[107:108], off
	global_load_dword v115, v[4:5], off offset:8
	s_waitcnt vmcnt(1)
	global_store_dword v[4:5], v114, off offset:8
	s_waitcnt vmcnt(0)
	global_store_dword v[107:108], v115, off
.LBB98_40:
	s_or_b32 exec_lo, exec_lo, s2
	v_mov_b32_e32 v114, v106
	v_mov_b32_e32 v115, v106
.LBB98_41:
	s_or_b32 exec_lo, exec_lo, s1
.LBB98_42:
	s_andn2_saveexec_b32 s0, s0
	s_cbranch_execz .LBB98_44
; %bb.43:
	v_mov_b32_e32 v115, 2
	ds_write2_b64 v112, v[94:95], v[96:97] offset0:3 offset1:4
	ds_write2_b64 v112, v[92:93], v[90:91] offset0:5 offset1:6
	;; [unrolled: 1-line block ×23, first 2 shown]
	ds_write_b64 v112, v[104:105] offset:392
.LBB98_44:
	s_or_b32 exec_lo, exec_lo, s0
	s_mov_b32 s0, exec_lo
	s_waitcnt lgkmcnt(0)
	s_waitcnt_vscnt null, 0x0
	s_barrier
	buffer_gl0_inv
	v_cmpx_lt_i32_e32 2, v115
	s_cbranch_execz .LBB98_46
; %bb.45:
	v_mul_f64 v[100:101], v[0:1], v[100:101]
	ds_read2_b64 v[116:119], v112 offset0:3 offset1:4
	ds_read2_b64 v[120:123], v112 offset0:5 offset1:6
	;; [unrolled: 1-line block ×12, first 2 shown]
	ds_read_b64 v[0:1], v112 offset:392
	s_waitcnt lgkmcnt(12)
	v_fma_f64 v[94:95], -v[100:101], v[116:117], v[94:95]
	v_fma_f64 v[96:97], -v[100:101], v[118:119], v[96:97]
	ds_read2_b64 v[116:119], v112 offset0:27 offset1:28
	s_waitcnt lgkmcnt(12)
	v_fma_f64 v[92:93], -v[100:101], v[120:121], v[92:93]
	v_fma_f64 v[90:91], -v[100:101], v[122:123], v[90:91]
	s_waitcnt lgkmcnt(11)
	v_fma_f64 v[88:89], -v[100:101], v[124:125], v[88:89]
	v_fma_f64 v[86:87], -v[100:101], v[126:127], v[86:87]
	;; [unrolled: 3-line block ×7, first 2 shown]
	ds_read2_b64 v[120:123], v112 offset0:29 offset1:30
	s_waitcnt lgkmcnt(6)
	v_fma_f64 v[64:65], -v[100:101], v[148:149], v[64:65]
	v_fma_f64 v[62:63], -v[100:101], v[150:151], v[62:63]
	ds_read2_b64 v[124:127], v112 offset0:31 offset1:32
	ds_read2_b64 v[128:131], v112 offset0:33 offset1:34
	s_waitcnt lgkmcnt(7)
	v_fma_f64 v[58:59], -v[100:101], v[152:153], v[58:59]
	v_fma_f64 v[60:61], -v[100:101], v[154:155], v[60:61]
	ds_read2_b64 v[132:135], v112 offset0:35 offset1:36
	ds_read2_b64 v[136:139], v112 offset0:37 offset1:38
	ds_read2_b64 v[140:143], v112 offset0:39 offset1:40
	ds_read2_b64 v[144:147], v112 offset0:41 offset1:42
	ds_read2_b64 v[148:151], v112 offset0:43 offset1:44
	ds_read2_b64 v[152:155], v112 offset0:45 offset1:46
	s_waitcnt lgkmcnt(9)
	v_fma_f64 v[48:49], -v[100:101], v[116:117], v[48:49]
	v_fma_f64 v[46:47], -v[100:101], v[118:119], v[46:47]
	ds_read2_b64 v[116:119], v112 offset0:47 offset1:48
	v_fma_f64 v[54:55], -v[100:101], v[156:157], v[54:55]
	v_fma_f64 v[56:57], -v[100:101], v[158:159], v[56:57]
	;; [unrolled: 1-line block ×4, first 2 shown]
	s_waitcnt lgkmcnt(9)
	v_fma_f64 v[44:45], -v[100:101], v[120:121], v[44:45]
	v_fma_f64 v[42:43], -v[100:101], v[122:123], v[42:43]
	;; [unrolled: 1-line block ×3, first 2 shown]
	s_waitcnt lgkmcnt(8)
	v_fma_f64 v[38:39], -v[100:101], v[124:125], v[38:39]
	v_fma_f64 v[40:41], -v[100:101], v[126:127], v[40:41]
	s_waitcnt lgkmcnt(7)
	v_fma_f64 v[34:35], -v[100:101], v[128:129], v[34:35]
	v_fma_f64 v[36:37], -v[100:101], v[130:131], v[36:37]
	;; [unrolled: 3-line block ×9, first 2 shown]
.LBB98_46:
	s_or_b32 exec_lo, exec_lo, s0
	v_lshl_add_u32 v0, v115, 3, v112
	s_barrier
	buffer_gl0_inv
	v_mov_b32_e32 v106, 3
	ds_write_b64 v0, v[94:95]
	s_waitcnt lgkmcnt(0)
	s_barrier
	buffer_gl0_inv
	ds_read_b64 v[0:1], v112 offset:24
	s_cmp_lt_i32 s7, 5
	s_cbranch_scc1 .LBB98_49
; %bb.47:
	v_mov_b32_e32 v106, 3
	v_add3_u32 v107, v113, 0, 32
	s_mov_b32 s0, 4
.LBB98_48:                              ; =>This Inner Loop Header: Depth=1
	ds_read_b64 v[116:117], v107
	v_add_nc_u32_e32 v107, 8, v107
	s_waitcnt lgkmcnt(0)
	v_cmp_lt_f64_e64 vcc_lo, |v[0:1]|, |v[116:117]|
	v_cndmask_b32_e32 v1, v1, v117, vcc_lo
	v_cndmask_b32_e32 v0, v0, v116, vcc_lo
	v_cndmask_b32_e64 v106, v106, s0, vcc_lo
	s_add_i32 s0, s0, 1
	s_cmp_lg_u32 s7, s0
	s_cbranch_scc1 .LBB98_48
.LBB98_49:
	s_mov_b32 s0, exec_lo
	s_waitcnt lgkmcnt(0)
	v_cmpx_eq_f64_e32 0, v[0:1]
	s_xor_b32 s0, exec_lo, s0
; %bb.50:
	v_cmp_ne_u32_e32 vcc_lo, 0, v109
	v_cndmask_b32_e32 v109, 4, v109, vcc_lo
; %bb.51:
	s_andn2_saveexec_b32 s0, s0
	s_cbranch_execz .LBB98_53
; %bb.52:
	v_div_scale_f64 v[107:108], null, v[0:1], v[0:1], 1.0
	v_rcp_f64_e32 v[116:117], v[107:108]
	v_fma_f64 v[118:119], -v[107:108], v[116:117], 1.0
	v_fma_f64 v[116:117], v[116:117], v[118:119], v[116:117]
	v_fma_f64 v[118:119], -v[107:108], v[116:117], 1.0
	v_fma_f64 v[116:117], v[116:117], v[118:119], v[116:117]
	v_div_scale_f64 v[118:119], vcc_lo, 1.0, v[0:1], 1.0
	v_mul_f64 v[120:121], v[118:119], v[116:117]
	v_fma_f64 v[107:108], -v[107:108], v[120:121], v[118:119]
	v_div_fmas_f64 v[107:108], v[107:108], v[116:117], v[120:121]
	v_div_fixup_f64 v[0:1], v[107:108], v[0:1], 1.0
.LBB98_53:
	s_or_b32 exec_lo, exec_lo, s0
	s_mov_b32 s0, exec_lo
	v_cmpx_ne_u32_e64 v115, v106
	s_xor_b32 s0, exec_lo, s0
	s_cbranch_execz .LBB98_59
; %bb.54:
	s_mov_b32 s1, exec_lo
	v_cmpx_eq_u32_e32 3, v115
	s_cbranch_execz .LBB98_58
; %bb.55:
	v_cmp_ne_u32_e32 vcc_lo, 3, v106
	s_xor_b32 s2, s6, -1
	s_and_b32 s3, s2, vcc_lo
	s_and_saveexec_b32 s2, s3
	s_cbranch_execz .LBB98_57
; %bb.56:
	v_ashrrev_i32_e32 v107, 31, v106
	v_lshlrev_b64 v[107:108], 2, v[106:107]
	v_add_co_u32 v107, vcc_lo, v4, v107
	v_add_co_ci_u32_e64 v108, null, v5, v108, vcc_lo
	s_clause 0x1
	global_load_dword v114, v[107:108], off
	global_load_dword v115, v[4:5], off offset:12
	s_waitcnt vmcnt(1)
	global_store_dword v[4:5], v114, off offset:12
	s_waitcnt vmcnt(0)
	global_store_dword v[107:108], v115, off
.LBB98_57:
	s_or_b32 exec_lo, exec_lo, s2
	v_mov_b32_e32 v114, v106
	v_mov_b32_e32 v115, v106
.LBB98_58:
	s_or_b32 exec_lo, exec_lo, s1
.LBB98_59:
	s_andn2_saveexec_b32 s0, s0
	s_cbranch_execz .LBB98_61
; %bb.60:
	v_mov_b32_e32 v106, v96
	v_mov_b32_e32 v107, v97
	;; [unrolled: 1-line block ×16, first 2 shown]
	ds_write2_b64 v112, v[106:107], v[115:116] offset0:4 offset1:5
	ds_write2_b64 v112, v[117:118], v[119:120] offset0:6 offset1:7
	ds_write2_b64 v112, v[121:122], v[123:124] offset0:8 offset1:9
	ds_write2_b64 v112, v[125:126], v[127:128] offset0:10 offset1:11
	v_mov_b32_e32 v106, v80
	v_mov_b32_e32 v107, v81
	v_mov_b32_e32 v115, v74
	v_mov_b32_e32 v116, v75
	v_mov_b32_e32 v117, v76
	v_mov_b32_e32 v118, v77
	v_mov_b32_e32 v119, v72
	v_mov_b32_e32 v120, v73
	v_mov_b32_e32 v121, v70
	v_mov_b32_e32 v122, v71
	v_mov_b32_e32 v123, v68
	v_mov_b32_e32 v124, v69
	v_mov_b32_e32 v125, v66
	v_mov_b32_e32 v126, v67
	v_mov_b32_e32 v127, v64
	v_mov_b32_e32 v128, v65
	v_mov_b32_e32 v129, v62
	v_mov_b32_e32 v130, v63
	v_mov_b32_e32 v131, v58
	v_mov_b32_e32 v132, v59
	ds_write2_b64 v112, v[106:107], v[115:116] offset0:12 offset1:13
	ds_write2_b64 v112, v[117:118], v[119:120] offset0:14 offset1:15
	ds_write2_b64 v112, v[121:122], v[123:124] offset0:16 offset1:17
	ds_write2_b64 v112, v[125:126], v[127:128] offset0:18 offset1:19
	ds_write2_b64 v112, v[129:130], v[131:132] offset0:20 offset1:21
	v_mov_b32_e32 v106, v60
	v_mov_b32_e32 v107, v61
	v_mov_b32_e32 v115, v54
	v_mov_b32_e32 v116, v55
	v_mov_b32_e32 v117, v56
	v_mov_b32_e32 v118, v57
	v_mov_b32_e32 v119, v52
	v_mov_b32_e32 v120, v53
	v_mov_b32_e32 v121, v50
	v_mov_b32_e32 v122, v51
	v_mov_b32_e32 v123, v48
	v_mov_b32_e32 v124, v49
	v_mov_b32_e32 v125, v46
	v_mov_b32_e32 v126, v47
	v_mov_b32_e32 v127, v44
	v_mov_b32_e32 v128, v45
	v_mov_b32_e32 v129, v42
	v_mov_b32_e32 v130, v43
	v_mov_b32_e32 v131, v38
	v_mov_b32_e32 v132, v39
	ds_write2_b64 v112, v[106:107], v[115:116] offset0:22 offset1:23
	ds_write2_b64 v112, v[117:118], v[119:120] offset0:24 offset1:25
	ds_write2_b64 v112, v[121:122], v[123:124] offset0:26 offset1:27
	ds_write2_b64 v112, v[125:126], v[127:128] offset0:28 offset1:29
	ds_write2_b64 v112, v[129:130], v[131:132] offset0:30 offset1:31
	v_mov_b32_e32 v106, v40
	v_mov_b32_e32 v107, v41
	v_mov_b32_e32 v115, v34
	v_mov_b32_e32 v116, v35
	v_mov_b32_e32 v117, v36
	v_mov_b32_e32 v118, v37
	v_mov_b32_e32 v119, v32
	v_mov_b32_e32 v120, v33
	v_mov_b32_e32 v121, v30
	v_mov_b32_e32 v122, v31
	v_mov_b32_e32 v123, v28
	v_mov_b32_e32 v124, v29
	v_mov_b32_e32 v125, v26
	v_mov_b32_e32 v126, v27
	v_mov_b32_e32 v127, v24
	v_mov_b32_e32 v128, v25
	v_mov_b32_e32 v129, v22
	v_mov_b32_e32 v130, v23
	v_mov_b32_e32 v131, v18
	v_mov_b32_e32 v132, v19
	ds_write2_b64 v112, v[106:107], v[115:116] offset0:32 offset1:33
	ds_write2_b64 v112, v[117:118], v[119:120] offset0:34 offset1:35
	ds_write2_b64 v112, v[121:122], v[123:124] offset0:36 offset1:37
	;; [unrolled: 1-line block ×4, first 2 shown]
	v_mov_b32_e32 v106, v20
	v_mov_b32_e32 v107, v21
	;; [unrolled: 1-line block ×15, first 2 shown]
	ds_write2_b64 v112, v[106:107], v[116:117] offset0:42 offset1:43
	ds_write2_b64 v112, v[118:119], v[120:121] offset0:44 offset1:45
	;; [unrolled: 1-line block ×4, first 2 shown]
.LBB98_61:
	s_or_b32 exec_lo, exec_lo, s0
	s_mov_b32 s0, exec_lo
	s_waitcnt lgkmcnt(0)
	s_waitcnt_vscnt null, 0x0
	s_barrier
	buffer_gl0_inv
	v_cmpx_lt_i32_e32 3, v115
	s_cbranch_execz .LBB98_63
; %bb.62:
	v_mul_f64 v[94:95], v[0:1], v[94:95]
	ds_read2_b64 v[116:119], v112 offset0:4 offset1:5
	ds_read2_b64 v[120:123], v112 offset0:6 offset1:7
	;; [unrolled: 1-line block ×11, first 2 shown]
	s_waitcnt lgkmcnt(10)
	v_fma_f64 v[96:97], -v[94:95], v[116:117], v[96:97]
	v_fma_f64 v[92:93], -v[94:95], v[118:119], v[92:93]
	ds_read2_b64 v[116:119], v112 offset0:26 offset1:27
	s_waitcnt lgkmcnt(10)
	v_fma_f64 v[90:91], -v[94:95], v[120:121], v[90:91]
	v_fma_f64 v[88:89], -v[94:95], v[122:123], v[88:89]
	s_waitcnt lgkmcnt(9)
	v_fma_f64 v[86:87], -v[94:95], v[124:125], v[86:87]
	v_fma_f64 v[84:85], -v[94:95], v[126:127], v[84:85]
	;; [unrolled: 3-line block ×6, first 2 shown]
	ds_read2_b64 v[120:123], v112 offset0:28 offset1:29
	s_waitcnt lgkmcnt(5)
	v_fma_f64 v[66:67], -v[94:95], v[144:145], v[66:67]
	v_fma_f64 v[64:65], -v[94:95], v[146:147], v[64:65]
	ds_read2_b64 v[124:127], v112 offset0:30 offset1:31
	ds_read2_b64 v[128:131], v112 offset0:32 offset1:33
	s_waitcnt lgkmcnt(6)
	v_fma_f64 v[62:63], -v[94:95], v[148:149], v[62:63]
	v_fma_f64 v[58:59], -v[94:95], v[150:151], v[58:59]
	ds_read2_b64 v[132:135], v112 offset0:34 offset1:35
	;; [unrolled: 5-line block ×5, first 2 shown]
	ds_read2_b64 v[156:159], v112 offset0:48 offset1:49
	s_waitcnt lgkmcnt(10)
	v_fma_f64 v[46:47], -v[94:95], v[120:121], v[46:47]
	v_fma_f64 v[44:45], -v[94:95], v[122:123], v[44:45]
	s_waitcnt lgkmcnt(9)
	v_fma_f64 v[42:43], -v[94:95], v[124:125], v[42:43]
	v_fma_f64 v[38:39], -v[94:95], v[126:127], v[38:39]
	;; [unrolled: 3-line block ×11, first 2 shown]
.LBB98_63:
	s_or_b32 exec_lo, exec_lo, s0
	v_lshl_add_u32 v0, v115, 3, v112
	s_barrier
	buffer_gl0_inv
	v_mov_b32_e32 v106, 4
	ds_write_b64 v0, v[96:97]
	s_waitcnt lgkmcnt(0)
	s_barrier
	buffer_gl0_inv
	ds_read_b64 v[0:1], v112 offset:32
	s_cmp_lt_i32 s7, 6
	s_cbranch_scc1 .LBB98_66
; %bb.64:
	v_add3_u32 v107, v113, 0, 40
	v_mov_b32_e32 v106, 4
	s_mov_b32 s0, 5
.LBB98_65:                              ; =>This Inner Loop Header: Depth=1
	ds_read_b64 v[116:117], v107
	v_add_nc_u32_e32 v107, 8, v107
	s_waitcnt lgkmcnt(0)
	v_cmp_lt_f64_e64 vcc_lo, |v[0:1]|, |v[116:117]|
	v_cndmask_b32_e32 v1, v1, v117, vcc_lo
	v_cndmask_b32_e32 v0, v0, v116, vcc_lo
	v_cndmask_b32_e64 v106, v106, s0, vcc_lo
	s_add_i32 s0, s0, 1
	s_cmp_lg_u32 s7, s0
	s_cbranch_scc1 .LBB98_65
.LBB98_66:
	s_mov_b32 s0, exec_lo
	s_waitcnt lgkmcnt(0)
	v_cmpx_eq_f64_e32 0, v[0:1]
	s_xor_b32 s0, exec_lo, s0
; %bb.67:
	v_cmp_ne_u32_e32 vcc_lo, 0, v109
	v_cndmask_b32_e32 v109, 5, v109, vcc_lo
; %bb.68:
	s_andn2_saveexec_b32 s0, s0
	s_cbranch_execz .LBB98_70
; %bb.69:
	v_div_scale_f64 v[107:108], null, v[0:1], v[0:1], 1.0
	v_rcp_f64_e32 v[116:117], v[107:108]
	v_fma_f64 v[118:119], -v[107:108], v[116:117], 1.0
	v_fma_f64 v[116:117], v[116:117], v[118:119], v[116:117]
	v_fma_f64 v[118:119], -v[107:108], v[116:117], 1.0
	v_fma_f64 v[116:117], v[116:117], v[118:119], v[116:117]
	v_div_scale_f64 v[118:119], vcc_lo, 1.0, v[0:1], 1.0
	v_mul_f64 v[120:121], v[118:119], v[116:117]
	v_fma_f64 v[107:108], -v[107:108], v[120:121], v[118:119]
	v_div_fmas_f64 v[107:108], v[107:108], v[116:117], v[120:121]
	v_div_fixup_f64 v[0:1], v[107:108], v[0:1], 1.0
.LBB98_70:
	s_or_b32 exec_lo, exec_lo, s0
	s_mov_b32 s0, exec_lo
	v_cmpx_ne_u32_e64 v115, v106
	s_xor_b32 s0, exec_lo, s0
	s_cbranch_execz .LBB98_76
; %bb.71:
	s_mov_b32 s1, exec_lo
	v_cmpx_eq_u32_e32 4, v115
	s_cbranch_execz .LBB98_75
; %bb.72:
	v_cmp_ne_u32_e32 vcc_lo, 4, v106
	s_xor_b32 s2, s6, -1
	s_and_b32 s3, s2, vcc_lo
	s_and_saveexec_b32 s2, s3
	s_cbranch_execz .LBB98_74
; %bb.73:
	v_ashrrev_i32_e32 v107, 31, v106
	v_lshlrev_b64 v[107:108], 2, v[106:107]
	v_add_co_u32 v107, vcc_lo, v4, v107
	v_add_co_ci_u32_e64 v108, null, v5, v108, vcc_lo
	s_clause 0x1
	global_load_dword v114, v[107:108], off
	global_load_dword v115, v[4:5], off offset:16
	s_waitcnt vmcnt(1)
	global_store_dword v[4:5], v114, off offset:16
	s_waitcnt vmcnt(0)
	global_store_dword v[107:108], v115, off
.LBB98_74:
	s_or_b32 exec_lo, exec_lo, s2
	v_mov_b32_e32 v114, v106
	v_mov_b32_e32 v115, v106
.LBB98_75:
	s_or_b32 exec_lo, exec_lo, s1
.LBB98_76:
	s_andn2_saveexec_b32 s0, s0
	s_cbranch_execz .LBB98_78
; %bb.77:
	v_mov_b32_e32 v115, 4
	ds_write2_b64 v112, v[92:93], v[90:91] offset0:5 offset1:6
	ds_write2_b64 v112, v[88:89], v[86:87] offset0:7 offset1:8
	;; [unrolled: 1-line block ×22, first 2 shown]
	ds_write_b64 v112, v[104:105] offset:392
.LBB98_78:
	s_or_b32 exec_lo, exec_lo, s0
	s_mov_b32 s0, exec_lo
	s_waitcnt lgkmcnt(0)
	s_waitcnt_vscnt null, 0x0
	s_barrier
	buffer_gl0_inv
	v_cmpx_lt_i32_e32 4, v115
	s_cbranch_execz .LBB98_80
; %bb.79:
	v_mul_f64 v[96:97], v[0:1], v[96:97]
	ds_read2_b64 v[116:119], v112 offset0:5 offset1:6
	ds_read2_b64 v[120:123], v112 offset0:7 offset1:8
	;; [unrolled: 1-line block ×11, first 2 shown]
	ds_read_b64 v[0:1], v112 offset:392
	s_waitcnt lgkmcnt(11)
	v_fma_f64 v[92:93], -v[96:97], v[116:117], v[92:93]
	v_fma_f64 v[90:91], -v[96:97], v[118:119], v[90:91]
	ds_read2_b64 v[116:119], v112 offset0:27 offset1:28
	s_waitcnt lgkmcnt(11)
	v_fma_f64 v[88:89], -v[96:97], v[120:121], v[88:89]
	v_fma_f64 v[86:87], -v[96:97], v[122:123], v[86:87]
	s_waitcnt lgkmcnt(10)
	v_fma_f64 v[84:85], -v[96:97], v[124:125], v[84:85]
	v_fma_f64 v[82:83], -v[96:97], v[126:127], v[82:83]
	;; [unrolled: 3-line block ×6, first 2 shown]
	ds_read2_b64 v[120:123], v112 offset0:29 offset1:30
	s_waitcnt lgkmcnt(6)
	v_fma_f64 v[64:65], -v[96:97], v[144:145], v[64:65]
	v_fma_f64 v[62:63], -v[96:97], v[146:147], v[62:63]
	ds_read2_b64 v[124:127], v112 offset0:31 offset1:32
	ds_read2_b64 v[128:131], v112 offset0:33 offset1:34
	s_waitcnt lgkmcnt(7)
	v_fma_f64 v[58:59], -v[96:97], v[148:149], v[58:59]
	v_fma_f64 v[60:61], -v[96:97], v[150:151], v[60:61]
	ds_read2_b64 v[132:135], v112 offset0:35 offset1:36
	;; [unrolled: 5-line block ×3, first 2 shown]
	ds_read2_b64 v[144:147], v112 offset0:41 offset1:42
	ds_read2_b64 v[148:151], v112 offset0:43 offset1:44
	;; [unrolled: 1-line block ×3, first 2 shown]
	s_waitcnt lgkmcnt(9)
	v_fma_f64 v[48:49], -v[96:97], v[116:117], v[48:49]
	v_fma_f64 v[46:47], -v[96:97], v[118:119], v[46:47]
	ds_read2_b64 v[116:119], v112 offset0:47 offset1:48
	v_fma_f64 v[52:53], -v[96:97], v[156:157], v[52:53]
	v_fma_f64 v[50:51], -v[96:97], v[158:159], v[50:51]
	s_waitcnt lgkmcnt(9)
	v_fma_f64 v[44:45], -v[96:97], v[120:121], v[44:45]
	v_fma_f64 v[42:43], -v[96:97], v[122:123], v[42:43]
	;; [unrolled: 1-line block ×3, first 2 shown]
	s_waitcnt lgkmcnt(8)
	v_fma_f64 v[38:39], -v[96:97], v[124:125], v[38:39]
	v_fma_f64 v[40:41], -v[96:97], v[126:127], v[40:41]
	s_waitcnt lgkmcnt(7)
	v_fma_f64 v[34:35], -v[96:97], v[128:129], v[34:35]
	v_fma_f64 v[36:37], -v[96:97], v[130:131], v[36:37]
	;; [unrolled: 3-line block ×9, first 2 shown]
.LBB98_80:
	s_or_b32 exec_lo, exec_lo, s0
	v_lshl_add_u32 v0, v115, 3, v112
	s_barrier
	buffer_gl0_inv
	v_mov_b32_e32 v106, 5
	ds_write_b64 v0, v[92:93]
	s_waitcnt lgkmcnt(0)
	s_barrier
	buffer_gl0_inv
	ds_read_b64 v[0:1], v112 offset:40
	s_cmp_lt_i32 s7, 7
	s_cbranch_scc1 .LBB98_83
; %bb.81:
	v_add3_u32 v107, v113, 0, 48
	v_mov_b32_e32 v106, 5
	s_mov_b32 s0, 6
.LBB98_82:                              ; =>This Inner Loop Header: Depth=1
	ds_read_b64 v[116:117], v107
	v_add_nc_u32_e32 v107, 8, v107
	s_waitcnt lgkmcnt(0)
	v_cmp_lt_f64_e64 vcc_lo, |v[0:1]|, |v[116:117]|
	v_cndmask_b32_e32 v1, v1, v117, vcc_lo
	v_cndmask_b32_e32 v0, v0, v116, vcc_lo
	v_cndmask_b32_e64 v106, v106, s0, vcc_lo
	s_add_i32 s0, s0, 1
	s_cmp_lg_u32 s7, s0
	s_cbranch_scc1 .LBB98_82
.LBB98_83:
	s_mov_b32 s0, exec_lo
	s_waitcnt lgkmcnt(0)
	v_cmpx_eq_f64_e32 0, v[0:1]
	s_xor_b32 s0, exec_lo, s0
; %bb.84:
	v_cmp_ne_u32_e32 vcc_lo, 0, v109
	v_cndmask_b32_e32 v109, 6, v109, vcc_lo
; %bb.85:
	s_andn2_saveexec_b32 s0, s0
	s_cbranch_execz .LBB98_87
; %bb.86:
	v_div_scale_f64 v[107:108], null, v[0:1], v[0:1], 1.0
	v_rcp_f64_e32 v[116:117], v[107:108]
	v_fma_f64 v[118:119], -v[107:108], v[116:117], 1.0
	v_fma_f64 v[116:117], v[116:117], v[118:119], v[116:117]
	v_fma_f64 v[118:119], -v[107:108], v[116:117], 1.0
	v_fma_f64 v[116:117], v[116:117], v[118:119], v[116:117]
	v_div_scale_f64 v[118:119], vcc_lo, 1.0, v[0:1], 1.0
	v_mul_f64 v[120:121], v[118:119], v[116:117]
	v_fma_f64 v[107:108], -v[107:108], v[120:121], v[118:119]
	v_div_fmas_f64 v[107:108], v[107:108], v[116:117], v[120:121]
	v_div_fixup_f64 v[0:1], v[107:108], v[0:1], 1.0
.LBB98_87:
	s_or_b32 exec_lo, exec_lo, s0
	s_mov_b32 s0, exec_lo
	v_cmpx_ne_u32_e64 v115, v106
	s_xor_b32 s0, exec_lo, s0
	s_cbranch_execz .LBB98_93
; %bb.88:
	s_mov_b32 s1, exec_lo
	v_cmpx_eq_u32_e32 5, v115
	s_cbranch_execz .LBB98_92
; %bb.89:
	v_cmp_ne_u32_e32 vcc_lo, 5, v106
	s_xor_b32 s2, s6, -1
	s_and_b32 s3, s2, vcc_lo
	s_and_saveexec_b32 s2, s3
	s_cbranch_execz .LBB98_91
; %bb.90:
	v_ashrrev_i32_e32 v107, 31, v106
	v_lshlrev_b64 v[107:108], 2, v[106:107]
	v_add_co_u32 v107, vcc_lo, v4, v107
	v_add_co_ci_u32_e64 v108, null, v5, v108, vcc_lo
	s_clause 0x1
	global_load_dword v114, v[107:108], off
	global_load_dword v115, v[4:5], off offset:20
	s_waitcnt vmcnt(1)
	global_store_dword v[4:5], v114, off offset:20
	s_waitcnt vmcnt(0)
	global_store_dword v[107:108], v115, off
.LBB98_91:
	s_or_b32 exec_lo, exec_lo, s2
	v_mov_b32_e32 v114, v106
	v_mov_b32_e32 v115, v106
.LBB98_92:
	s_or_b32 exec_lo, exec_lo, s1
.LBB98_93:
	s_andn2_saveexec_b32 s0, s0
	s_cbranch_execz .LBB98_95
; %bb.94:
	v_mov_b32_e32 v106, v90
	v_mov_b32_e32 v107, v91
	;; [unrolled: 1-line block ×12, first 2 shown]
	ds_write2_b64 v112, v[106:107], v[115:116] offset0:6 offset1:7
	ds_write2_b64 v112, v[117:118], v[119:120] offset0:8 offset1:9
	ds_write2_b64 v112, v[121:122], v[123:124] offset0:10 offset1:11
	v_mov_b32_e32 v106, v80
	v_mov_b32_e32 v107, v81
	v_mov_b32_e32 v115, v74
	v_mov_b32_e32 v116, v75
	v_mov_b32_e32 v117, v76
	v_mov_b32_e32 v118, v77
	v_mov_b32_e32 v119, v72
	v_mov_b32_e32 v120, v73
	v_mov_b32_e32 v121, v70
	v_mov_b32_e32 v122, v71
	v_mov_b32_e32 v123, v68
	v_mov_b32_e32 v124, v69
	v_mov_b32_e32 v125, v66
	v_mov_b32_e32 v126, v67
	v_mov_b32_e32 v127, v64
	v_mov_b32_e32 v128, v65
	v_mov_b32_e32 v129, v62
	v_mov_b32_e32 v130, v63
	v_mov_b32_e32 v131, v58
	v_mov_b32_e32 v132, v59
	ds_write2_b64 v112, v[106:107], v[115:116] offset0:12 offset1:13
	ds_write2_b64 v112, v[117:118], v[119:120] offset0:14 offset1:15
	ds_write2_b64 v112, v[121:122], v[123:124] offset0:16 offset1:17
	ds_write2_b64 v112, v[125:126], v[127:128] offset0:18 offset1:19
	ds_write2_b64 v112, v[129:130], v[131:132] offset0:20 offset1:21
	v_mov_b32_e32 v106, v60
	v_mov_b32_e32 v107, v61
	v_mov_b32_e32 v115, v54
	v_mov_b32_e32 v116, v55
	v_mov_b32_e32 v117, v56
	v_mov_b32_e32 v118, v57
	v_mov_b32_e32 v119, v52
	v_mov_b32_e32 v120, v53
	v_mov_b32_e32 v121, v50
	v_mov_b32_e32 v122, v51
	v_mov_b32_e32 v123, v48
	v_mov_b32_e32 v124, v49
	v_mov_b32_e32 v125, v46
	v_mov_b32_e32 v126, v47
	v_mov_b32_e32 v127, v44
	v_mov_b32_e32 v128, v45
	v_mov_b32_e32 v129, v42
	v_mov_b32_e32 v130, v43
	v_mov_b32_e32 v131, v38
	v_mov_b32_e32 v132, v39
	ds_write2_b64 v112, v[106:107], v[115:116] offset0:22 offset1:23
	ds_write2_b64 v112, v[117:118], v[119:120] offset0:24 offset1:25
	ds_write2_b64 v112, v[121:122], v[123:124] offset0:26 offset1:27
	ds_write2_b64 v112, v[125:126], v[127:128] offset0:28 offset1:29
	ds_write2_b64 v112, v[129:130], v[131:132] offset0:30 offset1:31
	v_mov_b32_e32 v106, v40
	v_mov_b32_e32 v107, v41
	v_mov_b32_e32 v115, v34
	v_mov_b32_e32 v116, v35
	v_mov_b32_e32 v117, v36
	v_mov_b32_e32 v118, v37
	v_mov_b32_e32 v119, v32
	v_mov_b32_e32 v120, v33
	v_mov_b32_e32 v121, v30
	v_mov_b32_e32 v122, v31
	v_mov_b32_e32 v123, v28
	v_mov_b32_e32 v124, v29
	v_mov_b32_e32 v125, v26
	v_mov_b32_e32 v126, v27
	v_mov_b32_e32 v127, v24
	v_mov_b32_e32 v128, v25
	v_mov_b32_e32 v129, v22
	v_mov_b32_e32 v130, v23
	v_mov_b32_e32 v131, v18
	v_mov_b32_e32 v132, v19
	ds_write2_b64 v112, v[106:107], v[115:116] offset0:32 offset1:33
	ds_write2_b64 v112, v[117:118], v[119:120] offset0:34 offset1:35
	ds_write2_b64 v112, v[121:122], v[123:124] offset0:36 offset1:37
	ds_write2_b64 v112, v[125:126], v[127:128] offset0:38 offset1:39
	;; [unrolled: 1-line block ×3, first 2 shown]
	v_mov_b32_e32 v106, v20
	v_mov_b32_e32 v107, v21
	;; [unrolled: 1-line block ×15, first 2 shown]
	ds_write2_b64 v112, v[106:107], v[116:117] offset0:42 offset1:43
	ds_write2_b64 v112, v[118:119], v[120:121] offset0:44 offset1:45
	ds_write2_b64 v112, v[122:123], v[124:125] offset0:46 offset1:47
	ds_write2_b64 v112, v[126:127], v[104:105] offset0:48 offset1:49
.LBB98_95:
	s_or_b32 exec_lo, exec_lo, s0
	s_mov_b32 s0, exec_lo
	s_waitcnt lgkmcnt(0)
	s_waitcnt_vscnt null, 0x0
	s_barrier
	buffer_gl0_inv
	v_cmpx_lt_i32_e32 5, v115
	s_cbranch_execz .LBB98_97
; %bb.96:
	v_mul_f64 v[92:93], v[0:1], v[92:93]
	ds_read2_b64 v[116:119], v112 offset0:6 offset1:7
	ds_read2_b64 v[120:123], v112 offset0:8 offset1:9
	ds_read2_b64 v[124:127], v112 offset0:10 offset1:11
	ds_read2_b64 v[128:131], v112 offset0:12 offset1:13
	ds_read2_b64 v[132:135], v112 offset0:14 offset1:15
	ds_read2_b64 v[136:139], v112 offset0:16 offset1:17
	ds_read2_b64 v[140:143], v112 offset0:18 offset1:19
	ds_read2_b64 v[144:147], v112 offset0:20 offset1:21
	ds_read2_b64 v[148:151], v112 offset0:22 offset1:23
	ds_read2_b64 v[152:155], v112 offset0:24 offset1:25
	ds_read2_b64 v[156:159], v112 offset0:26 offset1:27
	s_waitcnt lgkmcnt(10)
	v_fma_f64 v[90:91], -v[92:93], v[116:117], v[90:91]
	v_fma_f64 v[88:89], -v[92:93], v[118:119], v[88:89]
	s_waitcnt lgkmcnt(9)
	v_fma_f64 v[86:87], -v[92:93], v[120:121], v[86:87]
	v_fma_f64 v[84:85], -v[92:93], v[122:123], v[84:85]
	;; [unrolled: 3-line block ×6, first 2 shown]
	ds_read2_b64 v[116:119], v112 offset0:28 offset1:29
	ds_read2_b64 v[120:123], v112 offset0:30 offset1:31
	s_waitcnt lgkmcnt(6)
	v_fma_f64 v[66:67], -v[92:93], v[140:141], v[66:67]
	v_fma_f64 v[64:65], -v[92:93], v[142:143], v[64:65]
	s_waitcnt lgkmcnt(5)
	v_fma_f64 v[62:63], -v[92:93], v[144:145], v[62:63]
	ds_read2_b64 v[124:127], v112 offset0:32 offset1:33
	ds_read2_b64 v[128:131], v112 offset0:34 offset1:35
	v_fma_f64 v[58:59], -v[92:93], v[146:147], v[58:59]
	s_waitcnt lgkmcnt(6)
	v_fma_f64 v[60:61], -v[92:93], v[148:149], v[60:61]
	ds_read2_b64 v[132:135], v112 offset0:36 offset1:37
	ds_read2_b64 v[136:139], v112 offset0:38 offset1:39
	;; [unrolled: 5-line block ×4, first 2 shown]
	v_fma_f64 v[48:49], -v[92:93], v[158:159], v[48:49]
	ds_read2_b64 v[156:159], v112 offset0:48 offset1:49
	s_waitcnt lgkmcnt(10)
	v_fma_f64 v[46:47], -v[92:93], v[116:117], v[46:47]
	v_fma_f64 v[44:45], -v[92:93], v[118:119], v[44:45]
	s_waitcnt lgkmcnt(9)
	v_fma_f64 v[42:43], -v[92:93], v[120:121], v[42:43]
	v_fma_f64 v[38:39], -v[92:93], v[122:123], v[38:39]
	;; [unrolled: 3-line block ×11, first 2 shown]
.LBB98_97:
	s_or_b32 exec_lo, exec_lo, s0
	v_lshl_add_u32 v0, v115, 3, v112
	s_barrier
	buffer_gl0_inv
	v_mov_b32_e32 v106, 6
	ds_write_b64 v0, v[90:91]
	s_waitcnt lgkmcnt(0)
	s_barrier
	buffer_gl0_inv
	ds_read_b64 v[0:1], v112 offset:48
	s_cmp_lt_i32 s7, 8
	s_cbranch_scc1 .LBB98_100
; %bb.98:
	v_add3_u32 v107, v113, 0, 56
	v_mov_b32_e32 v106, 6
	s_mov_b32 s0, 7
.LBB98_99:                              ; =>This Inner Loop Header: Depth=1
	ds_read_b64 v[116:117], v107
	v_add_nc_u32_e32 v107, 8, v107
	s_waitcnt lgkmcnt(0)
	v_cmp_lt_f64_e64 vcc_lo, |v[0:1]|, |v[116:117]|
	v_cndmask_b32_e32 v1, v1, v117, vcc_lo
	v_cndmask_b32_e32 v0, v0, v116, vcc_lo
	v_cndmask_b32_e64 v106, v106, s0, vcc_lo
	s_add_i32 s0, s0, 1
	s_cmp_lg_u32 s7, s0
	s_cbranch_scc1 .LBB98_99
.LBB98_100:
	s_mov_b32 s0, exec_lo
	s_waitcnt lgkmcnt(0)
	v_cmpx_eq_f64_e32 0, v[0:1]
	s_xor_b32 s0, exec_lo, s0
; %bb.101:
	v_cmp_ne_u32_e32 vcc_lo, 0, v109
	v_cndmask_b32_e32 v109, 7, v109, vcc_lo
; %bb.102:
	s_andn2_saveexec_b32 s0, s0
	s_cbranch_execz .LBB98_104
; %bb.103:
	v_div_scale_f64 v[107:108], null, v[0:1], v[0:1], 1.0
	v_rcp_f64_e32 v[116:117], v[107:108]
	v_fma_f64 v[118:119], -v[107:108], v[116:117], 1.0
	v_fma_f64 v[116:117], v[116:117], v[118:119], v[116:117]
	v_fma_f64 v[118:119], -v[107:108], v[116:117], 1.0
	v_fma_f64 v[116:117], v[116:117], v[118:119], v[116:117]
	v_div_scale_f64 v[118:119], vcc_lo, 1.0, v[0:1], 1.0
	v_mul_f64 v[120:121], v[118:119], v[116:117]
	v_fma_f64 v[107:108], -v[107:108], v[120:121], v[118:119]
	v_div_fmas_f64 v[107:108], v[107:108], v[116:117], v[120:121]
	v_div_fixup_f64 v[0:1], v[107:108], v[0:1], 1.0
.LBB98_104:
	s_or_b32 exec_lo, exec_lo, s0
	s_mov_b32 s0, exec_lo
	v_cmpx_ne_u32_e64 v115, v106
	s_xor_b32 s0, exec_lo, s0
	s_cbranch_execz .LBB98_110
; %bb.105:
	s_mov_b32 s1, exec_lo
	v_cmpx_eq_u32_e32 6, v115
	s_cbranch_execz .LBB98_109
; %bb.106:
	v_cmp_ne_u32_e32 vcc_lo, 6, v106
	s_xor_b32 s2, s6, -1
	s_and_b32 s3, s2, vcc_lo
	s_and_saveexec_b32 s2, s3
	s_cbranch_execz .LBB98_108
; %bb.107:
	v_ashrrev_i32_e32 v107, 31, v106
	v_lshlrev_b64 v[107:108], 2, v[106:107]
	v_add_co_u32 v107, vcc_lo, v4, v107
	v_add_co_ci_u32_e64 v108, null, v5, v108, vcc_lo
	s_clause 0x1
	global_load_dword v114, v[107:108], off
	global_load_dword v115, v[4:5], off offset:24
	s_waitcnt vmcnt(1)
	global_store_dword v[4:5], v114, off offset:24
	s_waitcnt vmcnt(0)
	global_store_dword v[107:108], v115, off
.LBB98_108:
	s_or_b32 exec_lo, exec_lo, s2
	v_mov_b32_e32 v114, v106
	v_mov_b32_e32 v115, v106
.LBB98_109:
	s_or_b32 exec_lo, exec_lo, s1
.LBB98_110:
	s_andn2_saveexec_b32 s0, s0
	s_cbranch_execz .LBB98_112
; %bb.111:
	v_mov_b32_e32 v115, 6
	ds_write2_b64 v112, v[88:89], v[86:87] offset0:7 offset1:8
	ds_write2_b64 v112, v[84:85], v[82:83] offset0:9 offset1:10
	;; [unrolled: 1-line block ×21, first 2 shown]
	ds_write_b64 v112, v[104:105] offset:392
.LBB98_112:
	s_or_b32 exec_lo, exec_lo, s0
	s_mov_b32 s0, exec_lo
	s_waitcnt lgkmcnt(0)
	s_waitcnt_vscnt null, 0x0
	s_barrier
	buffer_gl0_inv
	v_cmpx_lt_i32_e32 6, v115
	s_cbranch_execz .LBB98_114
; %bb.113:
	v_mul_f64 v[90:91], v[0:1], v[90:91]
	ds_read2_b64 v[116:119], v112 offset0:7 offset1:8
	ds_read2_b64 v[120:123], v112 offset0:9 offset1:10
	;; [unrolled: 1-line block ×11, first 2 shown]
	ds_read_b64 v[0:1], v112 offset:392
	s_waitcnt lgkmcnt(11)
	v_fma_f64 v[88:89], -v[90:91], v[116:117], v[88:89]
	v_fma_f64 v[86:87], -v[90:91], v[118:119], v[86:87]
	s_waitcnt lgkmcnt(10)
	v_fma_f64 v[84:85], -v[90:91], v[120:121], v[84:85]
	v_fma_f64 v[82:83], -v[90:91], v[122:123], v[82:83]
	;; [unrolled: 3-line block ×6, first 2 shown]
	ds_read2_b64 v[116:119], v112 offset0:29 offset1:30
	ds_read2_b64 v[120:123], v112 offset0:31 offset1:32
	s_waitcnt lgkmcnt(7)
	v_fma_f64 v[64:65], -v[90:91], v[140:141], v[64:65]
	v_fma_f64 v[62:63], -v[90:91], v[142:143], v[62:63]
	s_waitcnt lgkmcnt(6)
	v_fma_f64 v[58:59], -v[90:91], v[144:145], v[58:59]
	ds_read2_b64 v[124:127], v112 offset0:33 offset1:34
	ds_read2_b64 v[128:131], v112 offset0:35 offset1:36
	v_fma_f64 v[60:61], -v[90:91], v[146:147], v[60:61]
	s_waitcnt lgkmcnt(7)
	v_fma_f64 v[54:55], -v[90:91], v[148:149], v[54:55]
	ds_read2_b64 v[132:135], v112 offset0:37 offset1:38
	ds_read2_b64 v[136:139], v112 offset0:39 offset1:40
	;; [unrolled: 5-line block ×3, first 2 shown]
	v_fma_f64 v[50:51], -v[90:91], v[154:155], v[50:51]
	ds_read2_b64 v[148:151], v112 offset0:45 offset1:46
	ds_read2_b64 v[152:155], v112 offset0:47 offset1:48
	s_waitcnt lgkmcnt(11)
	v_fma_f64 v[48:49], -v[90:91], v[156:157], v[48:49]
	v_fma_f64 v[46:47], -v[90:91], v[158:159], v[46:47]
	s_waitcnt lgkmcnt(9)
	v_fma_f64 v[44:45], -v[90:91], v[116:117], v[44:45]
	v_fma_f64 v[42:43], -v[90:91], v[118:119], v[42:43]
	;; [unrolled: 3-line block ×3, first 2 shown]
	v_fma_f64 v[104:105], -v[90:91], v[0:1], v[104:105]
	s_waitcnt lgkmcnt(7)
	v_fma_f64 v[34:35], -v[90:91], v[124:125], v[34:35]
	v_fma_f64 v[36:37], -v[90:91], v[126:127], v[36:37]
	s_waitcnt lgkmcnt(6)
	v_fma_f64 v[32:33], -v[90:91], v[128:129], v[32:33]
	;; [unrolled: 3-line block ×8, first 2 shown]
	v_fma_f64 v[10:11], -v[90:91], v[154:155], v[10:11]
.LBB98_114:
	s_or_b32 exec_lo, exec_lo, s0
	v_lshl_add_u32 v0, v115, 3, v112
	s_barrier
	buffer_gl0_inv
	v_mov_b32_e32 v106, 7
	ds_write_b64 v0, v[88:89]
	s_waitcnt lgkmcnt(0)
	s_barrier
	buffer_gl0_inv
	ds_read_b64 v[0:1], v112 offset:56
	s_cmp_lt_i32 s7, 9
	s_cbranch_scc1 .LBB98_117
; %bb.115:
	v_add3_u32 v107, v113, 0, 64
	v_mov_b32_e32 v106, 7
	s_mov_b32 s0, 8
.LBB98_116:                             ; =>This Inner Loop Header: Depth=1
	ds_read_b64 v[116:117], v107
	v_add_nc_u32_e32 v107, 8, v107
	s_waitcnt lgkmcnt(0)
	v_cmp_lt_f64_e64 vcc_lo, |v[0:1]|, |v[116:117]|
	v_cndmask_b32_e32 v1, v1, v117, vcc_lo
	v_cndmask_b32_e32 v0, v0, v116, vcc_lo
	v_cndmask_b32_e64 v106, v106, s0, vcc_lo
	s_add_i32 s0, s0, 1
	s_cmp_lg_u32 s7, s0
	s_cbranch_scc1 .LBB98_116
.LBB98_117:
	s_mov_b32 s0, exec_lo
	s_waitcnt lgkmcnt(0)
	v_cmpx_eq_f64_e32 0, v[0:1]
	s_xor_b32 s0, exec_lo, s0
; %bb.118:
	v_cmp_ne_u32_e32 vcc_lo, 0, v109
	v_cndmask_b32_e32 v109, 8, v109, vcc_lo
; %bb.119:
	s_andn2_saveexec_b32 s0, s0
	s_cbranch_execz .LBB98_121
; %bb.120:
	v_div_scale_f64 v[107:108], null, v[0:1], v[0:1], 1.0
	v_rcp_f64_e32 v[116:117], v[107:108]
	v_fma_f64 v[118:119], -v[107:108], v[116:117], 1.0
	v_fma_f64 v[116:117], v[116:117], v[118:119], v[116:117]
	v_fma_f64 v[118:119], -v[107:108], v[116:117], 1.0
	v_fma_f64 v[116:117], v[116:117], v[118:119], v[116:117]
	v_div_scale_f64 v[118:119], vcc_lo, 1.0, v[0:1], 1.0
	v_mul_f64 v[120:121], v[118:119], v[116:117]
	v_fma_f64 v[107:108], -v[107:108], v[120:121], v[118:119]
	v_div_fmas_f64 v[107:108], v[107:108], v[116:117], v[120:121]
	v_div_fixup_f64 v[0:1], v[107:108], v[0:1], 1.0
.LBB98_121:
	s_or_b32 exec_lo, exec_lo, s0
	s_mov_b32 s0, exec_lo
	v_cmpx_ne_u32_e64 v115, v106
	s_xor_b32 s0, exec_lo, s0
	s_cbranch_execz .LBB98_127
; %bb.122:
	s_mov_b32 s1, exec_lo
	v_cmpx_eq_u32_e32 7, v115
	s_cbranch_execz .LBB98_126
; %bb.123:
	v_cmp_ne_u32_e32 vcc_lo, 7, v106
	s_xor_b32 s2, s6, -1
	s_and_b32 s3, s2, vcc_lo
	s_and_saveexec_b32 s2, s3
	s_cbranch_execz .LBB98_125
; %bb.124:
	v_ashrrev_i32_e32 v107, 31, v106
	v_lshlrev_b64 v[107:108], 2, v[106:107]
	v_add_co_u32 v107, vcc_lo, v4, v107
	v_add_co_ci_u32_e64 v108, null, v5, v108, vcc_lo
	s_clause 0x1
	global_load_dword v114, v[107:108], off
	global_load_dword v115, v[4:5], off offset:28
	s_waitcnt vmcnt(1)
	global_store_dword v[4:5], v114, off offset:28
	s_waitcnt vmcnt(0)
	global_store_dword v[107:108], v115, off
.LBB98_125:
	s_or_b32 exec_lo, exec_lo, s2
	v_mov_b32_e32 v114, v106
	v_mov_b32_e32 v115, v106
.LBB98_126:
	s_or_b32 exec_lo, exec_lo, s1
.LBB98_127:
	s_andn2_saveexec_b32 s0, s0
	s_cbranch_execz .LBB98_129
; %bb.128:
	v_mov_b32_e32 v106, v86
	v_mov_b32_e32 v107, v87
	;; [unrolled: 1-line block ×8, first 2 shown]
	ds_write2_b64 v112, v[106:107], v[115:116] offset0:8 offset1:9
	ds_write2_b64 v112, v[117:118], v[119:120] offset0:10 offset1:11
	v_mov_b32_e32 v106, v80
	v_mov_b32_e32 v107, v81
	v_mov_b32_e32 v115, v74
	v_mov_b32_e32 v116, v75
	v_mov_b32_e32 v117, v76
	v_mov_b32_e32 v118, v77
	v_mov_b32_e32 v119, v72
	v_mov_b32_e32 v120, v73
	v_mov_b32_e32 v121, v70
	v_mov_b32_e32 v122, v71
	v_mov_b32_e32 v123, v68
	v_mov_b32_e32 v124, v69
	v_mov_b32_e32 v125, v66
	v_mov_b32_e32 v126, v67
	v_mov_b32_e32 v127, v64
	v_mov_b32_e32 v128, v65
	v_mov_b32_e32 v129, v62
	v_mov_b32_e32 v130, v63
	v_mov_b32_e32 v131, v58
	v_mov_b32_e32 v132, v59
	ds_write2_b64 v112, v[106:107], v[115:116] offset0:12 offset1:13
	ds_write2_b64 v112, v[117:118], v[119:120] offset0:14 offset1:15
	ds_write2_b64 v112, v[121:122], v[123:124] offset0:16 offset1:17
	ds_write2_b64 v112, v[125:126], v[127:128] offset0:18 offset1:19
	ds_write2_b64 v112, v[129:130], v[131:132] offset0:20 offset1:21
	v_mov_b32_e32 v106, v60
	v_mov_b32_e32 v107, v61
	v_mov_b32_e32 v115, v54
	v_mov_b32_e32 v116, v55
	v_mov_b32_e32 v117, v56
	v_mov_b32_e32 v118, v57
	v_mov_b32_e32 v119, v52
	v_mov_b32_e32 v120, v53
	v_mov_b32_e32 v121, v50
	v_mov_b32_e32 v122, v51
	v_mov_b32_e32 v123, v48
	v_mov_b32_e32 v124, v49
	v_mov_b32_e32 v125, v46
	v_mov_b32_e32 v126, v47
	v_mov_b32_e32 v127, v44
	v_mov_b32_e32 v128, v45
	v_mov_b32_e32 v129, v42
	v_mov_b32_e32 v130, v43
	v_mov_b32_e32 v131, v38
	v_mov_b32_e32 v132, v39
	ds_write2_b64 v112, v[106:107], v[115:116] offset0:22 offset1:23
	ds_write2_b64 v112, v[117:118], v[119:120] offset0:24 offset1:25
	ds_write2_b64 v112, v[121:122], v[123:124] offset0:26 offset1:27
	;; [unrolled: 25-line block ×3, first 2 shown]
	ds_write2_b64 v112, v[125:126], v[127:128] offset0:38 offset1:39
	ds_write2_b64 v112, v[129:130], v[131:132] offset0:40 offset1:41
	v_mov_b32_e32 v106, v20
	v_mov_b32_e32 v107, v21
	;; [unrolled: 1-line block ×15, first 2 shown]
	ds_write2_b64 v112, v[106:107], v[116:117] offset0:42 offset1:43
	ds_write2_b64 v112, v[118:119], v[120:121] offset0:44 offset1:45
	;; [unrolled: 1-line block ×4, first 2 shown]
.LBB98_129:
	s_or_b32 exec_lo, exec_lo, s0
	s_mov_b32 s0, exec_lo
	s_waitcnt lgkmcnt(0)
	s_waitcnt_vscnt null, 0x0
	s_barrier
	buffer_gl0_inv
	v_cmpx_lt_i32_e32 7, v115
	s_cbranch_execz .LBB98_131
; %bb.130:
	v_mul_f64 v[88:89], v[0:1], v[88:89]
	ds_read2_b64 v[116:119], v112 offset0:8 offset1:9
	ds_read2_b64 v[120:123], v112 offset0:10 offset1:11
	;; [unrolled: 1-line block ×11, first 2 shown]
	s_waitcnt lgkmcnt(10)
	v_fma_f64 v[86:87], -v[88:89], v[116:117], v[86:87]
	v_fma_f64 v[84:85], -v[88:89], v[118:119], v[84:85]
	s_waitcnt lgkmcnt(9)
	v_fma_f64 v[82:83], -v[88:89], v[120:121], v[82:83]
	v_fma_f64 v[78:79], -v[88:89], v[122:123], v[78:79]
	;; [unrolled: 3-line block ×6, first 2 shown]
	ds_read2_b64 v[116:119], v112 offset0:30 offset1:31
	ds_read2_b64 v[120:123], v112 offset0:32 offset1:33
	s_waitcnt lgkmcnt(6)
	v_fma_f64 v[62:63], -v[88:89], v[140:141], v[62:63]
	v_fma_f64 v[58:59], -v[88:89], v[142:143], v[58:59]
	ds_read2_b64 v[124:127], v112 offset0:34 offset1:35
	ds_read2_b64 v[128:131], v112 offset0:36 offset1:37
	s_waitcnt lgkmcnt(7)
	v_fma_f64 v[60:61], -v[88:89], v[144:145], v[60:61]
	v_fma_f64 v[54:55], -v[88:89], v[146:147], v[54:55]
	;; [unrolled: 5-line block ×5, first 2 shown]
	s_waitcnt lgkmcnt(9)
	v_fma_f64 v[42:43], -v[88:89], v[116:117], v[42:43]
	v_fma_f64 v[38:39], -v[88:89], v[118:119], v[38:39]
	s_waitcnt lgkmcnt(8)
	v_fma_f64 v[40:41], -v[88:89], v[120:121], v[40:41]
	v_fma_f64 v[34:35], -v[88:89], v[122:123], v[34:35]
	;; [unrolled: 3-line block ×10, first 2 shown]
.LBB98_131:
	s_or_b32 exec_lo, exec_lo, s0
	v_lshl_add_u32 v0, v115, 3, v112
	s_barrier
	buffer_gl0_inv
	v_mov_b32_e32 v106, 8
	ds_write_b64 v0, v[86:87]
	s_waitcnt lgkmcnt(0)
	s_barrier
	buffer_gl0_inv
	ds_read_b64 v[0:1], v112 offset:64
	s_cmp_lt_i32 s7, 10
	s_cbranch_scc1 .LBB98_134
; %bb.132:
	v_add3_u32 v107, v113, 0, 0x48
	v_mov_b32_e32 v106, 8
	s_mov_b32 s0, 9
.LBB98_133:                             ; =>This Inner Loop Header: Depth=1
	ds_read_b64 v[116:117], v107
	v_add_nc_u32_e32 v107, 8, v107
	s_waitcnt lgkmcnt(0)
	v_cmp_lt_f64_e64 vcc_lo, |v[0:1]|, |v[116:117]|
	v_cndmask_b32_e32 v1, v1, v117, vcc_lo
	v_cndmask_b32_e32 v0, v0, v116, vcc_lo
	v_cndmask_b32_e64 v106, v106, s0, vcc_lo
	s_add_i32 s0, s0, 1
	s_cmp_lg_u32 s7, s0
	s_cbranch_scc1 .LBB98_133
.LBB98_134:
	s_mov_b32 s0, exec_lo
	s_waitcnt lgkmcnt(0)
	v_cmpx_eq_f64_e32 0, v[0:1]
	s_xor_b32 s0, exec_lo, s0
; %bb.135:
	v_cmp_ne_u32_e32 vcc_lo, 0, v109
	v_cndmask_b32_e32 v109, 9, v109, vcc_lo
; %bb.136:
	s_andn2_saveexec_b32 s0, s0
	s_cbranch_execz .LBB98_138
; %bb.137:
	v_div_scale_f64 v[107:108], null, v[0:1], v[0:1], 1.0
	v_rcp_f64_e32 v[116:117], v[107:108]
	v_fma_f64 v[118:119], -v[107:108], v[116:117], 1.0
	v_fma_f64 v[116:117], v[116:117], v[118:119], v[116:117]
	v_fma_f64 v[118:119], -v[107:108], v[116:117], 1.0
	v_fma_f64 v[116:117], v[116:117], v[118:119], v[116:117]
	v_div_scale_f64 v[118:119], vcc_lo, 1.0, v[0:1], 1.0
	v_mul_f64 v[120:121], v[118:119], v[116:117]
	v_fma_f64 v[107:108], -v[107:108], v[120:121], v[118:119]
	v_div_fmas_f64 v[107:108], v[107:108], v[116:117], v[120:121]
	v_div_fixup_f64 v[0:1], v[107:108], v[0:1], 1.0
.LBB98_138:
	s_or_b32 exec_lo, exec_lo, s0
	s_mov_b32 s0, exec_lo
	v_cmpx_ne_u32_e64 v115, v106
	s_xor_b32 s0, exec_lo, s0
	s_cbranch_execz .LBB98_144
; %bb.139:
	s_mov_b32 s1, exec_lo
	v_cmpx_eq_u32_e32 8, v115
	s_cbranch_execz .LBB98_143
; %bb.140:
	v_cmp_ne_u32_e32 vcc_lo, 8, v106
	s_xor_b32 s2, s6, -1
	s_and_b32 s3, s2, vcc_lo
	s_and_saveexec_b32 s2, s3
	s_cbranch_execz .LBB98_142
; %bb.141:
	v_ashrrev_i32_e32 v107, 31, v106
	v_lshlrev_b64 v[107:108], 2, v[106:107]
	v_add_co_u32 v107, vcc_lo, v4, v107
	v_add_co_ci_u32_e64 v108, null, v5, v108, vcc_lo
	s_clause 0x1
	global_load_dword v114, v[107:108], off
	global_load_dword v115, v[4:5], off offset:32
	s_waitcnt vmcnt(1)
	global_store_dword v[4:5], v114, off offset:32
	s_waitcnt vmcnt(0)
	global_store_dword v[107:108], v115, off
.LBB98_142:
	s_or_b32 exec_lo, exec_lo, s2
	v_mov_b32_e32 v114, v106
	v_mov_b32_e32 v115, v106
.LBB98_143:
	s_or_b32 exec_lo, exec_lo, s1
.LBB98_144:
	s_andn2_saveexec_b32 s0, s0
	s_cbranch_execz .LBB98_146
; %bb.145:
	v_mov_b32_e32 v115, 8
	ds_write2_b64 v112, v[84:85], v[82:83] offset0:9 offset1:10
	ds_write2_b64 v112, v[78:79], v[80:81] offset0:11 offset1:12
	;; [unrolled: 1-line block ×20, first 2 shown]
	ds_write_b64 v112, v[104:105] offset:392
.LBB98_146:
	s_or_b32 exec_lo, exec_lo, s0
	s_mov_b32 s0, exec_lo
	s_waitcnt lgkmcnt(0)
	s_waitcnt_vscnt null, 0x0
	s_barrier
	buffer_gl0_inv
	v_cmpx_lt_i32_e32 8, v115
	s_cbranch_execz .LBB98_148
; %bb.147:
	v_mul_f64 v[86:87], v[0:1], v[86:87]
	ds_read2_b64 v[116:119], v112 offset0:9 offset1:10
	ds_read2_b64 v[120:123], v112 offset0:11 offset1:12
	;; [unrolled: 1-line block ×11, first 2 shown]
	ds_read_b64 v[0:1], v112 offset:392
	s_waitcnt lgkmcnt(11)
	v_fma_f64 v[84:85], -v[86:87], v[116:117], v[84:85]
	v_fma_f64 v[82:83], -v[86:87], v[118:119], v[82:83]
	s_waitcnt lgkmcnt(10)
	v_fma_f64 v[78:79], -v[86:87], v[120:121], v[78:79]
	v_fma_f64 v[80:81], -v[86:87], v[122:123], v[80:81]
	;; [unrolled: 3-line block ×6, first 2 shown]
	ds_read2_b64 v[116:119], v112 offset0:31 offset1:32
	ds_read2_b64 v[120:123], v112 offset0:33 offset1:34
	s_waitcnt lgkmcnt(7)
	v_fma_f64 v[58:59], -v[86:87], v[140:141], v[58:59]
	v_fma_f64 v[60:61], -v[86:87], v[142:143], v[60:61]
	ds_read2_b64 v[124:127], v112 offset0:35 offset1:36
	ds_read2_b64 v[128:131], v112 offset0:37 offset1:38
	s_waitcnt lgkmcnt(8)
	v_fma_f64 v[54:55], -v[86:87], v[144:145], v[54:55]
	v_fma_f64 v[56:57], -v[86:87], v[146:147], v[56:57]
	ds_read2_b64 v[132:135], v112 offset0:39 offset1:40
	ds_read2_b64 v[136:139], v112 offset0:41 offset1:42
	s_waitcnt lgkmcnt(9)
	v_fma_f64 v[52:53], -v[86:87], v[148:149], v[52:53]
	v_fma_f64 v[50:51], -v[86:87], v[150:151], v[50:51]
	ds_read2_b64 v[140:143], v112 offset0:43 offset1:44
	ds_read2_b64 v[144:147], v112 offset0:45 offset1:46
	;; [unrolled: 1-line block ×3, first 2 shown]
	s_waitcnt lgkmcnt(11)
	v_fma_f64 v[48:49], -v[86:87], v[152:153], v[48:49]
	v_fma_f64 v[46:47], -v[86:87], v[154:155], v[46:47]
	s_waitcnt lgkmcnt(10)
	v_fma_f64 v[44:45], -v[86:87], v[156:157], v[44:45]
	v_fma_f64 v[42:43], -v[86:87], v[158:159], v[42:43]
	s_waitcnt lgkmcnt(9)
	v_fma_f64 v[104:105], -v[86:87], v[0:1], v[104:105]
	s_waitcnt lgkmcnt(8)
	v_fma_f64 v[38:39], -v[86:87], v[116:117], v[38:39]
	v_fma_f64 v[40:41], -v[86:87], v[118:119], v[40:41]
	s_waitcnt lgkmcnt(7)
	v_fma_f64 v[34:35], -v[86:87], v[120:121], v[34:35]
	;; [unrolled: 3-line block ×9, first 2 shown]
	v_fma_f64 v[10:11], -v[86:87], v[150:151], v[10:11]
.LBB98_148:
	s_or_b32 exec_lo, exec_lo, s0
	v_lshl_add_u32 v0, v115, 3, v112
	s_barrier
	buffer_gl0_inv
	v_mov_b32_e32 v106, 9
	ds_write_b64 v0, v[84:85]
	s_waitcnt lgkmcnt(0)
	s_barrier
	buffer_gl0_inv
	ds_read_b64 v[0:1], v112 offset:72
	s_cmp_lt_i32 s7, 11
	s_cbranch_scc1 .LBB98_151
; %bb.149:
	v_add3_u32 v107, v113, 0, 0x50
	v_mov_b32_e32 v106, 9
	s_mov_b32 s0, 10
.LBB98_150:                             ; =>This Inner Loop Header: Depth=1
	ds_read_b64 v[116:117], v107
	v_add_nc_u32_e32 v107, 8, v107
	s_waitcnt lgkmcnt(0)
	v_cmp_lt_f64_e64 vcc_lo, |v[0:1]|, |v[116:117]|
	v_cndmask_b32_e32 v1, v1, v117, vcc_lo
	v_cndmask_b32_e32 v0, v0, v116, vcc_lo
	v_cndmask_b32_e64 v106, v106, s0, vcc_lo
	s_add_i32 s0, s0, 1
	s_cmp_lg_u32 s7, s0
	s_cbranch_scc1 .LBB98_150
.LBB98_151:
	s_mov_b32 s0, exec_lo
	s_waitcnt lgkmcnt(0)
	v_cmpx_eq_f64_e32 0, v[0:1]
	s_xor_b32 s0, exec_lo, s0
; %bb.152:
	v_cmp_ne_u32_e32 vcc_lo, 0, v109
	v_cndmask_b32_e32 v109, 10, v109, vcc_lo
; %bb.153:
	s_andn2_saveexec_b32 s0, s0
	s_cbranch_execz .LBB98_155
; %bb.154:
	v_div_scale_f64 v[107:108], null, v[0:1], v[0:1], 1.0
	v_rcp_f64_e32 v[116:117], v[107:108]
	v_fma_f64 v[118:119], -v[107:108], v[116:117], 1.0
	v_fma_f64 v[116:117], v[116:117], v[118:119], v[116:117]
	v_fma_f64 v[118:119], -v[107:108], v[116:117], 1.0
	v_fma_f64 v[116:117], v[116:117], v[118:119], v[116:117]
	v_div_scale_f64 v[118:119], vcc_lo, 1.0, v[0:1], 1.0
	v_mul_f64 v[120:121], v[118:119], v[116:117]
	v_fma_f64 v[107:108], -v[107:108], v[120:121], v[118:119]
	v_div_fmas_f64 v[107:108], v[107:108], v[116:117], v[120:121]
	v_div_fixup_f64 v[0:1], v[107:108], v[0:1], 1.0
.LBB98_155:
	s_or_b32 exec_lo, exec_lo, s0
	s_mov_b32 s0, exec_lo
	v_cmpx_ne_u32_e64 v115, v106
	s_xor_b32 s0, exec_lo, s0
	s_cbranch_execz .LBB98_161
; %bb.156:
	s_mov_b32 s1, exec_lo
	v_cmpx_eq_u32_e32 9, v115
	s_cbranch_execz .LBB98_160
; %bb.157:
	v_cmp_ne_u32_e32 vcc_lo, 9, v106
	s_xor_b32 s2, s6, -1
	s_and_b32 s3, s2, vcc_lo
	s_and_saveexec_b32 s2, s3
	s_cbranch_execz .LBB98_159
; %bb.158:
	v_ashrrev_i32_e32 v107, 31, v106
	v_lshlrev_b64 v[107:108], 2, v[106:107]
	v_add_co_u32 v107, vcc_lo, v4, v107
	v_add_co_ci_u32_e64 v108, null, v5, v108, vcc_lo
	s_clause 0x1
	global_load_dword v114, v[107:108], off
	global_load_dword v115, v[4:5], off offset:36
	s_waitcnt vmcnt(1)
	global_store_dword v[4:5], v114, off offset:36
	s_waitcnt vmcnt(0)
	global_store_dword v[107:108], v115, off
.LBB98_159:
	s_or_b32 exec_lo, exec_lo, s2
	v_mov_b32_e32 v114, v106
	v_mov_b32_e32 v115, v106
.LBB98_160:
	s_or_b32 exec_lo, exec_lo, s1
.LBB98_161:
	s_andn2_saveexec_b32 s0, s0
	s_cbranch_execz .LBB98_163
; %bb.162:
	v_mov_b32_e32 v106, v82
	v_mov_b32_e32 v107, v83
	;; [unrolled: 1-line block ×8, first 2 shown]
	ds_write2_b64 v112, v[106:107], v[115:116] offset0:10 offset1:11
	v_mov_b32_e32 v106, v74
	v_mov_b32_e32 v107, v75
	v_mov_b32_e32 v115, v76
	v_mov_b32_e32 v116, v77
	v_mov_b32_e32 v121, v70
	v_mov_b32_e32 v122, v71
	v_mov_b32_e32 v123, v68
	v_mov_b32_e32 v124, v69
	v_mov_b32_e32 v125, v66
	v_mov_b32_e32 v126, v67
	v_mov_b32_e32 v127, v64
	v_mov_b32_e32 v128, v65
	v_mov_b32_e32 v129, v62
	v_mov_b32_e32 v130, v63
	v_mov_b32_e32 v131, v58
	v_mov_b32_e32 v132, v59
	ds_write2_b64 v112, v[117:118], v[106:107] offset0:12 offset1:13
	ds_write2_b64 v112, v[115:116], v[119:120] offset0:14 offset1:15
	ds_write2_b64 v112, v[121:122], v[123:124] offset0:16 offset1:17
	ds_write2_b64 v112, v[125:126], v[127:128] offset0:18 offset1:19
	ds_write2_b64 v112, v[129:130], v[131:132] offset0:20 offset1:21
	v_mov_b32_e32 v106, v60
	v_mov_b32_e32 v107, v61
	v_mov_b32_e32 v115, v54
	v_mov_b32_e32 v116, v55
	v_mov_b32_e32 v117, v56
	v_mov_b32_e32 v118, v57
	v_mov_b32_e32 v119, v52
	v_mov_b32_e32 v120, v53
	v_mov_b32_e32 v121, v50
	v_mov_b32_e32 v122, v51
	v_mov_b32_e32 v123, v48
	v_mov_b32_e32 v124, v49
	v_mov_b32_e32 v125, v46
	v_mov_b32_e32 v126, v47
	v_mov_b32_e32 v127, v44
	v_mov_b32_e32 v128, v45
	v_mov_b32_e32 v129, v42
	v_mov_b32_e32 v130, v43
	v_mov_b32_e32 v131, v38
	v_mov_b32_e32 v132, v39
	ds_write2_b64 v112, v[106:107], v[115:116] offset0:22 offset1:23
	ds_write2_b64 v112, v[117:118], v[119:120] offset0:24 offset1:25
	ds_write2_b64 v112, v[121:122], v[123:124] offset0:26 offset1:27
	ds_write2_b64 v112, v[125:126], v[127:128] offset0:28 offset1:29
	ds_write2_b64 v112, v[129:130], v[131:132] offset0:30 offset1:31
	v_mov_b32_e32 v106, v40
	v_mov_b32_e32 v107, v41
	v_mov_b32_e32 v115, v34
	v_mov_b32_e32 v116, v35
	;; [unrolled: 25-line block ×3, first 2 shown]
	v_mov_b32_e32 v115, 9
	v_mov_b32_e32 v118, v14
	;; [unrolled: 1-line block ×11, first 2 shown]
	ds_write2_b64 v112, v[106:107], v[116:117] offset0:42 offset1:43
	ds_write2_b64 v112, v[118:119], v[120:121] offset0:44 offset1:45
	;; [unrolled: 1-line block ×4, first 2 shown]
.LBB98_163:
	s_or_b32 exec_lo, exec_lo, s0
	s_mov_b32 s0, exec_lo
	s_waitcnt lgkmcnt(0)
	s_waitcnt_vscnt null, 0x0
	s_barrier
	buffer_gl0_inv
	v_cmpx_lt_i32_e32 9, v115
	s_cbranch_execz .LBB98_165
; %bb.164:
	v_mul_f64 v[84:85], v[0:1], v[84:85]
	ds_read2_b64 v[116:119], v112 offset0:10 offset1:11
	ds_read2_b64 v[120:123], v112 offset0:12 offset1:13
	;; [unrolled: 1-line block ×11, first 2 shown]
	s_waitcnt lgkmcnt(10)
	v_fma_f64 v[82:83], -v[84:85], v[116:117], v[82:83]
	v_fma_f64 v[78:79], -v[84:85], v[118:119], v[78:79]
	s_waitcnt lgkmcnt(9)
	v_fma_f64 v[80:81], -v[84:85], v[120:121], v[80:81]
	v_fma_f64 v[74:75], -v[84:85], v[122:123], v[74:75]
	;; [unrolled: 3-line block ×5, first 2 shown]
	s_waitcnt lgkmcnt(5)
	v_fma_f64 v[62:63], -v[84:85], v[136:137], v[62:63]
	ds_read2_b64 v[116:119], v112 offset0:32 offset1:33
	ds_read2_b64 v[120:123], v112 offset0:34 offset1:35
	v_fma_f64 v[58:59], -v[84:85], v[138:139], v[58:59]
	s_waitcnt lgkmcnt(6)
	v_fma_f64 v[60:61], -v[84:85], v[140:141], v[60:61]
	ds_read2_b64 v[124:127], v112 offset0:36 offset1:37
	ds_read2_b64 v[128:131], v112 offset0:38 offset1:39
	v_fma_f64 v[54:55], -v[84:85], v[142:143], v[54:55]
	;; [unrolled: 5-line block ×4, first 2 shown]
	ds_read2_b64 v[148:151], v112 offset0:48 offset1:49
	s_waitcnt lgkmcnt(10)
	v_fma_f64 v[46:47], -v[84:85], v[152:153], v[46:47]
	v_fma_f64 v[44:45], -v[84:85], v[154:155], v[44:45]
	s_waitcnt lgkmcnt(9)
	v_fma_f64 v[42:43], -v[84:85], v[156:157], v[42:43]
	v_fma_f64 v[38:39], -v[84:85], v[158:159], v[38:39]
	;; [unrolled: 3-line block ×11, first 2 shown]
.LBB98_165:
	s_or_b32 exec_lo, exec_lo, s0
	v_lshl_add_u32 v0, v115, 3, v112
	s_barrier
	buffer_gl0_inv
	v_mov_b32_e32 v106, 10
	ds_write_b64 v0, v[82:83]
	s_waitcnt lgkmcnt(0)
	s_barrier
	buffer_gl0_inv
	ds_read_b64 v[0:1], v112 offset:80
	s_cmp_lt_i32 s7, 12
	s_cbranch_scc1 .LBB98_168
; %bb.166:
	v_add3_u32 v107, v113, 0, 0x58
	v_mov_b32_e32 v106, 10
	s_mov_b32 s0, 11
.LBB98_167:                             ; =>This Inner Loop Header: Depth=1
	ds_read_b64 v[116:117], v107
	v_add_nc_u32_e32 v107, 8, v107
	s_waitcnt lgkmcnt(0)
	v_cmp_lt_f64_e64 vcc_lo, |v[0:1]|, |v[116:117]|
	v_cndmask_b32_e32 v1, v1, v117, vcc_lo
	v_cndmask_b32_e32 v0, v0, v116, vcc_lo
	v_cndmask_b32_e64 v106, v106, s0, vcc_lo
	s_add_i32 s0, s0, 1
	s_cmp_lg_u32 s7, s0
	s_cbranch_scc1 .LBB98_167
.LBB98_168:
	s_mov_b32 s0, exec_lo
	s_waitcnt lgkmcnt(0)
	v_cmpx_eq_f64_e32 0, v[0:1]
	s_xor_b32 s0, exec_lo, s0
; %bb.169:
	v_cmp_ne_u32_e32 vcc_lo, 0, v109
	v_cndmask_b32_e32 v109, 11, v109, vcc_lo
; %bb.170:
	s_andn2_saveexec_b32 s0, s0
	s_cbranch_execz .LBB98_172
; %bb.171:
	v_div_scale_f64 v[107:108], null, v[0:1], v[0:1], 1.0
	v_rcp_f64_e32 v[116:117], v[107:108]
	v_fma_f64 v[118:119], -v[107:108], v[116:117], 1.0
	v_fma_f64 v[116:117], v[116:117], v[118:119], v[116:117]
	v_fma_f64 v[118:119], -v[107:108], v[116:117], 1.0
	v_fma_f64 v[116:117], v[116:117], v[118:119], v[116:117]
	v_div_scale_f64 v[118:119], vcc_lo, 1.0, v[0:1], 1.0
	v_mul_f64 v[120:121], v[118:119], v[116:117]
	v_fma_f64 v[107:108], -v[107:108], v[120:121], v[118:119]
	v_div_fmas_f64 v[107:108], v[107:108], v[116:117], v[120:121]
	v_div_fixup_f64 v[0:1], v[107:108], v[0:1], 1.0
.LBB98_172:
	s_or_b32 exec_lo, exec_lo, s0
	s_mov_b32 s0, exec_lo
	v_cmpx_ne_u32_e64 v115, v106
	s_xor_b32 s0, exec_lo, s0
	s_cbranch_execz .LBB98_178
; %bb.173:
	s_mov_b32 s1, exec_lo
	v_cmpx_eq_u32_e32 10, v115
	s_cbranch_execz .LBB98_177
; %bb.174:
	v_cmp_ne_u32_e32 vcc_lo, 10, v106
	s_xor_b32 s2, s6, -1
	s_and_b32 s3, s2, vcc_lo
	s_and_saveexec_b32 s2, s3
	s_cbranch_execz .LBB98_176
; %bb.175:
	v_ashrrev_i32_e32 v107, 31, v106
	v_lshlrev_b64 v[107:108], 2, v[106:107]
	v_add_co_u32 v107, vcc_lo, v4, v107
	v_add_co_ci_u32_e64 v108, null, v5, v108, vcc_lo
	s_clause 0x1
	global_load_dword v114, v[107:108], off
	global_load_dword v115, v[4:5], off offset:40
	s_waitcnt vmcnt(1)
	global_store_dword v[4:5], v114, off offset:40
	s_waitcnt vmcnt(0)
	global_store_dword v[107:108], v115, off
.LBB98_176:
	s_or_b32 exec_lo, exec_lo, s2
	v_mov_b32_e32 v114, v106
	v_mov_b32_e32 v115, v106
.LBB98_177:
	s_or_b32 exec_lo, exec_lo, s1
.LBB98_178:
	s_andn2_saveexec_b32 s0, s0
	s_cbranch_execz .LBB98_180
; %bb.179:
	v_mov_b32_e32 v115, 10
	ds_write2_b64 v112, v[78:79], v[80:81] offset0:11 offset1:12
	ds_write2_b64 v112, v[74:75], v[76:77] offset0:13 offset1:14
	;; [unrolled: 1-line block ×19, first 2 shown]
	ds_write_b64 v112, v[104:105] offset:392
.LBB98_180:
	s_or_b32 exec_lo, exec_lo, s0
	s_mov_b32 s0, exec_lo
	s_waitcnt lgkmcnt(0)
	s_waitcnt_vscnt null, 0x0
	s_barrier
	buffer_gl0_inv
	v_cmpx_lt_i32_e32 10, v115
	s_cbranch_execz .LBB98_182
; %bb.181:
	v_mul_f64 v[82:83], v[0:1], v[82:83]
	ds_read2_b64 v[116:119], v112 offset0:11 offset1:12
	ds_read2_b64 v[120:123], v112 offset0:13 offset1:14
	ds_read2_b64 v[124:127], v112 offset0:15 offset1:16
	ds_read2_b64 v[128:131], v112 offset0:17 offset1:18
	ds_read2_b64 v[132:135], v112 offset0:19 offset1:20
	ds_read2_b64 v[136:139], v112 offset0:21 offset1:22
	ds_read2_b64 v[140:143], v112 offset0:23 offset1:24
	ds_read2_b64 v[144:147], v112 offset0:25 offset1:26
	ds_read2_b64 v[148:151], v112 offset0:27 offset1:28
	ds_read2_b64 v[152:155], v112 offset0:29 offset1:30
	ds_read2_b64 v[156:159], v112 offset0:31 offset1:32
	ds_read_b64 v[0:1], v112 offset:392
	s_waitcnt lgkmcnt(11)
	v_fma_f64 v[78:79], -v[82:83], v[116:117], v[78:79]
	v_fma_f64 v[80:81], -v[82:83], v[118:119], v[80:81]
	s_waitcnt lgkmcnt(10)
	v_fma_f64 v[74:75], -v[82:83], v[120:121], v[74:75]
	v_fma_f64 v[76:77], -v[82:83], v[122:123], v[76:77]
	;; [unrolled: 3-line block ×5, first 2 shown]
	s_waitcnt lgkmcnt(6)
	v_fma_f64 v[58:59], -v[82:83], v[136:137], v[58:59]
	ds_read2_b64 v[116:119], v112 offset0:33 offset1:34
	ds_read2_b64 v[120:123], v112 offset0:35 offset1:36
	v_fma_f64 v[60:61], -v[82:83], v[138:139], v[60:61]
	s_waitcnt lgkmcnt(7)
	v_fma_f64 v[54:55], -v[82:83], v[140:141], v[54:55]
	ds_read2_b64 v[124:127], v112 offset0:37 offset1:38
	ds_read2_b64 v[128:131], v112 offset0:39 offset1:40
	v_fma_f64 v[56:57], -v[82:83], v[142:143], v[56:57]
	;; [unrolled: 5-line block ×3, first 2 shown]
	ds_read2_b64 v[140:143], v112 offset0:45 offset1:46
	ds_read2_b64 v[144:147], v112 offset0:47 offset1:48
	s_waitcnt lgkmcnt(11)
	v_fma_f64 v[48:49], -v[82:83], v[148:149], v[48:49]
	v_fma_f64 v[46:47], -v[82:83], v[150:151], v[46:47]
	s_waitcnt lgkmcnt(10)
	v_fma_f64 v[44:45], -v[82:83], v[152:153], v[44:45]
	v_fma_f64 v[42:43], -v[82:83], v[154:155], v[42:43]
	;; [unrolled: 3-line block ×3, first 2 shown]
	s_waitcnt lgkmcnt(8)
	v_fma_f64 v[104:105], -v[82:83], v[0:1], v[104:105]
	s_waitcnt lgkmcnt(7)
	v_fma_f64 v[34:35], -v[82:83], v[116:117], v[34:35]
	v_fma_f64 v[36:37], -v[82:83], v[118:119], v[36:37]
	s_waitcnt lgkmcnt(6)
	v_fma_f64 v[32:33], -v[82:83], v[120:121], v[32:33]
	;; [unrolled: 3-line block ×8, first 2 shown]
	v_fma_f64 v[10:11], -v[82:83], v[146:147], v[10:11]
.LBB98_182:
	s_or_b32 exec_lo, exec_lo, s0
	v_lshl_add_u32 v0, v115, 3, v112
	s_barrier
	buffer_gl0_inv
	v_mov_b32_e32 v106, 11
	ds_write_b64 v0, v[78:79]
	s_waitcnt lgkmcnt(0)
	s_barrier
	buffer_gl0_inv
	ds_read_b64 v[0:1], v112 offset:88
	s_cmp_lt_i32 s7, 13
	s_cbranch_scc1 .LBB98_185
; %bb.183:
	v_add3_u32 v107, v113, 0, 0x60
	v_mov_b32_e32 v106, 11
	s_mov_b32 s0, 12
.LBB98_184:                             ; =>This Inner Loop Header: Depth=1
	ds_read_b64 v[116:117], v107
	v_add_nc_u32_e32 v107, 8, v107
	s_waitcnt lgkmcnt(0)
	v_cmp_lt_f64_e64 vcc_lo, |v[0:1]|, |v[116:117]|
	v_cndmask_b32_e32 v1, v1, v117, vcc_lo
	v_cndmask_b32_e32 v0, v0, v116, vcc_lo
	v_cndmask_b32_e64 v106, v106, s0, vcc_lo
	s_add_i32 s0, s0, 1
	s_cmp_lg_u32 s7, s0
	s_cbranch_scc1 .LBB98_184
.LBB98_185:
	s_mov_b32 s0, exec_lo
	s_waitcnt lgkmcnt(0)
	v_cmpx_eq_f64_e32 0, v[0:1]
	s_xor_b32 s0, exec_lo, s0
; %bb.186:
	v_cmp_ne_u32_e32 vcc_lo, 0, v109
	v_cndmask_b32_e32 v109, 12, v109, vcc_lo
; %bb.187:
	s_andn2_saveexec_b32 s0, s0
	s_cbranch_execz .LBB98_189
; %bb.188:
	v_div_scale_f64 v[107:108], null, v[0:1], v[0:1], 1.0
	v_rcp_f64_e32 v[116:117], v[107:108]
	v_fma_f64 v[118:119], -v[107:108], v[116:117], 1.0
	v_fma_f64 v[116:117], v[116:117], v[118:119], v[116:117]
	v_fma_f64 v[118:119], -v[107:108], v[116:117], 1.0
	v_fma_f64 v[116:117], v[116:117], v[118:119], v[116:117]
	v_div_scale_f64 v[118:119], vcc_lo, 1.0, v[0:1], 1.0
	v_mul_f64 v[120:121], v[118:119], v[116:117]
	v_fma_f64 v[107:108], -v[107:108], v[120:121], v[118:119]
	v_div_fmas_f64 v[107:108], v[107:108], v[116:117], v[120:121]
	v_div_fixup_f64 v[0:1], v[107:108], v[0:1], 1.0
.LBB98_189:
	s_or_b32 exec_lo, exec_lo, s0
	s_mov_b32 s0, exec_lo
	v_cmpx_ne_u32_e64 v115, v106
	s_xor_b32 s0, exec_lo, s0
	s_cbranch_execz .LBB98_195
; %bb.190:
	s_mov_b32 s1, exec_lo
	v_cmpx_eq_u32_e32 11, v115
	s_cbranch_execz .LBB98_194
; %bb.191:
	v_cmp_ne_u32_e32 vcc_lo, 11, v106
	s_xor_b32 s2, s6, -1
	s_and_b32 s3, s2, vcc_lo
	s_and_saveexec_b32 s2, s3
	s_cbranch_execz .LBB98_193
; %bb.192:
	v_ashrrev_i32_e32 v107, 31, v106
	v_lshlrev_b64 v[107:108], 2, v[106:107]
	v_add_co_u32 v107, vcc_lo, v4, v107
	v_add_co_ci_u32_e64 v108, null, v5, v108, vcc_lo
	s_clause 0x1
	global_load_dword v114, v[107:108], off
	global_load_dword v115, v[4:5], off offset:44
	s_waitcnt vmcnt(1)
	global_store_dword v[4:5], v114, off offset:44
	s_waitcnt vmcnt(0)
	global_store_dword v[107:108], v115, off
.LBB98_193:
	s_or_b32 exec_lo, exec_lo, s2
	v_mov_b32_e32 v114, v106
	v_mov_b32_e32 v115, v106
.LBB98_194:
	s_or_b32 exec_lo, exec_lo, s1
.LBB98_195:
	s_andn2_saveexec_b32 s0, s0
	s_cbranch_execz .LBB98_197
; %bb.196:
	v_mov_b32_e32 v106, v80
	v_mov_b32_e32 v107, v81
	v_mov_b32_e32 v115, v74
	v_mov_b32_e32 v116, v75
	v_mov_b32_e32 v117, v76
	v_mov_b32_e32 v118, v77
	v_mov_b32_e32 v119, v72
	v_mov_b32_e32 v120, v73
	v_mov_b32_e32 v121, v70
	v_mov_b32_e32 v122, v71
	v_mov_b32_e32 v123, v68
	v_mov_b32_e32 v124, v69
	v_mov_b32_e32 v125, v66
	v_mov_b32_e32 v126, v67
	v_mov_b32_e32 v127, v64
	v_mov_b32_e32 v128, v65
	v_mov_b32_e32 v129, v62
	v_mov_b32_e32 v130, v63
	v_mov_b32_e32 v131, v58
	v_mov_b32_e32 v132, v59
	ds_write2_b64 v112, v[106:107], v[115:116] offset0:12 offset1:13
	ds_write2_b64 v112, v[117:118], v[119:120] offset0:14 offset1:15
	ds_write2_b64 v112, v[121:122], v[123:124] offset0:16 offset1:17
	ds_write2_b64 v112, v[125:126], v[127:128] offset0:18 offset1:19
	ds_write2_b64 v112, v[129:130], v[131:132] offset0:20 offset1:21
	v_mov_b32_e32 v106, v60
	v_mov_b32_e32 v107, v61
	v_mov_b32_e32 v115, v54
	v_mov_b32_e32 v116, v55
	v_mov_b32_e32 v117, v56
	v_mov_b32_e32 v118, v57
	v_mov_b32_e32 v119, v52
	v_mov_b32_e32 v120, v53
	v_mov_b32_e32 v121, v50
	v_mov_b32_e32 v122, v51
	v_mov_b32_e32 v123, v48
	v_mov_b32_e32 v124, v49
	v_mov_b32_e32 v125, v46
	v_mov_b32_e32 v126, v47
	v_mov_b32_e32 v127, v44
	v_mov_b32_e32 v128, v45
	v_mov_b32_e32 v129, v42
	v_mov_b32_e32 v130, v43
	v_mov_b32_e32 v131, v38
	v_mov_b32_e32 v132, v39
	ds_write2_b64 v112, v[106:107], v[115:116] offset0:22 offset1:23
	ds_write2_b64 v112, v[117:118], v[119:120] offset0:24 offset1:25
	ds_write2_b64 v112, v[121:122], v[123:124] offset0:26 offset1:27
	ds_write2_b64 v112, v[125:126], v[127:128] offset0:28 offset1:29
	ds_write2_b64 v112, v[129:130], v[131:132] offset0:30 offset1:31
	;; [unrolled: 25-line block ×3, first 2 shown]
	v_mov_b32_e32 v106, v20
	v_mov_b32_e32 v107, v21
	;; [unrolled: 1-line block ×15, first 2 shown]
	ds_write2_b64 v112, v[106:107], v[116:117] offset0:42 offset1:43
	ds_write2_b64 v112, v[118:119], v[120:121] offset0:44 offset1:45
	;; [unrolled: 1-line block ×4, first 2 shown]
.LBB98_197:
	s_or_b32 exec_lo, exec_lo, s0
	s_mov_b32 s0, exec_lo
	s_waitcnt lgkmcnt(0)
	s_waitcnt_vscnt null, 0x0
	s_barrier
	buffer_gl0_inv
	v_cmpx_lt_i32_e32 11, v115
	s_cbranch_execz .LBB98_199
; %bb.198:
	v_mul_f64 v[78:79], v[0:1], v[78:79]
	ds_read2_b64 v[116:119], v112 offset0:12 offset1:13
	ds_read2_b64 v[120:123], v112 offset0:14 offset1:15
	;; [unrolled: 1-line block ×12, first 2 shown]
	s_waitcnt lgkmcnt(11)
	v_fma_f64 v[80:81], -v[78:79], v[116:117], v[80:81]
	v_fma_f64 v[74:75], -v[78:79], v[118:119], v[74:75]
	s_waitcnt lgkmcnt(10)
	v_fma_f64 v[76:77], -v[78:79], v[120:121], v[76:77]
	v_fma_f64 v[72:73], -v[78:79], v[122:123], v[72:73]
	;; [unrolled: 3-line block ×5, first 2 shown]
	s_waitcnt lgkmcnt(6)
	v_fma_f64 v[60:61], -v[78:79], v[136:137], v[60:61]
	ds_read2_b64 v[116:119], v112 offset0:36 offset1:37
	ds_read2_b64 v[120:123], v112 offset0:38 offset1:39
	v_fma_f64 v[54:55], -v[78:79], v[138:139], v[54:55]
	s_waitcnt lgkmcnt(7)
	v_fma_f64 v[56:57], -v[78:79], v[140:141], v[56:57]
	ds_read2_b64 v[124:127], v112 offset0:40 offset1:41
	ds_read2_b64 v[128:131], v112 offset0:42 offset1:43
	v_fma_f64 v[52:53], -v[78:79], v[142:143], v[52:53]
	ds_read2_b64 v[132:135], v112 offset0:44 offset1:45
	ds_read2_b64 v[136:139], v112 offset0:46 offset1:47
	;; [unrolled: 1-line block ×3, first 2 shown]
	s_waitcnt lgkmcnt(11)
	v_fma_f64 v[50:51], -v[78:79], v[144:145], v[50:51]
	v_fma_f64 v[48:49], -v[78:79], v[146:147], v[48:49]
	s_waitcnt lgkmcnt(10)
	v_fma_f64 v[46:47], -v[78:79], v[148:149], v[46:47]
	v_fma_f64 v[44:45], -v[78:79], v[150:151], v[44:45]
	;; [unrolled: 3-line block ×12, first 2 shown]
.LBB98_199:
	s_or_b32 exec_lo, exec_lo, s0
	v_lshl_add_u32 v0, v115, 3, v112
	s_barrier
	buffer_gl0_inv
	v_mov_b32_e32 v106, 12
	ds_write_b64 v0, v[80:81]
	s_waitcnt lgkmcnt(0)
	s_barrier
	buffer_gl0_inv
	ds_read_b64 v[0:1], v112 offset:96
	s_cmp_lt_i32 s7, 14
	s_cbranch_scc1 .LBB98_202
; %bb.200:
	v_add3_u32 v107, v113, 0, 0x68
	v_mov_b32_e32 v106, 12
	s_mov_b32 s0, 13
.LBB98_201:                             ; =>This Inner Loop Header: Depth=1
	ds_read_b64 v[116:117], v107
	v_add_nc_u32_e32 v107, 8, v107
	s_waitcnt lgkmcnt(0)
	v_cmp_lt_f64_e64 vcc_lo, |v[0:1]|, |v[116:117]|
	v_cndmask_b32_e32 v1, v1, v117, vcc_lo
	v_cndmask_b32_e32 v0, v0, v116, vcc_lo
	v_cndmask_b32_e64 v106, v106, s0, vcc_lo
	s_add_i32 s0, s0, 1
	s_cmp_lg_u32 s7, s0
	s_cbranch_scc1 .LBB98_201
.LBB98_202:
	s_mov_b32 s0, exec_lo
	s_waitcnt lgkmcnt(0)
	v_cmpx_eq_f64_e32 0, v[0:1]
	s_xor_b32 s0, exec_lo, s0
; %bb.203:
	v_cmp_ne_u32_e32 vcc_lo, 0, v109
	v_cndmask_b32_e32 v109, 13, v109, vcc_lo
; %bb.204:
	s_andn2_saveexec_b32 s0, s0
	s_cbranch_execz .LBB98_206
; %bb.205:
	v_div_scale_f64 v[107:108], null, v[0:1], v[0:1], 1.0
	v_rcp_f64_e32 v[116:117], v[107:108]
	v_fma_f64 v[118:119], -v[107:108], v[116:117], 1.0
	v_fma_f64 v[116:117], v[116:117], v[118:119], v[116:117]
	v_fma_f64 v[118:119], -v[107:108], v[116:117], 1.0
	v_fma_f64 v[116:117], v[116:117], v[118:119], v[116:117]
	v_div_scale_f64 v[118:119], vcc_lo, 1.0, v[0:1], 1.0
	v_mul_f64 v[120:121], v[118:119], v[116:117]
	v_fma_f64 v[107:108], -v[107:108], v[120:121], v[118:119]
	v_div_fmas_f64 v[107:108], v[107:108], v[116:117], v[120:121]
	v_div_fixup_f64 v[0:1], v[107:108], v[0:1], 1.0
.LBB98_206:
	s_or_b32 exec_lo, exec_lo, s0
	s_mov_b32 s0, exec_lo
	v_cmpx_ne_u32_e64 v115, v106
	s_xor_b32 s0, exec_lo, s0
	s_cbranch_execz .LBB98_212
; %bb.207:
	s_mov_b32 s1, exec_lo
	v_cmpx_eq_u32_e32 12, v115
	s_cbranch_execz .LBB98_211
; %bb.208:
	v_cmp_ne_u32_e32 vcc_lo, 12, v106
	s_xor_b32 s2, s6, -1
	s_and_b32 s3, s2, vcc_lo
	s_and_saveexec_b32 s2, s3
	s_cbranch_execz .LBB98_210
; %bb.209:
	v_ashrrev_i32_e32 v107, 31, v106
	v_lshlrev_b64 v[107:108], 2, v[106:107]
	v_add_co_u32 v107, vcc_lo, v4, v107
	v_add_co_ci_u32_e64 v108, null, v5, v108, vcc_lo
	s_clause 0x1
	global_load_dword v114, v[107:108], off
	global_load_dword v115, v[4:5], off offset:48
	s_waitcnt vmcnt(1)
	global_store_dword v[4:5], v114, off offset:48
	s_waitcnt vmcnt(0)
	global_store_dword v[107:108], v115, off
.LBB98_210:
	s_or_b32 exec_lo, exec_lo, s2
	v_mov_b32_e32 v114, v106
	v_mov_b32_e32 v115, v106
.LBB98_211:
	s_or_b32 exec_lo, exec_lo, s1
.LBB98_212:
	s_andn2_saveexec_b32 s0, s0
	s_cbranch_execz .LBB98_214
; %bb.213:
	v_mov_b32_e32 v115, 12
	ds_write2_b64 v112, v[74:75], v[76:77] offset0:13 offset1:14
	ds_write2_b64 v112, v[72:73], v[70:71] offset0:15 offset1:16
	;; [unrolled: 1-line block ×18, first 2 shown]
	ds_write_b64 v112, v[104:105] offset:392
.LBB98_214:
	s_or_b32 exec_lo, exec_lo, s0
	s_mov_b32 s0, exec_lo
	s_waitcnt lgkmcnt(0)
	s_waitcnt_vscnt null, 0x0
	s_barrier
	buffer_gl0_inv
	v_cmpx_lt_i32_e32 12, v115
	s_cbranch_execz .LBB98_216
; %bb.215:
	v_mul_f64 v[80:81], v[0:1], v[80:81]
	ds_read2_b64 v[116:119], v112 offset0:13 offset1:14
	ds_read2_b64 v[120:123], v112 offset0:15 offset1:16
	;; [unrolled: 1-line block ×12, first 2 shown]
	ds_read_b64 v[0:1], v112 offset:392
	s_waitcnt lgkmcnt(12)
	v_fma_f64 v[74:75], -v[80:81], v[116:117], v[74:75]
	v_fma_f64 v[76:77], -v[80:81], v[118:119], v[76:77]
	s_waitcnt lgkmcnt(11)
	v_fma_f64 v[72:73], -v[80:81], v[120:121], v[72:73]
	v_fma_f64 v[70:71], -v[80:81], v[122:123], v[70:71]
	;; [unrolled: 3-line block ×5, first 2 shown]
	s_waitcnt lgkmcnt(7)
	v_fma_f64 v[54:55], -v[80:81], v[136:137], v[54:55]
	ds_read2_b64 v[116:119], v112 offset0:37 offset1:38
	ds_read2_b64 v[120:123], v112 offset0:39 offset1:40
	v_fma_f64 v[56:57], -v[80:81], v[138:139], v[56:57]
	ds_read2_b64 v[124:127], v112 offset0:41 offset1:42
	ds_read2_b64 v[128:131], v112 offset0:43 offset1:44
	;; [unrolled: 1-line block ×4, first 2 shown]
	s_waitcnt lgkmcnt(12)
	v_fma_f64 v[52:53], -v[80:81], v[140:141], v[52:53]
	v_fma_f64 v[50:51], -v[80:81], v[142:143], v[50:51]
	s_waitcnt lgkmcnt(11)
	v_fma_f64 v[48:49], -v[80:81], v[144:145], v[48:49]
	v_fma_f64 v[46:47], -v[80:81], v[146:147], v[46:47]
	;; [unrolled: 3-line block ×6, first 2 shown]
	s_waitcnt lgkmcnt(6)
	v_fma_f64 v[104:105], -v[80:81], v[0:1], v[104:105]
	s_waitcnt lgkmcnt(5)
	v_fma_f64 v[28:29], -v[80:81], v[116:117], v[28:29]
	v_fma_f64 v[26:27], -v[80:81], v[118:119], v[26:27]
	s_waitcnt lgkmcnt(4)
	v_fma_f64 v[24:25], -v[80:81], v[120:121], v[24:25]
	v_fma_f64 v[22:23], -v[80:81], v[122:123], v[22:23]
	s_waitcnt lgkmcnt(3)
	v_fma_f64 v[18:19], -v[80:81], v[124:125], v[18:19]
	v_fma_f64 v[20:21], -v[80:81], v[126:127], v[20:21]
	s_waitcnt lgkmcnt(2)
	v_fma_f64 v[16:17], -v[80:81], v[128:129], v[16:17]
	v_fma_f64 v[14:15], -v[80:81], v[130:131], v[14:15]
	s_waitcnt lgkmcnt(1)
	v_fma_f64 v[8:9], -v[80:81], v[132:133], v[8:9]
	v_fma_f64 v[12:13], -v[80:81], v[134:135], v[12:13]
	s_waitcnt lgkmcnt(0)
	v_fma_f64 v[6:7], -v[80:81], v[136:137], v[6:7]
	v_fma_f64 v[10:11], -v[80:81], v[138:139], v[10:11]
.LBB98_216:
	s_or_b32 exec_lo, exec_lo, s0
	v_lshl_add_u32 v0, v115, 3, v112
	s_barrier
	buffer_gl0_inv
	v_mov_b32_e32 v106, 13
	ds_write_b64 v0, v[74:75]
	s_waitcnt lgkmcnt(0)
	s_barrier
	buffer_gl0_inv
	ds_read_b64 v[0:1], v112 offset:104
	s_cmp_lt_i32 s7, 15
	s_cbranch_scc1 .LBB98_219
; %bb.217:
	v_add3_u32 v107, v113, 0, 0x70
	v_mov_b32_e32 v106, 13
	s_mov_b32 s0, 14
.LBB98_218:                             ; =>This Inner Loop Header: Depth=1
	ds_read_b64 v[116:117], v107
	v_add_nc_u32_e32 v107, 8, v107
	s_waitcnt lgkmcnt(0)
	v_cmp_lt_f64_e64 vcc_lo, |v[0:1]|, |v[116:117]|
	v_cndmask_b32_e32 v1, v1, v117, vcc_lo
	v_cndmask_b32_e32 v0, v0, v116, vcc_lo
	v_cndmask_b32_e64 v106, v106, s0, vcc_lo
	s_add_i32 s0, s0, 1
	s_cmp_lg_u32 s7, s0
	s_cbranch_scc1 .LBB98_218
.LBB98_219:
	s_mov_b32 s0, exec_lo
	s_waitcnt lgkmcnt(0)
	v_cmpx_eq_f64_e32 0, v[0:1]
	s_xor_b32 s0, exec_lo, s0
; %bb.220:
	v_cmp_ne_u32_e32 vcc_lo, 0, v109
	v_cndmask_b32_e32 v109, 14, v109, vcc_lo
; %bb.221:
	s_andn2_saveexec_b32 s0, s0
	s_cbranch_execz .LBB98_223
; %bb.222:
	v_div_scale_f64 v[107:108], null, v[0:1], v[0:1], 1.0
	v_rcp_f64_e32 v[116:117], v[107:108]
	v_fma_f64 v[118:119], -v[107:108], v[116:117], 1.0
	v_fma_f64 v[116:117], v[116:117], v[118:119], v[116:117]
	v_fma_f64 v[118:119], -v[107:108], v[116:117], 1.0
	v_fma_f64 v[116:117], v[116:117], v[118:119], v[116:117]
	v_div_scale_f64 v[118:119], vcc_lo, 1.0, v[0:1], 1.0
	v_mul_f64 v[120:121], v[118:119], v[116:117]
	v_fma_f64 v[107:108], -v[107:108], v[120:121], v[118:119]
	v_div_fmas_f64 v[107:108], v[107:108], v[116:117], v[120:121]
	v_div_fixup_f64 v[0:1], v[107:108], v[0:1], 1.0
.LBB98_223:
	s_or_b32 exec_lo, exec_lo, s0
	s_mov_b32 s0, exec_lo
	v_cmpx_ne_u32_e64 v115, v106
	s_xor_b32 s0, exec_lo, s0
	s_cbranch_execz .LBB98_229
; %bb.224:
	s_mov_b32 s1, exec_lo
	v_cmpx_eq_u32_e32 13, v115
	s_cbranch_execz .LBB98_228
; %bb.225:
	v_cmp_ne_u32_e32 vcc_lo, 13, v106
	s_xor_b32 s2, s6, -1
	s_and_b32 s3, s2, vcc_lo
	s_and_saveexec_b32 s2, s3
	s_cbranch_execz .LBB98_227
; %bb.226:
	v_ashrrev_i32_e32 v107, 31, v106
	v_lshlrev_b64 v[107:108], 2, v[106:107]
	v_add_co_u32 v107, vcc_lo, v4, v107
	v_add_co_ci_u32_e64 v108, null, v5, v108, vcc_lo
	s_clause 0x1
	global_load_dword v114, v[107:108], off
	global_load_dword v115, v[4:5], off offset:52
	s_waitcnt vmcnt(1)
	global_store_dword v[4:5], v114, off offset:52
	s_waitcnt vmcnt(0)
	global_store_dword v[107:108], v115, off
.LBB98_227:
	s_or_b32 exec_lo, exec_lo, s2
	v_mov_b32_e32 v114, v106
	v_mov_b32_e32 v115, v106
.LBB98_228:
	s_or_b32 exec_lo, exec_lo, s1
.LBB98_229:
	s_andn2_saveexec_b32 s0, s0
	s_cbranch_execz .LBB98_231
; %bb.230:
	v_mov_b32_e32 v106, v76
	v_mov_b32_e32 v107, v77
	;; [unrolled: 1-line block ×16, first 2 shown]
	ds_write2_b64 v112, v[106:107], v[115:116] offset0:14 offset1:15
	ds_write2_b64 v112, v[117:118], v[119:120] offset0:16 offset1:17
	;; [unrolled: 1-line block ×4, first 2 shown]
	v_mov_b32_e32 v106, v60
	v_mov_b32_e32 v107, v61
	v_mov_b32_e32 v115, v54
	v_mov_b32_e32 v116, v55
	v_mov_b32_e32 v117, v56
	v_mov_b32_e32 v118, v57
	v_mov_b32_e32 v119, v52
	v_mov_b32_e32 v120, v53
	v_mov_b32_e32 v121, v50
	v_mov_b32_e32 v122, v51
	v_mov_b32_e32 v123, v48
	v_mov_b32_e32 v124, v49
	v_mov_b32_e32 v125, v46
	v_mov_b32_e32 v126, v47
	v_mov_b32_e32 v127, v44
	v_mov_b32_e32 v128, v45
	v_mov_b32_e32 v129, v42
	v_mov_b32_e32 v130, v43
	v_mov_b32_e32 v131, v38
	v_mov_b32_e32 v132, v39
	ds_write2_b64 v112, v[106:107], v[115:116] offset0:22 offset1:23
	ds_write2_b64 v112, v[117:118], v[119:120] offset0:24 offset1:25
	;; [unrolled: 1-line block ×5, first 2 shown]
	v_mov_b32_e32 v106, v40
	v_mov_b32_e32 v107, v41
	v_mov_b32_e32 v115, v34
	v_mov_b32_e32 v116, v35
	v_mov_b32_e32 v117, v36
	v_mov_b32_e32 v118, v37
	v_mov_b32_e32 v119, v32
	v_mov_b32_e32 v120, v33
	v_mov_b32_e32 v121, v30
	v_mov_b32_e32 v122, v31
	v_mov_b32_e32 v123, v28
	v_mov_b32_e32 v124, v29
	v_mov_b32_e32 v125, v26
	v_mov_b32_e32 v126, v27
	v_mov_b32_e32 v127, v24
	v_mov_b32_e32 v128, v25
	v_mov_b32_e32 v129, v22
	v_mov_b32_e32 v130, v23
	v_mov_b32_e32 v131, v18
	v_mov_b32_e32 v132, v19
	ds_write2_b64 v112, v[106:107], v[115:116] offset0:32 offset1:33
	ds_write2_b64 v112, v[117:118], v[119:120] offset0:34 offset1:35
	;; [unrolled: 1-line block ×5, first 2 shown]
	v_mov_b32_e32 v106, v20
	v_mov_b32_e32 v107, v21
	;; [unrolled: 1-line block ×15, first 2 shown]
	ds_write2_b64 v112, v[106:107], v[116:117] offset0:42 offset1:43
	ds_write2_b64 v112, v[118:119], v[120:121] offset0:44 offset1:45
	;; [unrolled: 1-line block ×4, first 2 shown]
.LBB98_231:
	s_or_b32 exec_lo, exec_lo, s0
	s_mov_b32 s0, exec_lo
	s_waitcnt lgkmcnt(0)
	s_waitcnt_vscnt null, 0x0
	s_barrier
	buffer_gl0_inv
	v_cmpx_lt_i32_e32 13, v115
	s_cbranch_execz .LBB98_233
; %bb.232:
	v_mul_f64 v[74:75], v[0:1], v[74:75]
	ds_read2_b64 v[116:119], v112 offset0:14 offset1:15
	ds_read2_b64 v[120:123], v112 offset0:16 offset1:17
	;; [unrolled: 1-line block ×12, first 2 shown]
	s_waitcnt lgkmcnt(11)
	v_fma_f64 v[76:77], -v[74:75], v[116:117], v[76:77]
	v_fma_f64 v[72:73], -v[74:75], v[118:119], v[72:73]
	s_waitcnt lgkmcnt(10)
	v_fma_f64 v[70:71], -v[74:75], v[120:121], v[70:71]
	v_fma_f64 v[68:69], -v[74:75], v[122:123], v[68:69]
	s_waitcnt lgkmcnt(9)
	v_fma_f64 v[66:67], -v[74:75], v[124:125], v[66:67]
	v_fma_f64 v[64:65], -v[74:75], v[126:127], v[64:65]
	s_waitcnt lgkmcnt(8)
	v_fma_f64 v[62:63], -v[74:75], v[128:129], v[62:63]
	v_fma_f64 v[58:59], -v[74:75], v[130:131], v[58:59]
	s_waitcnt lgkmcnt(7)
	v_fma_f64 v[60:61], -v[74:75], v[132:133], v[60:61]
	v_fma_f64 v[54:55], -v[74:75], v[134:135], v[54:55]
	ds_read2_b64 v[116:119], v112 offset0:38 offset1:39
	ds_read2_b64 v[120:123], v112 offset0:40 offset1:41
	s_waitcnt lgkmcnt(8)
	v_fma_f64 v[56:57], -v[74:75], v[136:137], v[56:57]
	v_fma_f64 v[52:53], -v[74:75], v[138:139], v[52:53]
	ds_read2_b64 v[124:127], v112 offset0:42 offset1:43
	ds_read2_b64 v[128:131], v112 offset0:44 offset1:45
	ds_read2_b64 v[132:135], v112 offset0:46 offset1:47
	ds_read2_b64 v[136:139], v112 offset0:48 offset1:49
	s_waitcnt lgkmcnt(11)
	v_fma_f64 v[50:51], -v[74:75], v[140:141], v[50:51]
	v_fma_f64 v[48:49], -v[74:75], v[142:143], v[48:49]
	s_waitcnt lgkmcnt(10)
	v_fma_f64 v[46:47], -v[74:75], v[144:145], v[46:47]
	v_fma_f64 v[44:45], -v[74:75], v[146:147], v[44:45]
	s_waitcnt lgkmcnt(9)
	v_fma_f64 v[42:43], -v[74:75], v[148:149], v[42:43]
	v_fma_f64 v[38:39], -v[74:75], v[150:151], v[38:39]
	s_waitcnt lgkmcnt(8)
	v_fma_f64 v[40:41], -v[74:75], v[152:153], v[40:41]
	v_fma_f64 v[34:35], -v[74:75], v[154:155], v[34:35]
	s_waitcnt lgkmcnt(7)
	v_fma_f64 v[36:37], -v[74:75], v[156:157], v[36:37]
	v_fma_f64 v[32:33], -v[74:75], v[158:159], v[32:33]
	s_waitcnt lgkmcnt(6)
	v_fma_f64 v[30:31], -v[74:75], v[160:161], v[30:31]
	v_fma_f64 v[28:29], -v[74:75], v[162:163], v[28:29]
	s_waitcnt lgkmcnt(5)
	v_fma_f64 v[26:27], -v[74:75], v[116:117], v[26:27]
	v_fma_f64 v[24:25], -v[74:75], v[118:119], v[24:25]
	s_waitcnt lgkmcnt(4)
	v_fma_f64 v[22:23], -v[74:75], v[120:121], v[22:23]
	v_fma_f64 v[18:19], -v[74:75], v[122:123], v[18:19]
	s_waitcnt lgkmcnt(3)
	v_fma_f64 v[20:21], -v[74:75], v[124:125], v[20:21]
	v_fma_f64 v[16:17], -v[74:75], v[126:127], v[16:17]
	s_waitcnt lgkmcnt(2)
	v_fma_f64 v[14:15], -v[74:75], v[128:129], v[14:15]
	v_fma_f64 v[8:9], -v[74:75], v[130:131], v[8:9]
	s_waitcnt lgkmcnt(1)
	v_fma_f64 v[12:13], -v[74:75], v[132:133], v[12:13]
	v_fma_f64 v[6:7], -v[74:75], v[134:135], v[6:7]
	s_waitcnt lgkmcnt(0)
	v_fma_f64 v[10:11], -v[74:75], v[136:137], v[10:11]
	v_fma_f64 v[104:105], -v[74:75], v[138:139], v[104:105]
.LBB98_233:
	s_or_b32 exec_lo, exec_lo, s0
	v_lshl_add_u32 v0, v115, 3, v112
	s_barrier
	buffer_gl0_inv
	v_mov_b32_e32 v106, 14
	ds_write_b64 v0, v[76:77]
	s_waitcnt lgkmcnt(0)
	s_barrier
	buffer_gl0_inv
	ds_read_b64 v[0:1], v112 offset:112
	s_cmp_lt_i32 s7, 16
	s_cbranch_scc1 .LBB98_236
; %bb.234:
	v_add3_u32 v107, v113, 0, 0x78
	v_mov_b32_e32 v106, 14
	s_mov_b32 s0, 15
.LBB98_235:                             ; =>This Inner Loop Header: Depth=1
	ds_read_b64 v[116:117], v107
	v_add_nc_u32_e32 v107, 8, v107
	s_waitcnt lgkmcnt(0)
	v_cmp_lt_f64_e64 vcc_lo, |v[0:1]|, |v[116:117]|
	v_cndmask_b32_e32 v1, v1, v117, vcc_lo
	v_cndmask_b32_e32 v0, v0, v116, vcc_lo
	v_cndmask_b32_e64 v106, v106, s0, vcc_lo
	s_add_i32 s0, s0, 1
	s_cmp_lg_u32 s7, s0
	s_cbranch_scc1 .LBB98_235
.LBB98_236:
	s_mov_b32 s0, exec_lo
	s_waitcnt lgkmcnt(0)
	v_cmpx_eq_f64_e32 0, v[0:1]
	s_xor_b32 s0, exec_lo, s0
; %bb.237:
	v_cmp_ne_u32_e32 vcc_lo, 0, v109
	v_cndmask_b32_e32 v109, 15, v109, vcc_lo
; %bb.238:
	s_andn2_saveexec_b32 s0, s0
	s_cbranch_execz .LBB98_240
; %bb.239:
	v_div_scale_f64 v[107:108], null, v[0:1], v[0:1], 1.0
	v_rcp_f64_e32 v[116:117], v[107:108]
	v_fma_f64 v[118:119], -v[107:108], v[116:117], 1.0
	v_fma_f64 v[116:117], v[116:117], v[118:119], v[116:117]
	v_fma_f64 v[118:119], -v[107:108], v[116:117], 1.0
	v_fma_f64 v[116:117], v[116:117], v[118:119], v[116:117]
	v_div_scale_f64 v[118:119], vcc_lo, 1.0, v[0:1], 1.0
	v_mul_f64 v[120:121], v[118:119], v[116:117]
	v_fma_f64 v[107:108], -v[107:108], v[120:121], v[118:119]
	v_div_fmas_f64 v[107:108], v[107:108], v[116:117], v[120:121]
	v_div_fixup_f64 v[0:1], v[107:108], v[0:1], 1.0
.LBB98_240:
	s_or_b32 exec_lo, exec_lo, s0
	s_mov_b32 s0, exec_lo
	v_cmpx_ne_u32_e64 v115, v106
	s_xor_b32 s0, exec_lo, s0
	s_cbranch_execz .LBB98_246
; %bb.241:
	s_mov_b32 s1, exec_lo
	v_cmpx_eq_u32_e32 14, v115
	s_cbranch_execz .LBB98_245
; %bb.242:
	v_cmp_ne_u32_e32 vcc_lo, 14, v106
	s_xor_b32 s2, s6, -1
	s_and_b32 s3, s2, vcc_lo
	s_and_saveexec_b32 s2, s3
	s_cbranch_execz .LBB98_244
; %bb.243:
	v_ashrrev_i32_e32 v107, 31, v106
	v_lshlrev_b64 v[107:108], 2, v[106:107]
	v_add_co_u32 v107, vcc_lo, v4, v107
	v_add_co_ci_u32_e64 v108, null, v5, v108, vcc_lo
	s_clause 0x1
	global_load_dword v114, v[107:108], off
	global_load_dword v115, v[4:5], off offset:56
	s_waitcnt vmcnt(1)
	global_store_dword v[4:5], v114, off offset:56
	s_waitcnt vmcnt(0)
	global_store_dword v[107:108], v115, off
.LBB98_244:
	s_or_b32 exec_lo, exec_lo, s2
	v_mov_b32_e32 v114, v106
	v_mov_b32_e32 v115, v106
.LBB98_245:
	s_or_b32 exec_lo, exec_lo, s1
.LBB98_246:
	s_andn2_saveexec_b32 s0, s0
	s_cbranch_execz .LBB98_248
; %bb.247:
	v_mov_b32_e32 v115, 14
	ds_write2_b64 v112, v[72:73], v[70:71] offset0:15 offset1:16
	ds_write2_b64 v112, v[68:69], v[66:67] offset0:17 offset1:18
	;; [unrolled: 1-line block ×17, first 2 shown]
	ds_write_b64 v112, v[104:105] offset:392
.LBB98_248:
	s_or_b32 exec_lo, exec_lo, s0
	s_mov_b32 s0, exec_lo
	s_waitcnt lgkmcnt(0)
	s_waitcnt_vscnt null, 0x0
	s_barrier
	buffer_gl0_inv
	v_cmpx_lt_i32_e32 14, v115
	s_cbranch_execz .LBB98_250
; %bb.249:
	v_mul_f64 v[76:77], v[0:1], v[76:77]
	ds_read2_b64 v[116:119], v112 offset0:15 offset1:16
	ds_read2_b64 v[120:123], v112 offset0:17 offset1:18
	;; [unrolled: 1-line block ×12, first 2 shown]
	ds_read_b64 v[0:1], v112 offset:392
	s_waitcnt lgkmcnt(12)
	v_fma_f64 v[72:73], -v[76:77], v[116:117], v[72:73]
	v_fma_f64 v[70:71], -v[76:77], v[118:119], v[70:71]
	s_waitcnt lgkmcnt(11)
	v_fma_f64 v[68:69], -v[76:77], v[120:121], v[68:69]
	v_fma_f64 v[66:67], -v[76:77], v[122:123], v[66:67]
	;; [unrolled: 3-line block ×5, first 2 shown]
	ds_read2_b64 v[116:119], v112 offset0:39 offset1:40
	ds_read2_b64 v[120:123], v112 offset0:41 offset1:42
	;; [unrolled: 1-line block ×5, first 2 shown]
	s_waitcnt lgkmcnt(12)
	v_fma_f64 v[52:53], -v[76:77], v[136:137], v[52:53]
	v_fma_f64 v[50:51], -v[76:77], v[138:139], v[50:51]
	s_waitcnt lgkmcnt(11)
	v_fma_f64 v[48:49], -v[76:77], v[140:141], v[48:49]
	v_fma_f64 v[46:47], -v[76:77], v[142:143], v[46:47]
	;; [unrolled: 3-line block ×7, first 2 shown]
	s_waitcnt lgkmcnt(5)
	v_fma_f64 v[104:105], -v[76:77], v[0:1], v[104:105]
	s_waitcnt lgkmcnt(4)
	v_fma_f64 v[24:25], -v[76:77], v[116:117], v[24:25]
	v_fma_f64 v[22:23], -v[76:77], v[118:119], v[22:23]
	s_waitcnt lgkmcnt(3)
	v_fma_f64 v[18:19], -v[76:77], v[120:121], v[18:19]
	;; [unrolled: 3-line block ×5, first 2 shown]
	v_fma_f64 v[10:11], -v[76:77], v[134:135], v[10:11]
.LBB98_250:
	s_or_b32 exec_lo, exec_lo, s0
	v_lshl_add_u32 v0, v115, 3, v112
	s_barrier
	buffer_gl0_inv
	v_mov_b32_e32 v106, 15
	ds_write_b64 v0, v[72:73]
	s_waitcnt lgkmcnt(0)
	s_barrier
	buffer_gl0_inv
	ds_read_b64 v[0:1], v112 offset:120
	s_cmp_lt_i32 s7, 17
	s_cbranch_scc1 .LBB98_253
; %bb.251:
	v_add3_u32 v107, v113, 0, 0x80
	v_mov_b32_e32 v106, 15
	s_mov_b32 s0, 16
.LBB98_252:                             ; =>This Inner Loop Header: Depth=1
	ds_read_b64 v[116:117], v107
	v_add_nc_u32_e32 v107, 8, v107
	s_waitcnt lgkmcnt(0)
	v_cmp_lt_f64_e64 vcc_lo, |v[0:1]|, |v[116:117]|
	v_cndmask_b32_e32 v1, v1, v117, vcc_lo
	v_cndmask_b32_e32 v0, v0, v116, vcc_lo
	v_cndmask_b32_e64 v106, v106, s0, vcc_lo
	s_add_i32 s0, s0, 1
	s_cmp_lg_u32 s7, s0
	s_cbranch_scc1 .LBB98_252
.LBB98_253:
	s_mov_b32 s0, exec_lo
	s_waitcnt lgkmcnt(0)
	v_cmpx_eq_f64_e32 0, v[0:1]
	s_xor_b32 s0, exec_lo, s0
; %bb.254:
	v_cmp_ne_u32_e32 vcc_lo, 0, v109
	v_cndmask_b32_e32 v109, 16, v109, vcc_lo
; %bb.255:
	s_andn2_saveexec_b32 s0, s0
	s_cbranch_execz .LBB98_257
; %bb.256:
	v_div_scale_f64 v[107:108], null, v[0:1], v[0:1], 1.0
	v_rcp_f64_e32 v[116:117], v[107:108]
	v_fma_f64 v[118:119], -v[107:108], v[116:117], 1.0
	v_fma_f64 v[116:117], v[116:117], v[118:119], v[116:117]
	v_fma_f64 v[118:119], -v[107:108], v[116:117], 1.0
	v_fma_f64 v[116:117], v[116:117], v[118:119], v[116:117]
	v_div_scale_f64 v[118:119], vcc_lo, 1.0, v[0:1], 1.0
	v_mul_f64 v[120:121], v[118:119], v[116:117]
	v_fma_f64 v[107:108], -v[107:108], v[120:121], v[118:119]
	v_div_fmas_f64 v[107:108], v[107:108], v[116:117], v[120:121]
	v_div_fixup_f64 v[0:1], v[107:108], v[0:1], 1.0
.LBB98_257:
	s_or_b32 exec_lo, exec_lo, s0
	s_mov_b32 s0, exec_lo
	v_cmpx_ne_u32_e64 v115, v106
	s_xor_b32 s0, exec_lo, s0
	s_cbranch_execz .LBB98_263
; %bb.258:
	s_mov_b32 s1, exec_lo
	v_cmpx_eq_u32_e32 15, v115
	s_cbranch_execz .LBB98_262
; %bb.259:
	v_cmp_ne_u32_e32 vcc_lo, 15, v106
	s_xor_b32 s2, s6, -1
	s_and_b32 s3, s2, vcc_lo
	s_and_saveexec_b32 s2, s3
	s_cbranch_execz .LBB98_261
; %bb.260:
	v_ashrrev_i32_e32 v107, 31, v106
	v_lshlrev_b64 v[107:108], 2, v[106:107]
	v_add_co_u32 v107, vcc_lo, v4, v107
	v_add_co_ci_u32_e64 v108, null, v5, v108, vcc_lo
	s_clause 0x1
	global_load_dword v114, v[107:108], off
	global_load_dword v115, v[4:5], off offset:60
	s_waitcnt vmcnt(1)
	global_store_dword v[4:5], v114, off offset:60
	s_waitcnt vmcnt(0)
	global_store_dword v[107:108], v115, off
.LBB98_261:
	s_or_b32 exec_lo, exec_lo, s2
	v_mov_b32_e32 v114, v106
	v_mov_b32_e32 v115, v106
.LBB98_262:
	s_or_b32 exec_lo, exec_lo, s1
.LBB98_263:
	s_andn2_saveexec_b32 s0, s0
	s_cbranch_execz .LBB98_265
; %bb.264:
	v_mov_b32_e32 v106, v70
	v_mov_b32_e32 v107, v71
	;; [unrolled: 1-line block ×12, first 2 shown]
	ds_write2_b64 v112, v[106:107], v[115:116] offset0:16 offset1:17
	ds_write2_b64 v112, v[117:118], v[119:120] offset0:18 offset1:19
	;; [unrolled: 1-line block ×3, first 2 shown]
	v_mov_b32_e32 v106, v60
	v_mov_b32_e32 v107, v61
	;; [unrolled: 1-line block ×20, first 2 shown]
	ds_write2_b64 v112, v[106:107], v[115:116] offset0:22 offset1:23
	ds_write2_b64 v112, v[117:118], v[119:120] offset0:24 offset1:25
	;; [unrolled: 1-line block ×5, first 2 shown]
	v_mov_b32_e32 v106, v40
	v_mov_b32_e32 v107, v41
	;; [unrolled: 1-line block ×20, first 2 shown]
	ds_write2_b64 v112, v[106:107], v[115:116] offset0:32 offset1:33
	ds_write2_b64 v112, v[117:118], v[119:120] offset0:34 offset1:35
	;; [unrolled: 1-line block ×5, first 2 shown]
	v_mov_b32_e32 v106, v20
	v_mov_b32_e32 v107, v21
	;; [unrolled: 1-line block ×15, first 2 shown]
	ds_write2_b64 v112, v[106:107], v[116:117] offset0:42 offset1:43
	ds_write2_b64 v112, v[118:119], v[120:121] offset0:44 offset1:45
	;; [unrolled: 1-line block ×4, first 2 shown]
.LBB98_265:
	s_or_b32 exec_lo, exec_lo, s0
	s_mov_b32 s0, exec_lo
	s_waitcnt lgkmcnt(0)
	s_waitcnt_vscnt null, 0x0
	s_barrier
	buffer_gl0_inv
	v_cmpx_lt_i32_e32 15, v115
	s_cbranch_execz .LBB98_267
; %bb.266:
	v_mul_f64 v[72:73], v[0:1], v[72:73]
	ds_read2_b64 v[116:119], v112 offset0:16 offset1:17
	ds_read2_b64 v[120:123], v112 offset0:18 offset1:19
	;; [unrolled: 1-line block ×13, first 2 shown]
	s_waitcnt lgkmcnt(12)
	v_fma_f64 v[70:71], -v[72:73], v[116:117], v[70:71]
	v_fma_f64 v[68:69], -v[72:73], v[118:119], v[68:69]
	s_waitcnt lgkmcnt(11)
	v_fma_f64 v[66:67], -v[72:73], v[120:121], v[66:67]
	v_fma_f64 v[64:65], -v[72:73], v[122:123], v[64:65]
	;; [unrolled: 3-line block ×4, first 2 shown]
	ds_read2_b64 v[116:119], v112 offset0:42 offset1:43
	ds_read2_b64 v[120:123], v112 offset0:44 offset1:45
	;; [unrolled: 1-line block ×4, first 2 shown]
	s_waitcnt lgkmcnt(12)
	v_fma_f64 v[56:57], -v[72:73], v[132:133], v[56:57]
	v_fma_f64 v[52:53], -v[72:73], v[134:135], v[52:53]
	s_waitcnt lgkmcnt(11)
	v_fma_f64 v[50:51], -v[72:73], v[136:137], v[50:51]
	v_fma_f64 v[48:49], -v[72:73], v[138:139], v[48:49]
	;; [unrolled: 3-line block ×13, first 2 shown]
.LBB98_267:
	s_or_b32 exec_lo, exec_lo, s0
	v_lshl_add_u32 v0, v115, 3, v112
	s_barrier
	buffer_gl0_inv
	v_mov_b32_e32 v106, 16
	ds_write_b64 v0, v[70:71]
	s_waitcnt lgkmcnt(0)
	s_barrier
	buffer_gl0_inv
	ds_read_b64 v[0:1], v112 offset:128
	s_cmp_lt_i32 s7, 18
	s_cbranch_scc1 .LBB98_270
; %bb.268:
	v_add3_u32 v107, v113, 0, 0x88
	v_mov_b32_e32 v106, 16
	s_mov_b32 s0, 17
.LBB98_269:                             ; =>This Inner Loop Header: Depth=1
	ds_read_b64 v[116:117], v107
	v_add_nc_u32_e32 v107, 8, v107
	s_waitcnt lgkmcnt(0)
	v_cmp_lt_f64_e64 vcc_lo, |v[0:1]|, |v[116:117]|
	v_cndmask_b32_e32 v1, v1, v117, vcc_lo
	v_cndmask_b32_e32 v0, v0, v116, vcc_lo
	v_cndmask_b32_e64 v106, v106, s0, vcc_lo
	s_add_i32 s0, s0, 1
	s_cmp_lg_u32 s7, s0
	s_cbranch_scc1 .LBB98_269
.LBB98_270:
	s_mov_b32 s0, exec_lo
	s_waitcnt lgkmcnt(0)
	v_cmpx_eq_f64_e32 0, v[0:1]
	s_xor_b32 s0, exec_lo, s0
; %bb.271:
	v_cmp_ne_u32_e32 vcc_lo, 0, v109
	v_cndmask_b32_e32 v109, 17, v109, vcc_lo
; %bb.272:
	s_andn2_saveexec_b32 s0, s0
	s_cbranch_execz .LBB98_274
; %bb.273:
	v_div_scale_f64 v[107:108], null, v[0:1], v[0:1], 1.0
	v_rcp_f64_e32 v[116:117], v[107:108]
	v_fma_f64 v[118:119], -v[107:108], v[116:117], 1.0
	v_fma_f64 v[116:117], v[116:117], v[118:119], v[116:117]
	v_fma_f64 v[118:119], -v[107:108], v[116:117], 1.0
	v_fma_f64 v[116:117], v[116:117], v[118:119], v[116:117]
	v_div_scale_f64 v[118:119], vcc_lo, 1.0, v[0:1], 1.0
	v_mul_f64 v[120:121], v[118:119], v[116:117]
	v_fma_f64 v[107:108], -v[107:108], v[120:121], v[118:119]
	v_div_fmas_f64 v[107:108], v[107:108], v[116:117], v[120:121]
	v_div_fixup_f64 v[0:1], v[107:108], v[0:1], 1.0
.LBB98_274:
	s_or_b32 exec_lo, exec_lo, s0
	s_mov_b32 s0, exec_lo
	v_cmpx_ne_u32_e64 v115, v106
	s_xor_b32 s0, exec_lo, s0
	s_cbranch_execz .LBB98_280
; %bb.275:
	s_mov_b32 s1, exec_lo
	v_cmpx_eq_u32_e32 16, v115
	s_cbranch_execz .LBB98_279
; %bb.276:
	v_cmp_ne_u32_e32 vcc_lo, 16, v106
	s_xor_b32 s2, s6, -1
	s_and_b32 s3, s2, vcc_lo
	s_and_saveexec_b32 s2, s3
	s_cbranch_execz .LBB98_278
; %bb.277:
	v_ashrrev_i32_e32 v107, 31, v106
	v_lshlrev_b64 v[107:108], 2, v[106:107]
	v_add_co_u32 v107, vcc_lo, v4, v107
	v_add_co_ci_u32_e64 v108, null, v5, v108, vcc_lo
	s_clause 0x1
	global_load_dword v114, v[107:108], off
	global_load_dword v115, v[4:5], off offset:64
	s_waitcnt vmcnt(1)
	global_store_dword v[4:5], v114, off offset:64
	s_waitcnt vmcnt(0)
	global_store_dword v[107:108], v115, off
.LBB98_278:
	s_or_b32 exec_lo, exec_lo, s2
	v_mov_b32_e32 v114, v106
	v_mov_b32_e32 v115, v106
.LBB98_279:
	s_or_b32 exec_lo, exec_lo, s1
.LBB98_280:
	s_andn2_saveexec_b32 s0, s0
	s_cbranch_execz .LBB98_282
; %bb.281:
	v_mov_b32_e32 v115, 16
	ds_write2_b64 v112, v[68:69], v[66:67] offset0:17 offset1:18
	ds_write2_b64 v112, v[64:65], v[62:63] offset0:19 offset1:20
	;; [unrolled: 1-line block ×16, first 2 shown]
	ds_write_b64 v112, v[104:105] offset:392
.LBB98_282:
	s_or_b32 exec_lo, exec_lo, s0
	s_mov_b32 s0, exec_lo
	s_waitcnt lgkmcnt(0)
	s_waitcnt_vscnt null, 0x0
	s_barrier
	buffer_gl0_inv
	v_cmpx_lt_i32_e32 16, v115
	s_cbranch_execz .LBB98_284
; %bb.283:
	v_mul_f64 v[70:71], v[0:1], v[70:71]
	ds_read2_b64 v[116:119], v112 offset0:17 offset1:18
	ds_read2_b64 v[120:123], v112 offset0:19 offset1:20
	;; [unrolled: 1-line block ×13, first 2 shown]
	ds_read_b64 v[0:1], v112 offset:392
	s_waitcnt lgkmcnt(13)
	v_fma_f64 v[68:69], -v[70:71], v[116:117], v[68:69]
	v_fma_f64 v[66:67], -v[70:71], v[118:119], v[66:67]
	s_waitcnt lgkmcnt(12)
	v_fma_f64 v[64:65], -v[70:71], v[120:121], v[64:65]
	v_fma_f64 v[62:63], -v[70:71], v[122:123], v[62:63]
	s_waitcnt lgkmcnt(11)
	v_fma_f64 v[58:59], -v[70:71], v[124:125], v[58:59]
	v_fma_f64 v[60:61], -v[70:71], v[126:127], v[60:61]
	ds_read2_b64 v[116:119], v112 offset0:43 offset1:44
	ds_read2_b64 v[120:123], v112 offset0:45 offset1:46
	ds_read2_b64 v[124:127], v112 offset0:47 offset1:48
	s_waitcnt lgkmcnt(13)
	v_fma_f64 v[54:55], -v[70:71], v[128:129], v[54:55]
	v_fma_f64 v[56:57], -v[70:71], v[130:131], v[56:57]
	s_waitcnt lgkmcnt(12)
	v_fma_f64 v[52:53], -v[70:71], v[132:133], v[52:53]
	v_fma_f64 v[50:51], -v[70:71], v[134:135], v[50:51]
	;; [unrolled: 3-line block ×13, first 2 shown]
	v_fma_f64 v[104:105], -v[70:71], v[0:1], v[104:105]
.LBB98_284:
	s_or_b32 exec_lo, exec_lo, s0
	v_lshl_add_u32 v0, v115, 3, v112
	s_barrier
	buffer_gl0_inv
	v_mov_b32_e32 v106, 17
	ds_write_b64 v0, v[68:69]
	s_waitcnt lgkmcnt(0)
	s_barrier
	buffer_gl0_inv
	ds_read_b64 v[0:1], v112 offset:136
	s_cmp_lt_i32 s7, 19
	s_cbranch_scc1 .LBB98_287
; %bb.285:
	v_add3_u32 v107, v113, 0, 0x90
	v_mov_b32_e32 v106, 17
	s_mov_b32 s0, 18
.LBB98_286:                             ; =>This Inner Loop Header: Depth=1
	ds_read_b64 v[116:117], v107
	v_add_nc_u32_e32 v107, 8, v107
	s_waitcnt lgkmcnt(0)
	v_cmp_lt_f64_e64 vcc_lo, |v[0:1]|, |v[116:117]|
	v_cndmask_b32_e32 v1, v1, v117, vcc_lo
	v_cndmask_b32_e32 v0, v0, v116, vcc_lo
	v_cndmask_b32_e64 v106, v106, s0, vcc_lo
	s_add_i32 s0, s0, 1
	s_cmp_lg_u32 s7, s0
	s_cbranch_scc1 .LBB98_286
.LBB98_287:
	s_mov_b32 s0, exec_lo
	s_waitcnt lgkmcnt(0)
	v_cmpx_eq_f64_e32 0, v[0:1]
	s_xor_b32 s0, exec_lo, s0
; %bb.288:
	v_cmp_ne_u32_e32 vcc_lo, 0, v109
	v_cndmask_b32_e32 v109, 18, v109, vcc_lo
; %bb.289:
	s_andn2_saveexec_b32 s0, s0
	s_cbranch_execz .LBB98_291
; %bb.290:
	v_div_scale_f64 v[107:108], null, v[0:1], v[0:1], 1.0
	v_rcp_f64_e32 v[116:117], v[107:108]
	v_fma_f64 v[118:119], -v[107:108], v[116:117], 1.0
	v_fma_f64 v[116:117], v[116:117], v[118:119], v[116:117]
	v_fma_f64 v[118:119], -v[107:108], v[116:117], 1.0
	v_fma_f64 v[116:117], v[116:117], v[118:119], v[116:117]
	v_div_scale_f64 v[118:119], vcc_lo, 1.0, v[0:1], 1.0
	v_mul_f64 v[120:121], v[118:119], v[116:117]
	v_fma_f64 v[107:108], -v[107:108], v[120:121], v[118:119]
	v_div_fmas_f64 v[107:108], v[107:108], v[116:117], v[120:121]
	v_div_fixup_f64 v[0:1], v[107:108], v[0:1], 1.0
.LBB98_291:
	s_or_b32 exec_lo, exec_lo, s0
	s_mov_b32 s0, exec_lo
	v_cmpx_ne_u32_e64 v115, v106
	s_xor_b32 s0, exec_lo, s0
	s_cbranch_execz .LBB98_297
; %bb.292:
	s_mov_b32 s1, exec_lo
	v_cmpx_eq_u32_e32 17, v115
	s_cbranch_execz .LBB98_296
; %bb.293:
	v_cmp_ne_u32_e32 vcc_lo, 17, v106
	s_xor_b32 s2, s6, -1
	s_and_b32 s3, s2, vcc_lo
	s_and_saveexec_b32 s2, s3
	s_cbranch_execz .LBB98_295
; %bb.294:
	v_ashrrev_i32_e32 v107, 31, v106
	v_lshlrev_b64 v[107:108], 2, v[106:107]
	v_add_co_u32 v107, vcc_lo, v4, v107
	v_add_co_ci_u32_e64 v108, null, v5, v108, vcc_lo
	s_clause 0x1
	global_load_dword v114, v[107:108], off
	global_load_dword v115, v[4:5], off offset:68
	s_waitcnt vmcnt(1)
	global_store_dword v[4:5], v114, off offset:68
	s_waitcnt vmcnt(0)
	global_store_dword v[107:108], v115, off
.LBB98_295:
	s_or_b32 exec_lo, exec_lo, s2
	v_mov_b32_e32 v114, v106
	v_mov_b32_e32 v115, v106
.LBB98_296:
	s_or_b32 exec_lo, exec_lo, s1
.LBB98_297:
	s_andn2_saveexec_b32 s0, s0
	s_cbranch_execz .LBB98_299
; %bb.298:
	v_mov_b32_e32 v106, v66
	v_mov_b32_e32 v107, v67
	;; [unrolled: 1-line block ×8, first 2 shown]
	ds_write2_b64 v112, v[106:107], v[115:116] offset0:18 offset1:19
	ds_write2_b64 v112, v[117:118], v[119:120] offset0:20 offset1:21
	v_mov_b32_e32 v106, v60
	v_mov_b32_e32 v107, v61
	v_mov_b32_e32 v115, v54
	v_mov_b32_e32 v116, v55
	v_mov_b32_e32 v117, v56
	v_mov_b32_e32 v118, v57
	v_mov_b32_e32 v119, v52
	v_mov_b32_e32 v120, v53
	v_mov_b32_e32 v121, v50
	v_mov_b32_e32 v122, v51
	v_mov_b32_e32 v123, v48
	v_mov_b32_e32 v124, v49
	v_mov_b32_e32 v125, v46
	v_mov_b32_e32 v126, v47
	v_mov_b32_e32 v127, v44
	v_mov_b32_e32 v128, v45
	v_mov_b32_e32 v129, v42
	v_mov_b32_e32 v130, v43
	v_mov_b32_e32 v131, v38
	v_mov_b32_e32 v132, v39
	ds_write2_b64 v112, v[106:107], v[115:116] offset0:22 offset1:23
	ds_write2_b64 v112, v[117:118], v[119:120] offset0:24 offset1:25
	;; [unrolled: 1-line block ×5, first 2 shown]
	v_mov_b32_e32 v106, v40
	v_mov_b32_e32 v107, v41
	;; [unrolled: 1-line block ×20, first 2 shown]
	ds_write2_b64 v112, v[106:107], v[115:116] offset0:32 offset1:33
	ds_write2_b64 v112, v[117:118], v[119:120] offset0:34 offset1:35
	;; [unrolled: 1-line block ×5, first 2 shown]
	v_mov_b32_e32 v106, v20
	v_mov_b32_e32 v107, v21
	;; [unrolled: 1-line block ×15, first 2 shown]
	ds_write2_b64 v112, v[106:107], v[116:117] offset0:42 offset1:43
	ds_write2_b64 v112, v[118:119], v[120:121] offset0:44 offset1:45
	;; [unrolled: 1-line block ×4, first 2 shown]
.LBB98_299:
	s_or_b32 exec_lo, exec_lo, s0
	s_mov_b32 s0, exec_lo
	s_waitcnt lgkmcnt(0)
	s_waitcnt_vscnt null, 0x0
	s_barrier
	buffer_gl0_inv
	v_cmpx_lt_i32_e32 17, v115
	s_cbranch_execz .LBB98_301
; %bb.300:
	v_mul_f64 v[68:69], v[0:1], v[68:69]
	ds_read2_b64 v[116:119], v112 offset0:18 offset1:19
	ds_read2_b64 v[120:123], v112 offset0:20 offset1:21
	;; [unrolled: 1-line block ×13, first 2 shown]
	s_waitcnt lgkmcnt(12)
	v_fma_f64 v[66:67], -v[68:69], v[116:117], v[66:67]
	v_fma_f64 v[64:65], -v[68:69], v[118:119], v[64:65]
	s_waitcnt lgkmcnt(11)
	v_fma_f64 v[62:63], -v[68:69], v[120:121], v[62:63]
	v_fma_f64 v[58:59], -v[68:69], v[122:123], v[58:59]
	;; [unrolled: 3-line block ×3, first 2 shown]
	ds_read2_b64 v[116:119], v112 offset0:44 offset1:45
	ds_read2_b64 v[120:123], v112 offset0:46 offset1:47
	;; [unrolled: 1-line block ×3, first 2 shown]
	s_waitcnt lgkmcnt(12)
	v_fma_f64 v[56:57], -v[68:69], v[128:129], v[56:57]
	v_fma_f64 v[52:53], -v[68:69], v[130:131], v[52:53]
	s_waitcnt lgkmcnt(11)
	v_fma_f64 v[50:51], -v[68:69], v[132:133], v[50:51]
	v_fma_f64 v[48:49], -v[68:69], v[134:135], v[48:49]
	;; [unrolled: 3-line block ×13, first 2 shown]
.LBB98_301:
	s_or_b32 exec_lo, exec_lo, s0
	v_lshl_add_u32 v0, v115, 3, v112
	s_barrier
	buffer_gl0_inv
	v_mov_b32_e32 v106, 18
	ds_write_b64 v0, v[66:67]
	s_waitcnt lgkmcnt(0)
	s_barrier
	buffer_gl0_inv
	ds_read_b64 v[0:1], v112 offset:144
	s_cmp_lt_i32 s7, 20
	s_cbranch_scc1 .LBB98_304
; %bb.302:
	v_add3_u32 v107, v113, 0, 0x98
	v_mov_b32_e32 v106, 18
	s_mov_b32 s0, 19
.LBB98_303:                             ; =>This Inner Loop Header: Depth=1
	ds_read_b64 v[116:117], v107
	v_add_nc_u32_e32 v107, 8, v107
	s_waitcnt lgkmcnt(0)
	v_cmp_lt_f64_e64 vcc_lo, |v[0:1]|, |v[116:117]|
	v_cndmask_b32_e32 v1, v1, v117, vcc_lo
	v_cndmask_b32_e32 v0, v0, v116, vcc_lo
	v_cndmask_b32_e64 v106, v106, s0, vcc_lo
	s_add_i32 s0, s0, 1
	s_cmp_lg_u32 s7, s0
	s_cbranch_scc1 .LBB98_303
.LBB98_304:
	s_mov_b32 s0, exec_lo
	s_waitcnt lgkmcnt(0)
	v_cmpx_eq_f64_e32 0, v[0:1]
	s_xor_b32 s0, exec_lo, s0
; %bb.305:
	v_cmp_ne_u32_e32 vcc_lo, 0, v109
	v_cndmask_b32_e32 v109, 19, v109, vcc_lo
; %bb.306:
	s_andn2_saveexec_b32 s0, s0
	s_cbranch_execz .LBB98_308
; %bb.307:
	v_div_scale_f64 v[107:108], null, v[0:1], v[0:1], 1.0
	v_rcp_f64_e32 v[116:117], v[107:108]
	v_fma_f64 v[118:119], -v[107:108], v[116:117], 1.0
	v_fma_f64 v[116:117], v[116:117], v[118:119], v[116:117]
	v_fma_f64 v[118:119], -v[107:108], v[116:117], 1.0
	v_fma_f64 v[116:117], v[116:117], v[118:119], v[116:117]
	v_div_scale_f64 v[118:119], vcc_lo, 1.0, v[0:1], 1.0
	v_mul_f64 v[120:121], v[118:119], v[116:117]
	v_fma_f64 v[107:108], -v[107:108], v[120:121], v[118:119]
	v_div_fmas_f64 v[107:108], v[107:108], v[116:117], v[120:121]
	v_div_fixup_f64 v[0:1], v[107:108], v[0:1], 1.0
.LBB98_308:
	s_or_b32 exec_lo, exec_lo, s0
	s_mov_b32 s0, exec_lo
	v_cmpx_ne_u32_e64 v115, v106
	s_xor_b32 s0, exec_lo, s0
	s_cbranch_execz .LBB98_314
; %bb.309:
	s_mov_b32 s1, exec_lo
	v_cmpx_eq_u32_e32 18, v115
	s_cbranch_execz .LBB98_313
; %bb.310:
	v_cmp_ne_u32_e32 vcc_lo, 18, v106
	s_xor_b32 s2, s6, -1
	s_and_b32 s3, s2, vcc_lo
	s_and_saveexec_b32 s2, s3
	s_cbranch_execz .LBB98_312
; %bb.311:
	v_ashrrev_i32_e32 v107, 31, v106
	v_lshlrev_b64 v[107:108], 2, v[106:107]
	v_add_co_u32 v107, vcc_lo, v4, v107
	v_add_co_ci_u32_e64 v108, null, v5, v108, vcc_lo
	s_clause 0x1
	global_load_dword v114, v[107:108], off
	global_load_dword v115, v[4:5], off offset:72
	s_waitcnt vmcnt(1)
	global_store_dword v[4:5], v114, off offset:72
	s_waitcnt vmcnt(0)
	global_store_dword v[107:108], v115, off
.LBB98_312:
	s_or_b32 exec_lo, exec_lo, s2
	v_mov_b32_e32 v114, v106
	v_mov_b32_e32 v115, v106
.LBB98_313:
	s_or_b32 exec_lo, exec_lo, s1
.LBB98_314:
	s_andn2_saveexec_b32 s0, s0
	s_cbranch_execz .LBB98_316
; %bb.315:
	v_mov_b32_e32 v115, 18
	ds_write2_b64 v112, v[64:65], v[62:63] offset0:19 offset1:20
	ds_write2_b64 v112, v[58:59], v[60:61] offset0:21 offset1:22
	;; [unrolled: 1-line block ×15, first 2 shown]
	ds_write_b64 v112, v[104:105] offset:392
.LBB98_316:
	s_or_b32 exec_lo, exec_lo, s0
	s_mov_b32 s0, exec_lo
	s_waitcnt lgkmcnt(0)
	s_waitcnt_vscnt null, 0x0
	s_barrier
	buffer_gl0_inv
	v_cmpx_lt_i32_e32 18, v115
	s_cbranch_execz .LBB98_318
; %bb.317:
	v_mul_f64 v[66:67], v[0:1], v[66:67]
	ds_read2_b64 v[116:119], v112 offset0:19 offset1:20
	ds_read2_b64 v[120:123], v112 offset0:21 offset1:22
	;; [unrolled: 1-line block ×13, first 2 shown]
	ds_read_b64 v[0:1], v112 offset:392
	s_waitcnt lgkmcnt(13)
	v_fma_f64 v[64:65], -v[66:67], v[116:117], v[64:65]
	v_fma_f64 v[62:63], -v[66:67], v[118:119], v[62:63]
	s_waitcnt lgkmcnt(12)
	v_fma_f64 v[58:59], -v[66:67], v[120:121], v[58:59]
	v_fma_f64 v[60:61], -v[66:67], v[122:123], v[60:61]
	ds_read2_b64 v[116:119], v112 offset0:45 offset1:46
	ds_read2_b64 v[120:123], v112 offset0:47 offset1:48
	s_waitcnt lgkmcnt(13)
	v_fma_f64 v[54:55], -v[66:67], v[124:125], v[54:55]
	v_fma_f64 v[56:57], -v[66:67], v[126:127], v[56:57]
	s_waitcnt lgkmcnt(12)
	v_fma_f64 v[52:53], -v[66:67], v[128:129], v[52:53]
	v_fma_f64 v[50:51], -v[66:67], v[130:131], v[50:51]
	s_waitcnt lgkmcnt(11)
	v_fma_f64 v[48:49], -v[66:67], v[132:133], v[48:49]
	v_fma_f64 v[46:47], -v[66:67], v[134:135], v[46:47]
	s_waitcnt lgkmcnt(10)
	v_fma_f64 v[44:45], -v[66:67], v[136:137], v[44:45]
	v_fma_f64 v[42:43], -v[66:67], v[138:139], v[42:43]
	s_waitcnt lgkmcnt(9)
	v_fma_f64 v[38:39], -v[66:67], v[140:141], v[38:39]
	v_fma_f64 v[40:41], -v[66:67], v[142:143], v[40:41]
	s_waitcnt lgkmcnt(8)
	v_fma_f64 v[34:35], -v[66:67], v[144:145], v[34:35]
	v_fma_f64 v[36:37], -v[66:67], v[146:147], v[36:37]
	s_waitcnt lgkmcnt(7)
	v_fma_f64 v[32:33], -v[66:67], v[148:149], v[32:33]
	v_fma_f64 v[30:31], -v[66:67], v[150:151], v[30:31]
	s_waitcnt lgkmcnt(6)
	v_fma_f64 v[28:29], -v[66:67], v[152:153], v[28:29]
	v_fma_f64 v[26:27], -v[66:67], v[154:155], v[26:27]
	s_waitcnt lgkmcnt(5)
	v_fma_f64 v[24:25], -v[66:67], v[156:157], v[24:25]
	v_fma_f64 v[22:23], -v[66:67], v[158:159], v[22:23]
	s_waitcnt lgkmcnt(4)
	v_fma_f64 v[18:19], -v[66:67], v[160:161], v[18:19]
	v_fma_f64 v[20:21], -v[66:67], v[162:163], v[20:21]
	s_waitcnt lgkmcnt(3)
	v_fma_f64 v[16:17], -v[66:67], v[164:165], v[16:17]
	v_fma_f64 v[14:15], -v[66:67], v[166:167], v[14:15]
	s_waitcnt lgkmcnt(1)
	v_fma_f64 v[8:9], -v[66:67], v[116:117], v[8:9]
	v_fma_f64 v[12:13], -v[66:67], v[118:119], v[12:13]
	s_waitcnt lgkmcnt(0)
	v_fma_f64 v[6:7], -v[66:67], v[120:121], v[6:7]
	v_fma_f64 v[10:11], -v[66:67], v[122:123], v[10:11]
	v_fma_f64 v[104:105], -v[66:67], v[0:1], v[104:105]
.LBB98_318:
	s_or_b32 exec_lo, exec_lo, s0
	v_lshl_add_u32 v0, v115, 3, v112
	s_barrier
	buffer_gl0_inv
	v_mov_b32_e32 v106, 19
	ds_write_b64 v0, v[64:65]
	s_waitcnt lgkmcnt(0)
	s_barrier
	buffer_gl0_inv
	ds_read_b64 v[0:1], v112 offset:152
	s_cmp_lt_i32 s7, 21
	s_cbranch_scc1 .LBB98_321
; %bb.319:
	v_add3_u32 v107, v113, 0, 0xa0
	v_mov_b32_e32 v106, 19
	s_mov_b32 s0, 20
.LBB98_320:                             ; =>This Inner Loop Header: Depth=1
	ds_read_b64 v[116:117], v107
	v_add_nc_u32_e32 v107, 8, v107
	s_waitcnt lgkmcnt(0)
	v_cmp_lt_f64_e64 vcc_lo, |v[0:1]|, |v[116:117]|
	v_cndmask_b32_e32 v1, v1, v117, vcc_lo
	v_cndmask_b32_e32 v0, v0, v116, vcc_lo
	v_cndmask_b32_e64 v106, v106, s0, vcc_lo
	s_add_i32 s0, s0, 1
	s_cmp_lg_u32 s7, s0
	s_cbranch_scc1 .LBB98_320
.LBB98_321:
	s_mov_b32 s0, exec_lo
	s_waitcnt lgkmcnt(0)
	v_cmpx_eq_f64_e32 0, v[0:1]
	s_xor_b32 s0, exec_lo, s0
; %bb.322:
	v_cmp_ne_u32_e32 vcc_lo, 0, v109
	v_cndmask_b32_e32 v109, 20, v109, vcc_lo
; %bb.323:
	s_andn2_saveexec_b32 s0, s0
	s_cbranch_execz .LBB98_325
; %bb.324:
	v_div_scale_f64 v[107:108], null, v[0:1], v[0:1], 1.0
	v_rcp_f64_e32 v[116:117], v[107:108]
	v_fma_f64 v[118:119], -v[107:108], v[116:117], 1.0
	v_fma_f64 v[116:117], v[116:117], v[118:119], v[116:117]
	v_fma_f64 v[118:119], -v[107:108], v[116:117], 1.0
	v_fma_f64 v[116:117], v[116:117], v[118:119], v[116:117]
	v_div_scale_f64 v[118:119], vcc_lo, 1.0, v[0:1], 1.0
	v_mul_f64 v[120:121], v[118:119], v[116:117]
	v_fma_f64 v[107:108], -v[107:108], v[120:121], v[118:119]
	v_div_fmas_f64 v[107:108], v[107:108], v[116:117], v[120:121]
	v_div_fixup_f64 v[0:1], v[107:108], v[0:1], 1.0
.LBB98_325:
	s_or_b32 exec_lo, exec_lo, s0
	s_mov_b32 s0, exec_lo
	v_cmpx_ne_u32_e64 v115, v106
	s_xor_b32 s0, exec_lo, s0
	s_cbranch_execz .LBB98_331
; %bb.326:
	s_mov_b32 s1, exec_lo
	v_cmpx_eq_u32_e32 19, v115
	s_cbranch_execz .LBB98_330
; %bb.327:
	v_cmp_ne_u32_e32 vcc_lo, 19, v106
	s_xor_b32 s2, s6, -1
	s_and_b32 s3, s2, vcc_lo
	s_and_saveexec_b32 s2, s3
	s_cbranch_execz .LBB98_329
; %bb.328:
	v_ashrrev_i32_e32 v107, 31, v106
	v_lshlrev_b64 v[107:108], 2, v[106:107]
	v_add_co_u32 v107, vcc_lo, v4, v107
	v_add_co_ci_u32_e64 v108, null, v5, v108, vcc_lo
	s_clause 0x1
	global_load_dword v114, v[107:108], off
	global_load_dword v115, v[4:5], off offset:76
	s_waitcnt vmcnt(1)
	global_store_dword v[4:5], v114, off offset:76
	s_waitcnt vmcnt(0)
	global_store_dword v[107:108], v115, off
.LBB98_329:
	s_or_b32 exec_lo, exec_lo, s2
	v_mov_b32_e32 v114, v106
	v_mov_b32_e32 v115, v106
.LBB98_330:
	s_or_b32 exec_lo, exec_lo, s1
.LBB98_331:
	s_andn2_saveexec_b32 s0, s0
	s_cbranch_execz .LBB98_333
; %bb.332:
	v_mov_b32_e32 v106, v62
	v_mov_b32_e32 v107, v63
	;; [unrolled: 1-line block ×8, first 2 shown]
	ds_write2_b64 v112, v[106:107], v[115:116] offset0:20 offset1:21
	v_mov_b32_e32 v106, v54
	v_mov_b32_e32 v107, v55
	;; [unrolled: 1-line block ×16, first 2 shown]
	ds_write2_b64 v112, v[117:118], v[106:107] offset0:22 offset1:23
	ds_write2_b64 v112, v[115:116], v[119:120] offset0:24 offset1:25
	;; [unrolled: 1-line block ×5, first 2 shown]
	v_mov_b32_e32 v106, v40
	v_mov_b32_e32 v107, v41
	;; [unrolled: 1-line block ×20, first 2 shown]
	ds_write2_b64 v112, v[106:107], v[115:116] offset0:32 offset1:33
	ds_write2_b64 v112, v[117:118], v[119:120] offset0:34 offset1:35
	;; [unrolled: 1-line block ×5, first 2 shown]
	v_mov_b32_e32 v106, v20
	v_mov_b32_e32 v107, v21
	;; [unrolled: 1-line block ×15, first 2 shown]
	ds_write2_b64 v112, v[106:107], v[116:117] offset0:42 offset1:43
	ds_write2_b64 v112, v[118:119], v[120:121] offset0:44 offset1:45
	;; [unrolled: 1-line block ×4, first 2 shown]
.LBB98_333:
	s_or_b32 exec_lo, exec_lo, s0
	s_mov_b32 s0, exec_lo
	s_waitcnt lgkmcnt(0)
	s_waitcnt_vscnt null, 0x0
	s_barrier
	buffer_gl0_inv
	v_cmpx_lt_i32_e32 19, v115
	s_cbranch_execz .LBB98_335
; %bb.334:
	v_mul_f64 v[64:65], v[0:1], v[64:65]
	ds_read2_b64 v[116:119], v112 offset0:20 offset1:21
	ds_read2_b64 v[120:123], v112 offset0:22 offset1:23
	ds_read2_b64 v[124:127], v112 offset0:24 offset1:25
	ds_read2_b64 v[128:131], v112 offset0:26 offset1:27
	ds_read2_b64 v[132:135], v112 offset0:28 offset1:29
	ds_read2_b64 v[136:139], v112 offset0:30 offset1:31
	ds_read2_b64 v[140:143], v112 offset0:32 offset1:33
	ds_read2_b64 v[144:147], v112 offset0:34 offset1:35
	ds_read2_b64 v[148:151], v112 offset0:36 offset1:37
	ds_read2_b64 v[152:155], v112 offset0:38 offset1:39
	ds_read2_b64 v[156:159], v112 offset0:40 offset1:41
	ds_read2_b64 v[160:163], v112 offset0:42 offset1:43
	ds_read2_b64 v[164:167], v112 offset0:44 offset1:45
	ds_read2_b64 v[168:171], v112 offset0:46 offset1:47
	s_waitcnt lgkmcnt(13)
	v_fma_f64 v[62:63], -v[64:65], v[116:117], v[62:63]
	v_fma_f64 v[58:59], -v[64:65], v[118:119], v[58:59]
	ds_read2_b64 v[116:119], v112 offset0:48 offset1:49
	s_waitcnt lgkmcnt(13)
	v_fma_f64 v[60:61], -v[64:65], v[120:121], v[60:61]
	v_fma_f64 v[54:55], -v[64:65], v[122:123], v[54:55]
	s_waitcnt lgkmcnt(12)
	v_fma_f64 v[56:57], -v[64:65], v[124:125], v[56:57]
	v_fma_f64 v[52:53], -v[64:65], v[126:127], v[52:53]
	;; [unrolled: 3-line block ×14, first 2 shown]
.LBB98_335:
	s_or_b32 exec_lo, exec_lo, s0
	v_lshl_add_u32 v0, v115, 3, v112
	s_barrier
	buffer_gl0_inv
	v_mov_b32_e32 v106, 20
	ds_write_b64 v0, v[62:63]
	s_waitcnt lgkmcnt(0)
	s_barrier
	buffer_gl0_inv
	ds_read_b64 v[0:1], v112 offset:160
	s_cmp_lt_i32 s7, 22
	s_cbranch_scc1 .LBB98_338
; %bb.336:
	v_add3_u32 v107, v113, 0, 0xa8
	v_mov_b32_e32 v106, 20
	s_mov_b32 s0, 21
.LBB98_337:                             ; =>This Inner Loop Header: Depth=1
	ds_read_b64 v[116:117], v107
	v_add_nc_u32_e32 v107, 8, v107
	s_waitcnt lgkmcnt(0)
	v_cmp_lt_f64_e64 vcc_lo, |v[0:1]|, |v[116:117]|
	v_cndmask_b32_e32 v1, v1, v117, vcc_lo
	v_cndmask_b32_e32 v0, v0, v116, vcc_lo
	v_cndmask_b32_e64 v106, v106, s0, vcc_lo
	s_add_i32 s0, s0, 1
	s_cmp_lg_u32 s7, s0
	s_cbranch_scc1 .LBB98_337
.LBB98_338:
	s_mov_b32 s0, exec_lo
	s_waitcnt lgkmcnt(0)
	v_cmpx_eq_f64_e32 0, v[0:1]
	s_xor_b32 s0, exec_lo, s0
; %bb.339:
	v_cmp_ne_u32_e32 vcc_lo, 0, v109
	v_cndmask_b32_e32 v109, 21, v109, vcc_lo
; %bb.340:
	s_andn2_saveexec_b32 s0, s0
	s_cbranch_execz .LBB98_342
; %bb.341:
	v_div_scale_f64 v[107:108], null, v[0:1], v[0:1], 1.0
	v_rcp_f64_e32 v[116:117], v[107:108]
	v_fma_f64 v[118:119], -v[107:108], v[116:117], 1.0
	v_fma_f64 v[116:117], v[116:117], v[118:119], v[116:117]
	v_fma_f64 v[118:119], -v[107:108], v[116:117], 1.0
	v_fma_f64 v[116:117], v[116:117], v[118:119], v[116:117]
	v_div_scale_f64 v[118:119], vcc_lo, 1.0, v[0:1], 1.0
	v_mul_f64 v[120:121], v[118:119], v[116:117]
	v_fma_f64 v[107:108], -v[107:108], v[120:121], v[118:119]
	v_div_fmas_f64 v[107:108], v[107:108], v[116:117], v[120:121]
	v_div_fixup_f64 v[0:1], v[107:108], v[0:1], 1.0
.LBB98_342:
	s_or_b32 exec_lo, exec_lo, s0
	s_mov_b32 s0, exec_lo
	v_cmpx_ne_u32_e64 v115, v106
	s_xor_b32 s0, exec_lo, s0
	s_cbranch_execz .LBB98_348
; %bb.343:
	s_mov_b32 s1, exec_lo
	v_cmpx_eq_u32_e32 20, v115
	s_cbranch_execz .LBB98_347
; %bb.344:
	v_cmp_ne_u32_e32 vcc_lo, 20, v106
	s_xor_b32 s2, s6, -1
	s_and_b32 s3, s2, vcc_lo
	s_and_saveexec_b32 s2, s3
	s_cbranch_execz .LBB98_346
; %bb.345:
	v_ashrrev_i32_e32 v107, 31, v106
	v_lshlrev_b64 v[107:108], 2, v[106:107]
	v_add_co_u32 v107, vcc_lo, v4, v107
	v_add_co_ci_u32_e64 v108, null, v5, v108, vcc_lo
	s_clause 0x1
	global_load_dword v114, v[107:108], off
	global_load_dword v115, v[4:5], off offset:80
	s_waitcnt vmcnt(1)
	global_store_dword v[4:5], v114, off offset:80
	s_waitcnt vmcnt(0)
	global_store_dword v[107:108], v115, off
.LBB98_346:
	s_or_b32 exec_lo, exec_lo, s2
	v_mov_b32_e32 v114, v106
	v_mov_b32_e32 v115, v106
.LBB98_347:
	s_or_b32 exec_lo, exec_lo, s1
.LBB98_348:
	s_andn2_saveexec_b32 s0, s0
	s_cbranch_execz .LBB98_350
; %bb.349:
	v_mov_b32_e32 v115, 20
	ds_write2_b64 v112, v[58:59], v[60:61] offset0:21 offset1:22
	ds_write2_b64 v112, v[54:55], v[56:57] offset0:23 offset1:24
	ds_write2_b64 v112, v[52:53], v[50:51] offset0:25 offset1:26
	ds_write2_b64 v112, v[48:49], v[46:47] offset0:27 offset1:28
	ds_write2_b64 v112, v[44:45], v[42:43] offset0:29 offset1:30
	ds_write2_b64 v112, v[38:39], v[40:41] offset0:31 offset1:32
	ds_write2_b64 v112, v[34:35], v[36:37] offset0:33 offset1:34
	ds_write2_b64 v112, v[32:33], v[30:31] offset0:35 offset1:36
	ds_write2_b64 v112, v[28:29], v[26:27] offset0:37 offset1:38
	ds_write2_b64 v112, v[24:25], v[22:23] offset0:39 offset1:40
	ds_write2_b64 v112, v[18:19], v[20:21] offset0:41 offset1:42
	ds_write2_b64 v112, v[16:17], v[14:15] offset0:43 offset1:44
	ds_write2_b64 v112, v[8:9], v[12:13] offset0:45 offset1:46
	ds_write2_b64 v112, v[6:7], v[10:11] offset0:47 offset1:48
	ds_write_b64 v112, v[104:105] offset:392
.LBB98_350:
	s_or_b32 exec_lo, exec_lo, s0
	s_mov_b32 s0, exec_lo
	s_waitcnt lgkmcnt(0)
	s_waitcnt_vscnt null, 0x0
	s_barrier
	buffer_gl0_inv
	v_cmpx_lt_i32_e32 20, v115
	s_cbranch_execz .LBB98_352
; %bb.351:
	v_mul_f64 v[62:63], v[0:1], v[62:63]
	ds_read2_b64 v[116:119], v112 offset0:21 offset1:22
	ds_read2_b64 v[120:123], v112 offset0:23 offset1:24
	;; [unrolled: 1-line block ×14, first 2 shown]
	ds_read_b64 v[0:1], v112 offset:392
	s_waitcnt lgkmcnt(14)
	v_fma_f64 v[58:59], -v[62:63], v[116:117], v[58:59]
	v_fma_f64 v[60:61], -v[62:63], v[118:119], v[60:61]
	s_waitcnt lgkmcnt(13)
	v_fma_f64 v[54:55], -v[62:63], v[120:121], v[54:55]
	v_fma_f64 v[56:57], -v[62:63], v[122:123], v[56:57]
	;; [unrolled: 3-line block ×14, first 2 shown]
	s_waitcnt lgkmcnt(0)
	v_fma_f64 v[104:105], -v[62:63], v[0:1], v[104:105]
.LBB98_352:
	s_or_b32 exec_lo, exec_lo, s0
	v_lshl_add_u32 v0, v115, 3, v112
	s_barrier
	buffer_gl0_inv
	v_mov_b32_e32 v106, 21
	ds_write_b64 v0, v[58:59]
	s_waitcnt lgkmcnt(0)
	s_barrier
	buffer_gl0_inv
	ds_read_b64 v[0:1], v112 offset:168
	s_cmp_lt_i32 s7, 23
	s_cbranch_scc1 .LBB98_355
; %bb.353:
	v_add3_u32 v107, v113, 0, 0xb0
	v_mov_b32_e32 v106, 21
	s_mov_b32 s0, 22
.LBB98_354:                             ; =>This Inner Loop Header: Depth=1
	ds_read_b64 v[116:117], v107
	v_add_nc_u32_e32 v107, 8, v107
	s_waitcnt lgkmcnt(0)
	v_cmp_lt_f64_e64 vcc_lo, |v[0:1]|, |v[116:117]|
	v_cndmask_b32_e32 v1, v1, v117, vcc_lo
	v_cndmask_b32_e32 v0, v0, v116, vcc_lo
	v_cndmask_b32_e64 v106, v106, s0, vcc_lo
	s_add_i32 s0, s0, 1
	s_cmp_lg_u32 s7, s0
	s_cbranch_scc1 .LBB98_354
.LBB98_355:
	s_mov_b32 s0, exec_lo
	s_waitcnt lgkmcnt(0)
	v_cmpx_eq_f64_e32 0, v[0:1]
	s_xor_b32 s0, exec_lo, s0
; %bb.356:
	v_cmp_ne_u32_e32 vcc_lo, 0, v109
	v_cndmask_b32_e32 v109, 22, v109, vcc_lo
; %bb.357:
	s_andn2_saveexec_b32 s0, s0
	s_cbranch_execz .LBB98_359
; %bb.358:
	v_div_scale_f64 v[107:108], null, v[0:1], v[0:1], 1.0
	v_rcp_f64_e32 v[116:117], v[107:108]
	v_fma_f64 v[118:119], -v[107:108], v[116:117], 1.0
	v_fma_f64 v[116:117], v[116:117], v[118:119], v[116:117]
	v_fma_f64 v[118:119], -v[107:108], v[116:117], 1.0
	v_fma_f64 v[116:117], v[116:117], v[118:119], v[116:117]
	v_div_scale_f64 v[118:119], vcc_lo, 1.0, v[0:1], 1.0
	v_mul_f64 v[120:121], v[118:119], v[116:117]
	v_fma_f64 v[107:108], -v[107:108], v[120:121], v[118:119]
	v_div_fmas_f64 v[107:108], v[107:108], v[116:117], v[120:121]
	v_div_fixup_f64 v[0:1], v[107:108], v[0:1], 1.0
.LBB98_359:
	s_or_b32 exec_lo, exec_lo, s0
	s_mov_b32 s0, exec_lo
	v_cmpx_ne_u32_e64 v115, v106
	s_xor_b32 s0, exec_lo, s0
	s_cbranch_execz .LBB98_365
; %bb.360:
	s_mov_b32 s1, exec_lo
	v_cmpx_eq_u32_e32 21, v115
	s_cbranch_execz .LBB98_364
; %bb.361:
	v_cmp_ne_u32_e32 vcc_lo, 21, v106
	s_xor_b32 s2, s6, -1
	s_and_b32 s3, s2, vcc_lo
	s_and_saveexec_b32 s2, s3
	s_cbranch_execz .LBB98_363
; %bb.362:
	v_ashrrev_i32_e32 v107, 31, v106
	v_lshlrev_b64 v[107:108], 2, v[106:107]
	v_add_co_u32 v107, vcc_lo, v4, v107
	v_add_co_ci_u32_e64 v108, null, v5, v108, vcc_lo
	s_clause 0x1
	global_load_dword v114, v[107:108], off
	global_load_dword v115, v[4:5], off offset:84
	s_waitcnt vmcnt(1)
	global_store_dword v[4:5], v114, off offset:84
	s_waitcnt vmcnt(0)
	global_store_dword v[107:108], v115, off
.LBB98_363:
	s_or_b32 exec_lo, exec_lo, s2
	v_mov_b32_e32 v114, v106
	v_mov_b32_e32 v115, v106
.LBB98_364:
	s_or_b32 exec_lo, exec_lo, s1
.LBB98_365:
	s_andn2_saveexec_b32 s0, s0
	s_cbranch_execz .LBB98_367
; %bb.366:
	v_mov_b32_e32 v106, v60
	v_mov_b32_e32 v107, v61
	;; [unrolled: 1-line block ×20, first 2 shown]
	ds_write2_b64 v112, v[106:107], v[115:116] offset0:22 offset1:23
	ds_write2_b64 v112, v[117:118], v[119:120] offset0:24 offset1:25
	ds_write2_b64 v112, v[121:122], v[123:124] offset0:26 offset1:27
	ds_write2_b64 v112, v[125:126], v[127:128] offset0:28 offset1:29
	ds_write2_b64 v112, v[129:130], v[131:132] offset0:30 offset1:31
	v_mov_b32_e32 v106, v40
	v_mov_b32_e32 v107, v41
	;; [unrolled: 1-line block ×20, first 2 shown]
	ds_write2_b64 v112, v[106:107], v[115:116] offset0:32 offset1:33
	ds_write2_b64 v112, v[117:118], v[119:120] offset0:34 offset1:35
	;; [unrolled: 1-line block ×5, first 2 shown]
	v_mov_b32_e32 v106, v20
	v_mov_b32_e32 v107, v21
	v_mov_b32_e32 v116, v16
	v_mov_b32_e32 v117, v17
	v_mov_b32_e32 v115, 21
	v_mov_b32_e32 v118, v14
	v_mov_b32_e32 v119, v15
	v_mov_b32_e32 v120, v8
	v_mov_b32_e32 v121, v9
	v_mov_b32_e32 v122, v12
	v_mov_b32_e32 v123, v13
	v_mov_b32_e32 v124, v6
	v_mov_b32_e32 v125, v7
	v_mov_b32_e32 v126, v10
	v_mov_b32_e32 v127, v11
	ds_write2_b64 v112, v[106:107], v[116:117] offset0:42 offset1:43
	ds_write2_b64 v112, v[118:119], v[120:121] offset0:44 offset1:45
	;; [unrolled: 1-line block ×4, first 2 shown]
.LBB98_367:
	s_or_b32 exec_lo, exec_lo, s0
	s_mov_b32 s0, exec_lo
	s_waitcnt lgkmcnt(0)
	s_waitcnt_vscnt null, 0x0
	s_barrier
	buffer_gl0_inv
	v_cmpx_lt_i32_e32 21, v115
	s_cbranch_execz .LBB98_369
; %bb.368:
	v_mul_f64 v[58:59], v[0:1], v[58:59]
	ds_read2_b64 v[116:119], v112 offset0:22 offset1:23
	ds_read2_b64 v[120:123], v112 offset0:24 offset1:25
	;; [unrolled: 1-line block ×14, first 2 shown]
	s_waitcnt lgkmcnt(13)
	v_fma_f64 v[60:61], -v[58:59], v[116:117], v[60:61]
	v_fma_f64 v[54:55], -v[58:59], v[118:119], v[54:55]
	s_waitcnt lgkmcnt(12)
	v_fma_f64 v[56:57], -v[58:59], v[120:121], v[56:57]
	v_fma_f64 v[52:53], -v[58:59], v[122:123], v[52:53]
	;; [unrolled: 3-line block ×14, first 2 shown]
.LBB98_369:
	s_or_b32 exec_lo, exec_lo, s0
	v_lshl_add_u32 v0, v115, 3, v112
	s_barrier
	buffer_gl0_inv
	v_mov_b32_e32 v106, 22
	ds_write_b64 v0, v[60:61]
	s_waitcnt lgkmcnt(0)
	s_barrier
	buffer_gl0_inv
	ds_read_b64 v[0:1], v112 offset:176
	s_cmp_lt_i32 s7, 24
	s_cbranch_scc1 .LBB98_372
; %bb.370:
	v_add3_u32 v107, v113, 0, 0xb8
	v_mov_b32_e32 v106, 22
	s_mov_b32 s0, 23
.LBB98_371:                             ; =>This Inner Loop Header: Depth=1
	ds_read_b64 v[116:117], v107
	v_add_nc_u32_e32 v107, 8, v107
	s_waitcnt lgkmcnt(0)
	v_cmp_lt_f64_e64 vcc_lo, |v[0:1]|, |v[116:117]|
	v_cndmask_b32_e32 v1, v1, v117, vcc_lo
	v_cndmask_b32_e32 v0, v0, v116, vcc_lo
	v_cndmask_b32_e64 v106, v106, s0, vcc_lo
	s_add_i32 s0, s0, 1
	s_cmp_lg_u32 s7, s0
	s_cbranch_scc1 .LBB98_371
.LBB98_372:
	s_mov_b32 s0, exec_lo
	s_waitcnt lgkmcnt(0)
	v_cmpx_eq_f64_e32 0, v[0:1]
	s_xor_b32 s0, exec_lo, s0
; %bb.373:
	v_cmp_ne_u32_e32 vcc_lo, 0, v109
	v_cndmask_b32_e32 v109, 23, v109, vcc_lo
; %bb.374:
	s_andn2_saveexec_b32 s0, s0
	s_cbranch_execz .LBB98_376
; %bb.375:
	v_div_scale_f64 v[107:108], null, v[0:1], v[0:1], 1.0
	v_rcp_f64_e32 v[116:117], v[107:108]
	v_fma_f64 v[118:119], -v[107:108], v[116:117], 1.0
	v_fma_f64 v[116:117], v[116:117], v[118:119], v[116:117]
	v_fma_f64 v[118:119], -v[107:108], v[116:117], 1.0
	v_fma_f64 v[116:117], v[116:117], v[118:119], v[116:117]
	v_div_scale_f64 v[118:119], vcc_lo, 1.0, v[0:1], 1.0
	v_mul_f64 v[120:121], v[118:119], v[116:117]
	v_fma_f64 v[107:108], -v[107:108], v[120:121], v[118:119]
	v_div_fmas_f64 v[107:108], v[107:108], v[116:117], v[120:121]
	v_div_fixup_f64 v[0:1], v[107:108], v[0:1], 1.0
.LBB98_376:
	s_or_b32 exec_lo, exec_lo, s0
	s_mov_b32 s0, exec_lo
	v_cmpx_ne_u32_e64 v115, v106
	s_xor_b32 s0, exec_lo, s0
	s_cbranch_execz .LBB98_382
; %bb.377:
	s_mov_b32 s1, exec_lo
	v_cmpx_eq_u32_e32 22, v115
	s_cbranch_execz .LBB98_381
; %bb.378:
	v_cmp_ne_u32_e32 vcc_lo, 22, v106
	s_xor_b32 s2, s6, -1
	s_and_b32 s3, s2, vcc_lo
	s_and_saveexec_b32 s2, s3
	s_cbranch_execz .LBB98_380
; %bb.379:
	v_ashrrev_i32_e32 v107, 31, v106
	v_lshlrev_b64 v[107:108], 2, v[106:107]
	v_add_co_u32 v107, vcc_lo, v4, v107
	v_add_co_ci_u32_e64 v108, null, v5, v108, vcc_lo
	s_clause 0x1
	global_load_dword v114, v[107:108], off
	global_load_dword v115, v[4:5], off offset:88
	s_waitcnt vmcnt(1)
	global_store_dword v[4:5], v114, off offset:88
	s_waitcnt vmcnt(0)
	global_store_dword v[107:108], v115, off
.LBB98_380:
	s_or_b32 exec_lo, exec_lo, s2
	v_mov_b32_e32 v114, v106
	v_mov_b32_e32 v115, v106
.LBB98_381:
	s_or_b32 exec_lo, exec_lo, s1
.LBB98_382:
	s_andn2_saveexec_b32 s0, s0
	s_cbranch_execz .LBB98_384
; %bb.383:
	v_mov_b32_e32 v115, 22
	ds_write2_b64 v112, v[54:55], v[56:57] offset0:23 offset1:24
	ds_write2_b64 v112, v[52:53], v[50:51] offset0:25 offset1:26
	;; [unrolled: 1-line block ×13, first 2 shown]
	ds_write_b64 v112, v[104:105] offset:392
.LBB98_384:
	s_or_b32 exec_lo, exec_lo, s0
	s_mov_b32 s0, exec_lo
	s_waitcnt lgkmcnt(0)
	s_waitcnt_vscnt null, 0x0
	s_barrier
	buffer_gl0_inv
	v_cmpx_lt_i32_e32 22, v115
	s_cbranch_execz .LBB98_386
; %bb.385:
	v_mul_f64 v[60:61], v[0:1], v[60:61]
	ds_read2_b64 v[116:119], v112 offset0:23 offset1:24
	ds_read2_b64 v[120:123], v112 offset0:25 offset1:26
	;; [unrolled: 1-line block ×13, first 2 shown]
	ds_read_b64 v[0:1], v112 offset:392
	s_waitcnt lgkmcnt(13)
	v_fma_f64 v[54:55], -v[60:61], v[116:117], v[54:55]
	v_fma_f64 v[56:57], -v[60:61], v[118:119], v[56:57]
	s_waitcnt lgkmcnt(12)
	v_fma_f64 v[52:53], -v[60:61], v[120:121], v[52:53]
	v_fma_f64 v[50:51], -v[60:61], v[122:123], v[50:51]
	;; [unrolled: 3-line block ×13, first 2 shown]
	s_waitcnt lgkmcnt(0)
	v_fma_f64 v[104:105], -v[60:61], v[0:1], v[104:105]
.LBB98_386:
	s_or_b32 exec_lo, exec_lo, s0
	v_lshl_add_u32 v0, v115, 3, v112
	s_barrier
	buffer_gl0_inv
	v_mov_b32_e32 v106, 23
	ds_write_b64 v0, v[54:55]
	s_waitcnt lgkmcnt(0)
	s_barrier
	buffer_gl0_inv
	ds_read_b64 v[0:1], v112 offset:184
	s_cmp_lt_i32 s7, 25
	s_cbranch_scc1 .LBB98_389
; %bb.387:
	v_add3_u32 v107, v113, 0, 0xc0
	v_mov_b32_e32 v106, 23
	s_mov_b32 s0, 24
.LBB98_388:                             ; =>This Inner Loop Header: Depth=1
	ds_read_b64 v[116:117], v107
	v_add_nc_u32_e32 v107, 8, v107
	s_waitcnt lgkmcnt(0)
	v_cmp_lt_f64_e64 vcc_lo, |v[0:1]|, |v[116:117]|
	v_cndmask_b32_e32 v1, v1, v117, vcc_lo
	v_cndmask_b32_e32 v0, v0, v116, vcc_lo
	v_cndmask_b32_e64 v106, v106, s0, vcc_lo
	s_add_i32 s0, s0, 1
	s_cmp_lg_u32 s7, s0
	s_cbranch_scc1 .LBB98_388
.LBB98_389:
	s_mov_b32 s0, exec_lo
	s_waitcnt lgkmcnt(0)
	v_cmpx_eq_f64_e32 0, v[0:1]
	s_xor_b32 s0, exec_lo, s0
; %bb.390:
	v_cmp_ne_u32_e32 vcc_lo, 0, v109
	v_cndmask_b32_e32 v109, 24, v109, vcc_lo
; %bb.391:
	s_andn2_saveexec_b32 s0, s0
	s_cbranch_execz .LBB98_393
; %bb.392:
	v_div_scale_f64 v[107:108], null, v[0:1], v[0:1], 1.0
	v_rcp_f64_e32 v[116:117], v[107:108]
	v_fma_f64 v[118:119], -v[107:108], v[116:117], 1.0
	v_fma_f64 v[116:117], v[116:117], v[118:119], v[116:117]
	v_fma_f64 v[118:119], -v[107:108], v[116:117], 1.0
	v_fma_f64 v[116:117], v[116:117], v[118:119], v[116:117]
	v_div_scale_f64 v[118:119], vcc_lo, 1.0, v[0:1], 1.0
	v_mul_f64 v[120:121], v[118:119], v[116:117]
	v_fma_f64 v[107:108], -v[107:108], v[120:121], v[118:119]
	v_div_fmas_f64 v[107:108], v[107:108], v[116:117], v[120:121]
	v_div_fixup_f64 v[0:1], v[107:108], v[0:1], 1.0
.LBB98_393:
	s_or_b32 exec_lo, exec_lo, s0
	s_mov_b32 s0, exec_lo
	v_cmpx_ne_u32_e64 v115, v106
	s_xor_b32 s0, exec_lo, s0
	s_cbranch_execz .LBB98_399
; %bb.394:
	s_mov_b32 s1, exec_lo
	v_cmpx_eq_u32_e32 23, v115
	s_cbranch_execz .LBB98_398
; %bb.395:
	v_cmp_ne_u32_e32 vcc_lo, 23, v106
	s_xor_b32 s2, s6, -1
	s_and_b32 s3, s2, vcc_lo
	s_and_saveexec_b32 s2, s3
	s_cbranch_execz .LBB98_397
; %bb.396:
	v_ashrrev_i32_e32 v107, 31, v106
	v_lshlrev_b64 v[107:108], 2, v[106:107]
	v_add_co_u32 v107, vcc_lo, v4, v107
	v_add_co_ci_u32_e64 v108, null, v5, v108, vcc_lo
	s_clause 0x1
	global_load_dword v114, v[107:108], off
	global_load_dword v115, v[4:5], off offset:92
	s_waitcnt vmcnt(1)
	global_store_dword v[4:5], v114, off offset:92
	s_waitcnt vmcnt(0)
	global_store_dword v[107:108], v115, off
.LBB98_397:
	s_or_b32 exec_lo, exec_lo, s2
	v_mov_b32_e32 v114, v106
	v_mov_b32_e32 v115, v106
.LBB98_398:
	s_or_b32 exec_lo, exec_lo, s1
.LBB98_399:
	s_andn2_saveexec_b32 s0, s0
	s_cbranch_execz .LBB98_401
; %bb.400:
	v_mov_b32_e32 v106, v56
	v_mov_b32_e32 v107, v57
	;; [unrolled: 1-line block ×16, first 2 shown]
	ds_write2_b64 v112, v[106:107], v[115:116] offset0:24 offset1:25
	ds_write2_b64 v112, v[117:118], v[119:120] offset0:26 offset1:27
	;; [unrolled: 1-line block ×4, first 2 shown]
	v_mov_b32_e32 v106, v40
	v_mov_b32_e32 v107, v41
	;; [unrolled: 1-line block ×20, first 2 shown]
	ds_write2_b64 v112, v[106:107], v[115:116] offset0:32 offset1:33
	ds_write2_b64 v112, v[117:118], v[119:120] offset0:34 offset1:35
	;; [unrolled: 1-line block ×5, first 2 shown]
	v_mov_b32_e32 v106, v20
	v_mov_b32_e32 v107, v21
	;; [unrolled: 1-line block ×15, first 2 shown]
	ds_write2_b64 v112, v[106:107], v[116:117] offset0:42 offset1:43
	ds_write2_b64 v112, v[118:119], v[120:121] offset0:44 offset1:45
	;; [unrolled: 1-line block ×4, first 2 shown]
.LBB98_401:
	s_or_b32 exec_lo, exec_lo, s0
	s_mov_b32 s0, exec_lo
	s_waitcnt lgkmcnt(0)
	s_waitcnt_vscnt null, 0x0
	s_barrier
	buffer_gl0_inv
	v_cmpx_lt_i32_e32 23, v115
	s_cbranch_execz .LBB98_403
; %bb.402:
	v_mul_f64 v[54:55], v[0:1], v[54:55]
	ds_read2_b64 v[116:119], v112 offset0:24 offset1:25
	ds_read2_b64 v[120:123], v112 offset0:26 offset1:27
	;; [unrolled: 1-line block ×13, first 2 shown]
	s_waitcnt lgkmcnt(12)
	v_fma_f64 v[56:57], -v[54:55], v[116:117], v[56:57]
	v_fma_f64 v[52:53], -v[54:55], v[118:119], v[52:53]
	s_waitcnt lgkmcnt(11)
	v_fma_f64 v[50:51], -v[54:55], v[120:121], v[50:51]
	v_fma_f64 v[48:49], -v[54:55], v[122:123], v[48:49]
	;; [unrolled: 3-line block ×13, first 2 shown]
.LBB98_403:
	s_or_b32 exec_lo, exec_lo, s0
	v_lshl_add_u32 v0, v115, 3, v112
	s_barrier
	buffer_gl0_inv
	v_mov_b32_e32 v106, 24
	ds_write_b64 v0, v[56:57]
	s_waitcnt lgkmcnt(0)
	s_barrier
	buffer_gl0_inv
	ds_read_b64 v[0:1], v112 offset:192
	s_cmp_lt_i32 s7, 26
	s_cbranch_scc1 .LBB98_406
; %bb.404:
	v_add3_u32 v107, v113, 0, 0xc8
	v_mov_b32_e32 v106, 24
	s_mov_b32 s0, 25
.LBB98_405:                             ; =>This Inner Loop Header: Depth=1
	ds_read_b64 v[116:117], v107
	v_add_nc_u32_e32 v107, 8, v107
	s_waitcnt lgkmcnt(0)
	v_cmp_lt_f64_e64 vcc_lo, |v[0:1]|, |v[116:117]|
	v_cndmask_b32_e32 v1, v1, v117, vcc_lo
	v_cndmask_b32_e32 v0, v0, v116, vcc_lo
	v_cndmask_b32_e64 v106, v106, s0, vcc_lo
	s_add_i32 s0, s0, 1
	s_cmp_lg_u32 s7, s0
	s_cbranch_scc1 .LBB98_405
.LBB98_406:
	s_mov_b32 s0, exec_lo
	s_waitcnt lgkmcnt(0)
	v_cmpx_eq_f64_e32 0, v[0:1]
	s_xor_b32 s0, exec_lo, s0
; %bb.407:
	v_cmp_ne_u32_e32 vcc_lo, 0, v109
	v_cndmask_b32_e32 v109, 25, v109, vcc_lo
; %bb.408:
	s_andn2_saveexec_b32 s0, s0
	s_cbranch_execz .LBB98_410
; %bb.409:
	v_div_scale_f64 v[107:108], null, v[0:1], v[0:1], 1.0
	v_rcp_f64_e32 v[116:117], v[107:108]
	v_fma_f64 v[118:119], -v[107:108], v[116:117], 1.0
	v_fma_f64 v[116:117], v[116:117], v[118:119], v[116:117]
	v_fma_f64 v[118:119], -v[107:108], v[116:117], 1.0
	v_fma_f64 v[116:117], v[116:117], v[118:119], v[116:117]
	v_div_scale_f64 v[118:119], vcc_lo, 1.0, v[0:1], 1.0
	v_mul_f64 v[120:121], v[118:119], v[116:117]
	v_fma_f64 v[107:108], -v[107:108], v[120:121], v[118:119]
	v_div_fmas_f64 v[107:108], v[107:108], v[116:117], v[120:121]
	v_div_fixup_f64 v[0:1], v[107:108], v[0:1], 1.0
.LBB98_410:
	s_or_b32 exec_lo, exec_lo, s0
	s_mov_b32 s0, exec_lo
	v_cmpx_ne_u32_e64 v115, v106
	s_xor_b32 s0, exec_lo, s0
	s_cbranch_execz .LBB98_416
; %bb.411:
	s_mov_b32 s1, exec_lo
	v_cmpx_eq_u32_e32 24, v115
	s_cbranch_execz .LBB98_415
; %bb.412:
	v_cmp_ne_u32_e32 vcc_lo, 24, v106
	s_xor_b32 s2, s6, -1
	s_and_b32 s3, s2, vcc_lo
	s_and_saveexec_b32 s2, s3
	s_cbranch_execz .LBB98_414
; %bb.413:
	v_ashrrev_i32_e32 v107, 31, v106
	v_lshlrev_b64 v[107:108], 2, v[106:107]
	v_add_co_u32 v107, vcc_lo, v4, v107
	v_add_co_ci_u32_e64 v108, null, v5, v108, vcc_lo
	s_clause 0x1
	global_load_dword v114, v[107:108], off
	global_load_dword v115, v[4:5], off offset:96
	s_waitcnt vmcnt(1)
	global_store_dword v[4:5], v114, off offset:96
	s_waitcnt vmcnt(0)
	global_store_dword v[107:108], v115, off
.LBB98_414:
	s_or_b32 exec_lo, exec_lo, s2
	v_mov_b32_e32 v114, v106
	v_mov_b32_e32 v115, v106
.LBB98_415:
	s_or_b32 exec_lo, exec_lo, s1
.LBB98_416:
	s_andn2_saveexec_b32 s0, s0
	s_cbranch_execz .LBB98_418
; %bb.417:
	v_mov_b32_e32 v115, 24
	ds_write2_b64 v112, v[52:53], v[50:51] offset0:25 offset1:26
	ds_write2_b64 v112, v[48:49], v[46:47] offset0:27 offset1:28
	;; [unrolled: 1-line block ×12, first 2 shown]
	ds_write_b64 v112, v[104:105] offset:392
.LBB98_418:
	s_or_b32 exec_lo, exec_lo, s0
	s_mov_b32 s0, exec_lo
	s_waitcnt lgkmcnt(0)
	s_waitcnt_vscnt null, 0x0
	s_barrier
	buffer_gl0_inv
	v_cmpx_lt_i32_e32 24, v115
	s_cbranch_execz .LBB98_420
; %bb.419:
	v_mul_f64 v[56:57], v[0:1], v[56:57]
	ds_read2_b64 v[116:119], v112 offset0:25 offset1:26
	ds_read2_b64 v[120:123], v112 offset0:27 offset1:28
	;; [unrolled: 1-line block ×12, first 2 shown]
	ds_read_b64 v[0:1], v112 offset:392
	s_waitcnt lgkmcnt(12)
	v_fma_f64 v[52:53], -v[56:57], v[116:117], v[52:53]
	v_fma_f64 v[50:51], -v[56:57], v[118:119], v[50:51]
	s_waitcnt lgkmcnt(11)
	v_fma_f64 v[48:49], -v[56:57], v[120:121], v[48:49]
	v_fma_f64 v[46:47], -v[56:57], v[122:123], v[46:47]
	;; [unrolled: 3-line block ×12, first 2 shown]
	s_waitcnt lgkmcnt(0)
	v_fma_f64 v[104:105], -v[56:57], v[0:1], v[104:105]
.LBB98_420:
	s_or_b32 exec_lo, exec_lo, s0
	v_lshl_add_u32 v0, v115, 3, v112
	s_barrier
	buffer_gl0_inv
	v_mov_b32_e32 v106, 25
	ds_write_b64 v0, v[52:53]
	s_waitcnt lgkmcnt(0)
	s_barrier
	buffer_gl0_inv
	ds_read_b64 v[0:1], v112 offset:200
	s_cmp_lt_i32 s7, 27
	s_cbranch_scc1 .LBB98_423
; %bb.421:
	v_add3_u32 v107, v113, 0, 0xd0
	v_mov_b32_e32 v106, 25
	s_mov_b32 s0, 26
.LBB98_422:                             ; =>This Inner Loop Header: Depth=1
	ds_read_b64 v[116:117], v107
	v_add_nc_u32_e32 v107, 8, v107
	s_waitcnt lgkmcnt(0)
	v_cmp_lt_f64_e64 vcc_lo, |v[0:1]|, |v[116:117]|
	v_cndmask_b32_e32 v1, v1, v117, vcc_lo
	v_cndmask_b32_e32 v0, v0, v116, vcc_lo
	v_cndmask_b32_e64 v106, v106, s0, vcc_lo
	s_add_i32 s0, s0, 1
	s_cmp_lg_u32 s7, s0
	s_cbranch_scc1 .LBB98_422
.LBB98_423:
	s_mov_b32 s0, exec_lo
	s_waitcnt lgkmcnt(0)
	v_cmpx_eq_f64_e32 0, v[0:1]
	s_xor_b32 s0, exec_lo, s0
; %bb.424:
	v_cmp_ne_u32_e32 vcc_lo, 0, v109
	v_cndmask_b32_e32 v109, 26, v109, vcc_lo
; %bb.425:
	s_andn2_saveexec_b32 s0, s0
	s_cbranch_execz .LBB98_427
; %bb.426:
	v_div_scale_f64 v[107:108], null, v[0:1], v[0:1], 1.0
	v_rcp_f64_e32 v[116:117], v[107:108]
	v_fma_f64 v[118:119], -v[107:108], v[116:117], 1.0
	v_fma_f64 v[116:117], v[116:117], v[118:119], v[116:117]
	v_fma_f64 v[118:119], -v[107:108], v[116:117], 1.0
	v_fma_f64 v[116:117], v[116:117], v[118:119], v[116:117]
	v_div_scale_f64 v[118:119], vcc_lo, 1.0, v[0:1], 1.0
	v_mul_f64 v[120:121], v[118:119], v[116:117]
	v_fma_f64 v[107:108], -v[107:108], v[120:121], v[118:119]
	v_div_fmas_f64 v[107:108], v[107:108], v[116:117], v[120:121]
	v_div_fixup_f64 v[0:1], v[107:108], v[0:1], 1.0
.LBB98_427:
	s_or_b32 exec_lo, exec_lo, s0
	s_mov_b32 s0, exec_lo
	v_cmpx_ne_u32_e64 v115, v106
	s_xor_b32 s0, exec_lo, s0
	s_cbranch_execz .LBB98_433
; %bb.428:
	s_mov_b32 s1, exec_lo
	v_cmpx_eq_u32_e32 25, v115
	s_cbranch_execz .LBB98_432
; %bb.429:
	v_cmp_ne_u32_e32 vcc_lo, 25, v106
	s_xor_b32 s2, s6, -1
	s_and_b32 s3, s2, vcc_lo
	s_and_saveexec_b32 s2, s3
	s_cbranch_execz .LBB98_431
; %bb.430:
	v_ashrrev_i32_e32 v107, 31, v106
	v_lshlrev_b64 v[107:108], 2, v[106:107]
	v_add_co_u32 v107, vcc_lo, v4, v107
	v_add_co_ci_u32_e64 v108, null, v5, v108, vcc_lo
	s_clause 0x1
	global_load_dword v114, v[107:108], off
	global_load_dword v115, v[4:5], off offset:100
	s_waitcnt vmcnt(1)
	global_store_dword v[4:5], v114, off offset:100
	s_waitcnt vmcnt(0)
	global_store_dword v[107:108], v115, off
.LBB98_431:
	s_or_b32 exec_lo, exec_lo, s2
	v_mov_b32_e32 v114, v106
	v_mov_b32_e32 v115, v106
.LBB98_432:
	s_or_b32 exec_lo, exec_lo, s1
.LBB98_433:
	s_andn2_saveexec_b32 s0, s0
	s_cbranch_execz .LBB98_435
; %bb.434:
	v_mov_b32_e32 v106, v50
	v_mov_b32_e32 v107, v51
	;; [unrolled: 1-line block ×12, first 2 shown]
	ds_write2_b64 v112, v[106:107], v[115:116] offset0:26 offset1:27
	ds_write2_b64 v112, v[117:118], v[119:120] offset0:28 offset1:29
	;; [unrolled: 1-line block ×3, first 2 shown]
	v_mov_b32_e32 v106, v40
	v_mov_b32_e32 v107, v41
	;; [unrolled: 1-line block ×20, first 2 shown]
	ds_write2_b64 v112, v[106:107], v[115:116] offset0:32 offset1:33
	ds_write2_b64 v112, v[117:118], v[119:120] offset0:34 offset1:35
	;; [unrolled: 1-line block ×5, first 2 shown]
	v_mov_b32_e32 v106, v20
	v_mov_b32_e32 v107, v21
	;; [unrolled: 1-line block ×15, first 2 shown]
	ds_write2_b64 v112, v[106:107], v[116:117] offset0:42 offset1:43
	ds_write2_b64 v112, v[118:119], v[120:121] offset0:44 offset1:45
	;; [unrolled: 1-line block ×4, first 2 shown]
.LBB98_435:
	s_or_b32 exec_lo, exec_lo, s0
	s_mov_b32 s0, exec_lo
	s_waitcnt lgkmcnt(0)
	s_waitcnt_vscnt null, 0x0
	s_barrier
	buffer_gl0_inv
	v_cmpx_lt_i32_e32 25, v115
	s_cbranch_execz .LBB98_437
; %bb.436:
	v_mul_f64 v[52:53], v[0:1], v[52:53]
	ds_read2_b64 v[116:119], v112 offset0:26 offset1:27
	ds_read2_b64 v[120:123], v112 offset0:28 offset1:29
	ds_read2_b64 v[124:127], v112 offset0:30 offset1:31
	ds_read2_b64 v[128:131], v112 offset0:32 offset1:33
	ds_read2_b64 v[132:135], v112 offset0:34 offset1:35
	ds_read2_b64 v[136:139], v112 offset0:36 offset1:37
	ds_read2_b64 v[140:143], v112 offset0:38 offset1:39
	ds_read2_b64 v[144:147], v112 offset0:40 offset1:41
	ds_read2_b64 v[148:151], v112 offset0:42 offset1:43
	ds_read2_b64 v[152:155], v112 offset0:44 offset1:45
	ds_read2_b64 v[156:159], v112 offset0:46 offset1:47
	ds_read2_b64 v[160:163], v112 offset0:48 offset1:49
	s_waitcnt lgkmcnt(11)
	v_fma_f64 v[50:51], -v[52:53], v[116:117], v[50:51]
	v_fma_f64 v[48:49], -v[52:53], v[118:119], v[48:49]
	s_waitcnt lgkmcnt(10)
	v_fma_f64 v[46:47], -v[52:53], v[120:121], v[46:47]
	v_fma_f64 v[44:45], -v[52:53], v[122:123], v[44:45]
	;; [unrolled: 3-line block ×12, first 2 shown]
.LBB98_437:
	s_or_b32 exec_lo, exec_lo, s0
	v_lshl_add_u32 v0, v115, 3, v112
	s_barrier
	buffer_gl0_inv
	v_mov_b32_e32 v106, 26
	ds_write_b64 v0, v[50:51]
	s_waitcnt lgkmcnt(0)
	s_barrier
	buffer_gl0_inv
	ds_read_b64 v[0:1], v112 offset:208
	s_cmp_lt_i32 s7, 28
	s_cbranch_scc1 .LBB98_440
; %bb.438:
	v_add3_u32 v107, v113, 0, 0xd8
	v_mov_b32_e32 v106, 26
	s_mov_b32 s0, 27
.LBB98_439:                             ; =>This Inner Loop Header: Depth=1
	ds_read_b64 v[116:117], v107
	v_add_nc_u32_e32 v107, 8, v107
	s_waitcnt lgkmcnt(0)
	v_cmp_lt_f64_e64 vcc_lo, |v[0:1]|, |v[116:117]|
	v_cndmask_b32_e32 v1, v1, v117, vcc_lo
	v_cndmask_b32_e32 v0, v0, v116, vcc_lo
	v_cndmask_b32_e64 v106, v106, s0, vcc_lo
	s_add_i32 s0, s0, 1
	s_cmp_lg_u32 s7, s0
	s_cbranch_scc1 .LBB98_439
.LBB98_440:
	s_mov_b32 s0, exec_lo
	s_waitcnt lgkmcnt(0)
	v_cmpx_eq_f64_e32 0, v[0:1]
	s_xor_b32 s0, exec_lo, s0
; %bb.441:
	v_cmp_ne_u32_e32 vcc_lo, 0, v109
	v_cndmask_b32_e32 v109, 27, v109, vcc_lo
; %bb.442:
	s_andn2_saveexec_b32 s0, s0
	s_cbranch_execz .LBB98_444
; %bb.443:
	v_div_scale_f64 v[107:108], null, v[0:1], v[0:1], 1.0
	v_rcp_f64_e32 v[116:117], v[107:108]
	v_fma_f64 v[118:119], -v[107:108], v[116:117], 1.0
	v_fma_f64 v[116:117], v[116:117], v[118:119], v[116:117]
	v_fma_f64 v[118:119], -v[107:108], v[116:117], 1.0
	v_fma_f64 v[116:117], v[116:117], v[118:119], v[116:117]
	v_div_scale_f64 v[118:119], vcc_lo, 1.0, v[0:1], 1.0
	v_mul_f64 v[120:121], v[118:119], v[116:117]
	v_fma_f64 v[107:108], -v[107:108], v[120:121], v[118:119]
	v_div_fmas_f64 v[107:108], v[107:108], v[116:117], v[120:121]
	v_div_fixup_f64 v[0:1], v[107:108], v[0:1], 1.0
.LBB98_444:
	s_or_b32 exec_lo, exec_lo, s0
	s_mov_b32 s0, exec_lo
	v_cmpx_ne_u32_e64 v115, v106
	s_xor_b32 s0, exec_lo, s0
	s_cbranch_execz .LBB98_450
; %bb.445:
	s_mov_b32 s1, exec_lo
	v_cmpx_eq_u32_e32 26, v115
	s_cbranch_execz .LBB98_449
; %bb.446:
	v_cmp_ne_u32_e32 vcc_lo, 26, v106
	s_xor_b32 s2, s6, -1
	s_and_b32 s3, s2, vcc_lo
	s_and_saveexec_b32 s2, s3
	s_cbranch_execz .LBB98_448
; %bb.447:
	v_ashrrev_i32_e32 v107, 31, v106
	v_lshlrev_b64 v[107:108], 2, v[106:107]
	v_add_co_u32 v107, vcc_lo, v4, v107
	v_add_co_ci_u32_e64 v108, null, v5, v108, vcc_lo
	s_clause 0x1
	global_load_dword v114, v[107:108], off
	global_load_dword v115, v[4:5], off offset:104
	s_waitcnt vmcnt(1)
	global_store_dword v[4:5], v114, off offset:104
	s_waitcnt vmcnt(0)
	global_store_dword v[107:108], v115, off
.LBB98_448:
	s_or_b32 exec_lo, exec_lo, s2
	v_mov_b32_e32 v114, v106
	v_mov_b32_e32 v115, v106
.LBB98_449:
	s_or_b32 exec_lo, exec_lo, s1
.LBB98_450:
	s_andn2_saveexec_b32 s0, s0
	s_cbranch_execz .LBB98_452
; %bb.451:
	v_mov_b32_e32 v115, 26
	ds_write2_b64 v112, v[48:49], v[46:47] offset0:27 offset1:28
	ds_write2_b64 v112, v[44:45], v[42:43] offset0:29 offset1:30
	;; [unrolled: 1-line block ×11, first 2 shown]
	ds_write_b64 v112, v[104:105] offset:392
.LBB98_452:
	s_or_b32 exec_lo, exec_lo, s0
	s_mov_b32 s0, exec_lo
	s_waitcnt lgkmcnt(0)
	s_waitcnt_vscnt null, 0x0
	s_barrier
	buffer_gl0_inv
	v_cmpx_lt_i32_e32 26, v115
	s_cbranch_execz .LBB98_454
; %bb.453:
	v_mul_f64 v[50:51], v[0:1], v[50:51]
	ds_read2_b64 v[116:119], v112 offset0:27 offset1:28
	ds_read2_b64 v[120:123], v112 offset0:29 offset1:30
	;; [unrolled: 1-line block ×11, first 2 shown]
	ds_read_b64 v[0:1], v112 offset:392
	s_waitcnt lgkmcnt(11)
	v_fma_f64 v[48:49], -v[50:51], v[116:117], v[48:49]
	v_fma_f64 v[46:47], -v[50:51], v[118:119], v[46:47]
	s_waitcnt lgkmcnt(10)
	v_fma_f64 v[44:45], -v[50:51], v[120:121], v[44:45]
	v_fma_f64 v[42:43], -v[50:51], v[122:123], v[42:43]
	;; [unrolled: 3-line block ×11, first 2 shown]
	s_waitcnt lgkmcnt(0)
	v_fma_f64 v[104:105], -v[50:51], v[0:1], v[104:105]
.LBB98_454:
	s_or_b32 exec_lo, exec_lo, s0
	v_lshl_add_u32 v0, v115, 3, v112
	s_barrier
	buffer_gl0_inv
	v_mov_b32_e32 v106, 27
	ds_write_b64 v0, v[48:49]
	s_waitcnt lgkmcnt(0)
	s_barrier
	buffer_gl0_inv
	ds_read_b64 v[0:1], v112 offset:216
	s_cmp_lt_i32 s7, 29
	s_cbranch_scc1 .LBB98_457
; %bb.455:
	v_add3_u32 v107, v113, 0, 0xe0
	v_mov_b32_e32 v106, 27
	s_mov_b32 s0, 28
.LBB98_456:                             ; =>This Inner Loop Header: Depth=1
	ds_read_b64 v[116:117], v107
	v_add_nc_u32_e32 v107, 8, v107
	s_waitcnt lgkmcnt(0)
	v_cmp_lt_f64_e64 vcc_lo, |v[0:1]|, |v[116:117]|
	v_cndmask_b32_e32 v1, v1, v117, vcc_lo
	v_cndmask_b32_e32 v0, v0, v116, vcc_lo
	v_cndmask_b32_e64 v106, v106, s0, vcc_lo
	s_add_i32 s0, s0, 1
	s_cmp_lg_u32 s7, s0
	s_cbranch_scc1 .LBB98_456
.LBB98_457:
	s_mov_b32 s0, exec_lo
	s_waitcnt lgkmcnt(0)
	v_cmpx_eq_f64_e32 0, v[0:1]
	s_xor_b32 s0, exec_lo, s0
; %bb.458:
	v_cmp_ne_u32_e32 vcc_lo, 0, v109
	v_cndmask_b32_e32 v109, 28, v109, vcc_lo
; %bb.459:
	s_andn2_saveexec_b32 s0, s0
	s_cbranch_execz .LBB98_461
; %bb.460:
	v_div_scale_f64 v[107:108], null, v[0:1], v[0:1], 1.0
	v_rcp_f64_e32 v[116:117], v[107:108]
	v_fma_f64 v[118:119], -v[107:108], v[116:117], 1.0
	v_fma_f64 v[116:117], v[116:117], v[118:119], v[116:117]
	v_fma_f64 v[118:119], -v[107:108], v[116:117], 1.0
	v_fma_f64 v[116:117], v[116:117], v[118:119], v[116:117]
	v_div_scale_f64 v[118:119], vcc_lo, 1.0, v[0:1], 1.0
	v_mul_f64 v[120:121], v[118:119], v[116:117]
	v_fma_f64 v[107:108], -v[107:108], v[120:121], v[118:119]
	v_div_fmas_f64 v[107:108], v[107:108], v[116:117], v[120:121]
	v_div_fixup_f64 v[0:1], v[107:108], v[0:1], 1.0
.LBB98_461:
	s_or_b32 exec_lo, exec_lo, s0
	s_mov_b32 s0, exec_lo
	v_cmpx_ne_u32_e64 v115, v106
	s_xor_b32 s0, exec_lo, s0
	s_cbranch_execz .LBB98_467
; %bb.462:
	s_mov_b32 s1, exec_lo
	v_cmpx_eq_u32_e32 27, v115
	s_cbranch_execz .LBB98_466
; %bb.463:
	v_cmp_ne_u32_e32 vcc_lo, 27, v106
	s_xor_b32 s2, s6, -1
	s_and_b32 s3, s2, vcc_lo
	s_and_saveexec_b32 s2, s3
	s_cbranch_execz .LBB98_465
; %bb.464:
	v_ashrrev_i32_e32 v107, 31, v106
	v_lshlrev_b64 v[107:108], 2, v[106:107]
	v_add_co_u32 v107, vcc_lo, v4, v107
	v_add_co_ci_u32_e64 v108, null, v5, v108, vcc_lo
	s_clause 0x1
	global_load_dword v114, v[107:108], off
	global_load_dword v115, v[4:5], off offset:108
	s_waitcnt vmcnt(1)
	global_store_dword v[4:5], v114, off offset:108
	s_waitcnt vmcnt(0)
	global_store_dword v[107:108], v115, off
.LBB98_465:
	s_or_b32 exec_lo, exec_lo, s2
	v_mov_b32_e32 v114, v106
	v_mov_b32_e32 v115, v106
.LBB98_466:
	s_or_b32 exec_lo, exec_lo, s1
.LBB98_467:
	s_andn2_saveexec_b32 s0, s0
	s_cbranch_execz .LBB98_469
; %bb.468:
	v_mov_b32_e32 v106, v46
	v_mov_b32_e32 v107, v47
	;; [unrolled: 1-line block ×8, first 2 shown]
	ds_write2_b64 v112, v[106:107], v[115:116] offset0:28 offset1:29
	ds_write2_b64 v112, v[117:118], v[119:120] offset0:30 offset1:31
	v_mov_b32_e32 v106, v40
	v_mov_b32_e32 v107, v41
	;; [unrolled: 1-line block ×20, first 2 shown]
	ds_write2_b64 v112, v[106:107], v[115:116] offset0:32 offset1:33
	ds_write2_b64 v112, v[117:118], v[119:120] offset0:34 offset1:35
	;; [unrolled: 1-line block ×5, first 2 shown]
	v_mov_b32_e32 v106, v20
	v_mov_b32_e32 v107, v21
	;; [unrolled: 1-line block ×15, first 2 shown]
	ds_write2_b64 v112, v[106:107], v[116:117] offset0:42 offset1:43
	ds_write2_b64 v112, v[118:119], v[120:121] offset0:44 offset1:45
	;; [unrolled: 1-line block ×4, first 2 shown]
.LBB98_469:
	s_or_b32 exec_lo, exec_lo, s0
	s_mov_b32 s0, exec_lo
	s_waitcnt lgkmcnt(0)
	s_waitcnt_vscnt null, 0x0
	s_barrier
	buffer_gl0_inv
	v_cmpx_lt_i32_e32 27, v115
	s_cbranch_execz .LBB98_471
; %bb.470:
	v_mul_f64 v[48:49], v[0:1], v[48:49]
	ds_read2_b64 v[116:119], v112 offset0:28 offset1:29
	ds_read2_b64 v[120:123], v112 offset0:30 offset1:31
	;; [unrolled: 1-line block ×11, first 2 shown]
	s_waitcnt lgkmcnt(10)
	v_fma_f64 v[46:47], -v[48:49], v[116:117], v[46:47]
	v_fma_f64 v[44:45], -v[48:49], v[118:119], v[44:45]
	s_waitcnt lgkmcnt(9)
	v_fma_f64 v[42:43], -v[48:49], v[120:121], v[42:43]
	v_fma_f64 v[38:39], -v[48:49], v[122:123], v[38:39]
	;; [unrolled: 3-line block ×11, first 2 shown]
.LBB98_471:
	s_or_b32 exec_lo, exec_lo, s0
	v_lshl_add_u32 v0, v115, 3, v112
	s_barrier
	buffer_gl0_inv
	v_mov_b32_e32 v106, 28
	ds_write_b64 v0, v[46:47]
	s_waitcnt lgkmcnt(0)
	s_barrier
	buffer_gl0_inv
	ds_read_b64 v[0:1], v112 offset:224
	s_cmp_lt_i32 s7, 30
	s_cbranch_scc1 .LBB98_474
; %bb.472:
	v_add3_u32 v107, v113, 0, 0xe8
	v_mov_b32_e32 v106, 28
	s_mov_b32 s0, 29
.LBB98_473:                             ; =>This Inner Loop Header: Depth=1
	ds_read_b64 v[116:117], v107
	v_add_nc_u32_e32 v107, 8, v107
	s_waitcnt lgkmcnt(0)
	v_cmp_lt_f64_e64 vcc_lo, |v[0:1]|, |v[116:117]|
	v_cndmask_b32_e32 v1, v1, v117, vcc_lo
	v_cndmask_b32_e32 v0, v0, v116, vcc_lo
	v_cndmask_b32_e64 v106, v106, s0, vcc_lo
	s_add_i32 s0, s0, 1
	s_cmp_lg_u32 s7, s0
	s_cbranch_scc1 .LBB98_473
.LBB98_474:
	s_mov_b32 s0, exec_lo
	s_waitcnt lgkmcnt(0)
	v_cmpx_eq_f64_e32 0, v[0:1]
	s_xor_b32 s0, exec_lo, s0
; %bb.475:
	v_cmp_ne_u32_e32 vcc_lo, 0, v109
	v_cndmask_b32_e32 v109, 29, v109, vcc_lo
; %bb.476:
	s_andn2_saveexec_b32 s0, s0
	s_cbranch_execz .LBB98_478
; %bb.477:
	v_div_scale_f64 v[107:108], null, v[0:1], v[0:1], 1.0
	v_rcp_f64_e32 v[116:117], v[107:108]
	v_fma_f64 v[118:119], -v[107:108], v[116:117], 1.0
	v_fma_f64 v[116:117], v[116:117], v[118:119], v[116:117]
	v_fma_f64 v[118:119], -v[107:108], v[116:117], 1.0
	v_fma_f64 v[116:117], v[116:117], v[118:119], v[116:117]
	v_div_scale_f64 v[118:119], vcc_lo, 1.0, v[0:1], 1.0
	v_mul_f64 v[120:121], v[118:119], v[116:117]
	v_fma_f64 v[107:108], -v[107:108], v[120:121], v[118:119]
	v_div_fmas_f64 v[107:108], v[107:108], v[116:117], v[120:121]
	v_div_fixup_f64 v[0:1], v[107:108], v[0:1], 1.0
.LBB98_478:
	s_or_b32 exec_lo, exec_lo, s0
	s_mov_b32 s0, exec_lo
	v_cmpx_ne_u32_e64 v115, v106
	s_xor_b32 s0, exec_lo, s0
	s_cbranch_execz .LBB98_484
; %bb.479:
	s_mov_b32 s1, exec_lo
	v_cmpx_eq_u32_e32 28, v115
	s_cbranch_execz .LBB98_483
; %bb.480:
	v_cmp_ne_u32_e32 vcc_lo, 28, v106
	s_xor_b32 s2, s6, -1
	s_and_b32 s3, s2, vcc_lo
	s_and_saveexec_b32 s2, s3
	s_cbranch_execz .LBB98_482
; %bb.481:
	v_ashrrev_i32_e32 v107, 31, v106
	v_lshlrev_b64 v[107:108], 2, v[106:107]
	v_add_co_u32 v107, vcc_lo, v4, v107
	v_add_co_ci_u32_e64 v108, null, v5, v108, vcc_lo
	s_clause 0x1
	global_load_dword v114, v[107:108], off
	global_load_dword v115, v[4:5], off offset:112
	s_waitcnt vmcnt(1)
	global_store_dword v[4:5], v114, off offset:112
	s_waitcnt vmcnt(0)
	global_store_dword v[107:108], v115, off
.LBB98_482:
	s_or_b32 exec_lo, exec_lo, s2
	v_mov_b32_e32 v114, v106
	v_mov_b32_e32 v115, v106
.LBB98_483:
	s_or_b32 exec_lo, exec_lo, s1
.LBB98_484:
	s_andn2_saveexec_b32 s0, s0
	s_cbranch_execz .LBB98_486
; %bb.485:
	v_mov_b32_e32 v115, 28
	ds_write2_b64 v112, v[44:45], v[42:43] offset0:29 offset1:30
	ds_write2_b64 v112, v[38:39], v[40:41] offset0:31 offset1:32
	ds_write2_b64 v112, v[34:35], v[36:37] offset0:33 offset1:34
	ds_write2_b64 v112, v[32:33], v[30:31] offset0:35 offset1:36
	ds_write2_b64 v112, v[28:29], v[26:27] offset0:37 offset1:38
	ds_write2_b64 v112, v[24:25], v[22:23] offset0:39 offset1:40
	ds_write2_b64 v112, v[18:19], v[20:21] offset0:41 offset1:42
	ds_write2_b64 v112, v[16:17], v[14:15] offset0:43 offset1:44
	ds_write2_b64 v112, v[8:9], v[12:13] offset0:45 offset1:46
	ds_write2_b64 v112, v[6:7], v[10:11] offset0:47 offset1:48
	ds_write_b64 v112, v[104:105] offset:392
.LBB98_486:
	s_or_b32 exec_lo, exec_lo, s0
	s_mov_b32 s0, exec_lo
	s_waitcnt lgkmcnt(0)
	s_waitcnt_vscnt null, 0x0
	s_barrier
	buffer_gl0_inv
	v_cmpx_lt_i32_e32 28, v115
	s_cbranch_execz .LBB98_488
; %bb.487:
	v_mul_f64 v[46:47], v[0:1], v[46:47]
	ds_read2_b64 v[116:119], v112 offset0:29 offset1:30
	ds_read2_b64 v[120:123], v112 offset0:31 offset1:32
	;; [unrolled: 1-line block ×10, first 2 shown]
	ds_read_b64 v[0:1], v112 offset:392
	s_waitcnt lgkmcnt(10)
	v_fma_f64 v[44:45], -v[46:47], v[116:117], v[44:45]
	v_fma_f64 v[42:43], -v[46:47], v[118:119], v[42:43]
	s_waitcnt lgkmcnt(9)
	v_fma_f64 v[38:39], -v[46:47], v[120:121], v[38:39]
	v_fma_f64 v[40:41], -v[46:47], v[122:123], v[40:41]
	;; [unrolled: 3-line block ×10, first 2 shown]
	s_waitcnt lgkmcnt(0)
	v_fma_f64 v[104:105], -v[46:47], v[0:1], v[104:105]
.LBB98_488:
	s_or_b32 exec_lo, exec_lo, s0
	v_lshl_add_u32 v0, v115, 3, v112
	s_barrier
	buffer_gl0_inv
	v_mov_b32_e32 v106, 29
	ds_write_b64 v0, v[44:45]
	s_waitcnt lgkmcnt(0)
	s_barrier
	buffer_gl0_inv
	ds_read_b64 v[0:1], v112 offset:232
	s_cmp_lt_i32 s7, 31
	s_cbranch_scc1 .LBB98_491
; %bb.489:
	v_add3_u32 v107, v113, 0, 0xf0
	v_mov_b32_e32 v106, 29
	s_mov_b32 s0, 30
.LBB98_490:                             ; =>This Inner Loop Header: Depth=1
	ds_read_b64 v[116:117], v107
	v_add_nc_u32_e32 v107, 8, v107
	s_waitcnt lgkmcnt(0)
	v_cmp_lt_f64_e64 vcc_lo, |v[0:1]|, |v[116:117]|
	v_cndmask_b32_e32 v1, v1, v117, vcc_lo
	v_cndmask_b32_e32 v0, v0, v116, vcc_lo
	v_cndmask_b32_e64 v106, v106, s0, vcc_lo
	s_add_i32 s0, s0, 1
	s_cmp_lg_u32 s7, s0
	s_cbranch_scc1 .LBB98_490
.LBB98_491:
	s_mov_b32 s0, exec_lo
	s_waitcnt lgkmcnt(0)
	v_cmpx_eq_f64_e32 0, v[0:1]
	s_xor_b32 s0, exec_lo, s0
; %bb.492:
	v_cmp_ne_u32_e32 vcc_lo, 0, v109
	v_cndmask_b32_e32 v109, 30, v109, vcc_lo
; %bb.493:
	s_andn2_saveexec_b32 s0, s0
	s_cbranch_execz .LBB98_495
; %bb.494:
	v_div_scale_f64 v[107:108], null, v[0:1], v[0:1], 1.0
	v_rcp_f64_e32 v[116:117], v[107:108]
	v_fma_f64 v[118:119], -v[107:108], v[116:117], 1.0
	v_fma_f64 v[116:117], v[116:117], v[118:119], v[116:117]
	v_fma_f64 v[118:119], -v[107:108], v[116:117], 1.0
	v_fma_f64 v[116:117], v[116:117], v[118:119], v[116:117]
	v_div_scale_f64 v[118:119], vcc_lo, 1.0, v[0:1], 1.0
	v_mul_f64 v[120:121], v[118:119], v[116:117]
	v_fma_f64 v[107:108], -v[107:108], v[120:121], v[118:119]
	v_div_fmas_f64 v[107:108], v[107:108], v[116:117], v[120:121]
	v_div_fixup_f64 v[0:1], v[107:108], v[0:1], 1.0
.LBB98_495:
	s_or_b32 exec_lo, exec_lo, s0
	s_mov_b32 s0, exec_lo
	v_cmpx_ne_u32_e64 v115, v106
	s_xor_b32 s0, exec_lo, s0
	s_cbranch_execz .LBB98_501
; %bb.496:
	s_mov_b32 s1, exec_lo
	v_cmpx_eq_u32_e32 29, v115
	s_cbranch_execz .LBB98_500
; %bb.497:
	v_cmp_ne_u32_e32 vcc_lo, 29, v106
	s_xor_b32 s2, s6, -1
	s_and_b32 s3, s2, vcc_lo
	s_and_saveexec_b32 s2, s3
	s_cbranch_execz .LBB98_499
; %bb.498:
	v_ashrrev_i32_e32 v107, 31, v106
	v_lshlrev_b64 v[107:108], 2, v[106:107]
	v_add_co_u32 v107, vcc_lo, v4, v107
	v_add_co_ci_u32_e64 v108, null, v5, v108, vcc_lo
	s_clause 0x1
	global_load_dword v114, v[107:108], off
	global_load_dword v115, v[4:5], off offset:116
	s_waitcnt vmcnt(1)
	global_store_dword v[4:5], v114, off offset:116
	s_waitcnt vmcnt(0)
	global_store_dword v[107:108], v115, off
.LBB98_499:
	s_or_b32 exec_lo, exec_lo, s2
	v_mov_b32_e32 v114, v106
	v_mov_b32_e32 v115, v106
.LBB98_500:
	s_or_b32 exec_lo, exec_lo, s1
.LBB98_501:
	s_andn2_saveexec_b32 s0, s0
	s_cbranch_execz .LBB98_503
; %bb.502:
	v_mov_b32_e32 v106, v42
	v_mov_b32_e32 v107, v43
	;; [unrolled: 1-line block ×8, first 2 shown]
	ds_write2_b64 v112, v[106:107], v[115:116] offset0:30 offset1:31
	v_mov_b32_e32 v106, v34
	v_mov_b32_e32 v107, v35
	;; [unrolled: 1-line block ×16, first 2 shown]
	ds_write2_b64 v112, v[117:118], v[106:107] offset0:32 offset1:33
	ds_write2_b64 v112, v[115:116], v[119:120] offset0:34 offset1:35
	ds_write2_b64 v112, v[121:122], v[123:124] offset0:36 offset1:37
	ds_write2_b64 v112, v[125:126], v[127:128] offset0:38 offset1:39
	ds_write2_b64 v112, v[129:130], v[131:132] offset0:40 offset1:41
	v_mov_b32_e32 v106, v20
	v_mov_b32_e32 v107, v21
	;; [unrolled: 1-line block ×15, first 2 shown]
	ds_write2_b64 v112, v[106:107], v[116:117] offset0:42 offset1:43
	ds_write2_b64 v112, v[118:119], v[120:121] offset0:44 offset1:45
	;; [unrolled: 1-line block ×4, first 2 shown]
.LBB98_503:
	s_or_b32 exec_lo, exec_lo, s0
	s_mov_b32 s0, exec_lo
	s_waitcnt lgkmcnt(0)
	s_waitcnt_vscnt null, 0x0
	s_barrier
	buffer_gl0_inv
	v_cmpx_lt_i32_e32 29, v115
	s_cbranch_execz .LBB98_505
; %bb.504:
	v_mul_f64 v[44:45], v[0:1], v[44:45]
	ds_read2_b64 v[116:119], v112 offset0:30 offset1:31
	ds_read2_b64 v[120:123], v112 offset0:32 offset1:33
	ds_read2_b64 v[124:127], v112 offset0:34 offset1:35
	ds_read2_b64 v[128:131], v112 offset0:36 offset1:37
	ds_read2_b64 v[132:135], v112 offset0:38 offset1:39
	ds_read2_b64 v[136:139], v112 offset0:40 offset1:41
	ds_read2_b64 v[140:143], v112 offset0:42 offset1:43
	ds_read2_b64 v[144:147], v112 offset0:44 offset1:45
	ds_read2_b64 v[148:151], v112 offset0:46 offset1:47
	ds_read2_b64 v[152:155], v112 offset0:48 offset1:49
	s_waitcnt lgkmcnt(9)
	v_fma_f64 v[42:43], -v[44:45], v[116:117], v[42:43]
	v_fma_f64 v[38:39], -v[44:45], v[118:119], v[38:39]
	s_waitcnt lgkmcnt(8)
	v_fma_f64 v[40:41], -v[44:45], v[120:121], v[40:41]
	v_fma_f64 v[34:35], -v[44:45], v[122:123], v[34:35]
	;; [unrolled: 3-line block ×10, first 2 shown]
.LBB98_505:
	s_or_b32 exec_lo, exec_lo, s0
	v_lshl_add_u32 v0, v115, 3, v112
	s_barrier
	buffer_gl0_inv
	v_mov_b32_e32 v106, 30
	ds_write_b64 v0, v[42:43]
	s_waitcnt lgkmcnt(0)
	s_barrier
	buffer_gl0_inv
	ds_read_b64 v[0:1], v112 offset:240
	s_cmp_lt_i32 s7, 32
	s_cbranch_scc1 .LBB98_508
; %bb.506:
	v_add3_u32 v107, v113, 0, 0xf8
	v_mov_b32_e32 v106, 30
	s_mov_b32 s0, 31
.LBB98_507:                             ; =>This Inner Loop Header: Depth=1
	ds_read_b64 v[116:117], v107
	v_add_nc_u32_e32 v107, 8, v107
	s_waitcnt lgkmcnt(0)
	v_cmp_lt_f64_e64 vcc_lo, |v[0:1]|, |v[116:117]|
	v_cndmask_b32_e32 v1, v1, v117, vcc_lo
	v_cndmask_b32_e32 v0, v0, v116, vcc_lo
	v_cndmask_b32_e64 v106, v106, s0, vcc_lo
	s_add_i32 s0, s0, 1
	s_cmp_lg_u32 s7, s0
	s_cbranch_scc1 .LBB98_507
.LBB98_508:
	s_mov_b32 s0, exec_lo
	s_waitcnt lgkmcnt(0)
	v_cmpx_eq_f64_e32 0, v[0:1]
	s_xor_b32 s0, exec_lo, s0
; %bb.509:
	v_cmp_ne_u32_e32 vcc_lo, 0, v109
	v_cndmask_b32_e32 v109, 31, v109, vcc_lo
; %bb.510:
	s_andn2_saveexec_b32 s0, s0
	s_cbranch_execz .LBB98_512
; %bb.511:
	v_div_scale_f64 v[107:108], null, v[0:1], v[0:1], 1.0
	v_rcp_f64_e32 v[116:117], v[107:108]
	v_fma_f64 v[118:119], -v[107:108], v[116:117], 1.0
	v_fma_f64 v[116:117], v[116:117], v[118:119], v[116:117]
	v_fma_f64 v[118:119], -v[107:108], v[116:117], 1.0
	v_fma_f64 v[116:117], v[116:117], v[118:119], v[116:117]
	v_div_scale_f64 v[118:119], vcc_lo, 1.0, v[0:1], 1.0
	v_mul_f64 v[120:121], v[118:119], v[116:117]
	v_fma_f64 v[107:108], -v[107:108], v[120:121], v[118:119]
	v_div_fmas_f64 v[107:108], v[107:108], v[116:117], v[120:121]
	v_div_fixup_f64 v[0:1], v[107:108], v[0:1], 1.0
.LBB98_512:
	s_or_b32 exec_lo, exec_lo, s0
	s_mov_b32 s0, exec_lo
	v_cmpx_ne_u32_e64 v115, v106
	s_xor_b32 s0, exec_lo, s0
	s_cbranch_execz .LBB98_518
; %bb.513:
	s_mov_b32 s1, exec_lo
	v_cmpx_eq_u32_e32 30, v115
	s_cbranch_execz .LBB98_517
; %bb.514:
	v_cmp_ne_u32_e32 vcc_lo, 30, v106
	s_xor_b32 s2, s6, -1
	s_and_b32 s3, s2, vcc_lo
	s_and_saveexec_b32 s2, s3
	s_cbranch_execz .LBB98_516
; %bb.515:
	v_ashrrev_i32_e32 v107, 31, v106
	v_lshlrev_b64 v[107:108], 2, v[106:107]
	v_add_co_u32 v107, vcc_lo, v4, v107
	v_add_co_ci_u32_e64 v108, null, v5, v108, vcc_lo
	s_clause 0x1
	global_load_dword v114, v[107:108], off
	global_load_dword v115, v[4:5], off offset:120
	s_waitcnt vmcnt(1)
	global_store_dword v[4:5], v114, off offset:120
	s_waitcnt vmcnt(0)
	global_store_dword v[107:108], v115, off
.LBB98_516:
	s_or_b32 exec_lo, exec_lo, s2
	v_mov_b32_e32 v114, v106
	v_mov_b32_e32 v115, v106
.LBB98_517:
	s_or_b32 exec_lo, exec_lo, s1
.LBB98_518:
	s_andn2_saveexec_b32 s0, s0
	s_cbranch_execz .LBB98_520
; %bb.519:
	v_mov_b32_e32 v115, 30
	ds_write2_b64 v112, v[38:39], v[40:41] offset0:31 offset1:32
	ds_write2_b64 v112, v[34:35], v[36:37] offset0:33 offset1:34
	ds_write2_b64 v112, v[32:33], v[30:31] offset0:35 offset1:36
	ds_write2_b64 v112, v[28:29], v[26:27] offset0:37 offset1:38
	ds_write2_b64 v112, v[24:25], v[22:23] offset0:39 offset1:40
	ds_write2_b64 v112, v[18:19], v[20:21] offset0:41 offset1:42
	ds_write2_b64 v112, v[16:17], v[14:15] offset0:43 offset1:44
	ds_write2_b64 v112, v[8:9], v[12:13] offset0:45 offset1:46
	ds_write2_b64 v112, v[6:7], v[10:11] offset0:47 offset1:48
	ds_write_b64 v112, v[104:105] offset:392
.LBB98_520:
	s_or_b32 exec_lo, exec_lo, s0
	s_mov_b32 s0, exec_lo
	s_waitcnt lgkmcnt(0)
	s_waitcnt_vscnt null, 0x0
	s_barrier
	buffer_gl0_inv
	v_cmpx_lt_i32_e32 30, v115
	s_cbranch_execz .LBB98_522
; %bb.521:
	v_mul_f64 v[42:43], v[0:1], v[42:43]
	ds_read2_b64 v[116:119], v112 offset0:31 offset1:32
	ds_read2_b64 v[120:123], v112 offset0:33 offset1:34
	;; [unrolled: 1-line block ×9, first 2 shown]
	ds_read_b64 v[0:1], v112 offset:392
	s_waitcnt lgkmcnt(9)
	v_fma_f64 v[38:39], -v[42:43], v[116:117], v[38:39]
	v_fma_f64 v[40:41], -v[42:43], v[118:119], v[40:41]
	s_waitcnt lgkmcnt(8)
	v_fma_f64 v[34:35], -v[42:43], v[120:121], v[34:35]
	v_fma_f64 v[36:37], -v[42:43], v[122:123], v[36:37]
	;; [unrolled: 3-line block ×9, first 2 shown]
	s_waitcnt lgkmcnt(0)
	v_fma_f64 v[104:105], -v[42:43], v[0:1], v[104:105]
.LBB98_522:
	s_or_b32 exec_lo, exec_lo, s0
	v_lshl_add_u32 v0, v115, 3, v112
	s_barrier
	buffer_gl0_inv
	v_mov_b32_e32 v106, 31
	ds_write_b64 v0, v[38:39]
	s_waitcnt lgkmcnt(0)
	s_barrier
	buffer_gl0_inv
	ds_read_b64 v[0:1], v112 offset:248
	s_cmp_lt_i32 s7, 33
	s_cbranch_scc1 .LBB98_525
; %bb.523:
	v_add3_u32 v107, v113, 0, 0x100
	v_mov_b32_e32 v106, 31
	s_mov_b32 s0, 32
.LBB98_524:                             ; =>This Inner Loop Header: Depth=1
	ds_read_b64 v[116:117], v107
	v_add_nc_u32_e32 v107, 8, v107
	s_waitcnt lgkmcnt(0)
	v_cmp_lt_f64_e64 vcc_lo, |v[0:1]|, |v[116:117]|
	v_cndmask_b32_e32 v1, v1, v117, vcc_lo
	v_cndmask_b32_e32 v0, v0, v116, vcc_lo
	v_cndmask_b32_e64 v106, v106, s0, vcc_lo
	s_add_i32 s0, s0, 1
	s_cmp_lg_u32 s7, s0
	s_cbranch_scc1 .LBB98_524
.LBB98_525:
	s_mov_b32 s0, exec_lo
	s_waitcnt lgkmcnt(0)
	v_cmpx_eq_f64_e32 0, v[0:1]
	s_xor_b32 s0, exec_lo, s0
; %bb.526:
	v_cmp_ne_u32_e32 vcc_lo, 0, v109
	v_cndmask_b32_e32 v109, 32, v109, vcc_lo
; %bb.527:
	s_andn2_saveexec_b32 s0, s0
	s_cbranch_execz .LBB98_529
; %bb.528:
	v_div_scale_f64 v[107:108], null, v[0:1], v[0:1], 1.0
	v_rcp_f64_e32 v[116:117], v[107:108]
	v_fma_f64 v[118:119], -v[107:108], v[116:117], 1.0
	v_fma_f64 v[116:117], v[116:117], v[118:119], v[116:117]
	v_fma_f64 v[118:119], -v[107:108], v[116:117], 1.0
	v_fma_f64 v[116:117], v[116:117], v[118:119], v[116:117]
	v_div_scale_f64 v[118:119], vcc_lo, 1.0, v[0:1], 1.0
	v_mul_f64 v[120:121], v[118:119], v[116:117]
	v_fma_f64 v[107:108], -v[107:108], v[120:121], v[118:119]
	v_div_fmas_f64 v[107:108], v[107:108], v[116:117], v[120:121]
	v_div_fixup_f64 v[0:1], v[107:108], v[0:1], 1.0
.LBB98_529:
	s_or_b32 exec_lo, exec_lo, s0
	s_mov_b32 s0, exec_lo
	v_cmpx_ne_u32_e64 v115, v106
	s_xor_b32 s0, exec_lo, s0
	s_cbranch_execz .LBB98_535
; %bb.530:
	s_mov_b32 s1, exec_lo
	v_cmpx_eq_u32_e32 31, v115
	s_cbranch_execz .LBB98_534
; %bb.531:
	v_cmp_ne_u32_e32 vcc_lo, 31, v106
	s_xor_b32 s2, s6, -1
	s_and_b32 s3, s2, vcc_lo
	s_and_saveexec_b32 s2, s3
	s_cbranch_execz .LBB98_533
; %bb.532:
	v_ashrrev_i32_e32 v107, 31, v106
	v_lshlrev_b64 v[107:108], 2, v[106:107]
	v_add_co_u32 v107, vcc_lo, v4, v107
	v_add_co_ci_u32_e64 v108, null, v5, v108, vcc_lo
	s_clause 0x1
	global_load_dword v114, v[107:108], off
	global_load_dword v115, v[4:5], off offset:124
	s_waitcnt vmcnt(1)
	global_store_dword v[4:5], v114, off offset:124
	s_waitcnt vmcnt(0)
	global_store_dword v[107:108], v115, off
.LBB98_533:
	s_or_b32 exec_lo, exec_lo, s2
	v_mov_b32_e32 v114, v106
	v_mov_b32_e32 v115, v106
.LBB98_534:
	s_or_b32 exec_lo, exec_lo, s1
.LBB98_535:
	s_andn2_saveexec_b32 s0, s0
	s_cbranch_execz .LBB98_537
; %bb.536:
	v_mov_b32_e32 v106, v40
	v_mov_b32_e32 v107, v41
	;; [unrolled: 1-line block ×20, first 2 shown]
	ds_write2_b64 v112, v[106:107], v[115:116] offset0:32 offset1:33
	ds_write2_b64 v112, v[117:118], v[119:120] offset0:34 offset1:35
	;; [unrolled: 1-line block ×5, first 2 shown]
	v_mov_b32_e32 v106, v20
	v_mov_b32_e32 v107, v21
	;; [unrolled: 1-line block ×15, first 2 shown]
	ds_write2_b64 v112, v[106:107], v[116:117] offset0:42 offset1:43
	ds_write2_b64 v112, v[118:119], v[120:121] offset0:44 offset1:45
	;; [unrolled: 1-line block ×4, first 2 shown]
.LBB98_537:
	s_or_b32 exec_lo, exec_lo, s0
	s_mov_b32 s0, exec_lo
	s_waitcnt lgkmcnt(0)
	s_waitcnt_vscnt null, 0x0
	s_barrier
	buffer_gl0_inv
	v_cmpx_lt_i32_e32 31, v115
	s_cbranch_execz .LBB98_539
; %bb.538:
	v_mul_f64 v[38:39], v[0:1], v[38:39]
	ds_read2_b64 v[116:119], v112 offset0:32 offset1:33
	ds_read2_b64 v[120:123], v112 offset0:34 offset1:35
	;; [unrolled: 1-line block ×9, first 2 shown]
	s_waitcnt lgkmcnt(8)
	v_fma_f64 v[40:41], -v[38:39], v[116:117], v[40:41]
	v_fma_f64 v[34:35], -v[38:39], v[118:119], v[34:35]
	s_waitcnt lgkmcnt(7)
	v_fma_f64 v[36:37], -v[38:39], v[120:121], v[36:37]
	v_fma_f64 v[32:33], -v[38:39], v[122:123], v[32:33]
	;; [unrolled: 3-line block ×9, first 2 shown]
.LBB98_539:
	s_or_b32 exec_lo, exec_lo, s0
	v_lshl_add_u32 v0, v115, 3, v112
	s_barrier
	buffer_gl0_inv
	v_mov_b32_e32 v106, 32
	ds_write_b64 v0, v[40:41]
	s_waitcnt lgkmcnt(0)
	s_barrier
	buffer_gl0_inv
	ds_read_b64 v[0:1], v112 offset:256
	s_cmp_lt_i32 s7, 34
	s_cbranch_scc1 .LBB98_542
; %bb.540:
	v_add3_u32 v107, v113, 0, 0x108
	v_mov_b32_e32 v106, 32
	s_mov_b32 s0, 33
.LBB98_541:                             ; =>This Inner Loop Header: Depth=1
	ds_read_b64 v[116:117], v107
	v_add_nc_u32_e32 v107, 8, v107
	s_waitcnt lgkmcnt(0)
	v_cmp_lt_f64_e64 vcc_lo, |v[0:1]|, |v[116:117]|
	v_cndmask_b32_e32 v1, v1, v117, vcc_lo
	v_cndmask_b32_e32 v0, v0, v116, vcc_lo
	v_cndmask_b32_e64 v106, v106, s0, vcc_lo
	s_add_i32 s0, s0, 1
	s_cmp_lg_u32 s7, s0
	s_cbranch_scc1 .LBB98_541
.LBB98_542:
	s_mov_b32 s0, exec_lo
	s_waitcnt lgkmcnt(0)
	v_cmpx_eq_f64_e32 0, v[0:1]
	s_xor_b32 s0, exec_lo, s0
; %bb.543:
	v_cmp_ne_u32_e32 vcc_lo, 0, v109
	v_cndmask_b32_e32 v109, 33, v109, vcc_lo
; %bb.544:
	s_andn2_saveexec_b32 s0, s0
	s_cbranch_execz .LBB98_546
; %bb.545:
	v_div_scale_f64 v[107:108], null, v[0:1], v[0:1], 1.0
	v_rcp_f64_e32 v[116:117], v[107:108]
	v_fma_f64 v[118:119], -v[107:108], v[116:117], 1.0
	v_fma_f64 v[116:117], v[116:117], v[118:119], v[116:117]
	v_fma_f64 v[118:119], -v[107:108], v[116:117], 1.0
	v_fma_f64 v[116:117], v[116:117], v[118:119], v[116:117]
	v_div_scale_f64 v[118:119], vcc_lo, 1.0, v[0:1], 1.0
	v_mul_f64 v[120:121], v[118:119], v[116:117]
	v_fma_f64 v[107:108], -v[107:108], v[120:121], v[118:119]
	v_div_fmas_f64 v[107:108], v[107:108], v[116:117], v[120:121]
	v_div_fixup_f64 v[0:1], v[107:108], v[0:1], 1.0
.LBB98_546:
	s_or_b32 exec_lo, exec_lo, s0
	s_mov_b32 s0, exec_lo
	v_cmpx_ne_u32_e64 v115, v106
	s_xor_b32 s0, exec_lo, s0
	s_cbranch_execz .LBB98_552
; %bb.547:
	s_mov_b32 s1, exec_lo
	v_cmpx_eq_u32_e32 32, v115
	s_cbranch_execz .LBB98_551
; %bb.548:
	v_cmp_ne_u32_e32 vcc_lo, 32, v106
	s_xor_b32 s2, s6, -1
	s_and_b32 s3, s2, vcc_lo
	s_and_saveexec_b32 s2, s3
	s_cbranch_execz .LBB98_550
; %bb.549:
	v_ashrrev_i32_e32 v107, 31, v106
	v_lshlrev_b64 v[107:108], 2, v[106:107]
	v_add_co_u32 v107, vcc_lo, v4, v107
	v_add_co_ci_u32_e64 v108, null, v5, v108, vcc_lo
	s_clause 0x1
	global_load_dword v114, v[107:108], off
	global_load_dword v115, v[4:5], off offset:128
	s_waitcnt vmcnt(1)
	global_store_dword v[4:5], v114, off offset:128
	s_waitcnt vmcnt(0)
	global_store_dword v[107:108], v115, off
.LBB98_550:
	s_or_b32 exec_lo, exec_lo, s2
	v_mov_b32_e32 v114, v106
	v_mov_b32_e32 v115, v106
.LBB98_551:
	s_or_b32 exec_lo, exec_lo, s1
.LBB98_552:
	s_andn2_saveexec_b32 s0, s0
	s_cbranch_execz .LBB98_554
; %bb.553:
	v_mov_b32_e32 v115, 32
	ds_write2_b64 v112, v[34:35], v[36:37] offset0:33 offset1:34
	ds_write2_b64 v112, v[32:33], v[30:31] offset0:35 offset1:36
	;; [unrolled: 1-line block ×8, first 2 shown]
	ds_write_b64 v112, v[104:105] offset:392
.LBB98_554:
	s_or_b32 exec_lo, exec_lo, s0
	s_mov_b32 s0, exec_lo
	s_waitcnt lgkmcnt(0)
	s_waitcnt_vscnt null, 0x0
	s_barrier
	buffer_gl0_inv
	v_cmpx_lt_i32_e32 32, v115
	s_cbranch_execz .LBB98_556
; %bb.555:
	v_mul_f64 v[40:41], v[0:1], v[40:41]
	ds_read2_b64 v[116:119], v112 offset0:33 offset1:34
	ds_read2_b64 v[120:123], v112 offset0:35 offset1:36
	;; [unrolled: 1-line block ×8, first 2 shown]
	ds_read_b64 v[0:1], v112 offset:392
	s_waitcnt lgkmcnt(8)
	v_fma_f64 v[34:35], -v[40:41], v[116:117], v[34:35]
	v_fma_f64 v[36:37], -v[40:41], v[118:119], v[36:37]
	s_waitcnt lgkmcnt(7)
	v_fma_f64 v[32:33], -v[40:41], v[120:121], v[32:33]
	v_fma_f64 v[30:31], -v[40:41], v[122:123], v[30:31]
	;; [unrolled: 3-line block ×8, first 2 shown]
	s_waitcnt lgkmcnt(0)
	v_fma_f64 v[104:105], -v[40:41], v[0:1], v[104:105]
.LBB98_556:
	s_or_b32 exec_lo, exec_lo, s0
	v_lshl_add_u32 v0, v115, 3, v112
	s_barrier
	buffer_gl0_inv
	v_mov_b32_e32 v106, 33
	ds_write_b64 v0, v[34:35]
	s_waitcnt lgkmcnt(0)
	s_barrier
	buffer_gl0_inv
	ds_read_b64 v[0:1], v112 offset:264
	s_cmp_lt_i32 s7, 35
	s_cbranch_scc1 .LBB98_559
; %bb.557:
	v_add3_u32 v107, v113, 0, 0x110
	v_mov_b32_e32 v106, 33
	s_mov_b32 s0, 34
.LBB98_558:                             ; =>This Inner Loop Header: Depth=1
	ds_read_b64 v[116:117], v107
	v_add_nc_u32_e32 v107, 8, v107
	s_waitcnt lgkmcnt(0)
	v_cmp_lt_f64_e64 vcc_lo, |v[0:1]|, |v[116:117]|
	v_cndmask_b32_e32 v1, v1, v117, vcc_lo
	v_cndmask_b32_e32 v0, v0, v116, vcc_lo
	v_cndmask_b32_e64 v106, v106, s0, vcc_lo
	s_add_i32 s0, s0, 1
	s_cmp_lg_u32 s7, s0
	s_cbranch_scc1 .LBB98_558
.LBB98_559:
	s_mov_b32 s0, exec_lo
	s_waitcnt lgkmcnt(0)
	v_cmpx_eq_f64_e32 0, v[0:1]
	s_xor_b32 s0, exec_lo, s0
; %bb.560:
	v_cmp_ne_u32_e32 vcc_lo, 0, v109
	v_cndmask_b32_e32 v109, 34, v109, vcc_lo
; %bb.561:
	s_andn2_saveexec_b32 s0, s0
	s_cbranch_execz .LBB98_563
; %bb.562:
	v_div_scale_f64 v[107:108], null, v[0:1], v[0:1], 1.0
	v_rcp_f64_e32 v[116:117], v[107:108]
	v_fma_f64 v[118:119], -v[107:108], v[116:117], 1.0
	v_fma_f64 v[116:117], v[116:117], v[118:119], v[116:117]
	v_fma_f64 v[118:119], -v[107:108], v[116:117], 1.0
	v_fma_f64 v[116:117], v[116:117], v[118:119], v[116:117]
	v_div_scale_f64 v[118:119], vcc_lo, 1.0, v[0:1], 1.0
	v_mul_f64 v[120:121], v[118:119], v[116:117]
	v_fma_f64 v[107:108], -v[107:108], v[120:121], v[118:119]
	v_div_fmas_f64 v[107:108], v[107:108], v[116:117], v[120:121]
	v_div_fixup_f64 v[0:1], v[107:108], v[0:1], 1.0
.LBB98_563:
	s_or_b32 exec_lo, exec_lo, s0
	s_mov_b32 s0, exec_lo
	v_cmpx_ne_u32_e64 v115, v106
	s_xor_b32 s0, exec_lo, s0
	s_cbranch_execz .LBB98_569
; %bb.564:
	s_mov_b32 s1, exec_lo
	v_cmpx_eq_u32_e32 33, v115
	s_cbranch_execz .LBB98_568
; %bb.565:
	v_cmp_ne_u32_e32 vcc_lo, 33, v106
	s_xor_b32 s2, s6, -1
	s_and_b32 s3, s2, vcc_lo
	s_and_saveexec_b32 s2, s3
	s_cbranch_execz .LBB98_567
; %bb.566:
	v_ashrrev_i32_e32 v107, 31, v106
	v_lshlrev_b64 v[107:108], 2, v[106:107]
	v_add_co_u32 v107, vcc_lo, v4, v107
	v_add_co_ci_u32_e64 v108, null, v5, v108, vcc_lo
	s_clause 0x1
	global_load_dword v114, v[107:108], off
	global_load_dword v115, v[4:5], off offset:132
	s_waitcnt vmcnt(1)
	global_store_dword v[4:5], v114, off offset:132
	s_waitcnt vmcnt(0)
	global_store_dword v[107:108], v115, off
.LBB98_567:
	s_or_b32 exec_lo, exec_lo, s2
	v_mov_b32_e32 v114, v106
	v_mov_b32_e32 v115, v106
.LBB98_568:
	s_or_b32 exec_lo, exec_lo, s1
.LBB98_569:
	s_andn2_saveexec_b32 s0, s0
	s_cbranch_execz .LBB98_571
; %bb.570:
	v_mov_b32_e32 v106, v36
	v_mov_b32_e32 v107, v37
	;; [unrolled: 1-line block ×16, first 2 shown]
	ds_write2_b64 v112, v[106:107], v[115:116] offset0:34 offset1:35
	ds_write2_b64 v112, v[117:118], v[119:120] offset0:36 offset1:37
	ds_write2_b64 v112, v[121:122], v[123:124] offset0:38 offset1:39
	ds_write2_b64 v112, v[125:126], v[127:128] offset0:40 offset1:41
	v_mov_b32_e32 v106, v20
	v_mov_b32_e32 v107, v21
	;; [unrolled: 1-line block ×15, first 2 shown]
	ds_write2_b64 v112, v[106:107], v[116:117] offset0:42 offset1:43
	ds_write2_b64 v112, v[118:119], v[120:121] offset0:44 offset1:45
	;; [unrolled: 1-line block ×4, first 2 shown]
.LBB98_571:
	s_or_b32 exec_lo, exec_lo, s0
	s_mov_b32 s0, exec_lo
	s_waitcnt lgkmcnt(0)
	s_waitcnt_vscnt null, 0x0
	s_barrier
	buffer_gl0_inv
	v_cmpx_lt_i32_e32 33, v115
	s_cbranch_execz .LBB98_573
; %bb.572:
	v_mul_f64 v[34:35], v[0:1], v[34:35]
	ds_read2_b64 v[116:119], v112 offset0:34 offset1:35
	ds_read2_b64 v[120:123], v112 offset0:36 offset1:37
	;; [unrolled: 1-line block ×8, first 2 shown]
	s_waitcnt lgkmcnt(7)
	v_fma_f64 v[36:37], -v[34:35], v[116:117], v[36:37]
	v_fma_f64 v[32:33], -v[34:35], v[118:119], v[32:33]
	s_waitcnt lgkmcnt(6)
	v_fma_f64 v[30:31], -v[34:35], v[120:121], v[30:31]
	v_fma_f64 v[28:29], -v[34:35], v[122:123], v[28:29]
	;; [unrolled: 3-line block ×8, first 2 shown]
.LBB98_573:
	s_or_b32 exec_lo, exec_lo, s0
	v_lshl_add_u32 v0, v115, 3, v112
	s_barrier
	buffer_gl0_inv
	v_mov_b32_e32 v106, 34
	ds_write_b64 v0, v[36:37]
	s_waitcnt lgkmcnt(0)
	s_barrier
	buffer_gl0_inv
	ds_read_b64 v[0:1], v112 offset:272
	s_cmp_lt_i32 s7, 36
	s_cbranch_scc1 .LBB98_576
; %bb.574:
	v_add3_u32 v107, v113, 0, 0x118
	v_mov_b32_e32 v106, 34
	s_mov_b32 s0, 35
.LBB98_575:                             ; =>This Inner Loop Header: Depth=1
	ds_read_b64 v[116:117], v107
	v_add_nc_u32_e32 v107, 8, v107
	s_waitcnt lgkmcnt(0)
	v_cmp_lt_f64_e64 vcc_lo, |v[0:1]|, |v[116:117]|
	v_cndmask_b32_e32 v1, v1, v117, vcc_lo
	v_cndmask_b32_e32 v0, v0, v116, vcc_lo
	v_cndmask_b32_e64 v106, v106, s0, vcc_lo
	s_add_i32 s0, s0, 1
	s_cmp_lg_u32 s7, s0
	s_cbranch_scc1 .LBB98_575
.LBB98_576:
	s_mov_b32 s0, exec_lo
	s_waitcnt lgkmcnt(0)
	v_cmpx_eq_f64_e32 0, v[0:1]
	s_xor_b32 s0, exec_lo, s0
; %bb.577:
	v_cmp_ne_u32_e32 vcc_lo, 0, v109
	v_cndmask_b32_e32 v109, 35, v109, vcc_lo
; %bb.578:
	s_andn2_saveexec_b32 s0, s0
	s_cbranch_execz .LBB98_580
; %bb.579:
	v_div_scale_f64 v[107:108], null, v[0:1], v[0:1], 1.0
	v_rcp_f64_e32 v[116:117], v[107:108]
	v_fma_f64 v[118:119], -v[107:108], v[116:117], 1.0
	v_fma_f64 v[116:117], v[116:117], v[118:119], v[116:117]
	v_fma_f64 v[118:119], -v[107:108], v[116:117], 1.0
	v_fma_f64 v[116:117], v[116:117], v[118:119], v[116:117]
	v_div_scale_f64 v[118:119], vcc_lo, 1.0, v[0:1], 1.0
	v_mul_f64 v[120:121], v[118:119], v[116:117]
	v_fma_f64 v[107:108], -v[107:108], v[120:121], v[118:119]
	v_div_fmas_f64 v[107:108], v[107:108], v[116:117], v[120:121]
	v_div_fixup_f64 v[0:1], v[107:108], v[0:1], 1.0
.LBB98_580:
	s_or_b32 exec_lo, exec_lo, s0
	s_mov_b32 s0, exec_lo
	v_cmpx_ne_u32_e64 v115, v106
	s_xor_b32 s0, exec_lo, s0
	s_cbranch_execz .LBB98_586
; %bb.581:
	s_mov_b32 s1, exec_lo
	v_cmpx_eq_u32_e32 34, v115
	s_cbranch_execz .LBB98_585
; %bb.582:
	v_cmp_ne_u32_e32 vcc_lo, 34, v106
	s_xor_b32 s2, s6, -1
	s_and_b32 s3, s2, vcc_lo
	s_and_saveexec_b32 s2, s3
	s_cbranch_execz .LBB98_584
; %bb.583:
	v_ashrrev_i32_e32 v107, 31, v106
	v_lshlrev_b64 v[107:108], 2, v[106:107]
	v_add_co_u32 v107, vcc_lo, v4, v107
	v_add_co_ci_u32_e64 v108, null, v5, v108, vcc_lo
	s_clause 0x1
	global_load_dword v114, v[107:108], off
	global_load_dword v115, v[4:5], off offset:136
	s_waitcnt vmcnt(1)
	global_store_dword v[4:5], v114, off offset:136
	s_waitcnt vmcnt(0)
	global_store_dword v[107:108], v115, off
.LBB98_584:
	s_or_b32 exec_lo, exec_lo, s2
	v_mov_b32_e32 v114, v106
	v_mov_b32_e32 v115, v106
.LBB98_585:
	s_or_b32 exec_lo, exec_lo, s1
.LBB98_586:
	s_andn2_saveexec_b32 s0, s0
	s_cbranch_execz .LBB98_588
; %bb.587:
	v_mov_b32_e32 v115, 34
	ds_write2_b64 v112, v[32:33], v[30:31] offset0:35 offset1:36
	ds_write2_b64 v112, v[28:29], v[26:27] offset0:37 offset1:38
	;; [unrolled: 1-line block ×7, first 2 shown]
	ds_write_b64 v112, v[104:105] offset:392
.LBB98_588:
	s_or_b32 exec_lo, exec_lo, s0
	s_mov_b32 s0, exec_lo
	s_waitcnt lgkmcnt(0)
	s_waitcnt_vscnt null, 0x0
	s_barrier
	buffer_gl0_inv
	v_cmpx_lt_i32_e32 34, v115
	s_cbranch_execz .LBB98_590
; %bb.589:
	v_mul_f64 v[36:37], v[0:1], v[36:37]
	ds_read2_b64 v[116:119], v112 offset0:35 offset1:36
	ds_read2_b64 v[120:123], v112 offset0:37 offset1:38
	;; [unrolled: 1-line block ×7, first 2 shown]
	ds_read_b64 v[0:1], v112 offset:392
	s_waitcnt lgkmcnt(7)
	v_fma_f64 v[32:33], -v[36:37], v[116:117], v[32:33]
	v_fma_f64 v[30:31], -v[36:37], v[118:119], v[30:31]
	s_waitcnt lgkmcnt(6)
	v_fma_f64 v[28:29], -v[36:37], v[120:121], v[28:29]
	v_fma_f64 v[26:27], -v[36:37], v[122:123], v[26:27]
	;; [unrolled: 3-line block ×7, first 2 shown]
	s_waitcnt lgkmcnt(0)
	v_fma_f64 v[104:105], -v[36:37], v[0:1], v[104:105]
.LBB98_590:
	s_or_b32 exec_lo, exec_lo, s0
	v_lshl_add_u32 v0, v115, 3, v112
	s_barrier
	buffer_gl0_inv
	v_mov_b32_e32 v106, 35
	ds_write_b64 v0, v[32:33]
	s_waitcnt lgkmcnt(0)
	s_barrier
	buffer_gl0_inv
	ds_read_b64 v[0:1], v112 offset:280
	s_cmp_lt_i32 s7, 37
	s_cbranch_scc1 .LBB98_593
; %bb.591:
	v_add3_u32 v107, v113, 0, 0x120
	v_mov_b32_e32 v106, 35
	s_mov_b32 s0, 36
.LBB98_592:                             ; =>This Inner Loop Header: Depth=1
	ds_read_b64 v[116:117], v107
	v_add_nc_u32_e32 v107, 8, v107
	s_waitcnt lgkmcnt(0)
	v_cmp_lt_f64_e64 vcc_lo, |v[0:1]|, |v[116:117]|
	v_cndmask_b32_e32 v1, v1, v117, vcc_lo
	v_cndmask_b32_e32 v0, v0, v116, vcc_lo
	v_cndmask_b32_e64 v106, v106, s0, vcc_lo
	s_add_i32 s0, s0, 1
	s_cmp_lg_u32 s7, s0
	s_cbranch_scc1 .LBB98_592
.LBB98_593:
	s_mov_b32 s0, exec_lo
	s_waitcnt lgkmcnt(0)
	v_cmpx_eq_f64_e32 0, v[0:1]
	s_xor_b32 s0, exec_lo, s0
; %bb.594:
	v_cmp_ne_u32_e32 vcc_lo, 0, v109
	v_cndmask_b32_e32 v109, 36, v109, vcc_lo
; %bb.595:
	s_andn2_saveexec_b32 s0, s0
	s_cbranch_execz .LBB98_597
; %bb.596:
	v_div_scale_f64 v[107:108], null, v[0:1], v[0:1], 1.0
	v_rcp_f64_e32 v[116:117], v[107:108]
	v_fma_f64 v[118:119], -v[107:108], v[116:117], 1.0
	v_fma_f64 v[116:117], v[116:117], v[118:119], v[116:117]
	v_fma_f64 v[118:119], -v[107:108], v[116:117], 1.0
	v_fma_f64 v[116:117], v[116:117], v[118:119], v[116:117]
	v_div_scale_f64 v[118:119], vcc_lo, 1.0, v[0:1], 1.0
	v_mul_f64 v[120:121], v[118:119], v[116:117]
	v_fma_f64 v[107:108], -v[107:108], v[120:121], v[118:119]
	v_div_fmas_f64 v[107:108], v[107:108], v[116:117], v[120:121]
	v_div_fixup_f64 v[0:1], v[107:108], v[0:1], 1.0
.LBB98_597:
	s_or_b32 exec_lo, exec_lo, s0
	s_mov_b32 s0, exec_lo
	v_cmpx_ne_u32_e64 v115, v106
	s_xor_b32 s0, exec_lo, s0
	s_cbranch_execz .LBB98_603
; %bb.598:
	s_mov_b32 s1, exec_lo
	v_cmpx_eq_u32_e32 35, v115
	s_cbranch_execz .LBB98_602
; %bb.599:
	v_cmp_ne_u32_e32 vcc_lo, 35, v106
	s_xor_b32 s2, s6, -1
	s_and_b32 s3, s2, vcc_lo
	s_and_saveexec_b32 s2, s3
	s_cbranch_execz .LBB98_601
; %bb.600:
	v_ashrrev_i32_e32 v107, 31, v106
	v_lshlrev_b64 v[107:108], 2, v[106:107]
	v_add_co_u32 v107, vcc_lo, v4, v107
	v_add_co_ci_u32_e64 v108, null, v5, v108, vcc_lo
	s_clause 0x1
	global_load_dword v114, v[107:108], off
	global_load_dword v115, v[4:5], off offset:140
	s_waitcnt vmcnt(1)
	global_store_dword v[4:5], v114, off offset:140
	s_waitcnt vmcnt(0)
	global_store_dword v[107:108], v115, off
.LBB98_601:
	s_or_b32 exec_lo, exec_lo, s2
	v_mov_b32_e32 v114, v106
	v_mov_b32_e32 v115, v106
.LBB98_602:
	s_or_b32 exec_lo, exec_lo, s1
.LBB98_603:
	s_andn2_saveexec_b32 s0, s0
	s_cbranch_execz .LBB98_605
; %bb.604:
	v_mov_b32_e32 v106, v30
	v_mov_b32_e32 v107, v31
	;; [unrolled: 1-line block ×12, first 2 shown]
	ds_write2_b64 v112, v[106:107], v[115:116] offset0:36 offset1:37
	ds_write2_b64 v112, v[117:118], v[119:120] offset0:38 offset1:39
	;; [unrolled: 1-line block ×3, first 2 shown]
	v_mov_b32_e32 v106, v20
	v_mov_b32_e32 v107, v21
	;; [unrolled: 1-line block ×15, first 2 shown]
	ds_write2_b64 v112, v[106:107], v[116:117] offset0:42 offset1:43
	ds_write2_b64 v112, v[118:119], v[120:121] offset0:44 offset1:45
	;; [unrolled: 1-line block ×4, first 2 shown]
.LBB98_605:
	s_or_b32 exec_lo, exec_lo, s0
	s_mov_b32 s0, exec_lo
	s_waitcnt lgkmcnt(0)
	s_waitcnt_vscnt null, 0x0
	s_barrier
	buffer_gl0_inv
	v_cmpx_lt_i32_e32 35, v115
	s_cbranch_execz .LBB98_607
; %bb.606:
	v_mul_f64 v[32:33], v[0:1], v[32:33]
	ds_read2_b64 v[116:119], v112 offset0:36 offset1:37
	ds_read2_b64 v[120:123], v112 offset0:38 offset1:39
	;; [unrolled: 1-line block ×7, first 2 shown]
	s_waitcnt lgkmcnt(6)
	v_fma_f64 v[30:31], -v[32:33], v[116:117], v[30:31]
	v_fma_f64 v[28:29], -v[32:33], v[118:119], v[28:29]
	s_waitcnt lgkmcnt(5)
	v_fma_f64 v[26:27], -v[32:33], v[120:121], v[26:27]
	v_fma_f64 v[24:25], -v[32:33], v[122:123], v[24:25]
	;; [unrolled: 3-line block ×7, first 2 shown]
.LBB98_607:
	s_or_b32 exec_lo, exec_lo, s0
	v_lshl_add_u32 v0, v115, 3, v112
	s_barrier
	buffer_gl0_inv
	v_mov_b32_e32 v106, 36
	ds_write_b64 v0, v[30:31]
	s_waitcnt lgkmcnt(0)
	s_barrier
	buffer_gl0_inv
	ds_read_b64 v[0:1], v112 offset:288
	s_cmp_lt_i32 s7, 38
	s_cbranch_scc1 .LBB98_610
; %bb.608:
	v_add3_u32 v107, v113, 0, 0x128
	v_mov_b32_e32 v106, 36
	s_mov_b32 s0, 37
.LBB98_609:                             ; =>This Inner Loop Header: Depth=1
	ds_read_b64 v[116:117], v107
	v_add_nc_u32_e32 v107, 8, v107
	s_waitcnt lgkmcnt(0)
	v_cmp_lt_f64_e64 vcc_lo, |v[0:1]|, |v[116:117]|
	v_cndmask_b32_e32 v1, v1, v117, vcc_lo
	v_cndmask_b32_e32 v0, v0, v116, vcc_lo
	v_cndmask_b32_e64 v106, v106, s0, vcc_lo
	s_add_i32 s0, s0, 1
	s_cmp_lg_u32 s7, s0
	s_cbranch_scc1 .LBB98_609
.LBB98_610:
	s_mov_b32 s0, exec_lo
	s_waitcnt lgkmcnt(0)
	v_cmpx_eq_f64_e32 0, v[0:1]
	s_xor_b32 s0, exec_lo, s0
; %bb.611:
	v_cmp_ne_u32_e32 vcc_lo, 0, v109
	v_cndmask_b32_e32 v109, 37, v109, vcc_lo
; %bb.612:
	s_andn2_saveexec_b32 s0, s0
	s_cbranch_execz .LBB98_614
; %bb.613:
	v_div_scale_f64 v[107:108], null, v[0:1], v[0:1], 1.0
	v_rcp_f64_e32 v[116:117], v[107:108]
	v_fma_f64 v[118:119], -v[107:108], v[116:117], 1.0
	v_fma_f64 v[116:117], v[116:117], v[118:119], v[116:117]
	v_fma_f64 v[118:119], -v[107:108], v[116:117], 1.0
	v_fma_f64 v[116:117], v[116:117], v[118:119], v[116:117]
	v_div_scale_f64 v[118:119], vcc_lo, 1.0, v[0:1], 1.0
	v_mul_f64 v[120:121], v[118:119], v[116:117]
	v_fma_f64 v[107:108], -v[107:108], v[120:121], v[118:119]
	v_div_fmas_f64 v[107:108], v[107:108], v[116:117], v[120:121]
	v_div_fixup_f64 v[0:1], v[107:108], v[0:1], 1.0
.LBB98_614:
	s_or_b32 exec_lo, exec_lo, s0
	s_mov_b32 s0, exec_lo
	v_cmpx_ne_u32_e64 v115, v106
	s_xor_b32 s0, exec_lo, s0
	s_cbranch_execz .LBB98_620
; %bb.615:
	s_mov_b32 s1, exec_lo
	v_cmpx_eq_u32_e32 36, v115
	s_cbranch_execz .LBB98_619
; %bb.616:
	v_cmp_ne_u32_e32 vcc_lo, 36, v106
	s_xor_b32 s2, s6, -1
	s_and_b32 s3, s2, vcc_lo
	s_and_saveexec_b32 s2, s3
	s_cbranch_execz .LBB98_618
; %bb.617:
	v_ashrrev_i32_e32 v107, 31, v106
	v_lshlrev_b64 v[107:108], 2, v[106:107]
	v_add_co_u32 v107, vcc_lo, v4, v107
	v_add_co_ci_u32_e64 v108, null, v5, v108, vcc_lo
	s_clause 0x1
	global_load_dword v114, v[107:108], off
	global_load_dword v115, v[4:5], off offset:144
	s_waitcnt vmcnt(1)
	global_store_dword v[4:5], v114, off offset:144
	s_waitcnt vmcnt(0)
	global_store_dword v[107:108], v115, off
.LBB98_618:
	s_or_b32 exec_lo, exec_lo, s2
	v_mov_b32_e32 v114, v106
	v_mov_b32_e32 v115, v106
.LBB98_619:
	s_or_b32 exec_lo, exec_lo, s1
.LBB98_620:
	s_andn2_saveexec_b32 s0, s0
	s_cbranch_execz .LBB98_622
; %bb.621:
	v_mov_b32_e32 v115, 36
	ds_write2_b64 v112, v[28:29], v[26:27] offset0:37 offset1:38
	ds_write2_b64 v112, v[24:25], v[22:23] offset0:39 offset1:40
	;; [unrolled: 1-line block ×6, first 2 shown]
	ds_write_b64 v112, v[104:105] offset:392
.LBB98_622:
	s_or_b32 exec_lo, exec_lo, s0
	s_mov_b32 s0, exec_lo
	s_waitcnt lgkmcnt(0)
	s_waitcnt_vscnt null, 0x0
	s_barrier
	buffer_gl0_inv
	v_cmpx_lt_i32_e32 36, v115
	s_cbranch_execz .LBB98_624
; %bb.623:
	v_mul_f64 v[30:31], v[0:1], v[30:31]
	ds_read2_b64 v[116:119], v112 offset0:37 offset1:38
	ds_read2_b64 v[120:123], v112 offset0:39 offset1:40
	;; [unrolled: 1-line block ×6, first 2 shown]
	ds_read_b64 v[0:1], v112 offset:392
	s_waitcnt lgkmcnt(6)
	v_fma_f64 v[28:29], -v[30:31], v[116:117], v[28:29]
	v_fma_f64 v[26:27], -v[30:31], v[118:119], v[26:27]
	s_waitcnt lgkmcnt(5)
	v_fma_f64 v[24:25], -v[30:31], v[120:121], v[24:25]
	v_fma_f64 v[22:23], -v[30:31], v[122:123], v[22:23]
	;; [unrolled: 3-line block ×6, first 2 shown]
	s_waitcnt lgkmcnt(0)
	v_fma_f64 v[104:105], -v[30:31], v[0:1], v[104:105]
.LBB98_624:
	s_or_b32 exec_lo, exec_lo, s0
	v_lshl_add_u32 v0, v115, 3, v112
	s_barrier
	buffer_gl0_inv
	v_mov_b32_e32 v106, 37
	ds_write_b64 v0, v[28:29]
	s_waitcnt lgkmcnt(0)
	s_barrier
	buffer_gl0_inv
	ds_read_b64 v[0:1], v112 offset:296
	s_cmp_lt_i32 s7, 39
	s_cbranch_scc1 .LBB98_627
; %bb.625:
	v_add3_u32 v107, v113, 0, 0x130
	v_mov_b32_e32 v106, 37
	s_mov_b32 s0, 38
.LBB98_626:                             ; =>This Inner Loop Header: Depth=1
	ds_read_b64 v[116:117], v107
	v_add_nc_u32_e32 v107, 8, v107
	s_waitcnt lgkmcnt(0)
	v_cmp_lt_f64_e64 vcc_lo, |v[0:1]|, |v[116:117]|
	v_cndmask_b32_e32 v1, v1, v117, vcc_lo
	v_cndmask_b32_e32 v0, v0, v116, vcc_lo
	v_cndmask_b32_e64 v106, v106, s0, vcc_lo
	s_add_i32 s0, s0, 1
	s_cmp_lg_u32 s7, s0
	s_cbranch_scc1 .LBB98_626
.LBB98_627:
	s_mov_b32 s0, exec_lo
	s_waitcnt lgkmcnt(0)
	v_cmpx_eq_f64_e32 0, v[0:1]
	s_xor_b32 s0, exec_lo, s0
; %bb.628:
	v_cmp_ne_u32_e32 vcc_lo, 0, v109
	v_cndmask_b32_e32 v109, 38, v109, vcc_lo
; %bb.629:
	s_andn2_saveexec_b32 s0, s0
	s_cbranch_execz .LBB98_631
; %bb.630:
	v_div_scale_f64 v[107:108], null, v[0:1], v[0:1], 1.0
	v_rcp_f64_e32 v[116:117], v[107:108]
	v_fma_f64 v[118:119], -v[107:108], v[116:117], 1.0
	v_fma_f64 v[116:117], v[116:117], v[118:119], v[116:117]
	v_fma_f64 v[118:119], -v[107:108], v[116:117], 1.0
	v_fma_f64 v[116:117], v[116:117], v[118:119], v[116:117]
	v_div_scale_f64 v[118:119], vcc_lo, 1.0, v[0:1], 1.0
	v_mul_f64 v[120:121], v[118:119], v[116:117]
	v_fma_f64 v[107:108], -v[107:108], v[120:121], v[118:119]
	v_div_fmas_f64 v[107:108], v[107:108], v[116:117], v[120:121]
	v_div_fixup_f64 v[0:1], v[107:108], v[0:1], 1.0
.LBB98_631:
	s_or_b32 exec_lo, exec_lo, s0
	s_mov_b32 s0, exec_lo
	v_cmpx_ne_u32_e64 v115, v106
	s_xor_b32 s0, exec_lo, s0
	s_cbranch_execz .LBB98_637
; %bb.632:
	s_mov_b32 s1, exec_lo
	v_cmpx_eq_u32_e32 37, v115
	s_cbranch_execz .LBB98_636
; %bb.633:
	v_cmp_ne_u32_e32 vcc_lo, 37, v106
	s_xor_b32 s2, s6, -1
	s_and_b32 s3, s2, vcc_lo
	s_and_saveexec_b32 s2, s3
	s_cbranch_execz .LBB98_635
; %bb.634:
	v_ashrrev_i32_e32 v107, 31, v106
	v_lshlrev_b64 v[107:108], 2, v[106:107]
	v_add_co_u32 v107, vcc_lo, v4, v107
	v_add_co_ci_u32_e64 v108, null, v5, v108, vcc_lo
	s_clause 0x1
	global_load_dword v114, v[107:108], off
	global_load_dword v115, v[4:5], off offset:148
	s_waitcnt vmcnt(1)
	global_store_dword v[4:5], v114, off offset:148
	s_waitcnt vmcnt(0)
	global_store_dword v[107:108], v115, off
.LBB98_635:
	s_or_b32 exec_lo, exec_lo, s2
	v_mov_b32_e32 v114, v106
	v_mov_b32_e32 v115, v106
.LBB98_636:
	s_or_b32 exec_lo, exec_lo, s1
.LBB98_637:
	s_andn2_saveexec_b32 s0, s0
	s_cbranch_execz .LBB98_639
; %bb.638:
	v_mov_b32_e32 v106, v26
	v_mov_b32_e32 v107, v27
	;; [unrolled: 1-line block ×8, first 2 shown]
	ds_write2_b64 v112, v[106:107], v[115:116] offset0:38 offset1:39
	ds_write2_b64 v112, v[117:118], v[119:120] offset0:40 offset1:41
	v_mov_b32_e32 v106, v20
	v_mov_b32_e32 v107, v21
	;; [unrolled: 1-line block ×15, first 2 shown]
	ds_write2_b64 v112, v[106:107], v[116:117] offset0:42 offset1:43
	ds_write2_b64 v112, v[118:119], v[120:121] offset0:44 offset1:45
	;; [unrolled: 1-line block ×4, first 2 shown]
.LBB98_639:
	s_or_b32 exec_lo, exec_lo, s0
	s_mov_b32 s0, exec_lo
	s_waitcnt lgkmcnt(0)
	s_waitcnt_vscnt null, 0x0
	s_barrier
	buffer_gl0_inv
	v_cmpx_lt_i32_e32 37, v115
	s_cbranch_execz .LBB98_641
; %bb.640:
	v_mul_f64 v[28:29], v[0:1], v[28:29]
	ds_read2_b64 v[116:119], v112 offset0:38 offset1:39
	ds_read2_b64 v[120:123], v112 offset0:40 offset1:41
	ds_read2_b64 v[124:127], v112 offset0:42 offset1:43
	ds_read2_b64 v[128:131], v112 offset0:44 offset1:45
	ds_read2_b64 v[132:135], v112 offset0:46 offset1:47
	ds_read2_b64 v[136:139], v112 offset0:48 offset1:49
	s_waitcnt lgkmcnt(5)
	v_fma_f64 v[26:27], -v[28:29], v[116:117], v[26:27]
	v_fma_f64 v[24:25], -v[28:29], v[118:119], v[24:25]
	s_waitcnt lgkmcnt(4)
	v_fma_f64 v[22:23], -v[28:29], v[120:121], v[22:23]
	v_fma_f64 v[18:19], -v[28:29], v[122:123], v[18:19]
	;; [unrolled: 3-line block ×6, first 2 shown]
.LBB98_641:
	s_or_b32 exec_lo, exec_lo, s0
	v_lshl_add_u32 v0, v115, 3, v112
	s_barrier
	buffer_gl0_inv
	v_mov_b32_e32 v106, 38
	ds_write_b64 v0, v[26:27]
	s_waitcnt lgkmcnt(0)
	s_barrier
	buffer_gl0_inv
	ds_read_b64 v[0:1], v112 offset:304
	s_cmp_lt_i32 s7, 40
	s_cbranch_scc1 .LBB98_644
; %bb.642:
	v_add3_u32 v107, v113, 0, 0x138
	v_mov_b32_e32 v106, 38
	s_mov_b32 s0, 39
.LBB98_643:                             ; =>This Inner Loop Header: Depth=1
	ds_read_b64 v[116:117], v107
	v_add_nc_u32_e32 v107, 8, v107
	s_waitcnt lgkmcnt(0)
	v_cmp_lt_f64_e64 vcc_lo, |v[0:1]|, |v[116:117]|
	v_cndmask_b32_e32 v1, v1, v117, vcc_lo
	v_cndmask_b32_e32 v0, v0, v116, vcc_lo
	v_cndmask_b32_e64 v106, v106, s0, vcc_lo
	s_add_i32 s0, s0, 1
	s_cmp_lg_u32 s7, s0
	s_cbranch_scc1 .LBB98_643
.LBB98_644:
	s_mov_b32 s0, exec_lo
	s_waitcnt lgkmcnt(0)
	v_cmpx_eq_f64_e32 0, v[0:1]
	s_xor_b32 s0, exec_lo, s0
; %bb.645:
	v_cmp_ne_u32_e32 vcc_lo, 0, v109
	v_cndmask_b32_e32 v109, 39, v109, vcc_lo
; %bb.646:
	s_andn2_saveexec_b32 s0, s0
	s_cbranch_execz .LBB98_648
; %bb.647:
	v_div_scale_f64 v[107:108], null, v[0:1], v[0:1], 1.0
	v_rcp_f64_e32 v[116:117], v[107:108]
	v_fma_f64 v[118:119], -v[107:108], v[116:117], 1.0
	v_fma_f64 v[116:117], v[116:117], v[118:119], v[116:117]
	v_fma_f64 v[118:119], -v[107:108], v[116:117], 1.0
	v_fma_f64 v[116:117], v[116:117], v[118:119], v[116:117]
	v_div_scale_f64 v[118:119], vcc_lo, 1.0, v[0:1], 1.0
	v_mul_f64 v[120:121], v[118:119], v[116:117]
	v_fma_f64 v[107:108], -v[107:108], v[120:121], v[118:119]
	v_div_fmas_f64 v[107:108], v[107:108], v[116:117], v[120:121]
	v_div_fixup_f64 v[0:1], v[107:108], v[0:1], 1.0
.LBB98_648:
	s_or_b32 exec_lo, exec_lo, s0
	s_mov_b32 s0, exec_lo
	v_cmpx_ne_u32_e64 v115, v106
	s_xor_b32 s0, exec_lo, s0
	s_cbranch_execz .LBB98_654
; %bb.649:
	s_mov_b32 s1, exec_lo
	v_cmpx_eq_u32_e32 38, v115
	s_cbranch_execz .LBB98_653
; %bb.650:
	v_cmp_ne_u32_e32 vcc_lo, 38, v106
	s_xor_b32 s2, s6, -1
	s_and_b32 s3, s2, vcc_lo
	s_and_saveexec_b32 s2, s3
	s_cbranch_execz .LBB98_652
; %bb.651:
	v_ashrrev_i32_e32 v107, 31, v106
	v_lshlrev_b64 v[107:108], 2, v[106:107]
	v_add_co_u32 v107, vcc_lo, v4, v107
	v_add_co_ci_u32_e64 v108, null, v5, v108, vcc_lo
	s_clause 0x1
	global_load_dword v114, v[107:108], off
	global_load_dword v115, v[4:5], off offset:152
	s_waitcnt vmcnt(1)
	global_store_dword v[4:5], v114, off offset:152
	s_waitcnt vmcnt(0)
	global_store_dword v[107:108], v115, off
.LBB98_652:
	s_or_b32 exec_lo, exec_lo, s2
	v_mov_b32_e32 v114, v106
	v_mov_b32_e32 v115, v106
.LBB98_653:
	s_or_b32 exec_lo, exec_lo, s1
.LBB98_654:
	s_andn2_saveexec_b32 s0, s0
	s_cbranch_execz .LBB98_656
; %bb.655:
	v_mov_b32_e32 v115, 38
	ds_write2_b64 v112, v[24:25], v[22:23] offset0:39 offset1:40
	ds_write2_b64 v112, v[18:19], v[20:21] offset0:41 offset1:42
	;; [unrolled: 1-line block ×5, first 2 shown]
	ds_write_b64 v112, v[104:105] offset:392
.LBB98_656:
	s_or_b32 exec_lo, exec_lo, s0
	s_mov_b32 s0, exec_lo
	s_waitcnt lgkmcnt(0)
	s_waitcnt_vscnt null, 0x0
	s_barrier
	buffer_gl0_inv
	v_cmpx_lt_i32_e32 38, v115
	s_cbranch_execz .LBB98_658
; %bb.657:
	v_mul_f64 v[26:27], v[0:1], v[26:27]
	ds_read2_b64 v[116:119], v112 offset0:39 offset1:40
	ds_read2_b64 v[120:123], v112 offset0:41 offset1:42
	;; [unrolled: 1-line block ×5, first 2 shown]
	ds_read_b64 v[0:1], v112 offset:392
	s_waitcnt lgkmcnt(5)
	v_fma_f64 v[24:25], -v[26:27], v[116:117], v[24:25]
	v_fma_f64 v[22:23], -v[26:27], v[118:119], v[22:23]
	s_waitcnt lgkmcnt(4)
	v_fma_f64 v[18:19], -v[26:27], v[120:121], v[18:19]
	v_fma_f64 v[20:21], -v[26:27], v[122:123], v[20:21]
	;; [unrolled: 3-line block ×5, first 2 shown]
	s_waitcnt lgkmcnt(0)
	v_fma_f64 v[104:105], -v[26:27], v[0:1], v[104:105]
.LBB98_658:
	s_or_b32 exec_lo, exec_lo, s0
	v_lshl_add_u32 v0, v115, 3, v112
	s_barrier
	buffer_gl0_inv
	v_mov_b32_e32 v106, 39
	ds_write_b64 v0, v[24:25]
	s_waitcnt lgkmcnt(0)
	s_barrier
	buffer_gl0_inv
	ds_read_b64 v[0:1], v112 offset:312
	s_cmp_lt_i32 s7, 41
	s_cbranch_scc1 .LBB98_661
; %bb.659:
	v_add3_u32 v107, v113, 0, 0x140
	v_mov_b32_e32 v106, 39
	s_mov_b32 s0, 40
.LBB98_660:                             ; =>This Inner Loop Header: Depth=1
	ds_read_b64 v[116:117], v107
	v_add_nc_u32_e32 v107, 8, v107
	s_waitcnt lgkmcnt(0)
	v_cmp_lt_f64_e64 vcc_lo, |v[0:1]|, |v[116:117]|
	v_cndmask_b32_e32 v1, v1, v117, vcc_lo
	v_cndmask_b32_e32 v0, v0, v116, vcc_lo
	v_cndmask_b32_e64 v106, v106, s0, vcc_lo
	s_add_i32 s0, s0, 1
	s_cmp_lg_u32 s7, s0
	s_cbranch_scc1 .LBB98_660
.LBB98_661:
	s_mov_b32 s0, exec_lo
	s_waitcnt lgkmcnt(0)
	v_cmpx_eq_f64_e32 0, v[0:1]
	s_xor_b32 s0, exec_lo, s0
; %bb.662:
	v_cmp_ne_u32_e32 vcc_lo, 0, v109
	v_cndmask_b32_e32 v109, 40, v109, vcc_lo
; %bb.663:
	s_andn2_saveexec_b32 s0, s0
	s_cbranch_execz .LBB98_665
; %bb.664:
	v_div_scale_f64 v[107:108], null, v[0:1], v[0:1], 1.0
	v_rcp_f64_e32 v[116:117], v[107:108]
	v_fma_f64 v[118:119], -v[107:108], v[116:117], 1.0
	v_fma_f64 v[116:117], v[116:117], v[118:119], v[116:117]
	v_fma_f64 v[118:119], -v[107:108], v[116:117], 1.0
	v_fma_f64 v[116:117], v[116:117], v[118:119], v[116:117]
	v_div_scale_f64 v[118:119], vcc_lo, 1.0, v[0:1], 1.0
	v_mul_f64 v[120:121], v[118:119], v[116:117]
	v_fma_f64 v[107:108], -v[107:108], v[120:121], v[118:119]
	v_div_fmas_f64 v[107:108], v[107:108], v[116:117], v[120:121]
	v_div_fixup_f64 v[0:1], v[107:108], v[0:1], 1.0
.LBB98_665:
	s_or_b32 exec_lo, exec_lo, s0
	s_mov_b32 s0, exec_lo
	v_cmpx_ne_u32_e64 v115, v106
	s_xor_b32 s0, exec_lo, s0
	s_cbranch_execz .LBB98_671
; %bb.666:
	s_mov_b32 s1, exec_lo
	v_cmpx_eq_u32_e32 39, v115
	s_cbranch_execz .LBB98_670
; %bb.667:
	v_cmp_ne_u32_e32 vcc_lo, 39, v106
	s_xor_b32 s2, s6, -1
	s_and_b32 s3, s2, vcc_lo
	s_and_saveexec_b32 s2, s3
	s_cbranch_execz .LBB98_669
; %bb.668:
	v_ashrrev_i32_e32 v107, 31, v106
	v_lshlrev_b64 v[107:108], 2, v[106:107]
	v_add_co_u32 v107, vcc_lo, v4, v107
	v_add_co_ci_u32_e64 v108, null, v5, v108, vcc_lo
	s_clause 0x1
	global_load_dword v114, v[107:108], off
	global_load_dword v115, v[4:5], off offset:156
	s_waitcnt vmcnt(1)
	global_store_dword v[4:5], v114, off offset:156
	s_waitcnt vmcnt(0)
	global_store_dword v[107:108], v115, off
.LBB98_669:
	s_or_b32 exec_lo, exec_lo, s2
	v_mov_b32_e32 v114, v106
	v_mov_b32_e32 v115, v106
.LBB98_670:
	s_or_b32 exec_lo, exec_lo, s1
.LBB98_671:
	s_andn2_saveexec_b32 s0, s0
	s_cbranch_execz .LBB98_673
; %bb.672:
	v_mov_b32_e32 v106, v22
	v_mov_b32_e32 v107, v23
	;; [unrolled: 1-line block ×8, first 2 shown]
	ds_write2_b64 v112, v[106:107], v[115:116] offset0:40 offset1:41
	v_mov_b32_e32 v106, v16
	v_mov_b32_e32 v107, v17
	;; [unrolled: 1-line block ×11, first 2 shown]
	ds_write2_b64 v112, v[117:118], v[106:107] offset0:42 offset1:43
	ds_write2_b64 v112, v[119:120], v[121:122] offset0:44 offset1:45
	;; [unrolled: 1-line block ×4, first 2 shown]
.LBB98_673:
	s_or_b32 exec_lo, exec_lo, s0
	s_mov_b32 s0, exec_lo
	s_waitcnt lgkmcnt(0)
	s_waitcnt_vscnt null, 0x0
	s_barrier
	buffer_gl0_inv
	v_cmpx_lt_i32_e32 39, v115
	s_cbranch_execz .LBB98_675
; %bb.674:
	v_mul_f64 v[24:25], v[0:1], v[24:25]
	ds_read2_b64 v[116:119], v112 offset0:40 offset1:41
	ds_read2_b64 v[120:123], v112 offset0:42 offset1:43
	;; [unrolled: 1-line block ×5, first 2 shown]
	s_waitcnt lgkmcnt(4)
	v_fma_f64 v[22:23], -v[24:25], v[116:117], v[22:23]
	v_fma_f64 v[18:19], -v[24:25], v[118:119], v[18:19]
	s_waitcnt lgkmcnt(3)
	v_fma_f64 v[20:21], -v[24:25], v[120:121], v[20:21]
	v_fma_f64 v[16:17], -v[24:25], v[122:123], v[16:17]
	s_waitcnt lgkmcnt(2)
	v_fma_f64 v[14:15], -v[24:25], v[124:125], v[14:15]
	v_fma_f64 v[8:9], -v[24:25], v[126:127], v[8:9]
	s_waitcnt lgkmcnt(1)
	v_fma_f64 v[12:13], -v[24:25], v[128:129], v[12:13]
	v_fma_f64 v[6:7], -v[24:25], v[130:131], v[6:7]
	s_waitcnt lgkmcnt(0)
	v_fma_f64 v[10:11], -v[24:25], v[132:133], v[10:11]
	v_fma_f64 v[104:105], -v[24:25], v[134:135], v[104:105]
.LBB98_675:
	s_or_b32 exec_lo, exec_lo, s0
	v_lshl_add_u32 v0, v115, 3, v112
	s_barrier
	buffer_gl0_inv
	v_mov_b32_e32 v106, 40
	ds_write_b64 v0, v[22:23]
	s_waitcnt lgkmcnt(0)
	s_barrier
	buffer_gl0_inv
	ds_read_b64 v[0:1], v112 offset:320
	s_cmp_lt_i32 s7, 42
	s_cbranch_scc1 .LBB98_678
; %bb.676:
	v_add3_u32 v107, v113, 0, 0x148
	v_mov_b32_e32 v106, 40
	s_mov_b32 s0, 41
.LBB98_677:                             ; =>This Inner Loop Header: Depth=1
	ds_read_b64 v[116:117], v107
	v_add_nc_u32_e32 v107, 8, v107
	s_waitcnt lgkmcnt(0)
	v_cmp_lt_f64_e64 vcc_lo, |v[0:1]|, |v[116:117]|
	v_cndmask_b32_e32 v1, v1, v117, vcc_lo
	v_cndmask_b32_e32 v0, v0, v116, vcc_lo
	v_cndmask_b32_e64 v106, v106, s0, vcc_lo
	s_add_i32 s0, s0, 1
	s_cmp_lg_u32 s7, s0
	s_cbranch_scc1 .LBB98_677
.LBB98_678:
	s_mov_b32 s0, exec_lo
	s_waitcnt lgkmcnt(0)
	v_cmpx_eq_f64_e32 0, v[0:1]
	s_xor_b32 s0, exec_lo, s0
; %bb.679:
	v_cmp_ne_u32_e32 vcc_lo, 0, v109
	v_cndmask_b32_e32 v109, 41, v109, vcc_lo
; %bb.680:
	s_andn2_saveexec_b32 s0, s0
	s_cbranch_execz .LBB98_682
; %bb.681:
	v_div_scale_f64 v[107:108], null, v[0:1], v[0:1], 1.0
	v_rcp_f64_e32 v[116:117], v[107:108]
	v_fma_f64 v[118:119], -v[107:108], v[116:117], 1.0
	v_fma_f64 v[116:117], v[116:117], v[118:119], v[116:117]
	v_fma_f64 v[118:119], -v[107:108], v[116:117], 1.0
	v_fma_f64 v[116:117], v[116:117], v[118:119], v[116:117]
	v_div_scale_f64 v[118:119], vcc_lo, 1.0, v[0:1], 1.0
	v_mul_f64 v[120:121], v[118:119], v[116:117]
	v_fma_f64 v[107:108], -v[107:108], v[120:121], v[118:119]
	v_div_fmas_f64 v[107:108], v[107:108], v[116:117], v[120:121]
	v_div_fixup_f64 v[0:1], v[107:108], v[0:1], 1.0
.LBB98_682:
	s_or_b32 exec_lo, exec_lo, s0
	s_mov_b32 s0, exec_lo
	v_cmpx_ne_u32_e64 v115, v106
	s_xor_b32 s0, exec_lo, s0
	s_cbranch_execz .LBB98_688
; %bb.683:
	s_mov_b32 s1, exec_lo
	v_cmpx_eq_u32_e32 40, v115
	s_cbranch_execz .LBB98_687
; %bb.684:
	v_cmp_ne_u32_e32 vcc_lo, 40, v106
	s_xor_b32 s2, s6, -1
	s_and_b32 s3, s2, vcc_lo
	s_and_saveexec_b32 s2, s3
	s_cbranch_execz .LBB98_686
; %bb.685:
	v_ashrrev_i32_e32 v107, 31, v106
	v_lshlrev_b64 v[107:108], 2, v[106:107]
	v_add_co_u32 v107, vcc_lo, v4, v107
	v_add_co_ci_u32_e64 v108, null, v5, v108, vcc_lo
	s_clause 0x1
	global_load_dword v114, v[107:108], off
	global_load_dword v115, v[4:5], off offset:160
	s_waitcnt vmcnt(1)
	global_store_dword v[4:5], v114, off offset:160
	s_waitcnt vmcnt(0)
	global_store_dword v[107:108], v115, off
.LBB98_686:
	s_or_b32 exec_lo, exec_lo, s2
	v_mov_b32_e32 v114, v106
	v_mov_b32_e32 v115, v106
.LBB98_687:
	s_or_b32 exec_lo, exec_lo, s1
.LBB98_688:
	s_andn2_saveexec_b32 s0, s0
	s_cbranch_execz .LBB98_690
; %bb.689:
	v_mov_b32_e32 v115, 40
	ds_write2_b64 v112, v[18:19], v[20:21] offset0:41 offset1:42
	ds_write2_b64 v112, v[16:17], v[14:15] offset0:43 offset1:44
	;; [unrolled: 1-line block ×4, first 2 shown]
	ds_write_b64 v112, v[104:105] offset:392
.LBB98_690:
	s_or_b32 exec_lo, exec_lo, s0
	s_mov_b32 s0, exec_lo
	s_waitcnt lgkmcnt(0)
	s_waitcnt_vscnt null, 0x0
	s_barrier
	buffer_gl0_inv
	v_cmpx_lt_i32_e32 40, v115
	s_cbranch_execz .LBB98_692
; %bb.691:
	v_mul_f64 v[22:23], v[0:1], v[22:23]
	ds_read2_b64 v[116:119], v112 offset0:41 offset1:42
	ds_read2_b64 v[120:123], v112 offset0:43 offset1:44
	ds_read2_b64 v[124:127], v112 offset0:45 offset1:46
	ds_read2_b64 v[128:131], v112 offset0:47 offset1:48
	ds_read_b64 v[0:1], v112 offset:392
	s_waitcnt lgkmcnt(4)
	v_fma_f64 v[18:19], -v[22:23], v[116:117], v[18:19]
	v_fma_f64 v[20:21], -v[22:23], v[118:119], v[20:21]
	s_waitcnt lgkmcnt(3)
	v_fma_f64 v[16:17], -v[22:23], v[120:121], v[16:17]
	v_fma_f64 v[14:15], -v[22:23], v[122:123], v[14:15]
	;; [unrolled: 3-line block ×4, first 2 shown]
	s_waitcnt lgkmcnt(0)
	v_fma_f64 v[104:105], -v[22:23], v[0:1], v[104:105]
.LBB98_692:
	s_or_b32 exec_lo, exec_lo, s0
	v_lshl_add_u32 v0, v115, 3, v112
	s_barrier
	buffer_gl0_inv
	v_mov_b32_e32 v106, 41
	ds_write_b64 v0, v[18:19]
	s_waitcnt lgkmcnt(0)
	s_barrier
	buffer_gl0_inv
	ds_read_b64 v[0:1], v112 offset:328
	s_cmp_lt_i32 s7, 43
	s_cbranch_scc1 .LBB98_695
; %bb.693:
	v_add3_u32 v107, v113, 0, 0x150
	v_mov_b32_e32 v106, 41
	s_mov_b32 s0, 42
.LBB98_694:                             ; =>This Inner Loop Header: Depth=1
	ds_read_b64 v[116:117], v107
	v_add_nc_u32_e32 v107, 8, v107
	s_waitcnt lgkmcnt(0)
	v_cmp_lt_f64_e64 vcc_lo, |v[0:1]|, |v[116:117]|
	v_cndmask_b32_e32 v1, v1, v117, vcc_lo
	v_cndmask_b32_e32 v0, v0, v116, vcc_lo
	v_cndmask_b32_e64 v106, v106, s0, vcc_lo
	s_add_i32 s0, s0, 1
	s_cmp_lg_u32 s7, s0
	s_cbranch_scc1 .LBB98_694
.LBB98_695:
	s_mov_b32 s0, exec_lo
	s_waitcnt lgkmcnt(0)
	v_cmpx_eq_f64_e32 0, v[0:1]
	s_xor_b32 s0, exec_lo, s0
; %bb.696:
	v_cmp_ne_u32_e32 vcc_lo, 0, v109
	v_cndmask_b32_e32 v109, 42, v109, vcc_lo
; %bb.697:
	s_andn2_saveexec_b32 s0, s0
	s_cbranch_execz .LBB98_699
; %bb.698:
	v_div_scale_f64 v[107:108], null, v[0:1], v[0:1], 1.0
	v_rcp_f64_e32 v[116:117], v[107:108]
	v_fma_f64 v[118:119], -v[107:108], v[116:117], 1.0
	v_fma_f64 v[116:117], v[116:117], v[118:119], v[116:117]
	v_fma_f64 v[118:119], -v[107:108], v[116:117], 1.0
	v_fma_f64 v[116:117], v[116:117], v[118:119], v[116:117]
	v_div_scale_f64 v[118:119], vcc_lo, 1.0, v[0:1], 1.0
	v_mul_f64 v[120:121], v[118:119], v[116:117]
	v_fma_f64 v[107:108], -v[107:108], v[120:121], v[118:119]
	v_div_fmas_f64 v[107:108], v[107:108], v[116:117], v[120:121]
	v_div_fixup_f64 v[0:1], v[107:108], v[0:1], 1.0
.LBB98_699:
	s_or_b32 exec_lo, exec_lo, s0
	s_mov_b32 s0, exec_lo
	v_cmpx_ne_u32_e64 v115, v106
	s_xor_b32 s0, exec_lo, s0
	s_cbranch_execz .LBB98_705
; %bb.700:
	s_mov_b32 s1, exec_lo
	v_cmpx_eq_u32_e32 41, v115
	s_cbranch_execz .LBB98_704
; %bb.701:
	v_cmp_ne_u32_e32 vcc_lo, 41, v106
	s_xor_b32 s2, s6, -1
	s_and_b32 s3, s2, vcc_lo
	s_and_saveexec_b32 s2, s3
	s_cbranch_execz .LBB98_703
; %bb.702:
	v_ashrrev_i32_e32 v107, 31, v106
	v_lshlrev_b64 v[107:108], 2, v[106:107]
	v_add_co_u32 v107, vcc_lo, v4, v107
	v_add_co_ci_u32_e64 v108, null, v5, v108, vcc_lo
	s_clause 0x1
	global_load_dword v114, v[107:108], off
	global_load_dword v115, v[4:5], off offset:164
	s_waitcnt vmcnt(1)
	global_store_dword v[4:5], v114, off offset:164
	s_waitcnt vmcnt(0)
	global_store_dword v[107:108], v115, off
.LBB98_703:
	s_or_b32 exec_lo, exec_lo, s2
	v_mov_b32_e32 v114, v106
	v_mov_b32_e32 v115, v106
.LBB98_704:
	s_or_b32 exec_lo, exec_lo, s1
.LBB98_705:
	s_andn2_saveexec_b32 s0, s0
	s_cbranch_execz .LBB98_707
; %bb.706:
	v_mov_b32_e32 v106, v20
	v_mov_b32_e32 v107, v21
	;; [unrolled: 1-line block ×15, first 2 shown]
	ds_write2_b64 v112, v[106:107], v[116:117] offset0:42 offset1:43
	ds_write2_b64 v112, v[118:119], v[120:121] offset0:44 offset1:45
	;; [unrolled: 1-line block ×4, first 2 shown]
.LBB98_707:
	s_or_b32 exec_lo, exec_lo, s0
	s_mov_b32 s0, exec_lo
	s_waitcnt lgkmcnt(0)
	s_waitcnt_vscnt null, 0x0
	s_barrier
	buffer_gl0_inv
	v_cmpx_lt_i32_e32 41, v115
	s_cbranch_execz .LBB98_709
; %bb.708:
	v_mul_f64 v[18:19], v[0:1], v[18:19]
	ds_read2_b64 v[116:119], v112 offset0:42 offset1:43
	ds_read2_b64 v[120:123], v112 offset0:44 offset1:45
	;; [unrolled: 1-line block ×4, first 2 shown]
	s_waitcnt lgkmcnt(3)
	v_fma_f64 v[20:21], -v[18:19], v[116:117], v[20:21]
	v_fma_f64 v[16:17], -v[18:19], v[118:119], v[16:17]
	s_waitcnt lgkmcnt(2)
	v_fma_f64 v[14:15], -v[18:19], v[120:121], v[14:15]
	v_fma_f64 v[8:9], -v[18:19], v[122:123], v[8:9]
	;; [unrolled: 3-line block ×4, first 2 shown]
.LBB98_709:
	s_or_b32 exec_lo, exec_lo, s0
	v_lshl_add_u32 v0, v115, 3, v112
	s_barrier
	buffer_gl0_inv
	v_mov_b32_e32 v106, 42
	ds_write_b64 v0, v[20:21]
	s_waitcnt lgkmcnt(0)
	s_barrier
	buffer_gl0_inv
	ds_read_b64 v[0:1], v112 offset:336
	s_cmp_lt_i32 s7, 44
	s_cbranch_scc1 .LBB98_712
; %bb.710:
	v_add3_u32 v107, v113, 0, 0x158
	v_mov_b32_e32 v106, 42
	s_mov_b32 s0, 43
.LBB98_711:                             ; =>This Inner Loop Header: Depth=1
	ds_read_b64 v[116:117], v107
	v_add_nc_u32_e32 v107, 8, v107
	s_waitcnt lgkmcnt(0)
	v_cmp_lt_f64_e64 vcc_lo, |v[0:1]|, |v[116:117]|
	v_cndmask_b32_e32 v1, v1, v117, vcc_lo
	v_cndmask_b32_e32 v0, v0, v116, vcc_lo
	v_cndmask_b32_e64 v106, v106, s0, vcc_lo
	s_add_i32 s0, s0, 1
	s_cmp_lg_u32 s7, s0
	s_cbranch_scc1 .LBB98_711
.LBB98_712:
	s_mov_b32 s0, exec_lo
	s_waitcnt lgkmcnt(0)
	v_cmpx_eq_f64_e32 0, v[0:1]
	s_xor_b32 s0, exec_lo, s0
; %bb.713:
	v_cmp_ne_u32_e32 vcc_lo, 0, v109
	v_cndmask_b32_e32 v109, 43, v109, vcc_lo
; %bb.714:
	s_andn2_saveexec_b32 s0, s0
	s_cbranch_execz .LBB98_716
; %bb.715:
	v_div_scale_f64 v[107:108], null, v[0:1], v[0:1], 1.0
	v_rcp_f64_e32 v[116:117], v[107:108]
	v_fma_f64 v[118:119], -v[107:108], v[116:117], 1.0
	v_fma_f64 v[116:117], v[116:117], v[118:119], v[116:117]
	v_fma_f64 v[118:119], -v[107:108], v[116:117], 1.0
	v_fma_f64 v[116:117], v[116:117], v[118:119], v[116:117]
	v_div_scale_f64 v[118:119], vcc_lo, 1.0, v[0:1], 1.0
	v_mul_f64 v[120:121], v[118:119], v[116:117]
	v_fma_f64 v[107:108], -v[107:108], v[120:121], v[118:119]
	v_div_fmas_f64 v[107:108], v[107:108], v[116:117], v[120:121]
	v_div_fixup_f64 v[0:1], v[107:108], v[0:1], 1.0
.LBB98_716:
	s_or_b32 exec_lo, exec_lo, s0
	s_mov_b32 s0, exec_lo
	v_cmpx_ne_u32_e64 v115, v106
	s_xor_b32 s0, exec_lo, s0
	s_cbranch_execz .LBB98_722
; %bb.717:
	s_mov_b32 s1, exec_lo
	v_cmpx_eq_u32_e32 42, v115
	s_cbranch_execz .LBB98_721
; %bb.718:
	v_cmp_ne_u32_e32 vcc_lo, 42, v106
	s_xor_b32 s2, s6, -1
	s_and_b32 s3, s2, vcc_lo
	s_and_saveexec_b32 s2, s3
	s_cbranch_execz .LBB98_720
; %bb.719:
	v_ashrrev_i32_e32 v107, 31, v106
	v_lshlrev_b64 v[107:108], 2, v[106:107]
	v_add_co_u32 v107, vcc_lo, v4, v107
	v_add_co_ci_u32_e64 v108, null, v5, v108, vcc_lo
	s_clause 0x1
	global_load_dword v114, v[107:108], off
	global_load_dword v115, v[4:5], off offset:168
	s_waitcnt vmcnt(1)
	global_store_dword v[4:5], v114, off offset:168
	s_waitcnt vmcnt(0)
	global_store_dword v[107:108], v115, off
.LBB98_720:
	s_or_b32 exec_lo, exec_lo, s2
	v_mov_b32_e32 v114, v106
	v_mov_b32_e32 v115, v106
.LBB98_721:
	s_or_b32 exec_lo, exec_lo, s1
.LBB98_722:
	s_andn2_saveexec_b32 s0, s0
	s_cbranch_execz .LBB98_724
; %bb.723:
	v_mov_b32_e32 v115, 42
	ds_write2_b64 v112, v[16:17], v[14:15] offset0:43 offset1:44
	ds_write2_b64 v112, v[8:9], v[12:13] offset0:45 offset1:46
	;; [unrolled: 1-line block ×3, first 2 shown]
	ds_write_b64 v112, v[104:105] offset:392
.LBB98_724:
	s_or_b32 exec_lo, exec_lo, s0
	s_mov_b32 s0, exec_lo
	s_waitcnt lgkmcnt(0)
	s_waitcnt_vscnt null, 0x0
	s_barrier
	buffer_gl0_inv
	v_cmpx_lt_i32_e32 42, v115
	s_cbranch_execz .LBB98_726
; %bb.725:
	v_mul_f64 v[20:21], v[0:1], v[20:21]
	ds_read2_b64 v[116:119], v112 offset0:43 offset1:44
	ds_read2_b64 v[120:123], v112 offset0:45 offset1:46
	;; [unrolled: 1-line block ×3, first 2 shown]
	ds_read_b64 v[0:1], v112 offset:392
	s_waitcnt lgkmcnt(3)
	v_fma_f64 v[16:17], -v[20:21], v[116:117], v[16:17]
	v_fma_f64 v[14:15], -v[20:21], v[118:119], v[14:15]
	s_waitcnt lgkmcnt(2)
	v_fma_f64 v[8:9], -v[20:21], v[120:121], v[8:9]
	v_fma_f64 v[12:13], -v[20:21], v[122:123], v[12:13]
	;; [unrolled: 3-line block ×3, first 2 shown]
	s_waitcnt lgkmcnt(0)
	v_fma_f64 v[104:105], -v[20:21], v[0:1], v[104:105]
.LBB98_726:
	s_or_b32 exec_lo, exec_lo, s0
	v_lshl_add_u32 v0, v115, 3, v112
	s_barrier
	buffer_gl0_inv
	v_mov_b32_e32 v106, 43
	ds_write_b64 v0, v[16:17]
	s_waitcnt lgkmcnt(0)
	s_barrier
	buffer_gl0_inv
	ds_read_b64 v[0:1], v112 offset:344
	s_cmp_lt_i32 s7, 45
	s_cbranch_scc1 .LBB98_729
; %bb.727:
	v_add3_u32 v107, v113, 0, 0x160
	v_mov_b32_e32 v106, 43
	s_mov_b32 s0, 44
.LBB98_728:                             ; =>This Inner Loop Header: Depth=1
	ds_read_b64 v[116:117], v107
	v_add_nc_u32_e32 v107, 8, v107
	s_waitcnt lgkmcnt(0)
	v_cmp_lt_f64_e64 vcc_lo, |v[0:1]|, |v[116:117]|
	v_cndmask_b32_e32 v1, v1, v117, vcc_lo
	v_cndmask_b32_e32 v0, v0, v116, vcc_lo
	v_cndmask_b32_e64 v106, v106, s0, vcc_lo
	s_add_i32 s0, s0, 1
	s_cmp_lg_u32 s7, s0
	s_cbranch_scc1 .LBB98_728
.LBB98_729:
	s_mov_b32 s0, exec_lo
	s_waitcnt lgkmcnt(0)
	v_cmpx_eq_f64_e32 0, v[0:1]
	s_xor_b32 s0, exec_lo, s0
; %bb.730:
	v_cmp_ne_u32_e32 vcc_lo, 0, v109
	v_cndmask_b32_e32 v109, 44, v109, vcc_lo
; %bb.731:
	s_andn2_saveexec_b32 s0, s0
	s_cbranch_execz .LBB98_733
; %bb.732:
	v_div_scale_f64 v[107:108], null, v[0:1], v[0:1], 1.0
	v_rcp_f64_e32 v[116:117], v[107:108]
	v_fma_f64 v[118:119], -v[107:108], v[116:117], 1.0
	v_fma_f64 v[116:117], v[116:117], v[118:119], v[116:117]
	v_fma_f64 v[118:119], -v[107:108], v[116:117], 1.0
	v_fma_f64 v[116:117], v[116:117], v[118:119], v[116:117]
	v_div_scale_f64 v[118:119], vcc_lo, 1.0, v[0:1], 1.0
	v_mul_f64 v[120:121], v[118:119], v[116:117]
	v_fma_f64 v[107:108], -v[107:108], v[120:121], v[118:119]
	v_div_fmas_f64 v[107:108], v[107:108], v[116:117], v[120:121]
	v_div_fixup_f64 v[0:1], v[107:108], v[0:1], 1.0
.LBB98_733:
	s_or_b32 exec_lo, exec_lo, s0
	s_mov_b32 s0, exec_lo
	v_cmpx_ne_u32_e64 v115, v106
	s_xor_b32 s0, exec_lo, s0
	s_cbranch_execz .LBB98_739
; %bb.734:
	s_mov_b32 s1, exec_lo
	v_cmpx_eq_u32_e32 43, v115
	s_cbranch_execz .LBB98_738
; %bb.735:
	v_cmp_ne_u32_e32 vcc_lo, 43, v106
	s_xor_b32 s2, s6, -1
	s_and_b32 s3, s2, vcc_lo
	s_and_saveexec_b32 s2, s3
	s_cbranch_execz .LBB98_737
; %bb.736:
	v_ashrrev_i32_e32 v107, 31, v106
	v_lshlrev_b64 v[107:108], 2, v[106:107]
	v_add_co_u32 v107, vcc_lo, v4, v107
	v_add_co_ci_u32_e64 v108, null, v5, v108, vcc_lo
	s_clause 0x1
	global_load_dword v114, v[107:108], off
	global_load_dword v115, v[4:5], off offset:172
	s_waitcnt vmcnt(1)
	global_store_dword v[4:5], v114, off offset:172
	s_waitcnt vmcnt(0)
	global_store_dword v[107:108], v115, off
.LBB98_737:
	s_or_b32 exec_lo, exec_lo, s2
	v_mov_b32_e32 v114, v106
	v_mov_b32_e32 v115, v106
.LBB98_738:
	s_or_b32 exec_lo, exec_lo, s1
.LBB98_739:
	s_andn2_saveexec_b32 s0, s0
	s_cbranch_execz .LBB98_741
; %bb.740:
	v_mov_b32_e32 v106, v14
	v_mov_b32_e32 v107, v15
	;; [unrolled: 1-line block ×11, first 2 shown]
	ds_write2_b64 v112, v[106:107], v[116:117] offset0:44 offset1:45
	ds_write2_b64 v112, v[118:119], v[120:121] offset0:46 offset1:47
	;; [unrolled: 1-line block ×3, first 2 shown]
.LBB98_741:
	s_or_b32 exec_lo, exec_lo, s0
	s_mov_b32 s0, exec_lo
	s_waitcnt lgkmcnt(0)
	s_waitcnt_vscnt null, 0x0
	s_barrier
	buffer_gl0_inv
	v_cmpx_lt_i32_e32 43, v115
	s_cbranch_execz .LBB98_743
; %bb.742:
	v_mul_f64 v[16:17], v[0:1], v[16:17]
	ds_read2_b64 v[116:119], v112 offset0:44 offset1:45
	ds_read2_b64 v[120:123], v112 offset0:46 offset1:47
	;; [unrolled: 1-line block ×3, first 2 shown]
	s_waitcnt lgkmcnt(2)
	v_fma_f64 v[14:15], -v[16:17], v[116:117], v[14:15]
	v_fma_f64 v[8:9], -v[16:17], v[118:119], v[8:9]
	s_waitcnt lgkmcnt(1)
	v_fma_f64 v[12:13], -v[16:17], v[120:121], v[12:13]
	v_fma_f64 v[6:7], -v[16:17], v[122:123], v[6:7]
	;; [unrolled: 3-line block ×3, first 2 shown]
.LBB98_743:
	s_or_b32 exec_lo, exec_lo, s0
	v_lshl_add_u32 v0, v115, 3, v112
	s_barrier
	buffer_gl0_inv
	v_mov_b32_e32 v106, 44
	ds_write_b64 v0, v[14:15]
	s_waitcnt lgkmcnt(0)
	s_barrier
	buffer_gl0_inv
	ds_read_b64 v[0:1], v112 offset:352
	s_cmp_lt_i32 s7, 46
	s_cbranch_scc1 .LBB98_746
; %bb.744:
	v_add3_u32 v107, v113, 0, 0x168
	v_mov_b32_e32 v106, 44
	s_mov_b32 s0, 45
.LBB98_745:                             ; =>This Inner Loop Header: Depth=1
	ds_read_b64 v[116:117], v107
	v_add_nc_u32_e32 v107, 8, v107
	s_waitcnt lgkmcnt(0)
	v_cmp_lt_f64_e64 vcc_lo, |v[0:1]|, |v[116:117]|
	v_cndmask_b32_e32 v1, v1, v117, vcc_lo
	v_cndmask_b32_e32 v0, v0, v116, vcc_lo
	v_cndmask_b32_e64 v106, v106, s0, vcc_lo
	s_add_i32 s0, s0, 1
	s_cmp_lg_u32 s7, s0
	s_cbranch_scc1 .LBB98_745
.LBB98_746:
	s_mov_b32 s0, exec_lo
	s_waitcnt lgkmcnt(0)
	v_cmpx_eq_f64_e32 0, v[0:1]
	s_xor_b32 s0, exec_lo, s0
; %bb.747:
	v_cmp_ne_u32_e32 vcc_lo, 0, v109
	v_cndmask_b32_e32 v109, 45, v109, vcc_lo
; %bb.748:
	s_andn2_saveexec_b32 s0, s0
	s_cbranch_execz .LBB98_750
; %bb.749:
	v_div_scale_f64 v[107:108], null, v[0:1], v[0:1], 1.0
	v_rcp_f64_e32 v[116:117], v[107:108]
	v_fma_f64 v[118:119], -v[107:108], v[116:117], 1.0
	v_fma_f64 v[116:117], v[116:117], v[118:119], v[116:117]
	v_fma_f64 v[118:119], -v[107:108], v[116:117], 1.0
	v_fma_f64 v[116:117], v[116:117], v[118:119], v[116:117]
	v_div_scale_f64 v[118:119], vcc_lo, 1.0, v[0:1], 1.0
	v_mul_f64 v[120:121], v[118:119], v[116:117]
	v_fma_f64 v[107:108], -v[107:108], v[120:121], v[118:119]
	v_div_fmas_f64 v[107:108], v[107:108], v[116:117], v[120:121]
	v_div_fixup_f64 v[0:1], v[107:108], v[0:1], 1.0
.LBB98_750:
	s_or_b32 exec_lo, exec_lo, s0
	s_mov_b32 s0, exec_lo
	v_cmpx_ne_u32_e64 v115, v106
	s_xor_b32 s0, exec_lo, s0
	s_cbranch_execz .LBB98_756
; %bb.751:
	s_mov_b32 s1, exec_lo
	v_cmpx_eq_u32_e32 44, v115
	s_cbranch_execz .LBB98_755
; %bb.752:
	v_cmp_ne_u32_e32 vcc_lo, 44, v106
	s_xor_b32 s2, s6, -1
	s_and_b32 s3, s2, vcc_lo
	s_and_saveexec_b32 s2, s3
	s_cbranch_execz .LBB98_754
; %bb.753:
	v_ashrrev_i32_e32 v107, 31, v106
	v_lshlrev_b64 v[107:108], 2, v[106:107]
	v_add_co_u32 v107, vcc_lo, v4, v107
	v_add_co_ci_u32_e64 v108, null, v5, v108, vcc_lo
	s_clause 0x1
	global_load_dword v114, v[107:108], off
	global_load_dword v115, v[4:5], off offset:176
	s_waitcnt vmcnt(1)
	global_store_dword v[4:5], v114, off offset:176
	s_waitcnt vmcnt(0)
	global_store_dword v[107:108], v115, off
.LBB98_754:
	s_or_b32 exec_lo, exec_lo, s2
	v_mov_b32_e32 v114, v106
	v_mov_b32_e32 v115, v106
.LBB98_755:
	s_or_b32 exec_lo, exec_lo, s1
.LBB98_756:
	s_andn2_saveexec_b32 s0, s0
	s_cbranch_execz .LBB98_758
; %bb.757:
	v_mov_b32_e32 v115, 44
	ds_write2_b64 v112, v[8:9], v[12:13] offset0:45 offset1:46
	ds_write2_b64 v112, v[6:7], v[10:11] offset0:47 offset1:48
	ds_write_b64 v112, v[104:105] offset:392
.LBB98_758:
	s_or_b32 exec_lo, exec_lo, s0
	s_mov_b32 s0, exec_lo
	s_waitcnt lgkmcnt(0)
	s_waitcnt_vscnt null, 0x0
	s_barrier
	buffer_gl0_inv
	v_cmpx_lt_i32_e32 44, v115
	s_cbranch_execz .LBB98_760
; %bb.759:
	v_mul_f64 v[14:15], v[0:1], v[14:15]
	ds_read2_b64 v[116:119], v112 offset0:45 offset1:46
	ds_read2_b64 v[120:123], v112 offset0:47 offset1:48
	ds_read_b64 v[0:1], v112 offset:392
	s_waitcnt lgkmcnt(2)
	v_fma_f64 v[8:9], -v[14:15], v[116:117], v[8:9]
	v_fma_f64 v[12:13], -v[14:15], v[118:119], v[12:13]
	s_waitcnt lgkmcnt(1)
	v_fma_f64 v[6:7], -v[14:15], v[120:121], v[6:7]
	v_fma_f64 v[10:11], -v[14:15], v[122:123], v[10:11]
	s_waitcnt lgkmcnt(0)
	v_fma_f64 v[104:105], -v[14:15], v[0:1], v[104:105]
.LBB98_760:
	s_or_b32 exec_lo, exec_lo, s0
	v_lshl_add_u32 v0, v115, 3, v112
	s_barrier
	buffer_gl0_inv
	v_mov_b32_e32 v106, 45
	ds_write_b64 v0, v[8:9]
	s_waitcnt lgkmcnt(0)
	s_barrier
	buffer_gl0_inv
	ds_read_b64 v[0:1], v112 offset:360
	s_cmp_lt_i32 s7, 47
	s_cbranch_scc1 .LBB98_763
; %bb.761:
	v_add3_u32 v107, v113, 0, 0x170
	v_mov_b32_e32 v106, 45
	s_mov_b32 s0, 46
.LBB98_762:                             ; =>This Inner Loop Header: Depth=1
	ds_read_b64 v[116:117], v107
	v_add_nc_u32_e32 v107, 8, v107
	s_waitcnt lgkmcnt(0)
	v_cmp_lt_f64_e64 vcc_lo, |v[0:1]|, |v[116:117]|
	v_cndmask_b32_e32 v1, v1, v117, vcc_lo
	v_cndmask_b32_e32 v0, v0, v116, vcc_lo
	v_cndmask_b32_e64 v106, v106, s0, vcc_lo
	s_add_i32 s0, s0, 1
	s_cmp_lg_u32 s7, s0
	s_cbranch_scc1 .LBB98_762
.LBB98_763:
	s_mov_b32 s0, exec_lo
	s_waitcnt lgkmcnt(0)
	v_cmpx_eq_f64_e32 0, v[0:1]
	s_xor_b32 s0, exec_lo, s0
; %bb.764:
	v_cmp_ne_u32_e32 vcc_lo, 0, v109
	v_cndmask_b32_e32 v109, 46, v109, vcc_lo
; %bb.765:
	s_andn2_saveexec_b32 s0, s0
	s_cbranch_execz .LBB98_767
; %bb.766:
	v_div_scale_f64 v[107:108], null, v[0:1], v[0:1], 1.0
	v_rcp_f64_e32 v[116:117], v[107:108]
	v_fma_f64 v[118:119], -v[107:108], v[116:117], 1.0
	v_fma_f64 v[116:117], v[116:117], v[118:119], v[116:117]
	v_fma_f64 v[118:119], -v[107:108], v[116:117], 1.0
	v_fma_f64 v[116:117], v[116:117], v[118:119], v[116:117]
	v_div_scale_f64 v[118:119], vcc_lo, 1.0, v[0:1], 1.0
	v_mul_f64 v[120:121], v[118:119], v[116:117]
	v_fma_f64 v[107:108], -v[107:108], v[120:121], v[118:119]
	v_div_fmas_f64 v[107:108], v[107:108], v[116:117], v[120:121]
	v_div_fixup_f64 v[0:1], v[107:108], v[0:1], 1.0
.LBB98_767:
	s_or_b32 exec_lo, exec_lo, s0
	s_mov_b32 s0, exec_lo
	v_cmpx_ne_u32_e64 v115, v106
	s_xor_b32 s0, exec_lo, s0
	s_cbranch_execz .LBB98_773
; %bb.768:
	s_mov_b32 s1, exec_lo
	v_cmpx_eq_u32_e32 45, v115
	s_cbranch_execz .LBB98_772
; %bb.769:
	v_cmp_ne_u32_e32 vcc_lo, 45, v106
	s_xor_b32 s2, s6, -1
	s_and_b32 s3, s2, vcc_lo
	s_and_saveexec_b32 s2, s3
	s_cbranch_execz .LBB98_771
; %bb.770:
	v_ashrrev_i32_e32 v107, 31, v106
	v_lshlrev_b64 v[107:108], 2, v[106:107]
	v_add_co_u32 v107, vcc_lo, v4, v107
	v_add_co_ci_u32_e64 v108, null, v5, v108, vcc_lo
	s_clause 0x1
	global_load_dword v114, v[107:108], off
	global_load_dword v115, v[4:5], off offset:180
	s_waitcnt vmcnt(1)
	global_store_dword v[4:5], v114, off offset:180
	s_waitcnt vmcnt(0)
	global_store_dword v[107:108], v115, off
.LBB98_771:
	s_or_b32 exec_lo, exec_lo, s2
	v_mov_b32_e32 v114, v106
	v_mov_b32_e32 v115, v106
.LBB98_772:
	s_or_b32 exec_lo, exec_lo, s1
.LBB98_773:
	s_andn2_saveexec_b32 s0, s0
	s_cbranch_execz .LBB98_775
; %bb.774:
	v_mov_b32_e32 v106, v12
	v_mov_b32_e32 v107, v13
	;; [unrolled: 1-line block ×7, first 2 shown]
	ds_write2_b64 v112, v[106:107], v[116:117] offset0:46 offset1:47
	ds_write2_b64 v112, v[118:119], v[104:105] offset0:48 offset1:49
.LBB98_775:
	s_or_b32 exec_lo, exec_lo, s0
	s_mov_b32 s0, exec_lo
	s_waitcnt lgkmcnt(0)
	s_waitcnt_vscnt null, 0x0
	s_barrier
	buffer_gl0_inv
	v_cmpx_lt_i32_e32 45, v115
	s_cbranch_execz .LBB98_777
; %bb.776:
	v_mul_f64 v[8:9], v[0:1], v[8:9]
	ds_read2_b64 v[116:119], v112 offset0:46 offset1:47
	ds_read2_b64 v[120:123], v112 offset0:48 offset1:49
	s_waitcnt lgkmcnt(1)
	v_fma_f64 v[12:13], -v[8:9], v[116:117], v[12:13]
	v_fma_f64 v[6:7], -v[8:9], v[118:119], v[6:7]
	s_waitcnt lgkmcnt(0)
	v_fma_f64 v[10:11], -v[8:9], v[120:121], v[10:11]
	v_fma_f64 v[104:105], -v[8:9], v[122:123], v[104:105]
.LBB98_777:
	s_or_b32 exec_lo, exec_lo, s0
	v_lshl_add_u32 v0, v115, 3, v112
	s_barrier
	buffer_gl0_inv
	v_mov_b32_e32 v106, 46
	ds_write_b64 v0, v[12:13]
	s_waitcnt lgkmcnt(0)
	s_barrier
	buffer_gl0_inv
	ds_read_b64 v[0:1], v112 offset:368
	s_cmp_lt_i32 s7, 48
	s_cbranch_scc1 .LBB98_780
; %bb.778:
	v_add3_u32 v107, v113, 0, 0x178
	v_mov_b32_e32 v106, 46
	s_mov_b32 s0, 47
.LBB98_779:                             ; =>This Inner Loop Header: Depth=1
	ds_read_b64 v[116:117], v107
	v_add_nc_u32_e32 v107, 8, v107
	s_waitcnt lgkmcnt(0)
	v_cmp_lt_f64_e64 vcc_lo, |v[0:1]|, |v[116:117]|
	v_cndmask_b32_e32 v1, v1, v117, vcc_lo
	v_cndmask_b32_e32 v0, v0, v116, vcc_lo
	v_cndmask_b32_e64 v106, v106, s0, vcc_lo
	s_add_i32 s0, s0, 1
	s_cmp_lg_u32 s7, s0
	s_cbranch_scc1 .LBB98_779
.LBB98_780:
	s_mov_b32 s0, exec_lo
	s_waitcnt lgkmcnt(0)
	v_cmpx_eq_f64_e32 0, v[0:1]
	s_xor_b32 s0, exec_lo, s0
; %bb.781:
	v_cmp_ne_u32_e32 vcc_lo, 0, v109
	v_cndmask_b32_e32 v109, 47, v109, vcc_lo
; %bb.782:
	s_andn2_saveexec_b32 s0, s0
	s_cbranch_execz .LBB98_784
; %bb.783:
	v_div_scale_f64 v[107:108], null, v[0:1], v[0:1], 1.0
	v_rcp_f64_e32 v[116:117], v[107:108]
	v_fma_f64 v[118:119], -v[107:108], v[116:117], 1.0
	v_fma_f64 v[116:117], v[116:117], v[118:119], v[116:117]
	v_fma_f64 v[118:119], -v[107:108], v[116:117], 1.0
	v_fma_f64 v[116:117], v[116:117], v[118:119], v[116:117]
	v_div_scale_f64 v[118:119], vcc_lo, 1.0, v[0:1], 1.0
	v_mul_f64 v[120:121], v[118:119], v[116:117]
	v_fma_f64 v[107:108], -v[107:108], v[120:121], v[118:119]
	v_div_fmas_f64 v[107:108], v[107:108], v[116:117], v[120:121]
	v_div_fixup_f64 v[0:1], v[107:108], v[0:1], 1.0
.LBB98_784:
	s_or_b32 exec_lo, exec_lo, s0
	s_mov_b32 s0, exec_lo
	v_cmpx_ne_u32_e64 v115, v106
	s_xor_b32 s0, exec_lo, s0
	s_cbranch_execz .LBB98_790
; %bb.785:
	s_mov_b32 s1, exec_lo
	v_cmpx_eq_u32_e32 46, v115
	s_cbranch_execz .LBB98_789
; %bb.786:
	v_cmp_ne_u32_e32 vcc_lo, 46, v106
	s_xor_b32 s2, s6, -1
	s_and_b32 s3, s2, vcc_lo
	s_and_saveexec_b32 s2, s3
	s_cbranch_execz .LBB98_788
; %bb.787:
	v_ashrrev_i32_e32 v107, 31, v106
	v_lshlrev_b64 v[107:108], 2, v[106:107]
	v_add_co_u32 v107, vcc_lo, v4, v107
	v_add_co_ci_u32_e64 v108, null, v5, v108, vcc_lo
	s_clause 0x1
	global_load_dword v114, v[107:108], off
	global_load_dword v115, v[4:5], off offset:184
	s_waitcnt vmcnt(1)
	global_store_dword v[4:5], v114, off offset:184
	s_waitcnt vmcnt(0)
	global_store_dword v[107:108], v115, off
.LBB98_788:
	s_or_b32 exec_lo, exec_lo, s2
	v_mov_b32_e32 v114, v106
	v_mov_b32_e32 v115, v106
.LBB98_789:
	s_or_b32 exec_lo, exec_lo, s1
.LBB98_790:
	s_andn2_saveexec_b32 s0, s0
	s_cbranch_execz .LBB98_792
; %bb.791:
	v_mov_b32_e32 v115, 46
	ds_write2_b64 v112, v[6:7], v[10:11] offset0:47 offset1:48
	ds_write_b64 v112, v[104:105] offset:392
.LBB98_792:
	s_or_b32 exec_lo, exec_lo, s0
	s_mov_b32 s0, exec_lo
	s_waitcnt lgkmcnt(0)
	s_waitcnt_vscnt null, 0x0
	s_barrier
	buffer_gl0_inv
	v_cmpx_lt_i32_e32 46, v115
	s_cbranch_execz .LBB98_794
; %bb.793:
	v_mul_f64 v[12:13], v[0:1], v[12:13]
	ds_read2_b64 v[116:119], v112 offset0:47 offset1:48
	ds_read_b64 v[0:1], v112 offset:392
	s_waitcnt lgkmcnt(1)
	v_fma_f64 v[6:7], -v[12:13], v[116:117], v[6:7]
	v_fma_f64 v[10:11], -v[12:13], v[118:119], v[10:11]
	s_waitcnt lgkmcnt(0)
	v_fma_f64 v[104:105], -v[12:13], v[0:1], v[104:105]
.LBB98_794:
	s_or_b32 exec_lo, exec_lo, s0
	v_lshl_add_u32 v0, v115, 3, v112
	s_barrier
	buffer_gl0_inv
	v_mov_b32_e32 v106, 47
	ds_write_b64 v0, v[6:7]
	s_waitcnt lgkmcnt(0)
	s_barrier
	buffer_gl0_inv
	ds_read_b64 v[0:1], v112 offset:376
	s_cmp_lt_i32 s7, 49
	s_cbranch_scc1 .LBB98_797
; %bb.795:
	v_add3_u32 v107, v113, 0, 0x180
	v_mov_b32_e32 v106, 47
	s_mov_b32 s0, 48
.LBB98_796:                             ; =>This Inner Loop Header: Depth=1
	ds_read_b64 v[116:117], v107
	v_add_nc_u32_e32 v107, 8, v107
	s_waitcnt lgkmcnt(0)
	v_cmp_lt_f64_e64 vcc_lo, |v[0:1]|, |v[116:117]|
	v_cndmask_b32_e32 v1, v1, v117, vcc_lo
	v_cndmask_b32_e32 v0, v0, v116, vcc_lo
	v_cndmask_b32_e64 v106, v106, s0, vcc_lo
	s_add_i32 s0, s0, 1
	s_cmp_lg_u32 s7, s0
	s_cbranch_scc1 .LBB98_796
.LBB98_797:
	s_mov_b32 s0, exec_lo
	s_waitcnt lgkmcnt(0)
	v_cmpx_eq_f64_e32 0, v[0:1]
	s_xor_b32 s0, exec_lo, s0
; %bb.798:
	v_cmp_ne_u32_e32 vcc_lo, 0, v109
	v_cndmask_b32_e32 v109, 48, v109, vcc_lo
; %bb.799:
	s_andn2_saveexec_b32 s0, s0
	s_cbranch_execz .LBB98_801
; %bb.800:
	v_div_scale_f64 v[107:108], null, v[0:1], v[0:1], 1.0
	v_rcp_f64_e32 v[116:117], v[107:108]
	v_fma_f64 v[118:119], -v[107:108], v[116:117], 1.0
	v_fma_f64 v[116:117], v[116:117], v[118:119], v[116:117]
	v_fma_f64 v[118:119], -v[107:108], v[116:117], 1.0
	v_fma_f64 v[116:117], v[116:117], v[118:119], v[116:117]
	v_div_scale_f64 v[118:119], vcc_lo, 1.0, v[0:1], 1.0
	v_mul_f64 v[120:121], v[118:119], v[116:117]
	v_fma_f64 v[107:108], -v[107:108], v[120:121], v[118:119]
	v_div_fmas_f64 v[107:108], v[107:108], v[116:117], v[120:121]
	v_div_fixup_f64 v[0:1], v[107:108], v[0:1], 1.0
.LBB98_801:
	s_or_b32 exec_lo, exec_lo, s0
	s_mov_b32 s0, exec_lo
	v_cmpx_ne_u32_e64 v115, v106
	s_xor_b32 s0, exec_lo, s0
	s_cbranch_execz .LBB98_807
; %bb.802:
	s_mov_b32 s1, exec_lo
	v_cmpx_eq_u32_e32 47, v115
	s_cbranch_execz .LBB98_806
; %bb.803:
	v_cmp_ne_u32_e32 vcc_lo, 47, v106
	s_xor_b32 s2, s6, -1
	s_and_b32 s3, s2, vcc_lo
	s_and_saveexec_b32 s2, s3
	s_cbranch_execz .LBB98_805
; %bb.804:
	v_ashrrev_i32_e32 v107, 31, v106
	v_lshlrev_b64 v[107:108], 2, v[106:107]
	v_add_co_u32 v107, vcc_lo, v4, v107
	v_add_co_ci_u32_e64 v108, null, v5, v108, vcc_lo
	s_clause 0x1
	global_load_dword v114, v[107:108], off
	global_load_dword v115, v[4:5], off offset:188
	s_waitcnt vmcnt(1)
	global_store_dword v[4:5], v114, off offset:188
	s_waitcnt vmcnt(0)
	global_store_dword v[107:108], v115, off
.LBB98_805:
	s_or_b32 exec_lo, exec_lo, s2
	v_mov_b32_e32 v114, v106
	v_mov_b32_e32 v115, v106
.LBB98_806:
	s_or_b32 exec_lo, exec_lo, s1
.LBB98_807:
	s_andn2_saveexec_b32 s0, s0
	s_cbranch_execz .LBB98_809
; %bb.808:
	v_mov_b32_e32 v106, v10
	v_mov_b32_e32 v107, v11
	;; [unrolled: 1-line block ×3, first 2 shown]
	ds_write2_b64 v112, v[106:107], v[104:105] offset0:48 offset1:49
.LBB98_809:
	s_or_b32 exec_lo, exec_lo, s0
	s_mov_b32 s0, exec_lo
	s_waitcnt lgkmcnt(0)
	s_waitcnt_vscnt null, 0x0
	s_barrier
	buffer_gl0_inv
	v_cmpx_lt_i32_e32 47, v115
	s_cbranch_execz .LBB98_811
; %bb.810:
	v_mul_f64 v[6:7], v[0:1], v[6:7]
	ds_read2_b64 v[116:119], v112 offset0:48 offset1:49
	s_waitcnt lgkmcnt(0)
	v_fma_f64 v[10:11], -v[6:7], v[116:117], v[10:11]
	v_fma_f64 v[104:105], -v[6:7], v[118:119], v[104:105]
.LBB98_811:
	s_or_b32 exec_lo, exec_lo, s0
	v_lshl_add_u32 v0, v115, 3, v112
	s_barrier
	buffer_gl0_inv
	v_mov_b32_e32 v106, 48
	ds_write_b64 v0, v[10:11]
	s_waitcnt lgkmcnt(0)
	s_barrier
	buffer_gl0_inv
	ds_read_b64 v[0:1], v112 offset:384
	s_cmp_lt_i32 s7, 50
	s_cbranch_scc1 .LBB98_814
; %bb.812:
	v_add3_u32 v107, v113, 0, 0x188
	v_mov_b32_e32 v106, 48
	s_mov_b32 s0, 49
.LBB98_813:                             ; =>This Inner Loop Header: Depth=1
	ds_read_b64 v[116:117], v107
	v_add_nc_u32_e32 v107, 8, v107
	s_waitcnt lgkmcnt(0)
	v_cmp_lt_f64_e64 vcc_lo, |v[0:1]|, |v[116:117]|
	v_cndmask_b32_e32 v1, v1, v117, vcc_lo
	v_cndmask_b32_e32 v0, v0, v116, vcc_lo
	v_cndmask_b32_e64 v106, v106, s0, vcc_lo
	s_add_i32 s0, s0, 1
	s_cmp_lg_u32 s7, s0
	s_cbranch_scc1 .LBB98_813
.LBB98_814:
	s_mov_b32 s0, exec_lo
	s_waitcnt lgkmcnt(0)
	v_cmpx_eq_f64_e32 0, v[0:1]
	s_xor_b32 s0, exec_lo, s0
; %bb.815:
	v_cmp_ne_u32_e32 vcc_lo, 0, v109
	v_cndmask_b32_e32 v109, 49, v109, vcc_lo
; %bb.816:
	s_andn2_saveexec_b32 s0, s0
	s_cbranch_execz .LBB98_818
; %bb.817:
	v_div_scale_f64 v[107:108], null, v[0:1], v[0:1], 1.0
	v_rcp_f64_e32 v[116:117], v[107:108]
	v_fma_f64 v[118:119], -v[107:108], v[116:117], 1.0
	v_fma_f64 v[116:117], v[116:117], v[118:119], v[116:117]
	v_fma_f64 v[118:119], -v[107:108], v[116:117], 1.0
	v_fma_f64 v[116:117], v[116:117], v[118:119], v[116:117]
	v_div_scale_f64 v[118:119], vcc_lo, 1.0, v[0:1], 1.0
	v_mul_f64 v[120:121], v[118:119], v[116:117]
	v_fma_f64 v[107:108], -v[107:108], v[120:121], v[118:119]
	v_div_fmas_f64 v[107:108], v[107:108], v[116:117], v[120:121]
	v_div_fixup_f64 v[0:1], v[107:108], v[0:1], 1.0
.LBB98_818:
	s_or_b32 exec_lo, exec_lo, s0
	s_mov_b32 s0, exec_lo
	v_cmpx_ne_u32_e64 v115, v106
	s_xor_b32 s0, exec_lo, s0
	s_cbranch_execz .LBB98_824
; %bb.819:
	s_mov_b32 s1, exec_lo
	v_cmpx_eq_u32_e32 48, v115
	s_cbranch_execz .LBB98_823
; %bb.820:
	v_cmp_ne_u32_e32 vcc_lo, 48, v106
	s_xor_b32 s2, s6, -1
	s_and_b32 s3, s2, vcc_lo
	s_and_saveexec_b32 s2, s3
	s_cbranch_execz .LBB98_822
; %bb.821:
	v_ashrrev_i32_e32 v107, 31, v106
	v_lshlrev_b64 v[107:108], 2, v[106:107]
	v_add_co_u32 v107, vcc_lo, v4, v107
	v_add_co_ci_u32_e64 v108, null, v5, v108, vcc_lo
	s_clause 0x1
	global_load_dword v114, v[107:108], off
	global_load_dword v115, v[4:5], off offset:192
	s_waitcnt vmcnt(1)
	global_store_dword v[4:5], v114, off offset:192
	s_waitcnt vmcnt(0)
	global_store_dword v[107:108], v115, off
.LBB98_822:
	s_or_b32 exec_lo, exec_lo, s2
	v_mov_b32_e32 v114, v106
	v_mov_b32_e32 v115, v106
.LBB98_823:
	s_or_b32 exec_lo, exec_lo, s1
.LBB98_824:
	s_andn2_saveexec_b32 s0, s0
; %bb.825:
	v_mov_b32_e32 v115, 48
	ds_write_b64 v112, v[104:105] offset:392
; %bb.826:
	s_or_b32 exec_lo, exec_lo, s0
	s_mov_b32 s0, exec_lo
	s_waitcnt lgkmcnt(0)
	s_waitcnt_vscnt null, 0x0
	s_barrier
	buffer_gl0_inv
	v_cmpx_lt_i32_e32 48, v115
	s_cbranch_execz .LBB98_828
; %bb.827:
	v_mul_f64 v[10:11], v[0:1], v[10:11]
	ds_read_b64 v[0:1], v112 offset:392
	s_waitcnt lgkmcnt(0)
	v_fma_f64 v[104:105], -v[10:11], v[0:1], v[104:105]
.LBB98_828:
	s_or_b32 exec_lo, exec_lo, s0
	v_lshl_add_u32 v0, v115, 3, v112
	s_barrier
	buffer_gl0_inv
	v_mov_b32_e32 v106, 49
	ds_write_b64 v0, v[104:105]
	s_waitcnt lgkmcnt(0)
	s_barrier
	buffer_gl0_inv
	ds_read_b64 v[0:1], v112 offset:392
	s_cmp_lt_i32 s7, 51
	s_cbranch_scc1 .LBB98_831
; %bb.829:
	v_add3_u32 v107, v113, 0, 0x190
	v_mov_b32_e32 v106, 49
	s_mov_b32 s0, 50
.LBB98_830:                             ; =>This Inner Loop Header: Depth=1
	ds_read_b64 v[112:113], v107
	v_add_nc_u32_e32 v107, 8, v107
	s_waitcnt lgkmcnt(0)
	v_cmp_lt_f64_e64 vcc_lo, |v[0:1]|, |v[112:113]|
	v_cndmask_b32_e32 v1, v1, v113, vcc_lo
	v_cndmask_b32_e32 v0, v0, v112, vcc_lo
	v_cndmask_b32_e64 v106, v106, s0, vcc_lo
	s_add_i32 s0, s0, 1
	s_cmp_lg_u32 s7, s0
	s_cbranch_scc1 .LBB98_830
.LBB98_831:
	s_mov_b32 s0, exec_lo
	s_waitcnt lgkmcnt(0)
	v_cmpx_eq_f64_e32 0, v[0:1]
	s_xor_b32 s0, exec_lo, s0
; %bb.832:
	v_cmp_ne_u32_e32 vcc_lo, 0, v109
	v_cndmask_b32_e32 v109, 50, v109, vcc_lo
; %bb.833:
	s_andn2_saveexec_b32 s0, s0
	s_cbranch_execz .LBB98_835
; %bb.834:
	v_div_scale_f64 v[107:108], null, v[0:1], v[0:1], 1.0
	v_rcp_f64_e32 v[112:113], v[107:108]
	v_fma_f64 v[116:117], -v[107:108], v[112:113], 1.0
	v_fma_f64 v[112:113], v[112:113], v[116:117], v[112:113]
	v_fma_f64 v[116:117], -v[107:108], v[112:113], 1.0
	v_fma_f64 v[112:113], v[112:113], v[116:117], v[112:113]
	v_div_scale_f64 v[116:117], vcc_lo, 1.0, v[0:1], 1.0
	v_mul_f64 v[118:119], v[116:117], v[112:113]
	v_fma_f64 v[107:108], -v[107:108], v[118:119], v[116:117]
	v_div_fmas_f64 v[107:108], v[107:108], v[112:113], v[118:119]
	v_div_fixup_f64 v[0:1], v[107:108], v[0:1], 1.0
.LBB98_835:
	s_or_b32 exec_lo, exec_lo, s0
	v_mov_b32_e32 v107, 49
	s_mov_b32 s0, exec_lo
	v_cmpx_ne_u32_e64 v115, v106
	s_cbranch_execz .LBB98_841
; %bb.836:
	s_mov_b32 s1, exec_lo
	v_cmpx_eq_u32_e32 49, v115
	s_cbranch_execz .LBB98_840
; %bb.837:
	v_cmp_ne_u32_e32 vcc_lo, 49, v106
	s_xor_b32 s2, s6, -1
	s_and_b32 s3, s2, vcc_lo
	s_and_saveexec_b32 s2, s3
	s_cbranch_execz .LBB98_839
; %bb.838:
	v_ashrrev_i32_e32 v107, 31, v106
	v_lshlrev_b64 v[107:108], 2, v[106:107]
	v_add_co_u32 v107, vcc_lo, v4, v107
	v_add_co_ci_u32_e64 v108, null, v5, v108, vcc_lo
	s_clause 0x1
	global_load_dword v112, v[107:108], off
	global_load_dword v113, v[4:5], off offset:196
	s_waitcnt vmcnt(1)
	global_store_dword v[4:5], v112, off offset:196
	s_waitcnt vmcnt(0)
	global_store_dword v[107:108], v113, off
.LBB98_839:
	s_or_b32 exec_lo, exec_lo, s2
	v_mov_b32_e32 v114, v106
	v_mov_b32_e32 v115, v106
.LBB98_840:
	s_or_b32 exec_lo, exec_lo, s1
	v_mov_b32_e32 v107, v115
.LBB98_841:
	s_or_b32 exec_lo, exec_lo, s0
	s_load_dwordx8 s[0:7], s[4:5], 0x28
	v_ashrrev_i32_e32 v108, 31, v107
	s_mov_b32 s9, exec_lo
	s_waitcnt lgkmcnt(0)
	s_waitcnt_vscnt null, 0x0
	s_barrier
	buffer_gl0_inv
	s_barrier
	buffer_gl0_inv
	v_cmpx_gt_i32_e32 50, v107
	s_cbranch_execz .LBB98_843
; %bb.842:
	v_mul_lo_u32 v106, s5, v2
	v_mul_lo_u32 v112, s4, v3
	v_mad_u64_u32 v[4:5], null, s4, v2, 0
	s_lshl_b64 s[2:3], s[2:3], 2
	v_add3_u32 v5, v5, v112, v106
	v_lshlrev_b64 v[4:5], 2, v[4:5]
	v_add_co_u32 v106, vcc_lo, s0, v4
	v_add_co_ci_u32_e64 v112, null, s1, v5, vcc_lo
	v_lshlrev_b64 v[4:5], 2, v[107:108]
	v_add_co_u32 v106, vcc_lo, v106, s2
	v_add_co_ci_u32_e64 v112, null, s3, v112, vcc_lo
	v_add_co_u32 v4, vcc_lo, v106, v4
	v_add_co_ci_u32_e64 v5, null, v112, v5, vcc_lo
	v_add3_u32 v106, v114, s13, 1
	global_store_dword v[4:5], v106, off
.LBB98_843:
	s_or_b32 exec_lo, exec_lo, s9
	s_mov_b32 s1, exec_lo
	v_cmpx_eq_u32_e32 0, v107
	s_cbranch_execz .LBB98_846
; %bb.844:
	v_lshlrev_b64 v[2:3], 2, v[2:3]
	v_cmp_ne_u32_e64 s0, 0, v109
	v_add_co_u32 v2, vcc_lo, s6, v2
	v_add_co_ci_u32_e64 v3, null, s7, v3, vcc_lo
	global_load_dword v4, v[2:3], off
	s_waitcnt vmcnt(0)
	v_cmp_eq_u32_e32 vcc_lo, 0, v4
	s_and_b32 s0, vcc_lo, s0
	s_and_b32 exec_lo, exec_lo, s0
	s_cbranch_execz .LBB98_846
; %bb.845:
	v_add_nc_u32_e32 v4, s13, v109
	global_store_dword v[2:3], v4, off
.LBB98_846:
	s_or_b32 exec_lo, exec_lo, s1
	v_add3_u32 v2, s8, s8, v107
	v_lshlrev_b64 v[4:5], 3, v[107:108]
	v_mul_f64 v[0:1], v[0:1], v[104:105]
	v_cmp_lt_i32_e32 vcc_lo, 49, v107
	v_ashrrev_i32_e32 v3, 31, v2
	v_add_nc_u32_e32 v106, s8, v2
	v_add_co_u32 v4, s0, v110, v4
	v_add_co_ci_u32_e64 v5, null, v111, v5, s0
	v_lshlrev_b64 v[2:3], 3, v[2:3]
	v_add_co_u32 v112, s0, v4, s10
	v_add_co_ci_u32_e64 v113, null, s11, v5, s0
	v_add_nc_u32_e32 v108, s8, v106
	v_add_co_u32 v2, s0, v110, v2
	v_add_co_ci_u32_e64 v3, null, v111, v3, s0
	v_ashrrev_i32_e32 v107, 31, v106
	flat_store_dwordx2 v[4:5], v[102:103]
	flat_store_dwordx2 v[112:113], v[98:99]
	;; [unrolled: 1-line block ×3, first 2 shown]
	v_add_nc_u32_e32 v98, s8, v108
	v_ashrrev_i32_e32 v109, 31, v108
	v_lshlrev_b64 v[4:5], 3, v[106:107]
	v_cndmask_b32_e32 v1, v105, v1, vcc_lo
	v_cndmask_b32_e32 v0, v104, v0, vcc_lo
	v_add_nc_u32_e32 v100, s8, v98
	v_lshlrev_b64 v[2:3], 3, v[108:109]
	v_ashrrev_i32_e32 v99, 31, v98
	v_add_co_u32 v4, vcc_lo, v110, v4
	v_add_nc_u32_e32 v102, s8, v100
	v_add_co_ci_u32_e64 v5, null, v111, v5, vcc_lo
	v_add_co_u32 v2, vcc_lo, v110, v2
	v_ashrrev_i32_e32 v101, 31, v100
	v_add_co_ci_u32_e64 v3, null, v111, v3, vcc_lo
	v_ashrrev_i32_e32 v103, 31, v102
	v_lshlrev_b64 v[98:99], 3, v[98:99]
	flat_store_dwordx2 v[4:5], v[94:95]
	flat_store_dwordx2 v[2:3], v[96:97]
	v_lshlrev_b64 v[2:3], 3, v[100:101]
	v_add_nc_u32_e32 v96, s8, v102
	v_lshlrev_b64 v[94:95], 3, v[102:103]
	v_add_co_u32 v4, vcc_lo, v110, v98
	v_add_co_ci_u32_e64 v5, null, v111, v99, vcc_lo
	v_add_co_u32 v2, vcc_lo, v110, v2
	v_add_co_ci_u32_e64 v3, null, v111, v3, vcc_lo
	v_add_co_u32 v94, vcc_lo, v110, v94
	v_add_nc_u32_e32 v98, s8, v96
	v_add_co_ci_u32_e64 v95, null, v111, v95, vcc_lo
	v_ashrrev_i32_e32 v97, 31, v96
	flat_store_dwordx2 v[4:5], v[92:93]
	flat_store_dwordx2 v[2:3], v[90:91]
	flat_store_dwordx2 v[94:95], v[88:89]
	v_add_nc_u32_e32 v88, s8, v98
	v_ashrrev_i32_e32 v99, 31, v98
	v_lshlrev_b64 v[4:5], 3, v[96:97]
	v_add_nc_u32_e32 v90, s8, v88
	v_lshlrev_b64 v[2:3], 3, v[98:99]
	v_ashrrev_i32_e32 v89, 31, v88
	v_add_co_u32 v4, vcc_lo, v110, v4
	v_add_nc_u32_e32 v92, s8, v90
	v_add_co_ci_u32_e64 v5, null, v111, v5, vcc_lo
	v_add_co_u32 v2, vcc_lo, v110, v2
	v_ashrrev_i32_e32 v91, 31, v90
	v_add_co_ci_u32_e64 v3, null, v111, v3, vcc_lo
	v_ashrrev_i32_e32 v93, 31, v92
	v_lshlrev_b64 v[88:89], 3, v[88:89]
	flat_store_dwordx2 v[4:5], v[86:87]
	flat_store_dwordx2 v[2:3], v[84:85]
	v_lshlrev_b64 v[2:3], 3, v[90:91]
	v_add_nc_u32_e32 v86, s8, v92
	v_lshlrev_b64 v[84:85], 3, v[92:93]
	v_add_co_u32 v4, vcc_lo, v110, v88
	v_add_co_ci_u32_e64 v5, null, v111, v89, vcc_lo
	v_add_co_u32 v2, vcc_lo, v110, v2
	v_add_co_ci_u32_e64 v3, null, v111, v3, vcc_lo
	v_add_co_u32 v84, vcc_lo, v110, v84
	v_add_nc_u32_e32 v88, s8, v86
	v_add_co_ci_u32_e64 v85, null, v111, v85, vcc_lo
	v_ashrrev_i32_e32 v87, 31, v86
	flat_store_dwordx2 v[4:5], v[82:83]
	flat_store_dwordx2 v[2:3], v[78:79]
	flat_store_dwordx2 v[84:85], v[80:81]
	v_add_nc_u32_e32 v78, s8, v88
	v_ashrrev_i32_e32 v89, 31, v88
	v_lshlrev_b64 v[4:5], 3, v[86:87]
	;; [unrolled: 30-line block ×7, first 2 shown]
	v_add_nc_u32_e32 v30, s8, v28
	v_lshlrev_b64 v[2:3], 3, v[38:39]
	v_ashrrev_i32_e32 v29, 31, v28
	v_add_co_u32 v4, vcc_lo, v110, v4
	v_add_nc_u32_e32 v32, s8, v30
	v_add_co_ci_u32_e64 v5, null, v111, v5, vcc_lo
	v_add_co_u32 v2, vcc_lo, v110, v2
	v_ashrrev_i32_e32 v31, 31, v30
	v_add_co_ci_u32_e64 v3, null, v111, v3, vcc_lo
	v_ashrrev_i32_e32 v33, 31, v32
	v_lshlrev_b64 v[28:29], 3, v[28:29]
	flat_store_dwordx2 v[4:5], v[26:27]
	flat_store_dwordx2 v[2:3], v[24:25]
	v_lshlrev_b64 v[2:3], 3, v[30:31]
	v_add_nc_u32_e32 v26, s8, v32
	v_lshlrev_b64 v[24:25], 3, v[32:33]
	v_add_co_u32 v4, vcc_lo, v110, v28
	v_add_co_ci_u32_e64 v5, null, v111, v29, vcc_lo
	v_add_co_u32 v2, vcc_lo, v110, v2
	v_add_nc_u32_e32 v28, s8, v26
	v_add_co_ci_u32_e64 v3, null, v111, v3, vcc_lo
	v_add_co_u32 v24, vcc_lo, v110, v24
	v_ashrrev_i32_e32 v27, 31, v26
	v_add_co_ci_u32_e64 v25, null, v111, v25, vcc_lo
	v_ashrrev_i32_e32 v29, 31, v28
	flat_store_dwordx2 v[4:5], v[22:23]
	v_lshlrev_b64 v[4:5], 3, v[26:27]
	flat_store_dwordx2 v[2:3], v[18:19]
	flat_store_dwordx2 v[24:25], v[20:21]
	v_add_nc_u32_e32 v18, s8, v28
	v_lshlrev_b64 v[2:3], 3, v[28:29]
	v_add_co_u32 v4, vcc_lo, v110, v4
	v_add_nc_u32_e32 v20, s8, v18
	v_add_co_ci_u32_e64 v5, null, v111, v5, vcc_lo
	v_add_co_u32 v2, vcc_lo, v110, v2
	v_add_co_ci_u32_e64 v3, null, v111, v3, vcc_lo
	v_add_nc_u32_e32 v22, s8, v20
	v_ashrrev_i32_e32 v19, 31, v18
	flat_store_dwordx2 v[4:5], v[16:17]
	flat_store_dwordx2 v[2:3], v[14:15]
	v_ashrrev_i32_e32 v21, 31, v20
	v_add_nc_u32_e32 v14, s8, v22
	v_lshlrev_b64 v[4:5], 3, v[18:19]
	v_ashrrev_i32_e32 v23, 31, v22
	v_lshlrev_b64 v[2:3], 3, v[20:21]
	v_add_nc_u32_e32 v18, s8, v14
	v_ashrrev_i32_e32 v15, 31, v14
	v_lshlrev_b64 v[16:17], 3, v[22:23]
	v_add_co_u32 v4, vcc_lo, v110, v4
	v_ashrrev_i32_e32 v19, 31, v18
	v_lshlrev_b64 v[14:15], 3, v[14:15]
	v_add_co_ci_u32_e64 v5, null, v111, v5, vcc_lo
	v_add_co_u32 v2, vcc_lo, v110, v2
	v_lshlrev_b64 v[18:19], 3, v[18:19]
	v_add_co_ci_u32_e64 v3, null, v111, v3, vcc_lo
	v_add_co_u32 v16, vcc_lo, v110, v16
	v_add_co_ci_u32_e64 v17, null, v111, v17, vcc_lo
	v_add_co_u32 v14, vcc_lo, v110, v14
	;; [unrolled: 2-line block ×3, first 2 shown]
	v_add_co_ci_u32_e64 v19, null, v111, v19, vcc_lo
	flat_store_dwordx2 v[4:5], v[8:9]
	flat_store_dwordx2 v[2:3], v[12:13]
	;; [unrolled: 1-line block ×5, first 2 shown]
.LBB98_847:
	s_endpgm
	.section	.rodata,"a",@progbits
	.p2align	6, 0x0
	.amdhsa_kernel _ZN9rocsolver6v33100L18getf2_small_kernelILi50EdiiPKPdEEvT1_T3_lS5_lPS5_llPT2_S5_S5_S7_l
		.amdhsa_group_segment_fixed_size 0
		.amdhsa_private_segment_fixed_size 0
		.amdhsa_kernarg_size 352
		.amdhsa_user_sgpr_count 6
		.amdhsa_user_sgpr_private_segment_buffer 1
		.amdhsa_user_sgpr_dispatch_ptr 0
		.amdhsa_user_sgpr_queue_ptr 0
		.amdhsa_user_sgpr_kernarg_segment_ptr 1
		.amdhsa_user_sgpr_dispatch_id 0
		.amdhsa_user_sgpr_flat_scratch_init 0
		.amdhsa_user_sgpr_private_segment_size 0
		.amdhsa_wavefront_size32 1
		.amdhsa_uses_dynamic_stack 0
		.amdhsa_system_sgpr_private_segment_wavefront_offset 0
		.amdhsa_system_sgpr_workgroup_id_x 1
		.amdhsa_system_sgpr_workgroup_id_y 1
		.amdhsa_system_sgpr_workgroup_id_z 0
		.amdhsa_system_sgpr_workgroup_info 0
		.amdhsa_system_vgpr_workitem_id 1
		.amdhsa_next_free_vgpr 208
		.amdhsa_next_free_sgpr 14
		.amdhsa_reserve_vcc 1
		.amdhsa_reserve_flat_scratch 1
		.amdhsa_float_round_mode_32 0
		.amdhsa_float_round_mode_16_64 0
		.amdhsa_float_denorm_mode_32 3
		.amdhsa_float_denorm_mode_16_64 3
		.amdhsa_dx10_clamp 1
		.amdhsa_ieee_mode 1
		.amdhsa_fp16_overflow 0
		.amdhsa_workgroup_processor_mode 1
		.amdhsa_memory_ordered 1
		.amdhsa_forward_progress 1
		.amdhsa_shared_vgpr_count 0
		.amdhsa_exception_fp_ieee_invalid_op 0
		.amdhsa_exception_fp_denorm_src 0
		.amdhsa_exception_fp_ieee_div_zero 0
		.amdhsa_exception_fp_ieee_overflow 0
		.amdhsa_exception_fp_ieee_underflow 0
		.amdhsa_exception_fp_ieee_inexact 0
		.amdhsa_exception_int_div_zero 0
	.end_amdhsa_kernel
	.section	.text._ZN9rocsolver6v33100L18getf2_small_kernelILi50EdiiPKPdEEvT1_T3_lS5_lPS5_llPT2_S5_S5_S7_l,"axG",@progbits,_ZN9rocsolver6v33100L18getf2_small_kernelILi50EdiiPKPdEEvT1_T3_lS5_lPS5_llPT2_S5_S5_S7_l,comdat
.Lfunc_end98:
	.size	_ZN9rocsolver6v33100L18getf2_small_kernelILi50EdiiPKPdEEvT1_T3_lS5_lPS5_llPT2_S5_S5_S7_l, .Lfunc_end98-_ZN9rocsolver6v33100L18getf2_small_kernelILi50EdiiPKPdEEvT1_T3_lS5_lPS5_llPT2_S5_S5_S7_l
                                        ; -- End function
	.set _ZN9rocsolver6v33100L18getf2_small_kernelILi50EdiiPKPdEEvT1_T3_lS5_lPS5_llPT2_S5_S5_S7_l.num_vgpr, 208
	.set _ZN9rocsolver6v33100L18getf2_small_kernelILi50EdiiPKPdEEvT1_T3_lS5_lPS5_llPT2_S5_S5_S7_l.num_agpr, 0
	.set _ZN9rocsolver6v33100L18getf2_small_kernelILi50EdiiPKPdEEvT1_T3_lS5_lPS5_llPT2_S5_S5_S7_l.numbered_sgpr, 14
	.set _ZN9rocsolver6v33100L18getf2_small_kernelILi50EdiiPKPdEEvT1_T3_lS5_lPS5_llPT2_S5_S5_S7_l.num_named_barrier, 0
	.set _ZN9rocsolver6v33100L18getf2_small_kernelILi50EdiiPKPdEEvT1_T3_lS5_lPS5_llPT2_S5_S5_S7_l.private_seg_size, 0
	.set _ZN9rocsolver6v33100L18getf2_small_kernelILi50EdiiPKPdEEvT1_T3_lS5_lPS5_llPT2_S5_S5_S7_l.uses_vcc, 1
	.set _ZN9rocsolver6v33100L18getf2_small_kernelILi50EdiiPKPdEEvT1_T3_lS5_lPS5_llPT2_S5_S5_S7_l.uses_flat_scratch, 1
	.set _ZN9rocsolver6v33100L18getf2_small_kernelILi50EdiiPKPdEEvT1_T3_lS5_lPS5_llPT2_S5_S5_S7_l.has_dyn_sized_stack, 0
	.set _ZN9rocsolver6v33100L18getf2_small_kernelILi50EdiiPKPdEEvT1_T3_lS5_lPS5_llPT2_S5_S5_S7_l.has_recursion, 0
	.set _ZN9rocsolver6v33100L18getf2_small_kernelILi50EdiiPKPdEEvT1_T3_lS5_lPS5_llPT2_S5_S5_S7_l.has_indirect_call, 0
	.section	.AMDGPU.csdata,"",@progbits
; Kernel info:
; codeLenInByte = 54108
; TotalNumSgprs: 16
; NumVgprs: 208
; ScratchSize: 0
; MemoryBound: 0
; FloatMode: 240
; IeeeMode: 1
; LDSByteSize: 0 bytes/workgroup (compile time only)
; SGPRBlocks: 0
; VGPRBlocks: 25
; NumSGPRsForWavesPerEU: 16
; NumVGPRsForWavesPerEU: 208
; Occupancy: 4
; WaveLimiterHint : 1
; COMPUTE_PGM_RSRC2:SCRATCH_EN: 0
; COMPUTE_PGM_RSRC2:USER_SGPR: 6
; COMPUTE_PGM_RSRC2:TRAP_HANDLER: 0
; COMPUTE_PGM_RSRC2:TGID_X_EN: 1
; COMPUTE_PGM_RSRC2:TGID_Y_EN: 1
; COMPUTE_PGM_RSRC2:TGID_Z_EN: 0
; COMPUTE_PGM_RSRC2:TIDIG_COMP_CNT: 1
	.section	.text._ZN9rocsolver6v33100L23getf2_npvt_small_kernelILi50EdiiPKPdEEvT1_T3_lS5_lPT2_S5_S5_,"axG",@progbits,_ZN9rocsolver6v33100L23getf2_npvt_small_kernelILi50EdiiPKPdEEvT1_T3_lS5_lPT2_S5_S5_,comdat
	.globl	_ZN9rocsolver6v33100L23getf2_npvt_small_kernelILi50EdiiPKPdEEvT1_T3_lS5_lPT2_S5_S5_ ; -- Begin function _ZN9rocsolver6v33100L23getf2_npvt_small_kernelILi50EdiiPKPdEEvT1_T3_lS5_lPT2_S5_S5_
	.p2align	8
	.type	_ZN9rocsolver6v33100L23getf2_npvt_small_kernelILi50EdiiPKPdEEvT1_T3_lS5_lPT2_S5_S5_,@function
_ZN9rocsolver6v33100L23getf2_npvt_small_kernelILi50EdiiPKPdEEvT1_T3_lS5_lPT2_S5_S5_: ; @_ZN9rocsolver6v33100L23getf2_npvt_small_kernelILi50EdiiPKPdEEvT1_T3_lS5_lPT2_S5_S5_
; %bb.0:
	s_mov_b64 s[14:15], s[2:3]
	s_mov_b64 s[12:13], s[0:1]
	s_add_u32 s12, s12, s8
	s_clause 0x1
	s_load_dword s0, s[4:5], 0x44
	s_load_dwordx2 s[8:9], s[4:5], 0x30
	s_addc_u32 s13, s13, 0
	s_waitcnt lgkmcnt(0)
	s_lshr_b32 s10, s0, 16
	s_mov_b32 s0, exec_lo
	v_mad_u64_u32 v[2:3], null, s7, s10, v[1:2]
	v_cmpx_gt_i32_e64 s8, v2
	s_cbranch_execz .LBB99_253
; %bb.1:
	s_clause 0x1
	s_load_dwordx4 s[0:3], s[4:5], 0x8
	s_load_dword s6, s[4:5], 0x18
	v_ashrrev_i32_e32 v3, 31, v2
	v_lshlrev_b32_e32 v102, 3, v0
	s_mulk_i32 s10, 0x190
	v_mad_u32_u24 v236, 0x190, v1, 0
	v_lshlrev_b64 v[4:5], 3, v[2:3]
	s_waitcnt lgkmcnt(0)
	v_add_co_u32 v4, vcc_lo, s0, v4
	v_add_co_ci_u32_e64 v5, null, s1, v5, vcc_lo
	v_add3_u32 v6, s6, s6, v0
	s_lshl_b64 s[2:3], s[2:3], 3
	s_ashr_i32 s7, s6, 31
	global_load_dwordx2 v[4:5], v[4:5], off
	s_lshl_b64 s[0:1], s[6:7], 3
	v_add_nc_u32_e32 v8, s6, v6
	v_ashrrev_i32_e32 v7, 31, v6
	v_add_nc_u32_e32 v10, s6, v8
	v_ashrrev_i32_e32 v9, 31, v8
	v_lshlrev_b64 v[6:7], 3, v[6:7]
	v_add_nc_u32_e32 v12, s6, v10
	v_ashrrev_i32_e32 v11, 31, v10
	v_lshlrev_b64 v[8:9], 3, v[8:9]
	;; [unrolled: 3-line block ×46, first 2 shown]
	v_ashrrev_i32_e32 v101, 31, v100
	v_lshlrev_b64 v[98:99], 3, v[98:99]
	s_waitcnt vmcnt(0)
	v_add_co_u32 v104, vcc_lo, v4, s2
	v_add_co_ci_u32_e64 v105, null, s3, v5, vcc_lo
	v_lshlrev_b64 v[4:5], 3, v[100:101]
	v_add_co_u32 v6, vcc_lo, v104, v6
	v_add_co_ci_u32_e64 v7, null, v105, v7, vcc_lo
	v_add_co_u32 v8, vcc_lo, v104, v8
	v_add_co_ci_u32_e64 v9, null, v105, v9, vcc_lo
	;; [unrolled: 2-line block ×49, first 2 shown]
	s_clause 0x1
	flat_load_dwordx2 v[164:165], v[100:101]
	flat_load_dwordx2 v[182:183], v[102:103]
	buffer_store_dword v6, off, s[12:15], 0 ; 4-byte Folded Spill
	buffer_store_dword v7, off, s[12:15], 0 offset:4 ; 4-byte Folded Spill
	v_add_co_u32 v98, vcc_lo, v104, v4
	v_add_co_ci_u32_e64 v99, null, v105, v5, vcc_lo
	v_lshlrev_b32_e32 v4, 3, v1
	v_cmp_ne_u32_e64 s1, 0, v0
	v_cmp_eq_u32_e64 s0, 0, v0
	v_add3_u32 v1, 0, s10, v4
	flat_load_dwordx2 v[200:201], v[6:7]
	buffer_store_dword v8, off, s[12:15], 0 offset:8 ; 4-byte Folded Spill
	buffer_store_dword v9, off, s[12:15], 0 offset:12 ; 4-byte Folded Spill
	flat_load_dwordx2 v[180:181], v[8:9]
	buffer_store_dword v10, off, s[12:15], 0 offset:16 ; 4-byte Folded Spill
	buffer_store_dword v11, off, s[12:15], 0 offset:20 ; 4-byte Folded Spill
	;; [unrolled: 3-line block ×6, first 2 shown]
	s_clause 0x9
	flat_load_dwordx2 v[194:195], v[106:107]
	flat_load_dwordx2 v[174:175], v[18:19]
	;; [unrolled: 1-line block ×10, first 2 shown]
	buffer_store_dword v38, off, s[12:15], 0 offset:56 ; 4-byte Folded Spill
	buffer_store_dword v39, off, s[12:15], 0 offset:60 ; 4-byte Folded Spill
	s_clause 0x1f
	flat_load_dwordx2 v[184:185], v[38:39]
	flat_load_dwordx2 v[132:133], v[36:37]
	;; [unrolled: 1-line block ×32, first 2 shown]
	s_and_saveexec_b32 s2, s0
	s_cbranch_execz .LBB99_4
; %bb.2:
	s_waitcnt vmcnt(49) lgkmcnt(49)
	ds_write_b64 v1, v[164:165]
	s_waitcnt vmcnt(47) lgkmcnt(48)
	ds_write2_b64 v236, v[182:183], v[200:201] offset0:1 offset1:2
	s_waitcnt vmcnt(45) lgkmcnt(47)
	ds_write2_b64 v236, v[180:181], v[198:199] offset0:3 offset1:4
	;; [unrolled: 2-line block ×24, first 2 shown]
	s_waitcnt vmcnt(0) lgkmcnt(25)
	ds_write_b64 v236, v[202:203] offset:392
	ds_read_b64 v[4:5], v1
	s_waitcnt lgkmcnt(0)
	v_cmp_neq_f64_e32 vcc_lo, 0, v[4:5]
	s_and_b32 exec_lo, exec_lo, vcc_lo
	s_cbranch_execz .LBB99_4
; %bb.3:
	v_div_scale_f64 v[6:7], null, v[4:5], v[4:5], 1.0
	v_rcp_f64_e32 v[8:9], v[6:7]
	v_fma_f64 v[10:11], -v[6:7], v[8:9], 1.0
	v_fma_f64 v[8:9], v[8:9], v[10:11], v[8:9]
	v_fma_f64 v[10:11], -v[6:7], v[8:9], 1.0
	v_fma_f64 v[8:9], v[8:9], v[10:11], v[8:9]
	v_div_scale_f64 v[10:11], vcc_lo, 1.0, v[4:5], 1.0
	v_mul_f64 v[204:205], v[10:11], v[8:9]
	v_fma_f64 v[6:7], -v[6:7], v[204:205], v[10:11]
	v_div_fmas_f64 v[6:7], v[6:7], v[8:9], v[204:205]
	v_div_fixup_f64 v[4:5], v[6:7], v[4:5], 1.0
	ds_write_b64 v1, v[4:5]
.LBB99_4:
	s_or_b32 exec_lo, exec_lo, s2
	s_waitcnt vmcnt(0) lgkmcnt(0)
	s_waitcnt_vscnt null, 0x0
	s_barrier
	buffer_gl0_inv
	ds_read_b64 v[16:17], v1
	s_and_saveexec_b32 s2, s1
	s_cbranch_execz .LBB99_6
; %bb.5:
	s_waitcnt lgkmcnt(0)
	v_mul_f64 v[164:165], v[16:17], v[164:165]
	ds_read2_b64 v[4:7], v236 offset0:1 offset1:2
	ds_read2_b64 v[204:207], v236 offset0:3 offset1:4
	;; [unrolled: 1-line block ×12, first 2 shown]
	ds_read_b64 v[8:9], v236 offset:392
	s_waitcnt lgkmcnt(12)
	v_fma_f64 v[182:183], -v[164:165], v[4:5], v[182:183]
	v_fma_f64 v[200:201], -v[164:165], v[6:7], v[200:201]
	s_waitcnt lgkmcnt(11)
	v_fma_f64 v[180:181], -v[164:165], v[204:205], v[180:181]
	v_fma_f64 v[198:199], -v[164:165], v[206:207], v[198:199]
	ds_read2_b64 v[4:7], v236 offset0:25 offset1:26
	ds_read2_b64 v[204:207], v236 offset0:27 offset1:28
	s_waitcnt lgkmcnt(12)
	v_fma_f64 v[178:179], -v[164:165], v[208:209], v[178:179]
	v_fma_f64 v[196:197], -v[164:165], v[210:211], v[196:197]
	s_waitcnt lgkmcnt(11)
	v_fma_f64 v[176:177], -v[164:165], v[212:213], v[176:177]
	v_fma_f64 v[194:195], -v[164:165], v[214:215], v[194:195]
	;; [unrolled: 3-line block ×7, first 2 shown]
	ds_read2_b64 v[208:211], v236 offset0:29 offset1:30
	ds_read2_b64 v[212:215], v236 offset0:31 offset1:32
	s_waitcnt lgkmcnt(7)
	v_fma_f64 v[132:133], -v[164:165], v[237:238], v[132:133]
	v_fma_f64 v[162:163], -v[164:165], v[239:240], v[162:163]
	ds_read2_b64 v[216:219], v236 offset0:33 offset1:34
	ds_read2_b64 v[220:223], v236 offset0:35 offset1:36
	;; [unrolled: 1-line block ×4, first 2 shown]
	s_waitcnt lgkmcnt(7)
	v_fma_f64 v[126:127], -v[164:165], v[4:5], v[126:127]
	ds_read2_b64 v[232:235], v236 offset0:41 offset1:42
	v_fma_f64 v[156:157], -v[164:165], v[6:7], v[156:157]
	ds_read2_b64 v[4:7], v236 offset0:43 offset1:44
	s_waitcnt lgkmcnt(8)
	v_fma_f64 v[124:125], -v[164:165], v[204:205], v[124:125]
	ds_read2_b64 v[237:240], v236 offset0:45 offset1:46
	v_fma_f64 v[154:155], -v[164:165], v[206:207], v[154:155]
	ds_read2_b64 v[204:207], v236 offset0:47 offset1:48
	v_fma_f64 v[130:131], -v[164:165], v[241:242], v[130:131]
	v_fma_f64 v[160:161], -v[164:165], v[243:244], v[160:161]
	;; [unrolled: 1-line block ×4, first 2 shown]
	s_waitcnt lgkmcnt(9)
	v_fma_f64 v[122:123], -v[164:165], v[208:209], v[122:123]
	v_fma_f64 v[152:153], -v[164:165], v[210:211], v[152:153]
	s_waitcnt lgkmcnt(8)
	v_fma_f64 v[120:121], -v[164:165], v[212:213], v[120:121]
	v_fma_f64 v[150:151], -v[164:165], v[214:215], v[150:151]
	;; [unrolled: 3-line block ×10, first 2 shown]
	v_fma_f64 v[202:203], -v[164:165], v[8:9], v[202:203]
.LBB99_6:
	s_or_b32 exec_lo, exec_lo, s2
	s_mov_b32 s1, exec_lo
	s_waitcnt lgkmcnt(0)
	s_barrier
	buffer_gl0_inv
	v_cmpx_eq_u32_e32 1, v0
	s_cbranch_execz .LBB99_9
; %bb.7:
	v_mov_b32_e32 v4, v200
	v_mov_b32_e32 v5, v201
	;; [unrolled: 1-line block ×16, first 2 shown]
	ds_write_b64 v1, v[182:183]
	ds_write2_b64 v236, v[4:5], v[6:7] offset0:2 offset1:3
	ds_write2_b64 v236, v[8:9], v[10:11] offset0:4 offset1:5
	ds_write2_b64 v236, v[204:205], v[206:207] offset0:6 offset1:7
	ds_write2_b64 v236, v[208:209], v[210:211] offset0:8 offset1:9
	v_mov_b32_e32 v4, v192
	v_mov_b32_e32 v5, v193
	v_mov_b32_e32 v6, v172
	v_mov_b32_e32 v7, v173
	v_mov_b32_e32 v8, v190
	v_mov_b32_e32 v9, v191
	v_mov_b32_e32 v10, v170
	v_mov_b32_e32 v11, v171
	v_mov_b32_e32 v204, v188
	v_mov_b32_e32 v205, v189
	v_mov_b32_e32 v206, v168
	v_mov_b32_e32 v207, v169
	v_mov_b32_e32 v208, v186
	v_mov_b32_e32 v209, v187
	v_mov_b32_e32 v210, v166
	v_mov_b32_e32 v211, v167
	v_mov_b32_e32 v212, v184
	v_mov_b32_e32 v213, v185
	v_mov_b32_e32 v214, v132
	v_mov_b32_e32 v215, v133
	ds_write2_b64 v236, v[4:5], v[6:7] offset0:10 offset1:11
	ds_write2_b64 v236, v[8:9], v[10:11] offset0:12 offset1:13
	ds_write2_b64 v236, v[204:205], v[206:207] offset0:14 offset1:15
	ds_write2_b64 v236, v[208:209], v[210:211] offset0:16 offset1:17
	ds_write2_b64 v236, v[212:213], v[214:215] offset0:18 offset1:19
	v_mov_b32_e32 v4, v162
	v_mov_b32_e32 v5, v163
	v_mov_b32_e32 v6, v130
	v_mov_b32_e32 v7, v131
	v_mov_b32_e32 v8, v160
	v_mov_b32_e32 v9, v161
	v_mov_b32_e32 v10, v128
	v_mov_b32_e32 v11, v129
	v_mov_b32_e32 v204, v158
	v_mov_b32_e32 v205, v159
	v_mov_b32_e32 v206, v126
	v_mov_b32_e32 v207, v127
	v_mov_b32_e32 v208, v156
	v_mov_b32_e32 v209, v157
	v_mov_b32_e32 v210, v124
	v_mov_b32_e32 v211, v125
	v_mov_b32_e32 v212, v154
	v_mov_b32_e32 v213, v155
	v_mov_b32_e32 v214, v122
	v_mov_b32_e32 v215, v123
	ds_write2_b64 v236, v[4:5], v[6:7] offset0:20 offset1:21
	;; [unrolled: 25-line block ×3, first 2 shown]
	ds_write2_b64 v236, v[8:9], v[10:11] offset0:32 offset1:33
	ds_write2_b64 v236, v[204:205], v[206:207] offset0:34 offset1:35
	;; [unrolled: 1-line block ×4, first 2 shown]
	v_mov_b32_e32 v4, v142
	v_mov_b32_e32 v5, v143
	;; [unrolled: 1-line block ×18, first 2 shown]
	ds_write2_b64 v236, v[4:5], v[6:7] offset0:40 offset1:41
	ds_write2_b64 v236, v[8:9], v[10:11] offset0:42 offset1:43
	;; [unrolled: 1-line block ×5, first 2 shown]
	ds_read_b64 v[4:5], v1
	s_waitcnt lgkmcnt(0)
	v_cmp_neq_f64_e32 vcc_lo, 0, v[4:5]
	s_and_b32 exec_lo, exec_lo, vcc_lo
	s_cbranch_execz .LBB99_9
; %bb.8:
	v_div_scale_f64 v[6:7], null, v[4:5], v[4:5], 1.0
	v_rcp_f64_e32 v[8:9], v[6:7]
	v_fma_f64 v[10:11], -v[6:7], v[8:9], 1.0
	v_fma_f64 v[8:9], v[8:9], v[10:11], v[8:9]
	v_fma_f64 v[10:11], -v[6:7], v[8:9], 1.0
	v_fma_f64 v[8:9], v[8:9], v[10:11], v[8:9]
	v_div_scale_f64 v[10:11], vcc_lo, 1.0, v[4:5], 1.0
	v_mul_f64 v[204:205], v[10:11], v[8:9]
	v_fma_f64 v[6:7], -v[6:7], v[204:205], v[10:11]
	v_div_fmas_f64 v[6:7], v[6:7], v[8:9], v[204:205]
	v_div_fixup_f64 v[4:5], v[6:7], v[4:5], 1.0
	ds_write_b64 v1, v[4:5]
.LBB99_9:
	s_or_b32 exec_lo, exec_lo, s1
	s_waitcnt lgkmcnt(0)
	s_barrier
	buffer_gl0_inv
	ds_read_b64 v[38:39], v1
	s_mov_b32 s1, exec_lo
	v_cmpx_lt_u32_e32 1, v0
	s_cbranch_execz .LBB99_11
; %bb.10:
	s_waitcnt lgkmcnt(0)
	v_mul_f64 v[182:183], v[38:39], v[182:183]
	ds_read2_b64 v[4:7], v236 offset0:2 offset1:3
	s_waitcnt lgkmcnt(0)
	v_fma_f64 v[200:201], -v[182:183], v[4:5], v[200:201]
	v_fma_f64 v[180:181], -v[182:183], v[6:7], v[180:181]
	ds_read2_b64 v[4:7], v236 offset0:4 offset1:5
	s_waitcnt lgkmcnt(0)
	v_fma_f64 v[198:199], -v[182:183], v[4:5], v[198:199]
	v_fma_f64 v[178:179], -v[182:183], v[6:7], v[178:179]
	;; [unrolled: 4-line block ×24, first 2 shown]
.LBB99_11:
	s_or_b32 exec_lo, exec_lo, s1
	s_mov_b32 s1, exec_lo
	s_waitcnt lgkmcnt(0)
	s_barrier
	buffer_gl0_inv
	v_cmpx_eq_u32_e32 2, v0
	s_cbranch_execz .LBB99_14
; %bb.12:
	ds_write_b64 v1, v[200:201]
	ds_write2_b64 v236, v[180:181], v[198:199] offset0:3 offset1:4
	ds_write2_b64 v236, v[178:179], v[196:197] offset0:5 offset1:6
	;; [unrolled: 1-line block ×23, first 2 shown]
	ds_write_b64 v236, v[202:203] offset:392
	ds_read_b64 v[4:5], v1
	s_waitcnt lgkmcnt(0)
	v_cmp_neq_f64_e32 vcc_lo, 0, v[4:5]
	s_and_b32 exec_lo, exec_lo, vcc_lo
	s_cbranch_execz .LBB99_14
; %bb.13:
	v_div_scale_f64 v[6:7], null, v[4:5], v[4:5], 1.0
	v_rcp_f64_e32 v[8:9], v[6:7]
	v_fma_f64 v[10:11], -v[6:7], v[8:9], 1.0
	v_fma_f64 v[8:9], v[8:9], v[10:11], v[8:9]
	v_fma_f64 v[10:11], -v[6:7], v[8:9], 1.0
	v_fma_f64 v[8:9], v[8:9], v[10:11], v[8:9]
	v_div_scale_f64 v[10:11], vcc_lo, 1.0, v[4:5], 1.0
	v_mul_f64 v[204:205], v[10:11], v[8:9]
	v_fma_f64 v[6:7], -v[6:7], v[204:205], v[10:11]
	v_div_fmas_f64 v[6:7], v[6:7], v[8:9], v[204:205]
	v_div_fixup_f64 v[4:5], v[6:7], v[4:5], 1.0
	ds_write_b64 v1, v[4:5]
.LBB99_14:
	s_or_b32 exec_lo, exec_lo, s1
	s_waitcnt lgkmcnt(0)
	s_barrier
	buffer_gl0_inv
	ds_read_b64 v[246:247], v1
	s_mov_b32 s1, exec_lo
	v_cmpx_lt_u32_e32 2, v0
	s_cbranch_execz .LBB99_16
; %bb.15:
	s_waitcnt lgkmcnt(0)
	v_mul_f64 v[200:201], v[246:247], v[200:201]
	ds_read2_b64 v[4:7], v236 offset0:3 offset1:4
	s_waitcnt lgkmcnt(0)
	v_fma_f64 v[180:181], -v[200:201], v[4:5], v[180:181]
	v_fma_f64 v[198:199], -v[200:201], v[6:7], v[198:199]
	ds_read2_b64 v[4:7], v236 offset0:5 offset1:6
	s_waitcnt lgkmcnt(0)
	v_fma_f64 v[178:179], -v[200:201], v[4:5], v[178:179]
	v_fma_f64 v[196:197], -v[200:201], v[6:7], v[196:197]
	ds_read2_b64 v[4:7], v236 offset0:7 offset1:8
	s_waitcnt lgkmcnt(0)
	v_fma_f64 v[176:177], -v[200:201], v[4:5], v[176:177]
	v_fma_f64 v[194:195], -v[200:201], v[6:7], v[194:195]
	ds_read2_b64 v[4:7], v236 offset0:9 offset1:10
	s_waitcnt lgkmcnt(0)
	v_fma_f64 v[174:175], -v[200:201], v[4:5], v[174:175]
	v_fma_f64 v[192:193], -v[200:201], v[6:7], v[192:193]
	ds_read2_b64 v[4:7], v236 offset0:11 offset1:12
	s_waitcnt lgkmcnt(0)
	v_fma_f64 v[172:173], -v[200:201], v[4:5], v[172:173]
	v_fma_f64 v[190:191], -v[200:201], v[6:7], v[190:191]
	ds_read2_b64 v[4:7], v236 offset0:13 offset1:14
	s_waitcnt lgkmcnt(0)
	v_fma_f64 v[170:171], -v[200:201], v[4:5], v[170:171]
	v_fma_f64 v[188:189], -v[200:201], v[6:7], v[188:189]
	ds_read2_b64 v[4:7], v236 offset0:15 offset1:16
	s_waitcnt lgkmcnt(0)
	v_fma_f64 v[168:169], -v[200:201], v[4:5], v[168:169]
	v_fma_f64 v[186:187], -v[200:201], v[6:7], v[186:187]
	ds_read2_b64 v[4:7], v236 offset0:17 offset1:18
	s_waitcnt lgkmcnt(0)
	v_fma_f64 v[166:167], -v[200:201], v[4:5], v[166:167]
	v_fma_f64 v[184:185], -v[200:201], v[6:7], v[184:185]
	ds_read2_b64 v[4:7], v236 offset0:19 offset1:20
	s_waitcnt lgkmcnt(0)
	v_fma_f64 v[132:133], -v[200:201], v[4:5], v[132:133]
	v_fma_f64 v[162:163], -v[200:201], v[6:7], v[162:163]
	ds_read2_b64 v[4:7], v236 offset0:21 offset1:22
	s_waitcnt lgkmcnt(0)
	v_fma_f64 v[130:131], -v[200:201], v[4:5], v[130:131]
	v_fma_f64 v[160:161], -v[200:201], v[6:7], v[160:161]
	ds_read2_b64 v[4:7], v236 offset0:23 offset1:24
	s_waitcnt lgkmcnt(0)
	v_fma_f64 v[128:129], -v[200:201], v[4:5], v[128:129]
	v_fma_f64 v[158:159], -v[200:201], v[6:7], v[158:159]
	ds_read2_b64 v[4:7], v236 offset0:25 offset1:26
	s_waitcnt lgkmcnt(0)
	v_fma_f64 v[126:127], -v[200:201], v[4:5], v[126:127]
	v_fma_f64 v[156:157], -v[200:201], v[6:7], v[156:157]
	ds_read2_b64 v[4:7], v236 offset0:27 offset1:28
	s_waitcnt lgkmcnt(0)
	v_fma_f64 v[124:125], -v[200:201], v[4:5], v[124:125]
	v_fma_f64 v[154:155], -v[200:201], v[6:7], v[154:155]
	ds_read2_b64 v[4:7], v236 offset0:29 offset1:30
	s_waitcnt lgkmcnt(0)
	v_fma_f64 v[122:123], -v[200:201], v[4:5], v[122:123]
	v_fma_f64 v[152:153], -v[200:201], v[6:7], v[152:153]
	ds_read2_b64 v[4:7], v236 offset0:31 offset1:32
	s_waitcnt lgkmcnt(0)
	v_fma_f64 v[120:121], -v[200:201], v[4:5], v[120:121]
	v_fma_f64 v[150:151], -v[200:201], v[6:7], v[150:151]
	ds_read2_b64 v[4:7], v236 offset0:33 offset1:34
	s_waitcnt lgkmcnt(0)
	v_fma_f64 v[118:119], -v[200:201], v[4:5], v[118:119]
	v_fma_f64 v[148:149], -v[200:201], v[6:7], v[148:149]
	ds_read2_b64 v[4:7], v236 offset0:35 offset1:36
	s_waitcnt lgkmcnt(0)
	v_fma_f64 v[116:117], -v[200:201], v[4:5], v[116:117]
	v_fma_f64 v[146:147], -v[200:201], v[6:7], v[146:147]
	ds_read2_b64 v[4:7], v236 offset0:37 offset1:38
	s_waitcnt lgkmcnt(0)
	v_fma_f64 v[114:115], -v[200:201], v[4:5], v[114:115]
	v_fma_f64 v[144:145], -v[200:201], v[6:7], v[144:145]
	ds_read2_b64 v[4:7], v236 offset0:39 offset1:40
	s_waitcnt lgkmcnt(0)
	v_fma_f64 v[112:113], -v[200:201], v[4:5], v[112:113]
	v_fma_f64 v[142:143], -v[200:201], v[6:7], v[142:143]
	ds_read2_b64 v[4:7], v236 offset0:41 offset1:42
	s_waitcnt lgkmcnt(0)
	v_fma_f64 v[110:111], -v[200:201], v[4:5], v[110:111]
	v_fma_f64 v[140:141], -v[200:201], v[6:7], v[140:141]
	ds_read2_b64 v[4:7], v236 offset0:43 offset1:44
	s_waitcnt lgkmcnt(0)
	v_fma_f64 v[108:109], -v[200:201], v[4:5], v[108:109]
	v_fma_f64 v[138:139], -v[200:201], v[6:7], v[138:139]
	ds_read2_b64 v[4:7], v236 offset0:45 offset1:46
	s_waitcnt lgkmcnt(0)
	v_fma_f64 v[106:107], -v[200:201], v[4:5], v[106:107]
	v_fma_f64 v[136:137], -v[200:201], v[6:7], v[136:137]
	ds_read2_b64 v[4:7], v236 offset0:47 offset1:48
	s_waitcnt lgkmcnt(0)
	v_fma_f64 v[104:105], -v[200:201], v[4:5], v[104:105]
	ds_read_b64 v[4:5], v236 offset:392
	v_fma_f64 v[134:135], -v[200:201], v[6:7], v[134:135]
	s_waitcnt lgkmcnt(0)
	v_fma_f64 v[202:203], -v[200:201], v[4:5], v[202:203]
.LBB99_16:
	s_or_b32 exec_lo, exec_lo, s1
	s_mov_b32 s1, exec_lo
	s_waitcnt lgkmcnt(0)
	s_barrier
	buffer_gl0_inv
	v_cmpx_eq_u32_e32 3, v0
	s_cbranch_execz .LBB99_19
; %bb.17:
	v_mov_b32_e32 v4, v198
	v_mov_b32_e32 v5, v199
	;; [unrolled: 1-line block ×12, first 2 shown]
	ds_write_b64 v1, v[180:181]
	ds_write2_b64 v236, v[4:5], v[6:7] offset0:4 offset1:5
	ds_write2_b64 v236, v[8:9], v[10:11] offset0:6 offset1:7
	ds_write2_b64 v236, v[204:205], v[206:207] offset0:8 offset1:9
	v_mov_b32_e32 v4, v192
	v_mov_b32_e32 v5, v193
	v_mov_b32_e32 v6, v172
	v_mov_b32_e32 v7, v173
	v_mov_b32_e32 v8, v190
	v_mov_b32_e32 v9, v191
	v_mov_b32_e32 v10, v170
	v_mov_b32_e32 v11, v171
	v_mov_b32_e32 v204, v188
	v_mov_b32_e32 v205, v189
	v_mov_b32_e32 v206, v168
	v_mov_b32_e32 v207, v169
	v_mov_b32_e32 v208, v186
	v_mov_b32_e32 v209, v187
	v_mov_b32_e32 v210, v166
	v_mov_b32_e32 v211, v167
	v_mov_b32_e32 v212, v184
	v_mov_b32_e32 v213, v185
	v_mov_b32_e32 v214, v132
	v_mov_b32_e32 v215, v133
	ds_write2_b64 v236, v[4:5], v[6:7] offset0:10 offset1:11
	ds_write2_b64 v236, v[8:9], v[10:11] offset0:12 offset1:13
	ds_write2_b64 v236, v[204:205], v[206:207] offset0:14 offset1:15
	ds_write2_b64 v236, v[208:209], v[210:211] offset0:16 offset1:17
	ds_write2_b64 v236, v[212:213], v[214:215] offset0:18 offset1:19
	v_mov_b32_e32 v4, v162
	v_mov_b32_e32 v5, v163
	v_mov_b32_e32 v6, v130
	v_mov_b32_e32 v7, v131
	v_mov_b32_e32 v8, v160
	v_mov_b32_e32 v9, v161
	v_mov_b32_e32 v10, v128
	v_mov_b32_e32 v11, v129
	v_mov_b32_e32 v204, v158
	v_mov_b32_e32 v205, v159
	v_mov_b32_e32 v206, v126
	v_mov_b32_e32 v207, v127
	v_mov_b32_e32 v208, v156
	v_mov_b32_e32 v209, v157
	v_mov_b32_e32 v210, v124
	v_mov_b32_e32 v211, v125
	v_mov_b32_e32 v212, v154
	v_mov_b32_e32 v213, v155
	v_mov_b32_e32 v214, v122
	v_mov_b32_e32 v215, v123
	ds_write2_b64 v236, v[4:5], v[6:7] offset0:20 offset1:21
	ds_write2_b64 v236, v[8:9], v[10:11] offset0:22 offset1:23
	;; [unrolled: 25-line block ×3, first 2 shown]
	ds_write2_b64 v236, v[204:205], v[206:207] offset0:34 offset1:35
	ds_write2_b64 v236, v[208:209], v[210:211] offset0:36 offset1:37
	;; [unrolled: 1-line block ×3, first 2 shown]
	v_mov_b32_e32 v4, v142
	v_mov_b32_e32 v5, v143
	;; [unrolled: 1-line block ×18, first 2 shown]
	ds_write2_b64 v236, v[4:5], v[6:7] offset0:40 offset1:41
	ds_write2_b64 v236, v[8:9], v[10:11] offset0:42 offset1:43
	;; [unrolled: 1-line block ×5, first 2 shown]
	ds_read_b64 v[4:5], v1
	s_waitcnt lgkmcnt(0)
	v_cmp_neq_f64_e32 vcc_lo, 0, v[4:5]
	s_and_b32 exec_lo, exec_lo, vcc_lo
	s_cbranch_execz .LBB99_19
; %bb.18:
	v_div_scale_f64 v[6:7], null, v[4:5], v[4:5], 1.0
	v_rcp_f64_e32 v[8:9], v[6:7]
	v_fma_f64 v[10:11], -v[6:7], v[8:9], 1.0
	v_fma_f64 v[8:9], v[8:9], v[10:11], v[8:9]
	v_fma_f64 v[10:11], -v[6:7], v[8:9], 1.0
	v_fma_f64 v[8:9], v[8:9], v[10:11], v[8:9]
	v_div_scale_f64 v[10:11], vcc_lo, 1.0, v[4:5], 1.0
	v_mul_f64 v[204:205], v[10:11], v[8:9]
	v_fma_f64 v[6:7], -v[6:7], v[204:205], v[10:11]
	v_div_fmas_f64 v[6:7], v[6:7], v[8:9], v[204:205]
	v_div_fixup_f64 v[4:5], v[6:7], v[4:5], 1.0
	ds_write_b64 v1, v[4:5]
.LBB99_19:
	s_or_b32 exec_lo, exec_lo, s1
	s_waitcnt lgkmcnt(0)
	s_barrier
	buffer_gl0_inv
	ds_read_b64 v[248:249], v1
	s_mov_b32 s1, exec_lo
	v_cmpx_lt_u32_e32 3, v0
	s_cbranch_execz .LBB99_21
; %bb.20:
	s_waitcnt lgkmcnt(0)
	v_mul_f64 v[180:181], v[248:249], v[180:181]
	ds_read2_b64 v[4:7], v236 offset0:4 offset1:5
	s_waitcnt lgkmcnt(0)
	v_fma_f64 v[198:199], -v[180:181], v[4:5], v[198:199]
	v_fma_f64 v[178:179], -v[180:181], v[6:7], v[178:179]
	ds_read2_b64 v[4:7], v236 offset0:6 offset1:7
	s_waitcnt lgkmcnt(0)
	v_fma_f64 v[196:197], -v[180:181], v[4:5], v[196:197]
	v_fma_f64 v[176:177], -v[180:181], v[6:7], v[176:177]
	ds_read2_b64 v[4:7], v236 offset0:8 offset1:9
	s_waitcnt lgkmcnt(0)
	v_fma_f64 v[194:195], -v[180:181], v[4:5], v[194:195]
	v_fma_f64 v[174:175], -v[180:181], v[6:7], v[174:175]
	ds_read2_b64 v[4:7], v236 offset0:10 offset1:11
	s_waitcnt lgkmcnt(0)
	v_fma_f64 v[192:193], -v[180:181], v[4:5], v[192:193]
	v_fma_f64 v[172:173], -v[180:181], v[6:7], v[172:173]
	ds_read2_b64 v[4:7], v236 offset0:12 offset1:13
	s_waitcnt lgkmcnt(0)
	v_fma_f64 v[190:191], -v[180:181], v[4:5], v[190:191]
	v_fma_f64 v[170:171], -v[180:181], v[6:7], v[170:171]
	ds_read2_b64 v[4:7], v236 offset0:14 offset1:15
	s_waitcnt lgkmcnt(0)
	v_fma_f64 v[188:189], -v[180:181], v[4:5], v[188:189]
	v_fma_f64 v[168:169], -v[180:181], v[6:7], v[168:169]
	ds_read2_b64 v[4:7], v236 offset0:16 offset1:17
	s_waitcnt lgkmcnt(0)
	v_fma_f64 v[186:187], -v[180:181], v[4:5], v[186:187]
	v_fma_f64 v[166:167], -v[180:181], v[6:7], v[166:167]
	ds_read2_b64 v[4:7], v236 offset0:18 offset1:19
	s_waitcnt lgkmcnt(0)
	v_fma_f64 v[184:185], -v[180:181], v[4:5], v[184:185]
	v_fma_f64 v[132:133], -v[180:181], v[6:7], v[132:133]
	ds_read2_b64 v[4:7], v236 offset0:20 offset1:21
	s_waitcnt lgkmcnt(0)
	v_fma_f64 v[162:163], -v[180:181], v[4:5], v[162:163]
	v_fma_f64 v[130:131], -v[180:181], v[6:7], v[130:131]
	ds_read2_b64 v[4:7], v236 offset0:22 offset1:23
	s_waitcnt lgkmcnt(0)
	v_fma_f64 v[160:161], -v[180:181], v[4:5], v[160:161]
	v_fma_f64 v[128:129], -v[180:181], v[6:7], v[128:129]
	ds_read2_b64 v[4:7], v236 offset0:24 offset1:25
	s_waitcnt lgkmcnt(0)
	v_fma_f64 v[158:159], -v[180:181], v[4:5], v[158:159]
	v_fma_f64 v[126:127], -v[180:181], v[6:7], v[126:127]
	ds_read2_b64 v[4:7], v236 offset0:26 offset1:27
	s_waitcnt lgkmcnt(0)
	v_fma_f64 v[156:157], -v[180:181], v[4:5], v[156:157]
	v_fma_f64 v[124:125], -v[180:181], v[6:7], v[124:125]
	ds_read2_b64 v[4:7], v236 offset0:28 offset1:29
	s_waitcnt lgkmcnt(0)
	v_fma_f64 v[154:155], -v[180:181], v[4:5], v[154:155]
	v_fma_f64 v[122:123], -v[180:181], v[6:7], v[122:123]
	ds_read2_b64 v[4:7], v236 offset0:30 offset1:31
	s_waitcnt lgkmcnt(0)
	v_fma_f64 v[152:153], -v[180:181], v[4:5], v[152:153]
	v_fma_f64 v[120:121], -v[180:181], v[6:7], v[120:121]
	ds_read2_b64 v[4:7], v236 offset0:32 offset1:33
	s_waitcnt lgkmcnt(0)
	v_fma_f64 v[150:151], -v[180:181], v[4:5], v[150:151]
	v_fma_f64 v[118:119], -v[180:181], v[6:7], v[118:119]
	ds_read2_b64 v[4:7], v236 offset0:34 offset1:35
	s_waitcnt lgkmcnt(0)
	v_fma_f64 v[148:149], -v[180:181], v[4:5], v[148:149]
	v_fma_f64 v[116:117], -v[180:181], v[6:7], v[116:117]
	ds_read2_b64 v[4:7], v236 offset0:36 offset1:37
	s_waitcnt lgkmcnt(0)
	v_fma_f64 v[146:147], -v[180:181], v[4:5], v[146:147]
	v_fma_f64 v[114:115], -v[180:181], v[6:7], v[114:115]
	ds_read2_b64 v[4:7], v236 offset0:38 offset1:39
	s_waitcnt lgkmcnt(0)
	v_fma_f64 v[144:145], -v[180:181], v[4:5], v[144:145]
	v_fma_f64 v[112:113], -v[180:181], v[6:7], v[112:113]
	ds_read2_b64 v[4:7], v236 offset0:40 offset1:41
	s_waitcnt lgkmcnt(0)
	v_fma_f64 v[142:143], -v[180:181], v[4:5], v[142:143]
	v_fma_f64 v[110:111], -v[180:181], v[6:7], v[110:111]
	ds_read2_b64 v[4:7], v236 offset0:42 offset1:43
	s_waitcnt lgkmcnt(0)
	v_fma_f64 v[140:141], -v[180:181], v[4:5], v[140:141]
	v_fma_f64 v[108:109], -v[180:181], v[6:7], v[108:109]
	ds_read2_b64 v[4:7], v236 offset0:44 offset1:45
	s_waitcnt lgkmcnt(0)
	v_fma_f64 v[138:139], -v[180:181], v[4:5], v[138:139]
	v_fma_f64 v[106:107], -v[180:181], v[6:7], v[106:107]
	ds_read2_b64 v[4:7], v236 offset0:46 offset1:47
	s_waitcnt lgkmcnt(0)
	v_fma_f64 v[136:137], -v[180:181], v[4:5], v[136:137]
	v_fma_f64 v[104:105], -v[180:181], v[6:7], v[104:105]
	ds_read2_b64 v[4:7], v236 offset0:48 offset1:49
	s_waitcnt lgkmcnt(0)
	v_fma_f64 v[134:135], -v[180:181], v[4:5], v[134:135]
	v_fma_f64 v[202:203], -v[180:181], v[6:7], v[202:203]
.LBB99_21:
	s_or_b32 exec_lo, exec_lo, s1
	s_mov_b32 s1, exec_lo
	s_waitcnt lgkmcnt(0)
	s_barrier
	buffer_gl0_inv
	v_cmpx_eq_u32_e32 4, v0
	s_cbranch_execz .LBB99_24
; %bb.22:
	ds_write_b64 v1, v[198:199]
	ds_write2_b64 v236, v[178:179], v[196:197] offset0:5 offset1:6
	ds_write2_b64 v236, v[176:177], v[194:195] offset0:7 offset1:8
	;; [unrolled: 1-line block ×22, first 2 shown]
	ds_write_b64 v236, v[202:203] offset:392
	ds_read_b64 v[4:5], v1
	s_waitcnt lgkmcnt(0)
	v_cmp_neq_f64_e32 vcc_lo, 0, v[4:5]
	s_and_b32 exec_lo, exec_lo, vcc_lo
	s_cbranch_execz .LBB99_24
; %bb.23:
	v_div_scale_f64 v[6:7], null, v[4:5], v[4:5], 1.0
	v_rcp_f64_e32 v[8:9], v[6:7]
	v_fma_f64 v[10:11], -v[6:7], v[8:9], 1.0
	v_fma_f64 v[8:9], v[8:9], v[10:11], v[8:9]
	v_fma_f64 v[10:11], -v[6:7], v[8:9], 1.0
	v_fma_f64 v[8:9], v[8:9], v[10:11], v[8:9]
	v_div_scale_f64 v[10:11], vcc_lo, 1.0, v[4:5], 1.0
	v_mul_f64 v[204:205], v[10:11], v[8:9]
	v_fma_f64 v[6:7], -v[6:7], v[204:205], v[10:11]
	v_div_fmas_f64 v[6:7], v[6:7], v[8:9], v[204:205]
	v_div_fixup_f64 v[4:5], v[6:7], v[4:5], 1.0
	ds_write_b64 v1, v[4:5]
.LBB99_24:
	s_or_b32 exec_lo, exec_lo, s1
	s_waitcnt lgkmcnt(0)
	s_barrier
	buffer_gl0_inv
	ds_read_b64 v[250:251], v1
	s_mov_b32 s1, exec_lo
	v_cmpx_lt_u32_e32 4, v0
	s_cbranch_execz .LBB99_26
; %bb.25:
	s_waitcnt lgkmcnt(0)
	v_mul_f64 v[198:199], v[250:251], v[198:199]
	ds_read2_b64 v[4:7], v236 offset0:5 offset1:6
	s_waitcnt lgkmcnt(0)
	v_fma_f64 v[178:179], -v[198:199], v[4:5], v[178:179]
	v_fma_f64 v[196:197], -v[198:199], v[6:7], v[196:197]
	ds_read2_b64 v[4:7], v236 offset0:7 offset1:8
	s_waitcnt lgkmcnt(0)
	v_fma_f64 v[176:177], -v[198:199], v[4:5], v[176:177]
	v_fma_f64 v[194:195], -v[198:199], v[6:7], v[194:195]
	;; [unrolled: 4-line block ×21, first 2 shown]
	ds_read2_b64 v[4:7], v236 offset0:47 offset1:48
	s_waitcnt lgkmcnt(0)
	v_fma_f64 v[104:105], -v[198:199], v[4:5], v[104:105]
	ds_read_b64 v[4:5], v236 offset:392
	v_fma_f64 v[134:135], -v[198:199], v[6:7], v[134:135]
	s_waitcnt lgkmcnt(0)
	v_fma_f64 v[202:203], -v[198:199], v[4:5], v[202:203]
.LBB99_26:
	s_or_b32 exec_lo, exec_lo, s1
	s_mov_b32 s1, exec_lo
	s_waitcnt lgkmcnt(0)
	s_barrier
	buffer_gl0_inv
	v_cmpx_eq_u32_e32 5, v0
	s_cbranch_execz .LBB99_29
; %bb.27:
	v_mov_b32_e32 v4, v196
	v_mov_b32_e32 v5, v197
	v_mov_b32_e32 v6, v176
	v_mov_b32_e32 v7, v177
	v_mov_b32_e32 v8, v194
	v_mov_b32_e32 v9, v195
	v_mov_b32_e32 v10, v174
	v_mov_b32_e32 v11, v175
	ds_write_b64 v1, v[178:179]
	ds_write2_b64 v236, v[4:5], v[6:7] offset0:6 offset1:7
	ds_write2_b64 v236, v[8:9], v[10:11] offset0:8 offset1:9
	v_mov_b32_e32 v4, v192
	v_mov_b32_e32 v5, v193
	v_mov_b32_e32 v6, v172
	v_mov_b32_e32 v7, v173
	v_mov_b32_e32 v8, v190
	v_mov_b32_e32 v9, v191
	v_mov_b32_e32 v10, v170
	v_mov_b32_e32 v11, v171
	v_mov_b32_e32 v204, v188
	v_mov_b32_e32 v205, v189
	v_mov_b32_e32 v206, v168
	v_mov_b32_e32 v207, v169
	v_mov_b32_e32 v208, v186
	v_mov_b32_e32 v209, v187
	v_mov_b32_e32 v210, v166
	v_mov_b32_e32 v211, v167
	v_mov_b32_e32 v212, v184
	v_mov_b32_e32 v213, v185
	v_mov_b32_e32 v214, v132
	v_mov_b32_e32 v215, v133
	ds_write2_b64 v236, v[4:5], v[6:7] offset0:10 offset1:11
	ds_write2_b64 v236, v[8:9], v[10:11] offset0:12 offset1:13
	ds_write2_b64 v236, v[204:205], v[206:207] offset0:14 offset1:15
	ds_write2_b64 v236, v[208:209], v[210:211] offset0:16 offset1:17
	ds_write2_b64 v236, v[212:213], v[214:215] offset0:18 offset1:19
	v_mov_b32_e32 v4, v162
	v_mov_b32_e32 v5, v163
	v_mov_b32_e32 v6, v130
	v_mov_b32_e32 v7, v131
	v_mov_b32_e32 v8, v160
	v_mov_b32_e32 v9, v161
	v_mov_b32_e32 v10, v128
	v_mov_b32_e32 v11, v129
	v_mov_b32_e32 v204, v158
	v_mov_b32_e32 v205, v159
	v_mov_b32_e32 v206, v126
	v_mov_b32_e32 v207, v127
	v_mov_b32_e32 v208, v156
	v_mov_b32_e32 v209, v157
	v_mov_b32_e32 v210, v124
	v_mov_b32_e32 v211, v125
	v_mov_b32_e32 v212, v154
	v_mov_b32_e32 v213, v155
	v_mov_b32_e32 v214, v122
	v_mov_b32_e32 v215, v123
	ds_write2_b64 v236, v[4:5], v[6:7] offset0:20 offset1:21
	ds_write2_b64 v236, v[8:9], v[10:11] offset0:22 offset1:23
	ds_write2_b64 v236, v[204:205], v[206:207] offset0:24 offset1:25
	;; [unrolled: 25-line block ×3, first 2 shown]
	ds_write2_b64 v236, v[208:209], v[210:211] offset0:36 offset1:37
	ds_write2_b64 v236, v[212:213], v[214:215] offset0:38 offset1:39
	v_mov_b32_e32 v4, v142
	v_mov_b32_e32 v5, v143
	;; [unrolled: 1-line block ×18, first 2 shown]
	ds_write2_b64 v236, v[4:5], v[6:7] offset0:40 offset1:41
	ds_write2_b64 v236, v[8:9], v[10:11] offset0:42 offset1:43
	;; [unrolled: 1-line block ×5, first 2 shown]
	ds_read_b64 v[4:5], v1
	s_waitcnt lgkmcnt(0)
	v_cmp_neq_f64_e32 vcc_lo, 0, v[4:5]
	s_and_b32 exec_lo, exec_lo, vcc_lo
	s_cbranch_execz .LBB99_29
; %bb.28:
	v_div_scale_f64 v[6:7], null, v[4:5], v[4:5], 1.0
	v_rcp_f64_e32 v[8:9], v[6:7]
	v_fma_f64 v[10:11], -v[6:7], v[8:9], 1.0
	v_fma_f64 v[8:9], v[8:9], v[10:11], v[8:9]
	v_fma_f64 v[10:11], -v[6:7], v[8:9], 1.0
	v_fma_f64 v[8:9], v[8:9], v[10:11], v[8:9]
	v_div_scale_f64 v[10:11], vcc_lo, 1.0, v[4:5], 1.0
	v_mul_f64 v[204:205], v[10:11], v[8:9]
	v_fma_f64 v[6:7], -v[6:7], v[204:205], v[10:11]
	v_div_fmas_f64 v[6:7], v[6:7], v[8:9], v[204:205]
	v_div_fixup_f64 v[4:5], v[6:7], v[4:5], 1.0
	ds_write_b64 v1, v[4:5]
.LBB99_29:
	s_or_b32 exec_lo, exec_lo, s1
	s_waitcnt lgkmcnt(0)
	s_barrier
	buffer_gl0_inv
	ds_read_b64 v[252:253], v1
	s_mov_b32 s1, exec_lo
	v_cmpx_lt_u32_e32 5, v0
	s_cbranch_execz .LBB99_31
; %bb.30:
	s_waitcnt lgkmcnt(0)
	v_mul_f64 v[178:179], v[252:253], v[178:179]
	ds_read2_b64 v[4:7], v236 offset0:6 offset1:7
	s_waitcnt lgkmcnt(0)
	v_fma_f64 v[196:197], -v[178:179], v[4:5], v[196:197]
	v_fma_f64 v[176:177], -v[178:179], v[6:7], v[176:177]
	ds_read2_b64 v[4:7], v236 offset0:8 offset1:9
	s_waitcnt lgkmcnt(0)
	v_fma_f64 v[194:195], -v[178:179], v[4:5], v[194:195]
	v_fma_f64 v[174:175], -v[178:179], v[6:7], v[174:175]
	;; [unrolled: 4-line block ×22, first 2 shown]
.LBB99_31:
	s_or_b32 exec_lo, exec_lo, s1
	s_mov_b32 s1, exec_lo
	s_waitcnt lgkmcnt(0)
	s_barrier
	buffer_gl0_inv
	v_cmpx_eq_u32_e32 6, v0
	s_cbranch_execz .LBB99_34
; %bb.32:
	ds_write_b64 v1, v[196:197]
	ds_write2_b64 v236, v[176:177], v[194:195] offset0:7 offset1:8
	ds_write2_b64 v236, v[174:175], v[192:193] offset0:9 offset1:10
	;; [unrolled: 1-line block ×21, first 2 shown]
	ds_write_b64 v236, v[202:203] offset:392
	ds_read_b64 v[4:5], v1
	s_waitcnt lgkmcnt(0)
	v_cmp_neq_f64_e32 vcc_lo, 0, v[4:5]
	s_and_b32 exec_lo, exec_lo, vcc_lo
	s_cbranch_execz .LBB99_34
; %bb.33:
	v_div_scale_f64 v[6:7], null, v[4:5], v[4:5], 1.0
	v_rcp_f64_e32 v[8:9], v[6:7]
	v_fma_f64 v[10:11], -v[6:7], v[8:9], 1.0
	v_fma_f64 v[8:9], v[8:9], v[10:11], v[8:9]
	v_fma_f64 v[10:11], -v[6:7], v[8:9], 1.0
	v_fma_f64 v[8:9], v[8:9], v[10:11], v[8:9]
	v_div_scale_f64 v[10:11], vcc_lo, 1.0, v[4:5], 1.0
	v_mul_f64 v[204:205], v[10:11], v[8:9]
	v_fma_f64 v[6:7], -v[6:7], v[204:205], v[10:11]
	v_div_fmas_f64 v[6:7], v[6:7], v[8:9], v[204:205]
	v_div_fixup_f64 v[4:5], v[6:7], v[4:5], 1.0
	ds_write_b64 v1, v[4:5]
.LBB99_34:
	s_or_b32 exec_lo, exec_lo, s1
	s_waitcnt lgkmcnt(0)
	s_barrier
	buffer_gl0_inv
	ds_read_b64 v[254:255], v1
	s_mov_b32 s1, exec_lo
	v_cmpx_lt_u32_e32 6, v0
	s_cbranch_execz .LBB99_36
; %bb.35:
	s_waitcnt lgkmcnt(0)
	v_mul_f64 v[196:197], v[254:255], v[196:197]
	ds_read2_b64 v[4:7], v236 offset0:7 offset1:8
	s_waitcnt lgkmcnt(0)
	v_fma_f64 v[176:177], -v[196:197], v[4:5], v[176:177]
	v_fma_f64 v[194:195], -v[196:197], v[6:7], v[194:195]
	ds_read2_b64 v[4:7], v236 offset0:9 offset1:10
	s_waitcnt lgkmcnt(0)
	v_fma_f64 v[174:175], -v[196:197], v[4:5], v[174:175]
	v_fma_f64 v[192:193], -v[196:197], v[6:7], v[192:193]
	;; [unrolled: 4-line block ×20, first 2 shown]
	ds_read2_b64 v[4:7], v236 offset0:47 offset1:48
	s_waitcnt lgkmcnt(0)
	v_fma_f64 v[104:105], -v[196:197], v[4:5], v[104:105]
	ds_read_b64 v[4:5], v236 offset:392
	v_fma_f64 v[134:135], -v[196:197], v[6:7], v[134:135]
	s_waitcnt lgkmcnt(0)
	v_fma_f64 v[202:203], -v[196:197], v[4:5], v[202:203]
.LBB99_36:
	s_or_b32 exec_lo, exec_lo, s1
	s_mov_b32 s1, exec_lo
	s_waitcnt lgkmcnt(0)
	s_barrier
	buffer_gl0_inv
	v_cmpx_eq_u32_e32 7, v0
	s_cbranch_execz .LBB99_39
; %bb.37:
	v_mov_b32_e32 v4, v194
	v_mov_b32_e32 v5, v195
	;; [unrolled: 1-line block ×4, first 2 shown]
	ds_write_b64 v1, v[176:177]
	ds_write2_b64 v236, v[4:5], v[6:7] offset0:8 offset1:9
	v_mov_b32_e32 v4, v192
	v_mov_b32_e32 v5, v193
	v_mov_b32_e32 v6, v172
	v_mov_b32_e32 v7, v173
	v_mov_b32_e32 v8, v190
	v_mov_b32_e32 v9, v191
	v_mov_b32_e32 v10, v170
	v_mov_b32_e32 v11, v171
	v_mov_b32_e32 v204, v188
	v_mov_b32_e32 v205, v189
	v_mov_b32_e32 v206, v168
	v_mov_b32_e32 v207, v169
	v_mov_b32_e32 v208, v186
	v_mov_b32_e32 v209, v187
	v_mov_b32_e32 v210, v166
	v_mov_b32_e32 v211, v167
	v_mov_b32_e32 v212, v184
	v_mov_b32_e32 v213, v185
	v_mov_b32_e32 v214, v132
	v_mov_b32_e32 v215, v133
	ds_write2_b64 v236, v[4:5], v[6:7] offset0:10 offset1:11
	ds_write2_b64 v236, v[8:9], v[10:11] offset0:12 offset1:13
	ds_write2_b64 v236, v[204:205], v[206:207] offset0:14 offset1:15
	ds_write2_b64 v236, v[208:209], v[210:211] offset0:16 offset1:17
	ds_write2_b64 v236, v[212:213], v[214:215] offset0:18 offset1:19
	v_mov_b32_e32 v4, v162
	v_mov_b32_e32 v5, v163
	v_mov_b32_e32 v6, v130
	v_mov_b32_e32 v7, v131
	v_mov_b32_e32 v8, v160
	v_mov_b32_e32 v9, v161
	v_mov_b32_e32 v10, v128
	v_mov_b32_e32 v11, v129
	v_mov_b32_e32 v204, v158
	v_mov_b32_e32 v205, v159
	v_mov_b32_e32 v206, v126
	v_mov_b32_e32 v207, v127
	v_mov_b32_e32 v208, v156
	v_mov_b32_e32 v209, v157
	v_mov_b32_e32 v210, v124
	v_mov_b32_e32 v211, v125
	v_mov_b32_e32 v212, v154
	v_mov_b32_e32 v213, v155
	v_mov_b32_e32 v214, v122
	v_mov_b32_e32 v215, v123
	ds_write2_b64 v236, v[4:5], v[6:7] offset0:20 offset1:21
	ds_write2_b64 v236, v[8:9], v[10:11] offset0:22 offset1:23
	ds_write2_b64 v236, v[204:205], v[206:207] offset0:24 offset1:25
	ds_write2_b64 v236, v[208:209], v[210:211] offset0:26 offset1:27
	;; [unrolled: 25-line block ×3, first 2 shown]
	ds_write2_b64 v236, v[212:213], v[214:215] offset0:38 offset1:39
	v_mov_b32_e32 v4, v142
	v_mov_b32_e32 v5, v143
	;; [unrolled: 1-line block ×18, first 2 shown]
	ds_write2_b64 v236, v[4:5], v[6:7] offset0:40 offset1:41
	ds_write2_b64 v236, v[8:9], v[10:11] offset0:42 offset1:43
	;; [unrolled: 1-line block ×5, first 2 shown]
	ds_read_b64 v[4:5], v1
	s_waitcnt lgkmcnt(0)
	v_cmp_neq_f64_e32 vcc_lo, 0, v[4:5]
	s_and_b32 exec_lo, exec_lo, vcc_lo
	s_cbranch_execz .LBB99_39
; %bb.38:
	v_div_scale_f64 v[6:7], null, v[4:5], v[4:5], 1.0
	v_rcp_f64_e32 v[8:9], v[6:7]
	v_fma_f64 v[10:11], -v[6:7], v[8:9], 1.0
	v_fma_f64 v[8:9], v[8:9], v[10:11], v[8:9]
	v_fma_f64 v[10:11], -v[6:7], v[8:9], 1.0
	v_fma_f64 v[8:9], v[8:9], v[10:11], v[8:9]
	v_div_scale_f64 v[10:11], vcc_lo, 1.0, v[4:5], 1.0
	v_mul_f64 v[204:205], v[10:11], v[8:9]
	v_fma_f64 v[6:7], -v[6:7], v[204:205], v[10:11]
	v_div_fmas_f64 v[6:7], v[6:7], v[8:9], v[204:205]
	v_div_fixup_f64 v[4:5], v[6:7], v[4:5], 1.0
	ds_write_b64 v1, v[4:5]
.LBB99_39:
	s_or_b32 exec_lo, exec_lo, s1
	s_waitcnt lgkmcnt(0)
	s_barrier
	buffer_gl0_inv
	ds_read_b64 v[14:15], v1
	s_mov_b32 s1, exec_lo
	v_cmpx_lt_u32_e32 7, v0
	s_cbranch_execz .LBB99_41
; %bb.40:
	s_waitcnt lgkmcnt(0)
	v_mul_f64 v[176:177], v[14:15], v[176:177]
	ds_read2_b64 v[4:7], v236 offset0:8 offset1:9
	s_waitcnt lgkmcnt(0)
	v_fma_f64 v[194:195], -v[176:177], v[4:5], v[194:195]
	v_fma_f64 v[174:175], -v[176:177], v[6:7], v[174:175]
	ds_read2_b64 v[4:7], v236 offset0:10 offset1:11
	s_waitcnt lgkmcnt(0)
	v_fma_f64 v[192:193], -v[176:177], v[4:5], v[192:193]
	v_fma_f64 v[172:173], -v[176:177], v[6:7], v[172:173]
	;; [unrolled: 4-line block ×21, first 2 shown]
.LBB99_41:
	s_or_b32 exec_lo, exec_lo, s1
	s_mov_b32 s1, exec_lo
	s_waitcnt lgkmcnt(0)
	s_barrier
	buffer_gl0_inv
	v_cmpx_eq_u32_e32 8, v0
	s_cbranch_execz .LBB99_44
; %bb.42:
	ds_write_b64 v1, v[194:195]
	ds_write2_b64 v236, v[174:175], v[192:193] offset0:9 offset1:10
	ds_write2_b64 v236, v[172:173], v[190:191] offset0:11 offset1:12
	;; [unrolled: 1-line block ×20, first 2 shown]
	ds_write_b64 v236, v[202:203] offset:392
	ds_read_b64 v[4:5], v1
	s_waitcnt lgkmcnt(0)
	v_cmp_neq_f64_e32 vcc_lo, 0, v[4:5]
	s_and_b32 exec_lo, exec_lo, vcc_lo
	s_cbranch_execz .LBB99_44
; %bb.43:
	v_div_scale_f64 v[6:7], null, v[4:5], v[4:5], 1.0
	v_rcp_f64_e32 v[8:9], v[6:7]
	v_fma_f64 v[10:11], -v[6:7], v[8:9], 1.0
	v_fma_f64 v[8:9], v[8:9], v[10:11], v[8:9]
	v_fma_f64 v[10:11], -v[6:7], v[8:9], 1.0
	v_fma_f64 v[8:9], v[8:9], v[10:11], v[8:9]
	v_div_scale_f64 v[10:11], vcc_lo, 1.0, v[4:5], 1.0
	v_mul_f64 v[204:205], v[10:11], v[8:9]
	v_fma_f64 v[6:7], -v[6:7], v[204:205], v[10:11]
	v_div_fmas_f64 v[6:7], v[6:7], v[8:9], v[204:205]
	v_div_fixup_f64 v[4:5], v[6:7], v[4:5], 1.0
	ds_write_b64 v1, v[4:5]
.LBB99_44:
	s_or_b32 exec_lo, exec_lo, s1
	s_waitcnt lgkmcnt(0)
	s_barrier
	buffer_gl0_inv
	ds_read_b64 v[4:5], v1
	s_mov_b32 s1, exec_lo
	s_waitcnt lgkmcnt(0)
	buffer_store_dword v4, off, s[12:15], 0 offset:64 ; 4-byte Folded Spill
	buffer_store_dword v5, off, s[12:15], 0 offset:68 ; 4-byte Folded Spill
	v_cmpx_lt_u32_e32 8, v0
	s_cbranch_execz .LBB99_46
; %bb.45:
	s_clause 0x1
	buffer_load_dword v4, off, s[12:15], 0 offset:64
	buffer_load_dword v5, off, s[12:15], 0 offset:68
	s_waitcnt vmcnt(0)
	v_mul_f64 v[194:195], v[4:5], v[194:195]
	ds_read2_b64 v[4:7], v236 offset0:9 offset1:10
	s_waitcnt lgkmcnt(0)
	v_fma_f64 v[174:175], -v[194:195], v[4:5], v[174:175]
	v_fma_f64 v[192:193], -v[194:195], v[6:7], v[192:193]
	ds_read2_b64 v[4:7], v236 offset0:11 offset1:12
	s_waitcnt lgkmcnt(0)
	v_fma_f64 v[172:173], -v[194:195], v[4:5], v[172:173]
	v_fma_f64 v[190:191], -v[194:195], v[6:7], v[190:191]
	;; [unrolled: 4-line block ×19, first 2 shown]
	ds_read2_b64 v[4:7], v236 offset0:47 offset1:48
	s_waitcnt lgkmcnt(0)
	v_fma_f64 v[104:105], -v[194:195], v[4:5], v[104:105]
	ds_read_b64 v[4:5], v236 offset:392
	v_fma_f64 v[134:135], -v[194:195], v[6:7], v[134:135]
	s_waitcnt lgkmcnt(0)
	v_fma_f64 v[202:203], -v[194:195], v[4:5], v[202:203]
.LBB99_46:
	s_or_b32 exec_lo, exec_lo, s1
	s_mov_b32 s1, exec_lo
	s_waitcnt_vscnt null, 0x0
	s_barrier
	buffer_gl0_inv
	v_cmpx_eq_u32_e32 9, v0
	s_cbranch_execz .LBB99_49
; %bb.47:
	v_mov_b32_e32 v4, v192
	v_mov_b32_e32 v5, v193
	;; [unrolled: 1-line block ×20, first 2 shown]
	ds_write_b64 v1, v[174:175]
	ds_write2_b64 v236, v[4:5], v[6:7] offset0:10 offset1:11
	ds_write2_b64 v236, v[8:9], v[10:11] offset0:12 offset1:13
	;; [unrolled: 1-line block ×5, first 2 shown]
	v_mov_b32_e32 v4, v162
	v_mov_b32_e32 v5, v163
	;; [unrolled: 1-line block ×20, first 2 shown]
	ds_write2_b64 v236, v[4:5], v[6:7] offset0:20 offset1:21
	ds_write2_b64 v236, v[8:9], v[10:11] offset0:22 offset1:23
	;; [unrolled: 1-line block ×5, first 2 shown]
	v_mov_b32_e32 v4, v152
	v_mov_b32_e32 v5, v153
	;; [unrolled: 1-line block ×20, first 2 shown]
	ds_write2_b64 v236, v[4:5], v[6:7] offset0:30 offset1:31
	ds_write2_b64 v236, v[8:9], v[10:11] offset0:32 offset1:33
	ds_write2_b64 v236, v[204:205], v[206:207] offset0:34 offset1:35
	ds_write2_b64 v236, v[208:209], v[210:211] offset0:36 offset1:37
	ds_write2_b64 v236, v[212:213], v[214:215] offset0:38 offset1:39
	v_mov_b32_e32 v4, v142
	v_mov_b32_e32 v5, v143
	;; [unrolled: 1-line block ×18, first 2 shown]
	ds_write2_b64 v236, v[4:5], v[6:7] offset0:40 offset1:41
	ds_write2_b64 v236, v[8:9], v[10:11] offset0:42 offset1:43
	;; [unrolled: 1-line block ×5, first 2 shown]
	ds_read_b64 v[4:5], v1
	s_waitcnt lgkmcnt(0)
	v_cmp_neq_f64_e32 vcc_lo, 0, v[4:5]
	s_and_b32 exec_lo, exec_lo, vcc_lo
	s_cbranch_execz .LBB99_49
; %bb.48:
	v_div_scale_f64 v[6:7], null, v[4:5], v[4:5], 1.0
	v_rcp_f64_e32 v[8:9], v[6:7]
	v_fma_f64 v[10:11], -v[6:7], v[8:9], 1.0
	v_fma_f64 v[8:9], v[8:9], v[10:11], v[8:9]
	v_fma_f64 v[10:11], -v[6:7], v[8:9], 1.0
	v_fma_f64 v[8:9], v[8:9], v[10:11], v[8:9]
	v_div_scale_f64 v[10:11], vcc_lo, 1.0, v[4:5], 1.0
	v_mul_f64 v[204:205], v[10:11], v[8:9]
	v_fma_f64 v[6:7], -v[6:7], v[204:205], v[10:11]
	v_div_fmas_f64 v[6:7], v[6:7], v[8:9], v[204:205]
	v_div_fixup_f64 v[4:5], v[6:7], v[4:5], 1.0
	ds_write_b64 v1, v[4:5]
.LBB99_49:
	s_or_b32 exec_lo, exec_lo, s1
	s_waitcnt lgkmcnt(0)
	s_barrier
	buffer_gl0_inv
	ds_read_b64 v[4:5], v1
	s_mov_b32 s1, exec_lo
	s_waitcnt lgkmcnt(0)
	buffer_store_dword v4, off, s[12:15], 0 offset:72 ; 4-byte Folded Spill
	buffer_store_dword v5, off, s[12:15], 0 offset:76 ; 4-byte Folded Spill
	v_cmpx_lt_u32_e32 9, v0
	s_cbranch_execz .LBB99_51
; %bb.50:
	s_clause 0x1
	buffer_load_dword v4, off, s[12:15], 0 offset:72
	buffer_load_dword v5, off, s[12:15], 0 offset:76
	s_waitcnt vmcnt(0)
	v_mul_f64 v[174:175], v[4:5], v[174:175]
	ds_read2_b64 v[4:7], v236 offset0:10 offset1:11
	s_waitcnt lgkmcnt(0)
	v_fma_f64 v[192:193], -v[174:175], v[4:5], v[192:193]
	v_fma_f64 v[172:173], -v[174:175], v[6:7], v[172:173]
	ds_read2_b64 v[4:7], v236 offset0:12 offset1:13
	s_waitcnt lgkmcnt(0)
	v_fma_f64 v[190:191], -v[174:175], v[4:5], v[190:191]
	v_fma_f64 v[170:171], -v[174:175], v[6:7], v[170:171]
	;; [unrolled: 4-line block ×20, first 2 shown]
.LBB99_51:
	s_or_b32 exec_lo, exec_lo, s1
	s_mov_b32 s1, exec_lo
	s_waitcnt_vscnt null, 0x0
	s_barrier
	buffer_gl0_inv
	v_cmpx_eq_u32_e32 10, v0
	s_cbranch_execz .LBB99_54
; %bb.52:
	ds_write_b64 v1, v[192:193]
	ds_write2_b64 v236, v[172:173], v[190:191] offset0:11 offset1:12
	ds_write2_b64 v236, v[170:171], v[188:189] offset0:13 offset1:14
	;; [unrolled: 1-line block ×19, first 2 shown]
	ds_write_b64 v236, v[202:203] offset:392
	ds_read_b64 v[4:5], v1
	s_waitcnt lgkmcnt(0)
	v_cmp_neq_f64_e32 vcc_lo, 0, v[4:5]
	s_and_b32 exec_lo, exec_lo, vcc_lo
	s_cbranch_execz .LBB99_54
; %bb.53:
	v_div_scale_f64 v[6:7], null, v[4:5], v[4:5], 1.0
	v_rcp_f64_e32 v[8:9], v[6:7]
	v_fma_f64 v[10:11], -v[6:7], v[8:9], 1.0
	v_fma_f64 v[8:9], v[8:9], v[10:11], v[8:9]
	v_fma_f64 v[10:11], -v[6:7], v[8:9], 1.0
	v_fma_f64 v[8:9], v[8:9], v[10:11], v[8:9]
	v_div_scale_f64 v[10:11], vcc_lo, 1.0, v[4:5], 1.0
	v_mul_f64 v[204:205], v[10:11], v[8:9]
	v_fma_f64 v[6:7], -v[6:7], v[204:205], v[10:11]
	v_div_fmas_f64 v[6:7], v[6:7], v[8:9], v[204:205]
	v_div_fixup_f64 v[4:5], v[6:7], v[4:5], 1.0
	ds_write_b64 v1, v[4:5]
.LBB99_54:
	s_or_b32 exec_lo, exec_lo, s1
	s_waitcnt lgkmcnt(0)
	s_barrier
	buffer_gl0_inv
	ds_read_b64 v[4:5], v1
	s_mov_b32 s1, exec_lo
	s_waitcnt lgkmcnt(0)
	buffer_store_dword v4, off, s[12:15], 0 offset:80 ; 4-byte Folded Spill
	buffer_store_dword v5, off, s[12:15], 0 offset:84 ; 4-byte Folded Spill
	v_cmpx_lt_u32_e32 10, v0
	s_cbranch_execz .LBB99_56
; %bb.55:
	s_clause 0x1
	buffer_load_dword v4, off, s[12:15], 0 offset:80
	buffer_load_dword v5, off, s[12:15], 0 offset:84
	s_waitcnt vmcnt(0)
	v_mul_f64 v[192:193], v[4:5], v[192:193]
	ds_read2_b64 v[4:7], v236 offset0:11 offset1:12
	s_waitcnt lgkmcnt(0)
	v_fma_f64 v[172:173], -v[192:193], v[4:5], v[172:173]
	v_fma_f64 v[190:191], -v[192:193], v[6:7], v[190:191]
	ds_read2_b64 v[4:7], v236 offset0:13 offset1:14
	s_waitcnt lgkmcnt(0)
	v_fma_f64 v[170:171], -v[192:193], v[4:5], v[170:171]
	v_fma_f64 v[188:189], -v[192:193], v[6:7], v[188:189]
	;; [unrolled: 4-line block ×18, first 2 shown]
	ds_read2_b64 v[4:7], v236 offset0:47 offset1:48
	s_waitcnt lgkmcnt(0)
	v_fma_f64 v[104:105], -v[192:193], v[4:5], v[104:105]
	ds_read_b64 v[4:5], v236 offset:392
	v_fma_f64 v[134:135], -v[192:193], v[6:7], v[134:135]
	s_waitcnt lgkmcnt(0)
	v_fma_f64 v[202:203], -v[192:193], v[4:5], v[202:203]
.LBB99_56:
	s_or_b32 exec_lo, exec_lo, s1
	s_mov_b32 s1, exec_lo
	s_waitcnt_vscnt null, 0x0
	s_barrier
	buffer_gl0_inv
	v_cmpx_eq_u32_e32 11, v0
	s_cbranch_execz .LBB99_59
; %bb.57:
	v_mov_b32_e32 v4, v190
	v_mov_b32_e32 v5, v191
	;; [unrolled: 1-line block ×16, first 2 shown]
	ds_write_b64 v1, v[172:173]
	ds_write2_b64 v236, v[4:5], v[6:7] offset0:12 offset1:13
	ds_write2_b64 v236, v[8:9], v[10:11] offset0:14 offset1:15
	ds_write2_b64 v236, v[204:205], v[206:207] offset0:16 offset1:17
	ds_write2_b64 v236, v[208:209], v[210:211] offset0:18 offset1:19
	v_mov_b32_e32 v4, v162
	v_mov_b32_e32 v5, v163
	;; [unrolled: 1-line block ×20, first 2 shown]
	ds_write2_b64 v236, v[4:5], v[6:7] offset0:20 offset1:21
	ds_write2_b64 v236, v[8:9], v[10:11] offset0:22 offset1:23
	;; [unrolled: 1-line block ×5, first 2 shown]
	v_mov_b32_e32 v4, v152
	v_mov_b32_e32 v5, v153
	;; [unrolled: 1-line block ×20, first 2 shown]
	ds_write2_b64 v236, v[4:5], v[6:7] offset0:30 offset1:31
	ds_write2_b64 v236, v[8:9], v[10:11] offset0:32 offset1:33
	;; [unrolled: 1-line block ×5, first 2 shown]
	v_mov_b32_e32 v4, v142
	v_mov_b32_e32 v5, v143
	;; [unrolled: 1-line block ×18, first 2 shown]
	ds_write2_b64 v236, v[4:5], v[6:7] offset0:40 offset1:41
	ds_write2_b64 v236, v[8:9], v[10:11] offset0:42 offset1:43
	;; [unrolled: 1-line block ×5, first 2 shown]
	ds_read_b64 v[4:5], v1
	s_waitcnt lgkmcnt(0)
	v_cmp_neq_f64_e32 vcc_lo, 0, v[4:5]
	s_and_b32 exec_lo, exec_lo, vcc_lo
	s_cbranch_execz .LBB99_59
; %bb.58:
	v_div_scale_f64 v[6:7], null, v[4:5], v[4:5], 1.0
	v_rcp_f64_e32 v[8:9], v[6:7]
	v_fma_f64 v[10:11], -v[6:7], v[8:9], 1.0
	v_fma_f64 v[8:9], v[8:9], v[10:11], v[8:9]
	v_fma_f64 v[10:11], -v[6:7], v[8:9], 1.0
	v_fma_f64 v[8:9], v[8:9], v[10:11], v[8:9]
	v_div_scale_f64 v[10:11], vcc_lo, 1.0, v[4:5], 1.0
	v_mul_f64 v[204:205], v[10:11], v[8:9]
	v_fma_f64 v[6:7], -v[6:7], v[204:205], v[10:11]
	v_div_fmas_f64 v[6:7], v[6:7], v[8:9], v[204:205]
	v_div_fixup_f64 v[4:5], v[6:7], v[4:5], 1.0
	ds_write_b64 v1, v[4:5]
.LBB99_59:
	s_or_b32 exec_lo, exec_lo, s1
	s_waitcnt lgkmcnt(0)
	s_barrier
	buffer_gl0_inv
	ds_read_b64 v[4:5], v1
	s_mov_b32 s1, exec_lo
	s_waitcnt lgkmcnt(0)
	buffer_store_dword v4, off, s[12:15], 0 offset:88 ; 4-byte Folded Spill
	buffer_store_dword v5, off, s[12:15], 0 offset:92 ; 4-byte Folded Spill
	v_cmpx_lt_u32_e32 11, v0
	s_cbranch_execz .LBB99_61
; %bb.60:
	s_clause 0x1
	buffer_load_dword v4, off, s[12:15], 0 offset:88
	buffer_load_dword v5, off, s[12:15], 0 offset:92
	s_waitcnt vmcnt(0)
	v_mul_f64 v[172:173], v[4:5], v[172:173]
	ds_read2_b64 v[4:7], v236 offset0:12 offset1:13
	s_waitcnt lgkmcnt(0)
	v_fma_f64 v[190:191], -v[172:173], v[4:5], v[190:191]
	v_fma_f64 v[170:171], -v[172:173], v[6:7], v[170:171]
	ds_read2_b64 v[4:7], v236 offset0:14 offset1:15
	s_waitcnt lgkmcnt(0)
	v_fma_f64 v[188:189], -v[172:173], v[4:5], v[188:189]
	v_fma_f64 v[168:169], -v[172:173], v[6:7], v[168:169]
	;; [unrolled: 4-line block ×19, first 2 shown]
.LBB99_61:
	s_or_b32 exec_lo, exec_lo, s1
	s_mov_b32 s1, exec_lo
	s_waitcnt_vscnt null, 0x0
	s_barrier
	buffer_gl0_inv
	v_cmpx_eq_u32_e32 12, v0
	s_cbranch_execz .LBB99_64
; %bb.62:
	ds_write_b64 v1, v[190:191]
	ds_write2_b64 v236, v[170:171], v[188:189] offset0:13 offset1:14
	ds_write2_b64 v236, v[168:169], v[186:187] offset0:15 offset1:16
	;; [unrolled: 1-line block ×18, first 2 shown]
	ds_write_b64 v236, v[202:203] offset:392
	ds_read_b64 v[4:5], v1
	s_waitcnt lgkmcnt(0)
	v_cmp_neq_f64_e32 vcc_lo, 0, v[4:5]
	s_and_b32 exec_lo, exec_lo, vcc_lo
	s_cbranch_execz .LBB99_64
; %bb.63:
	v_div_scale_f64 v[6:7], null, v[4:5], v[4:5], 1.0
	v_rcp_f64_e32 v[8:9], v[6:7]
	v_fma_f64 v[10:11], -v[6:7], v[8:9], 1.0
	v_fma_f64 v[8:9], v[8:9], v[10:11], v[8:9]
	v_fma_f64 v[10:11], -v[6:7], v[8:9], 1.0
	v_fma_f64 v[8:9], v[8:9], v[10:11], v[8:9]
	v_div_scale_f64 v[10:11], vcc_lo, 1.0, v[4:5], 1.0
	v_mul_f64 v[204:205], v[10:11], v[8:9]
	v_fma_f64 v[6:7], -v[6:7], v[204:205], v[10:11]
	v_div_fmas_f64 v[6:7], v[6:7], v[8:9], v[204:205]
	v_div_fixup_f64 v[4:5], v[6:7], v[4:5], 1.0
	ds_write_b64 v1, v[4:5]
.LBB99_64:
	s_or_b32 exec_lo, exec_lo, s1
	s_waitcnt lgkmcnt(0)
	s_barrier
	buffer_gl0_inv
	ds_read_b64 v[4:5], v1
	s_mov_b32 s1, exec_lo
	s_waitcnt lgkmcnt(0)
	buffer_store_dword v4, off, s[12:15], 0 offset:96 ; 4-byte Folded Spill
	buffer_store_dword v5, off, s[12:15], 0 offset:100 ; 4-byte Folded Spill
	v_cmpx_lt_u32_e32 12, v0
	s_cbranch_execz .LBB99_66
; %bb.65:
	s_clause 0x1
	buffer_load_dword v4, off, s[12:15], 0 offset:96
	buffer_load_dword v5, off, s[12:15], 0 offset:100
	s_waitcnt vmcnt(0)
	v_mul_f64 v[190:191], v[4:5], v[190:191]
	ds_read2_b64 v[4:7], v236 offset0:13 offset1:14
	s_waitcnt lgkmcnt(0)
	v_fma_f64 v[170:171], -v[190:191], v[4:5], v[170:171]
	v_fma_f64 v[188:189], -v[190:191], v[6:7], v[188:189]
	ds_read2_b64 v[4:7], v236 offset0:15 offset1:16
	s_waitcnt lgkmcnt(0)
	v_fma_f64 v[168:169], -v[190:191], v[4:5], v[168:169]
	v_fma_f64 v[186:187], -v[190:191], v[6:7], v[186:187]
	;; [unrolled: 4-line block ×17, first 2 shown]
	ds_read2_b64 v[4:7], v236 offset0:47 offset1:48
	s_waitcnt lgkmcnt(0)
	v_fma_f64 v[104:105], -v[190:191], v[4:5], v[104:105]
	ds_read_b64 v[4:5], v236 offset:392
	v_fma_f64 v[134:135], -v[190:191], v[6:7], v[134:135]
	s_waitcnt lgkmcnt(0)
	v_fma_f64 v[202:203], -v[190:191], v[4:5], v[202:203]
.LBB99_66:
	s_or_b32 exec_lo, exec_lo, s1
	s_mov_b32 s1, exec_lo
	s_waitcnt_vscnt null, 0x0
	s_barrier
	buffer_gl0_inv
	v_cmpx_eq_u32_e32 13, v0
	s_cbranch_execz .LBB99_69
; %bb.67:
	v_mov_b32_e32 v4, v188
	v_mov_b32_e32 v5, v189
	;; [unrolled: 1-line block ×12, first 2 shown]
	ds_write_b64 v1, v[170:171]
	ds_write2_b64 v236, v[4:5], v[6:7] offset0:14 offset1:15
	ds_write2_b64 v236, v[8:9], v[10:11] offset0:16 offset1:17
	;; [unrolled: 1-line block ×3, first 2 shown]
	v_mov_b32_e32 v4, v162
	v_mov_b32_e32 v5, v163
	;; [unrolled: 1-line block ×20, first 2 shown]
	ds_write2_b64 v236, v[4:5], v[6:7] offset0:20 offset1:21
	ds_write2_b64 v236, v[8:9], v[10:11] offset0:22 offset1:23
	;; [unrolled: 1-line block ×5, first 2 shown]
	v_mov_b32_e32 v4, v152
	v_mov_b32_e32 v5, v153
	;; [unrolled: 1-line block ×20, first 2 shown]
	ds_write2_b64 v236, v[4:5], v[6:7] offset0:30 offset1:31
	ds_write2_b64 v236, v[8:9], v[10:11] offset0:32 offset1:33
	;; [unrolled: 1-line block ×5, first 2 shown]
	v_mov_b32_e32 v4, v142
	v_mov_b32_e32 v5, v143
	v_mov_b32_e32 v6, v110
	v_mov_b32_e32 v7, v111
	v_mov_b32_e32 v8, v140
	v_mov_b32_e32 v9, v141
	v_mov_b32_e32 v10, v108
	v_mov_b32_e32 v11, v109
	v_mov_b32_e32 v204, v138
	v_mov_b32_e32 v205, v139
	v_mov_b32_e32 v206, v106
	v_mov_b32_e32 v207, v107
	v_mov_b32_e32 v208, v136
	v_mov_b32_e32 v209, v137
	v_mov_b32_e32 v210, v104
	v_mov_b32_e32 v211, v105
	v_mov_b32_e32 v212, v134
	v_mov_b32_e32 v213, v135
	ds_write2_b64 v236, v[4:5], v[6:7] offset0:40 offset1:41
	ds_write2_b64 v236, v[8:9], v[10:11] offset0:42 offset1:43
	;; [unrolled: 1-line block ×5, first 2 shown]
	ds_read_b64 v[4:5], v1
	s_waitcnt lgkmcnt(0)
	v_cmp_neq_f64_e32 vcc_lo, 0, v[4:5]
	s_and_b32 exec_lo, exec_lo, vcc_lo
	s_cbranch_execz .LBB99_69
; %bb.68:
	v_div_scale_f64 v[6:7], null, v[4:5], v[4:5], 1.0
	v_rcp_f64_e32 v[8:9], v[6:7]
	v_fma_f64 v[10:11], -v[6:7], v[8:9], 1.0
	v_fma_f64 v[8:9], v[8:9], v[10:11], v[8:9]
	v_fma_f64 v[10:11], -v[6:7], v[8:9], 1.0
	v_fma_f64 v[8:9], v[8:9], v[10:11], v[8:9]
	v_div_scale_f64 v[10:11], vcc_lo, 1.0, v[4:5], 1.0
	v_mul_f64 v[204:205], v[10:11], v[8:9]
	v_fma_f64 v[6:7], -v[6:7], v[204:205], v[10:11]
	v_div_fmas_f64 v[6:7], v[6:7], v[8:9], v[204:205]
	v_div_fixup_f64 v[4:5], v[6:7], v[4:5], 1.0
	ds_write_b64 v1, v[4:5]
.LBB99_69:
	s_or_b32 exec_lo, exec_lo, s1
	s_waitcnt lgkmcnt(0)
	s_barrier
	buffer_gl0_inv
	ds_read_b64 v[4:5], v1
	s_mov_b32 s1, exec_lo
	s_waitcnt lgkmcnt(0)
	buffer_store_dword v4, off, s[12:15], 0 offset:104 ; 4-byte Folded Spill
	buffer_store_dword v5, off, s[12:15], 0 offset:108 ; 4-byte Folded Spill
	v_cmpx_lt_u32_e32 13, v0
	s_cbranch_execz .LBB99_71
; %bb.70:
	s_clause 0x1
	buffer_load_dword v4, off, s[12:15], 0 offset:104
	buffer_load_dword v5, off, s[12:15], 0 offset:108
	s_waitcnt vmcnt(0)
	v_mul_f64 v[170:171], v[4:5], v[170:171]
	ds_read2_b64 v[4:7], v236 offset0:14 offset1:15
	s_waitcnt lgkmcnt(0)
	v_fma_f64 v[188:189], -v[170:171], v[4:5], v[188:189]
	v_fma_f64 v[168:169], -v[170:171], v[6:7], v[168:169]
	ds_read2_b64 v[4:7], v236 offset0:16 offset1:17
	s_waitcnt lgkmcnt(0)
	v_fma_f64 v[186:187], -v[170:171], v[4:5], v[186:187]
	v_fma_f64 v[166:167], -v[170:171], v[6:7], v[166:167]
	;; [unrolled: 4-line block ×18, first 2 shown]
.LBB99_71:
	s_or_b32 exec_lo, exec_lo, s1
	s_mov_b32 s1, exec_lo
	s_waitcnt_vscnt null, 0x0
	s_barrier
	buffer_gl0_inv
	v_cmpx_eq_u32_e32 14, v0
	s_cbranch_execz .LBB99_74
; %bb.72:
	ds_write_b64 v1, v[188:189]
	ds_write2_b64 v236, v[168:169], v[186:187] offset0:15 offset1:16
	ds_write2_b64 v236, v[166:167], v[184:185] offset0:17 offset1:18
	;; [unrolled: 1-line block ×17, first 2 shown]
	ds_write_b64 v236, v[202:203] offset:392
	ds_read_b64 v[4:5], v1
	s_waitcnt lgkmcnt(0)
	v_cmp_neq_f64_e32 vcc_lo, 0, v[4:5]
	s_and_b32 exec_lo, exec_lo, vcc_lo
	s_cbranch_execz .LBB99_74
; %bb.73:
	v_div_scale_f64 v[6:7], null, v[4:5], v[4:5], 1.0
	v_rcp_f64_e32 v[8:9], v[6:7]
	v_fma_f64 v[10:11], -v[6:7], v[8:9], 1.0
	v_fma_f64 v[8:9], v[8:9], v[10:11], v[8:9]
	v_fma_f64 v[10:11], -v[6:7], v[8:9], 1.0
	v_fma_f64 v[8:9], v[8:9], v[10:11], v[8:9]
	v_div_scale_f64 v[10:11], vcc_lo, 1.0, v[4:5], 1.0
	v_mul_f64 v[204:205], v[10:11], v[8:9]
	v_fma_f64 v[6:7], -v[6:7], v[204:205], v[10:11]
	v_div_fmas_f64 v[6:7], v[6:7], v[8:9], v[204:205]
	v_div_fixup_f64 v[4:5], v[6:7], v[4:5], 1.0
	ds_write_b64 v1, v[4:5]
.LBB99_74:
	s_or_b32 exec_lo, exec_lo, s1
	s_waitcnt lgkmcnt(0)
	s_barrier
	buffer_gl0_inv
	ds_read_b64 v[4:5], v1
	s_mov_b32 s1, exec_lo
	s_waitcnt lgkmcnt(0)
	buffer_store_dword v4, off, s[12:15], 0 offset:112 ; 4-byte Folded Spill
	buffer_store_dword v5, off, s[12:15], 0 offset:116 ; 4-byte Folded Spill
	v_cmpx_lt_u32_e32 14, v0
	s_cbranch_execz .LBB99_76
; %bb.75:
	s_clause 0x1
	buffer_load_dword v4, off, s[12:15], 0 offset:112
	buffer_load_dword v5, off, s[12:15], 0 offset:116
	s_waitcnt vmcnt(0)
	v_mul_f64 v[188:189], v[4:5], v[188:189]
	ds_read2_b64 v[4:7], v236 offset0:15 offset1:16
	s_waitcnt lgkmcnt(0)
	v_fma_f64 v[168:169], -v[188:189], v[4:5], v[168:169]
	v_fma_f64 v[186:187], -v[188:189], v[6:7], v[186:187]
	ds_read2_b64 v[4:7], v236 offset0:17 offset1:18
	s_waitcnt lgkmcnt(0)
	v_fma_f64 v[166:167], -v[188:189], v[4:5], v[166:167]
	v_fma_f64 v[184:185], -v[188:189], v[6:7], v[184:185]
	;; [unrolled: 4-line block ×16, first 2 shown]
	ds_read2_b64 v[4:7], v236 offset0:47 offset1:48
	s_waitcnt lgkmcnt(0)
	v_fma_f64 v[104:105], -v[188:189], v[4:5], v[104:105]
	ds_read_b64 v[4:5], v236 offset:392
	v_fma_f64 v[134:135], -v[188:189], v[6:7], v[134:135]
	s_waitcnt lgkmcnt(0)
	v_fma_f64 v[202:203], -v[188:189], v[4:5], v[202:203]
.LBB99_76:
	s_or_b32 exec_lo, exec_lo, s1
	s_mov_b32 s1, exec_lo
	s_waitcnt_vscnt null, 0x0
	s_barrier
	buffer_gl0_inv
	v_cmpx_eq_u32_e32 15, v0
	s_cbranch_execz .LBB99_79
; %bb.77:
	v_mov_b32_e32 v4, v186
	v_mov_b32_e32 v5, v187
	;; [unrolled: 1-line block ×8, first 2 shown]
	ds_write_b64 v1, v[168:169]
	ds_write2_b64 v236, v[4:5], v[6:7] offset0:16 offset1:17
	ds_write2_b64 v236, v[8:9], v[10:11] offset0:18 offset1:19
	v_mov_b32_e32 v4, v162
	v_mov_b32_e32 v5, v163
	;; [unrolled: 1-line block ×20, first 2 shown]
	ds_write2_b64 v236, v[4:5], v[6:7] offset0:20 offset1:21
	ds_write2_b64 v236, v[8:9], v[10:11] offset0:22 offset1:23
	;; [unrolled: 1-line block ×5, first 2 shown]
	v_mov_b32_e32 v4, v152
	v_mov_b32_e32 v5, v153
	;; [unrolled: 1-line block ×20, first 2 shown]
	ds_write2_b64 v236, v[4:5], v[6:7] offset0:30 offset1:31
	ds_write2_b64 v236, v[8:9], v[10:11] offset0:32 offset1:33
	;; [unrolled: 1-line block ×5, first 2 shown]
	v_mov_b32_e32 v4, v142
	v_mov_b32_e32 v5, v143
	;; [unrolled: 1-line block ×18, first 2 shown]
	ds_write2_b64 v236, v[4:5], v[6:7] offset0:40 offset1:41
	ds_write2_b64 v236, v[8:9], v[10:11] offset0:42 offset1:43
	;; [unrolled: 1-line block ×5, first 2 shown]
	ds_read_b64 v[4:5], v1
	s_waitcnt lgkmcnt(0)
	v_cmp_neq_f64_e32 vcc_lo, 0, v[4:5]
	s_and_b32 exec_lo, exec_lo, vcc_lo
	s_cbranch_execz .LBB99_79
; %bb.78:
	v_div_scale_f64 v[6:7], null, v[4:5], v[4:5], 1.0
	v_rcp_f64_e32 v[8:9], v[6:7]
	v_fma_f64 v[10:11], -v[6:7], v[8:9], 1.0
	v_fma_f64 v[8:9], v[8:9], v[10:11], v[8:9]
	v_fma_f64 v[10:11], -v[6:7], v[8:9], 1.0
	v_fma_f64 v[8:9], v[8:9], v[10:11], v[8:9]
	v_div_scale_f64 v[10:11], vcc_lo, 1.0, v[4:5], 1.0
	v_mul_f64 v[204:205], v[10:11], v[8:9]
	v_fma_f64 v[6:7], -v[6:7], v[204:205], v[10:11]
	v_div_fmas_f64 v[6:7], v[6:7], v[8:9], v[204:205]
	v_div_fixup_f64 v[4:5], v[6:7], v[4:5], 1.0
	ds_write_b64 v1, v[4:5]
.LBB99_79:
	s_or_b32 exec_lo, exec_lo, s1
	s_waitcnt lgkmcnt(0)
	s_barrier
	buffer_gl0_inv
	ds_read_b64 v[4:5], v1
	s_mov_b32 s1, exec_lo
	s_waitcnt lgkmcnt(0)
	buffer_store_dword v4, off, s[12:15], 0 offset:120 ; 4-byte Folded Spill
	buffer_store_dword v5, off, s[12:15], 0 offset:124 ; 4-byte Folded Spill
	v_cmpx_lt_u32_e32 15, v0
	s_cbranch_execz .LBB99_81
; %bb.80:
	s_clause 0x1
	buffer_load_dword v4, off, s[12:15], 0 offset:120
	buffer_load_dword v5, off, s[12:15], 0 offset:124
	s_waitcnt vmcnt(0)
	v_mul_f64 v[168:169], v[4:5], v[168:169]
	ds_read2_b64 v[4:7], v236 offset0:16 offset1:17
	s_waitcnt lgkmcnt(0)
	v_fma_f64 v[186:187], -v[168:169], v[4:5], v[186:187]
	v_fma_f64 v[166:167], -v[168:169], v[6:7], v[166:167]
	ds_read2_b64 v[4:7], v236 offset0:18 offset1:19
	s_waitcnt lgkmcnt(0)
	v_fma_f64 v[184:185], -v[168:169], v[4:5], v[184:185]
	v_fma_f64 v[132:133], -v[168:169], v[6:7], v[132:133]
	;; [unrolled: 4-line block ×17, first 2 shown]
.LBB99_81:
	s_or_b32 exec_lo, exec_lo, s1
	s_mov_b32 s1, exec_lo
	s_waitcnt_vscnt null, 0x0
	s_barrier
	buffer_gl0_inv
	v_cmpx_eq_u32_e32 16, v0
	s_cbranch_execz .LBB99_84
; %bb.82:
	ds_write_b64 v1, v[186:187]
	ds_write2_b64 v236, v[166:167], v[184:185] offset0:17 offset1:18
	ds_write2_b64 v236, v[132:133], v[162:163] offset0:19 offset1:20
	;; [unrolled: 1-line block ×16, first 2 shown]
	ds_write_b64 v236, v[202:203] offset:392
	ds_read_b64 v[4:5], v1
	s_waitcnt lgkmcnt(0)
	v_cmp_neq_f64_e32 vcc_lo, 0, v[4:5]
	s_and_b32 exec_lo, exec_lo, vcc_lo
	s_cbranch_execz .LBB99_84
; %bb.83:
	v_div_scale_f64 v[6:7], null, v[4:5], v[4:5], 1.0
	v_rcp_f64_e32 v[8:9], v[6:7]
	v_fma_f64 v[10:11], -v[6:7], v[8:9], 1.0
	v_fma_f64 v[8:9], v[8:9], v[10:11], v[8:9]
	v_fma_f64 v[10:11], -v[6:7], v[8:9], 1.0
	v_fma_f64 v[8:9], v[8:9], v[10:11], v[8:9]
	v_div_scale_f64 v[10:11], vcc_lo, 1.0, v[4:5], 1.0
	v_mul_f64 v[204:205], v[10:11], v[8:9]
	v_fma_f64 v[6:7], -v[6:7], v[204:205], v[10:11]
	v_div_fmas_f64 v[6:7], v[6:7], v[8:9], v[204:205]
	v_div_fixup_f64 v[4:5], v[6:7], v[4:5], 1.0
	ds_write_b64 v1, v[4:5]
.LBB99_84:
	s_or_b32 exec_lo, exec_lo, s1
	s_waitcnt lgkmcnt(0)
	s_barrier
	buffer_gl0_inv
	ds_read_b64 v[4:5], v1
	s_mov_b32 s1, exec_lo
	s_waitcnt lgkmcnt(0)
	buffer_store_dword v4, off, s[12:15], 0 offset:128 ; 4-byte Folded Spill
	buffer_store_dword v5, off, s[12:15], 0 offset:132 ; 4-byte Folded Spill
	v_cmpx_lt_u32_e32 16, v0
	s_cbranch_execz .LBB99_86
; %bb.85:
	s_clause 0x1
	buffer_load_dword v4, off, s[12:15], 0 offset:128
	buffer_load_dword v5, off, s[12:15], 0 offset:132
	s_waitcnt vmcnt(0)
	v_mul_f64 v[186:187], v[4:5], v[186:187]
	ds_read2_b64 v[4:7], v236 offset0:17 offset1:18
	s_waitcnt lgkmcnt(0)
	v_fma_f64 v[166:167], -v[186:187], v[4:5], v[166:167]
	v_fma_f64 v[184:185], -v[186:187], v[6:7], v[184:185]
	ds_read2_b64 v[4:7], v236 offset0:19 offset1:20
	s_waitcnt lgkmcnt(0)
	v_fma_f64 v[132:133], -v[186:187], v[4:5], v[132:133]
	v_fma_f64 v[162:163], -v[186:187], v[6:7], v[162:163]
	;; [unrolled: 4-line block ×15, first 2 shown]
	ds_read2_b64 v[4:7], v236 offset0:47 offset1:48
	s_waitcnt lgkmcnt(0)
	v_fma_f64 v[104:105], -v[186:187], v[4:5], v[104:105]
	ds_read_b64 v[4:5], v236 offset:392
	v_fma_f64 v[134:135], -v[186:187], v[6:7], v[134:135]
	s_waitcnt lgkmcnt(0)
	v_fma_f64 v[202:203], -v[186:187], v[4:5], v[202:203]
.LBB99_86:
	s_or_b32 exec_lo, exec_lo, s1
	s_mov_b32 s1, exec_lo
	s_waitcnt_vscnt null, 0x0
	s_barrier
	buffer_gl0_inv
	v_cmpx_eq_u32_e32 17, v0
	s_cbranch_execz .LBB99_89
; %bb.87:
	v_mov_b32_e32 v4, v184
	v_mov_b32_e32 v5, v185
	;; [unrolled: 1-line block ×4, first 2 shown]
	ds_write_b64 v1, v[166:167]
	ds_write2_b64 v236, v[4:5], v[6:7] offset0:18 offset1:19
	v_mov_b32_e32 v4, v162
	v_mov_b32_e32 v5, v163
	v_mov_b32_e32 v6, v130
	v_mov_b32_e32 v7, v131
	ds_write2_b64 v236, v[4:5], v[6:7] offset0:20 offset1:21
	v_mov_b32_e32 v4, v160
	v_mov_b32_e32 v5, v161
	v_mov_b32_e32 v6, v128
	v_mov_b32_e32 v7, v129
	;; [unrolled: 5-line block ×14, first 2 shown]
	ds_write2_b64 v236, v[4:5], v[6:7] offset0:46 offset1:47
	v_mov_b32_e32 v4, v134
	v_mov_b32_e32 v5, v135
	ds_write2_b64 v236, v[4:5], v[202:203] offset0:48 offset1:49
	ds_read_b64 v[4:5], v1
	s_waitcnt lgkmcnt(0)
	v_cmp_neq_f64_e32 vcc_lo, 0, v[4:5]
	s_and_b32 exec_lo, exec_lo, vcc_lo
	s_cbranch_execz .LBB99_89
; %bb.88:
	v_div_scale_f64 v[6:7], null, v[4:5], v[4:5], 1.0
	v_rcp_f64_e32 v[8:9], v[6:7]
	v_fma_f64 v[10:11], -v[6:7], v[8:9], 1.0
	v_fma_f64 v[8:9], v[8:9], v[10:11], v[8:9]
	v_fma_f64 v[10:11], -v[6:7], v[8:9], 1.0
	v_fma_f64 v[8:9], v[8:9], v[10:11], v[8:9]
	v_div_scale_f64 v[10:11], vcc_lo, 1.0, v[4:5], 1.0
	v_mul_f64 v[204:205], v[10:11], v[8:9]
	v_fma_f64 v[6:7], -v[6:7], v[204:205], v[10:11]
	v_div_fmas_f64 v[6:7], v[6:7], v[8:9], v[204:205]
	v_div_fixup_f64 v[4:5], v[6:7], v[4:5], 1.0
	ds_write_b64 v1, v[4:5]
.LBB99_89:
	s_or_b32 exec_lo, exec_lo, s1
	s_waitcnt lgkmcnt(0)
	s_barrier
	buffer_gl0_inv
	ds_read_b64 v[4:5], v1
	s_mov_b32 s1, exec_lo
	s_waitcnt lgkmcnt(0)
	buffer_store_dword v4, off, s[12:15], 0 offset:136 ; 4-byte Folded Spill
	buffer_store_dword v5, off, s[12:15], 0 offset:140 ; 4-byte Folded Spill
	v_cmpx_lt_u32_e32 17, v0
	s_cbranch_execz .LBB99_91
; %bb.90:
	s_clause 0x1
	buffer_load_dword v4, off, s[12:15], 0 offset:136
	buffer_load_dword v5, off, s[12:15], 0 offset:140
	s_waitcnt vmcnt(0)
	v_mul_f64 v[166:167], v[4:5], v[166:167]
	ds_read2_b64 v[4:7], v236 offset0:18 offset1:19
	s_waitcnt lgkmcnt(0)
	v_fma_f64 v[184:185], -v[166:167], v[4:5], v[184:185]
	v_fma_f64 v[132:133], -v[166:167], v[6:7], v[132:133]
	ds_read2_b64 v[4:7], v236 offset0:20 offset1:21
	s_waitcnt lgkmcnt(0)
	v_fma_f64 v[162:163], -v[166:167], v[4:5], v[162:163]
	v_fma_f64 v[130:131], -v[166:167], v[6:7], v[130:131]
	;; [unrolled: 4-line block ×16, first 2 shown]
.LBB99_91:
	s_or_b32 exec_lo, exec_lo, s1
	s_mov_b32 s1, exec_lo
	s_waitcnt_vscnt null, 0x0
	s_barrier
	buffer_gl0_inv
	v_cmpx_eq_u32_e32 18, v0
	s_cbranch_execz .LBB99_94
; %bb.92:
	ds_write_b64 v1, v[184:185]
	ds_write2_b64 v236, v[132:133], v[162:163] offset0:19 offset1:20
	ds_write2_b64 v236, v[130:131], v[160:161] offset0:21 offset1:22
	;; [unrolled: 1-line block ×15, first 2 shown]
	ds_write_b64 v236, v[202:203] offset:392
	ds_read_b64 v[4:5], v1
	s_waitcnt lgkmcnt(0)
	v_cmp_neq_f64_e32 vcc_lo, 0, v[4:5]
	s_and_b32 exec_lo, exec_lo, vcc_lo
	s_cbranch_execz .LBB99_94
; %bb.93:
	v_div_scale_f64 v[6:7], null, v[4:5], v[4:5], 1.0
	v_rcp_f64_e32 v[8:9], v[6:7]
	v_fma_f64 v[10:11], -v[6:7], v[8:9], 1.0
	v_fma_f64 v[8:9], v[8:9], v[10:11], v[8:9]
	v_fma_f64 v[10:11], -v[6:7], v[8:9], 1.0
	v_fma_f64 v[8:9], v[8:9], v[10:11], v[8:9]
	v_div_scale_f64 v[10:11], vcc_lo, 1.0, v[4:5], 1.0
	v_mul_f64 v[204:205], v[10:11], v[8:9]
	v_fma_f64 v[6:7], -v[6:7], v[204:205], v[10:11]
	v_div_fmas_f64 v[6:7], v[6:7], v[8:9], v[204:205]
	v_div_fixup_f64 v[4:5], v[6:7], v[4:5], 1.0
	ds_write_b64 v1, v[4:5]
.LBB99_94:
	s_or_b32 exec_lo, exec_lo, s1
	s_waitcnt lgkmcnt(0)
	s_barrier
	buffer_gl0_inv
	ds_read_b64 v[4:5], v1
	s_mov_b32 s1, exec_lo
	s_waitcnt lgkmcnt(0)
	buffer_store_dword v4, off, s[12:15], 0 offset:144 ; 4-byte Folded Spill
	buffer_store_dword v5, off, s[12:15], 0 offset:148 ; 4-byte Folded Spill
	v_cmpx_lt_u32_e32 18, v0
	s_cbranch_execz .LBB99_96
; %bb.95:
	s_clause 0x1
	buffer_load_dword v4, off, s[12:15], 0 offset:144
	buffer_load_dword v5, off, s[12:15], 0 offset:148
	s_waitcnt vmcnt(0)
	v_mul_f64 v[184:185], v[4:5], v[184:185]
	ds_read2_b64 v[4:7], v236 offset0:19 offset1:20
	s_waitcnt lgkmcnt(0)
	v_fma_f64 v[132:133], -v[184:185], v[4:5], v[132:133]
	v_fma_f64 v[162:163], -v[184:185], v[6:7], v[162:163]
	ds_read2_b64 v[4:7], v236 offset0:21 offset1:22
	s_waitcnt lgkmcnt(0)
	v_fma_f64 v[130:131], -v[184:185], v[4:5], v[130:131]
	v_fma_f64 v[160:161], -v[184:185], v[6:7], v[160:161]
	;; [unrolled: 4-line block ×14, first 2 shown]
	ds_read2_b64 v[4:7], v236 offset0:47 offset1:48
	s_waitcnt lgkmcnt(0)
	v_fma_f64 v[104:105], -v[184:185], v[4:5], v[104:105]
	ds_read_b64 v[4:5], v236 offset:392
	v_fma_f64 v[134:135], -v[184:185], v[6:7], v[134:135]
	s_waitcnt lgkmcnt(0)
	v_fma_f64 v[202:203], -v[184:185], v[4:5], v[202:203]
.LBB99_96:
	s_or_b32 exec_lo, exec_lo, s1
	s_mov_b32 s1, exec_lo
	s_waitcnt_vscnt null, 0x0
	s_barrier
	buffer_gl0_inv
	v_cmpx_eq_u32_e32 19, v0
	s_cbranch_execz .LBB99_99
; %bb.97:
	v_mov_b32_e32 v4, v162
	v_mov_b32_e32 v5, v163
	;; [unrolled: 1-line block ×4, first 2 shown]
	ds_write_b64 v1, v[132:133]
	ds_write2_b64 v236, v[4:5], v[6:7] offset0:20 offset1:21
	v_mov_b32_e32 v4, v160
	v_mov_b32_e32 v5, v161
	v_mov_b32_e32 v6, v128
	v_mov_b32_e32 v7, v129
	ds_write2_b64 v236, v[4:5], v[6:7] offset0:22 offset1:23
	v_mov_b32_e32 v4, v158
	v_mov_b32_e32 v5, v159
	v_mov_b32_e32 v6, v126
	v_mov_b32_e32 v7, v127
	;; [unrolled: 5-line block ×13, first 2 shown]
	ds_write2_b64 v236, v[4:5], v[6:7] offset0:46 offset1:47
	v_mov_b32_e32 v4, v134
	v_mov_b32_e32 v5, v135
	ds_write2_b64 v236, v[4:5], v[202:203] offset0:48 offset1:49
	ds_read_b64 v[4:5], v1
	s_waitcnt lgkmcnt(0)
	v_cmp_neq_f64_e32 vcc_lo, 0, v[4:5]
	s_and_b32 exec_lo, exec_lo, vcc_lo
	s_cbranch_execz .LBB99_99
; %bb.98:
	v_div_scale_f64 v[6:7], null, v[4:5], v[4:5], 1.0
	v_rcp_f64_e32 v[8:9], v[6:7]
	v_fma_f64 v[10:11], -v[6:7], v[8:9], 1.0
	v_fma_f64 v[8:9], v[8:9], v[10:11], v[8:9]
	v_fma_f64 v[10:11], -v[6:7], v[8:9], 1.0
	v_fma_f64 v[8:9], v[8:9], v[10:11], v[8:9]
	v_div_scale_f64 v[10:11], vcc_lo, 1.0, v[4:5], 1.0
	v_mul_f64 v[204:205], v[10:11], v[8:9]
	v_fma_f64 v[6:7], -v[6:7], v[204:205], v[10:11]
	v_div_fmas_f64 v[6:7], v[6:7], v[8:9], v[204:205]
	v_div_fixup_f64 v[4:5], v[6:7], v[4:5], 1.0
	ds_write_b64 v1, v[4:5]
.LBB99_99:
	s_or_b32 exec_lo, exec_lo, s1
	s_waitcnt lgkmcnt(0)
	s_barrier
	buffer_gl0_inv
	ds_read_b64 v[4:5], v1
	s_mov_b32 s1, exec_lo
	s_waitcnt lgkmcnt(0)
	buffer_store_dword v4, off, s[12:15], 0 offset:152 ; 4-byte Folded Spill
	buffer_store_dword v5, off, s[12:15], 0 offset:156 ; 4-byte Folded Spill
	v_cmpx_lt_u32_e32 19, v0
	s_cbranch_execz .LBB99_101
; %bb.100:
	s_clause 0x1
	buffer_load_dword v4, off, s[12:15], 0 offset:152
	buffer_load_dword v5, off, s[12:15], 0 offset:156
	s_waitcnt vmcnt(0)
	v_mul_f64 v[132:133], v[4:5], v[132:133]
	ds_read2_b64 v[4:7], v236 offset0:20 offset1:21
	s_waitcnt lgkmcnt(0)
	v_fma_f64 v[162:163], -v[132:133], v[4:5], v[162:163]
	v_fma_f64 v[130:131], -v[132:133], v[6:7], v[130:131]
	ds_read2_b64 v[4:7], v236 offset0:22 offset1:23
	s_waitcnt lgkmcnt(0)
	v_fma_f64 v[160:161], -v[132:133], v[4:5], v[160:161]
	v_fma_f64 v[128:129], -v[132:133], v[6:7], v[128:129]
	;; [unrolled: 4-line block ×15, first 2 shown]
.LBB99_101:
	s_or_b32 exec_lo, exec_lo, s1
	s_mov_b32 s1, exec_lo
	s_waitcnt_vscnt null, 0x0
	s_barrier
	buffer_gl0_inv
	v_cmpx_eq_u32_e32 20, v0
	s_cbranch_execz .LBB99_104
; %bb.102:
	ds_write_b64 v1, v[162:163]
	ds_write2_b64 v236, v[130:131], v[160:161] offset0:21 offset1:22
	ds_write2_b64 v236, v[128:129], v[158:159] offset0:23 offset1:24
	;; [unrolled: 1-line block ×14, first 2 shown]
	ds_write_b64 v236, v[202:203] offset:392
	ds_read_b64 v[4:5], v1
	s_waitcnt lgkmcnt(0)
	v_cmp_neq_f64_e32 vcc_lo, 0, v[4:5]
	s_and_b32 exec_lo, exec_lo, vcc_lo
	s_cbranch_execz .LBB99_104
; %bb.103:
	v_div_scale_f64 v[6:7], null, v[4:5], v[4:5], 1.0
	v_rcp_f64_e32 v[8:9], v[6:7]
	v_fma_f64 v[10:11], -v[6:7], v[8:9], 1.0
	v_fma_f64 v[8:9], v[8:9], v[10:11], v[8:9]
	v_fma_f64 v[10:11], -v[6:7], v[8:9], 1.0
	v_fma_f64 v[8:9], v[8:9], v[10:11], v[8:9]
	v_div_scale_f64 v[10:11], vcc_lo, 1.0, v[4:5], 1.0
	v_mul_f64 v[204:205], v[10:11], v[8:9]
	v_fma_f64 v[6:7], -v[6:7], v[204:205], v[10:11]
	v_div_fmas_f64 v[6:7], v[6:7], v[8:9], v[204:205]
	v_div_fixup_f64 v[4:5], v[6:7], v[4:5], 1.0
	ds_write_b64 v1, v[4:5]
.LBB99_104:
	s_or_b32 exec_lo, exec_lo, s1
	s_waitcnt lgkmcnt(0)
	s_barrier
	buffer_gl0_inv
	ds_read_b64 v[4:5], v1
	s_mov_b32 s1, exec_lo
	s_waitcnt lgkmcnt(0)
	buffer_store_dword v4, off, s[12:15], 0 offset:160 ; 4-byte Folded Spill
	buffer_store_dword v5, off, s[12:15], 0 offset:164 ; 4-byte Folded Spill
	v_cmpx_lt_u32_e32 20, v0
	s_cbranch_execz .LBB99_106
; %bb.105:
	s_clause 0x1
	buffer_load_dword v4, off, s[12:15], 0 offset:160
	buffer_load_dword v5, off, s[12:15], 0 offset:164
	s_waitcnt vmcnt(0)
	v_mul_f64 v[162:163], v[4:5], v[162:163]
	ds_read2_b64 v[4:7], v236 offset0:21 offset1:22
	s_waitcnt lgkmcnt(0)
	v_fma_f64 v[130:131], -v[162:163], v[4:5], v[130:131]
	v_fma_f64 v[160:161], -v[162:163], v[6:7], v[160:161]
	ds_read2_b64 v[4:7], v236 offset0:23 offset1:24
	s_waitcnt lgkmcnt(0)
	v_fma_f64 v[128:129], -v[162:163], v[4:5], v[128:129]
	v_fma_f64 v[158:159], -v[162:163], v[6:7], v[158:159]
	;; [unrolled: 4-line block ×13, first 2 shown]
	ds_read2_b64 v[4:7], v236 offset0:47 offset1:48
	s_waitcnt lgkmcnt(0)
	v_fma_f64 v[104:105], -v[162:163], v[4:5], v[104:105]
	ds_read_b64 v[4:5], v236 offset:392
	v_fma_f64 v[134:135], -v[162:163], v[6:7], v[134:135]
	s_waitcnt lgkmcnt(0)
	v_fma_f64 v[202:203], -v[162:163], v[4:5], v[202:203]
.LBB99_106:
	s_or_b32 exec_lo, exec_lo, s1
	s_mov_b32 s1, exec_lo
	s_waitcnt_vscnt null, 0x0
	s_barrier
	buffer_gl0_inv
	v_cmpx_eq_u32_e32 21, v0
	s_cbranch_execz .LBB99_109
; %bb.107:
	v_mov_b32_e32 v4, v160
	v_mov_b32_e32 v5, v161
	;; [unrolled: 1-line block ×4, first 2 shown]
	ds_write_b64 v1, v[130:131]
	ds_write2_b64 v236, v[4:5], v[6:7] offset0:22 offset1:23
	v_mov_b32_e32 v4, v158
	v_mov_b32_e32 v5, v159
	v_mov_b32_e32 v6, v126
	v_mov_b32_e32 v7, v127
	ds_write2_b64 v236, v[4:5], v[6:7] offset0:24 offset1:25
	v_mov_b32_e32 v4, v156
	v_mov_b32_e32 v5, v157
	v_mov_b32_e32 v6, v124
	v_mov_b32_e32 v7, v125
	;; [unrolled: 5-line block ×12, first 2 shown]
	ds_write2_b64 v236, v[4:5], v[6:7] offset0:46 offset1:47
	v_mov_b32_e32 v4, v134
	v_mov_b32_e32 v5, v135
	ds_write2_b64 v236, v[4:5], v[202:203] offset0:48 offset1:49
	ds_read_b64 v[4:5], v1
	s_waitcnt lgkmcnt(0)
	v_cmp_neq_f64_e32 vcc_lo, 0, v[4:5]
	s_and_b32 exec_lo, exec_lo, vcc_lo
	s_cbranch_execz .LBB99_109
; %bb.108:
	v_div_scale_f64 v[6:7], null, v[4:5], v[4:5], 1.0
	v_rcp_f64_e32 v[8:9], v[6:7]
	v_fma_f64 v[10:11], -v[6:7], v[8:9], 1.0
	v_fma_f64 v[8:9], v[8:9], v[10:11], v[8:9]
	v_fma_f64 v[10:11], -v[6:7], v[8:9], 1.0
	v_fma_f64 v[8:9], v[8:9], v[10:11], v[8:9]
	v_div_scale_f64 v[10:11], vcc_lo, 1.0, v[4:5], 1.0
	v_mul_f64 v[204:205], v[10:11], v[8:9]
	v_fma_f64 v[6:7], -v[6:7], v[204:205], v[10:11]
	v_div_fmas_f64 v[6:7], v[6:7], v[8:9], v[204:205]
	v_div_fixup_f64 v[4:5], v[6:7], v[4:5], 1.0
	ds_write_b64 v1, v[4:5]
.LBB99_109:
	s_or_b32 exec_lo, exec_lo, s1
	s_waitcnt lgkmcnt(0)
	s_barrier
	buffer_gl0_inv
	ds_read_b64 v[4:5], v1
	s_mov_b32 s1, exec_lo
	s_waitcnt lgkmcnt(0)
	buffer_store_dword v4, off, s[12:15], 0 offset:168 ; 4-byte Folded Spill
	buffer_store_dword v5, off, s[12:15], 0 offset:172 ; 4-byte Folded Spill
	v_cmpx_lt_u32_e32 21, v0
	s_cbranch_execz .LBB99_111
; %bb.110:
	s_clause 0x1
	buffer_load_dword v4, off, s[12:15], 0 offset:168
	buffer_load_dword v5, off, s[12:15], 0 offset:172
	s_waitcnt vmcnt(0)
	v_mul_f64 v[130:131], v[4:5], v[130:131]
	ds_read2_b64 v[4:7], v236 offset0:22 offset1:23
	s_waitcnt lgkmcnt(0)
	v_fma_f64 v[160:161], -v[130:131], v[4:5], v[160:161]
	v_fma_f64 v[128:129], -v[130:131], v[6:7], v[128:129]
	ds_read2_b64 v[4:7], v236 offset0:24 offset1:25
	s_waitcnt lgkmcnt(0)
	v_fma_f64 v[158:159], -v[130:131], v[4:5], v[158:159]
	v_fma_f64 v[126:127], -v[130:131], v[6:7], v[126:127]
	;; [unrolled: 4-line block ×14, first 2 shown]
.LBB99_111:
	s_or_b32 exec_lo, exec_lo, s1
	s_mov_b32 s1, exec_lo
	s_waitcnt_vscnt null, 0x0
	s_barrier
	buffer_gl0_inv
	v_cmpx_eq_u32_e32 22, v0
	s_cbranch_execz .LBB99_114
; %bb.112:
	ds_write_b64 v1, v[160:161]
	ds_write2_b64 v236, v[128:129], v[158:159] offset0:23 offset1:24
	ds_write2_b64 v236, v[126:127], v[156:157] offset0:25 offset1:26
	;; [unrolled: 1-line block ×13, first 2 shown]
	ds_write_b64 v236, v[202:203] offset:392
	ds_read_b64 v[4:5], v1
	s_waitcnt lgkmcnt(0)
	v_cmp_neq_f64_e32 vcc_lo, 0, v[4:5]
	s_and_b32 exec_lo, exec_lo, vcc_lo
	s_cbranch_execz .LBB99_114
; %bb.113:
	v_div_scale_f64 v[6:7], null, v[4:5], v[4:5], 1.0
	v_rcp_f64_e32 v[8:9], v[6:7]
	v_fma_f64 v[10:11], -v[6:7], v[8:9], 1.0
	v_fma_f64 v[8:9], v[8:9], v[10:11], v[8:9]
	v_fma_f64 v[10:11], -v[6:7], v[8:9], 1.0
	v_fma_f64 v[8:9], v[8:9], v[10:11], v[8:9]
	v_div_scale_f64 v[10:11], vcc_lo, 1.0, v[4:5], 1.0
	v_mul_f64 v[204:205], v[10:11], v[8:9]
	v_fma_f64 v[6:7], -v[6:7], v[204:205], v[10:11]
	v_div_fmas_f64 v[6:7], v[6:7], v[8:9], v[204:205]
	v_div_fixup_f64 v[4:5], v[6:7], v[4:5], 1.0
	ds_write_b64 v1, v[4:5]
.LBB99_114:
	s_or_b32 exec_lo, exec_lo, s1
	s_waitcnt lgkmcnt(0)
	s_barrier
	buffer_gl0_inv
	ds_read_b64 v[4:5], v1
	s_mov_b32 s1, exec_lo
	s_waitcnt lgkmcnt(0)
	buffer_store_dword v4, off, s[12:15], 0 offset:176 ; 4-byte Folded Spill
	buffer_store_dword v5, off, s[12:15], 0 offset:180 ; 4-byte Folded Spill
	v_cmpx_lt_u32_e32 22, v0
	s_cbranch_execz .LBB99_116
; %bb.115:
	s_clause 0x1
	buffer_load_dword v4, off, s[12:15], 0 offset:176
	buffer_load_dword v5, off, s[12:15], 0 offset:180
	s_waitcnt vmcnt(0)
	v_mul_f64 v[160:161], v[4:5], v[160:161]
	ds_read2_b64 v[4:7], v236 offset0:23 offset1:24
	s_waitcnt lgkmcnt(0)
	v_fma_f64 v[128:129], -v[160:161], v[4:5], v[128:129]
	v_fma_f64 v[158:159], -v[160:161], v[6:7], v[158:159]
	ds_read2_b64 v[4:7], v236 offset0:25 offset1:26
	s_waitcnt lgkmcnt(0)
	v_fma_f64 v[126:127], -v[160:161], v[4:5], v[126:127]
	v_fma_f64 v[156:157], -v[160:161], v[6:7], v[156:157]
	ds_read2_b64 v[4:7], v236 offset0:27 offset1:28
	s_waitcnt lgkmcnt(0)
	v_fma_f64 v[124:125], -v[160:161], v[4:5], v[124:125]
	v_fma_f64 v[154:155], -v[160:161], v[6:7], v[154:155]
	ds_read2_b64 v[4:7], v236 offset0:29 offset1:30
	s_waitcnt lgkmcnt(0)
	v_fma_f64 v[122:123], -v[160:161], v[4:5], v[122:123]
	v_fma_f64 v[152:153], -v[160:161], v[6:7], v[152:153]
	ds_read2_b64 v[4:7], v236 offset0:31 offset1:32
	s_waitcnt lgkmcnt(0)
	v_fma_f64 v[120:121], -v[160:161], v[4:5], v[120:121]
	v_fma_f64 v[150:151], -v[160:161], v[6:7], v[150:151]
	ds_read2_b64 v[4:7], v236 offset0:33 offset1:34
	s_waitcnt lgkmcnt(0)
	v_fma_f64 v[118:119], -v[160:161], v[4:5], v[118:119]
	v_fma_f64 v[148:149], -v[160:161], v[6:7], v[148:149]
	ds_read2_b64 v[4:7], v236 offset0:35 offset1:36
	s_waitcnt lgkmcnt(0)
	v_fma_f64 v[116:117], -v[160:161], v[4:5], v[116:117]
	v_fma_f64 v[146:147], -v[160:161], v[6:7], v[146:147]
	ds_read2_b64 v[4:7], v236 offset0:37 offset1:38
	s_waitcnt lgkmcnt(0)
	v_fma_f64 v[114:115], -v[160:161], v[4:5], v[114:115]
	v_fma_f64 v[144:145], -v[160:161], v[6:7], v[144:145]
	ds_read2_b64 v[4:7], v236 offset0:39 offset1:40
	s_waitcnt lgkmcnt(0)
	v_fma_f64 v[112:113], -v[160:161], v[4:5], v[112:113]
	v_fma_f64 v[142:143], -v[160:161], v[6:7], v[142:143]
	ds_read2_b64 v[4:7], v236 offset0:41 offset1:42
	s_waitcnt lgkmcnt(0)
	v_fma_f64 v[110:111], -v[160:161], v[4:5], v[110:111]
	v_fma_f64 v[140:141], -v[160:161], v[6:7], v[140:141]
	ds_read2_b64 v[4:7], v236 offset0:43 offset1:44
	s_waitcnt lgkmcnt(0)
	v_fma_f64 v[108:109], -v[160:161], v[4:5], v[108:109]
	v_fma_f64 v[138:139], -v[160:161], v[6:7], v[138:139]
	ds_read2_b64 v[4:7], v236 offset0:45 offset1:46
	s_waitcnt lgkmcnt(0)
	v_fma_f64 v[106:107], -v[160:161], v[4:5], v[106:107]
	v_fma_f64 v[136:137], -v[160:161], v[6:7], v[136:137]
	ds_read2_b64 v[4:7], v236 offset0:47 offset1:48
	s_waitcnt lgkmcnt(0)
	v_fma_f64 v[104:105], -v[160:161], v[4:5], v[104:105]
	ds_read_b64 v[4:5], v236 offset:392
	v_fma_f64 v[134:135], -v[160:161], v[6:7], v[134:135]
	s_waitcnt lgkmcnt(0)
	v_fma_f64 v[202:203], -v[160:161], v[4:5], v[202:203]
.LBB99_116:
	s_or_b32 exec_lo, exec_lo, s1
	s_mov_b32 s1, exec_lo
	s_waitcnt_vscnt null, 0x0
	s_barrier
	buffer_gl0_inv
	v_cmpx_eq_u32_e32 23, v0
	s_cbranch_execz .LBB99_119
; %bb.117:
	v_mov_b32_e32 v4, v158
	v_mov_b32_e32 v5, v159
	;; [unrolled: 1-line block ×4, first 2 shown]
	ds_write_b64 v1, v[128:129]
	ds_write2_b64 v236, v[4:5], v[6:7] offset0:24 offset1:25
	v_mov_b32_e32 v4, v156
	v_mov_b32_e32 v5, v157
	v_mov_b32_e32 v6, v124
	v_mov_b32_e32 v7, v125
	ds_write2_b64 v236, v[4:5], v[6:7] offset0:26 offset1:27
	v_mov_b32_e32 v4, v154
	v_mov_b32_e32 v5, v155
	v_mov_b32_e32 v6, v122
	v_mov_b32_e32 v7, v123
	;; [unrolled: 5-line block ×11, first 2 shown]
	ds_write2_b64 v236, v[4:5], v[6:7] offset0:46 offset1:47
	v_mov_b32_e32 v4, v134
	v_mov_b32_e32 v5, v135
	ds_write2_b64 v236, v[4:5], v[202:203] offset0:48 offset1:49
	ds_read_b64 v[4:5], v1
	s_waitcnt lgkmcnt(0)
	v_cmp_neq_f64_e32 vcc_lo, 0, v[4:5]
	s_and_b32 exec_lo, exec_lo, vcc_lo
	s_cbranch_execz .LBB99_119
; %bb.118:
	v_div_scale_f64 v[6:7], null, v[4:5], v[4:5], 1.0
	v_rcp_f64_e32 v[8:9], v[6:7]
	v_fma_f64 v[10:11], -v[6:7], v[8:9], 1.0
	v_fma_f64 v[8:9], v[8:9], v[10:11], v[8:9]
	v_fma_f64 v[10:11], -v[6:7], v[8:9], 1.0
	v_fma_f64 v[8:9], v[8:9], v[10:11], v[8:9]
	v_div_scale_f64 v[10:11], vcc_lo, 1.0, v[4:5], 1.0
	v_mul_f64 v[204:205], v[10:11], v[8:9]
	v_fma_f64 v[6:7], -v[6:7], v[204:205], v[10:11]
	v_div_fmas_f64 v[6:7], v[6:7], v[8:9], v[204:205]
	v_div_fixup_f64 v[4:5], v[6:7], v[4:5], 1.0
	ds_write_b64 v1, v[4:5]
.LBB99_119:
	s_or_b32 exec_lo, exec_lo, s1
	s_waitcnt lgkmcnt(0)
	s_barrier
	buffer_gl0_inv
	ds_read_b64 v[4:5], v1
	s_mov_b32 s1, exec_lo
	s_waitcnt lgkmcnt(0)
	buffer_store_dword v4, off, s[12:15], 0 offset:184 ; 4-byte Folded Spill
	buffer_store_dword v5, off, s[12:15], 0 offset:188 ; 4-byte Folded Spill
	v_cmpx_lt_u32_e32 23, v0
	s_cbranch_execz .LBB99_121
; %bb.120:
	s_clause 0x1
	buffer_load_dword v4, off, s[12:15], 0 offset:184
	buffer_load_dword v5, off, s[12:15], 0 offset:188
	s_waitcnt vmcnt(0)
	v_mul_f64 v[128:129], v[4:5], v[128:129]
	ds_read2_b64 v[4:7], v236 offset0:24 offset1:25
	s_waitcnt lgkmcnt(0)
	v_fma_f64 v[158:159], -v[128:129], v[4:5], v[158:159]
	v_fma_f64 v[126:127], -v[128:129], v[6:7], v[126:127]
	ds_read2_b64 v[4:7], v236 offset0:26 offset1:27
	s_waitcnt lgkmcnt(0)
	v_fma_f64 v[156:157], -v[128:129], v[4:5], v[156:157]
	v_fma_f64 v[124:125], -v[128:129], v[6:7], v[124:125]
	;; [unrolled: 4-line block ×13, first 2 shown]
.LBB99_121:
	s_or_b32 exec_lo, exec_lo, s1
	s_mov_b32 s1, exec_lo
	s_waitcnt_vscnt null, 0x0
	s_barrier
	buffer_gl0_inv
	v_cmpx_eq_u32_e32 24, v0
	s_cbranch_execz .LBB99_124
; %bb.122:
	ds_write_b64 v1, v[158:159]
	ds_write2_b64 v236, v[126:127], v[156:157] offset0:25 offset1:26
	ds_write2_b64 v236, v[124:125], v[154:155] offset0:27 offset1:28
	;; [unrolled: 1-line block ×12, first 2 shown]
	ds_write_b64 v236, v[202:203] offset:392
	ds_read_b64 v[4:5], v1
	s_waitcnt lgkmcnt(0)
	v_cmp_neq_f64_e32 vcc_lo, 0, v[4:5]
	s_and_b32 exec_lo, exec_lo, vcc_lo
	s_cbranch_execz .LBB99_124
; %bb.123:
	v_div_scale_f64 v[6:7], null, v[4:5], v[4:5], 1.0
	v_rcp_f64_e32 v[8:9], v[6:7]
	v_fma_f64 v[10:11], -v[6:7], v[8:9], 1.0
	v_fma_f64 v[8:9], v[8:9], v[10:11], v[8:9]
	v_fma_f64 v[10:11], -v[6:7], v[8:9], 1.0
	v_fma_f64 v[8:9], v[8:9], v[10:11], v[8:9]
	v_div_scale_f64 v[10:11], vcc_lo, 1.0, v[4:5], 1.0
	v_mul_f64 v[204:205], v[10:11], v[8:9]
	v_fma_f64 v[6:7], -v[6:7], v[204:205], v[10:11]
	v_div_fmas_f64 v[6:7], v[6:7], v[8:9], v[204:205]
	v_div_fixup_f64 v[4:5], v[6:7], v[4:5], 1.0
	ds_write_b64 v1, v[4:5]
.LBB99_124:
	s_or_b32 exec_lo, exec_lo, s1
	s_waitcnt lgkmcnt(0)
	s_barrier
	buffer_gl0_inv
	ds_read_b64 v[4:5], v1
	s_mov_b32 s1, exec_lo
	s_waitcnt lgkmcnt(0)
	buffer_store_dword v4, off, s[12:15], 0 offset:192 ; 4-byte Folded Spill
	buffer_store_dword v5, off, s[12:15], 0 offset:196 ; 4-byte Folded Spill
	v_cmpx_lt_u32_e32 24, v0
	s_cbranch_execz .LBB99_126
; %bb.125:
	s_clause 0x1
	buffer_load_dword v4, off, s[12:15], 0 offset:192
	buffer_load_dword v5, off, s[12:15], 0 offset:196
	s_waitcnt vmcnt(0)
	v_mul_f64 v[158:159], v[4:5], v[158:159]
	ds_read2_b64 v[4:7], v236 offset0:25 offset1:26
	s_waitcnt lgkmcnt(0)
	v_fma_f64 v[126:127], -v[158:159], v[4:5], v[126:127]
	v_fma_f64 v[156:157], -v[158:159], v[6:7], v[156:157]
	ds_read2_b64 v[4:7], v236 offset0:27 offset1:28
	s_waitcnt lgkmcnt(0)
	v_fma_f64 v[124:125], -v[158:159], v[4:5], v[124:125]
	v_fma_f64 v[154:155], -v[158:159], v[6:7], v[154:155]
	;; [unrolled: 4-line block ×11, first 2 shown]
	ds_read2_b64 v[4:7], v236 offset0:47 offset1:48
	s_waitcnt lgkmcnt(0)
	v_fma_f64 v[104:105], -v[158:159], v[4:5], v[104:105]
	ds_read_b64 v[4:5], v236 offset:392
	v_fma_f64 v[134:135], -v[158:159], v[6:7], v[134:135]
	s_waitcnt lgkmcnt(0)
	v_fma_f64 v[202:203], -v[158:159], v[4:5], v[202:203]
.LBB99_126:
	s_or_b32 exec_lo, exec_lo, s1
	s_mov_b32 s1, exec_lo
	s_waitcnt_vscnt null, 0x0
	s_barrier
	buffer_gl0_inv
	v_cmpx_eq_u32_e32 25, v0
	s_cbranch_execz .LBB99_129
; %bb.127:
	v_mov_b32_e32 v4, v156
	v_mov_b32_e32 v5, v157
	;; [unrolled: 1-line block ×4, first 2 shown]
	ds_write_b64 v1, v[126:127]
	ds_write2_b64 v236, v[4:5], v[6:7] offset0:26 offset1:27
	v_mov_b32_e32 v4, v154
	v_mov_b32_e32 v5, v155
	v_mov_b32_e32 v6, v122
	v_mov_b32_e32 v7, v123
	ds_write2_b64 v236, v[4:5], v[6:7] offset0:28 offset1:29
	v_mov_b32_e32 v4, v152
	v_mov_b32_e32 v5, v153
	v_mov_b32_e32 v6, v120
	v_mov_b32_e32 v7, v121
	;; [unrolled: 5-line block ×10, first 2 shown]
	ds_write2_b64 v236, v[4:5], v[6:7] offset0:46 offset1:47
	v_mov_b32_e32 v4, v134
	v_mov_b32_e32 v5, v135
	ds_write2_b64 v236, v[4:5], v[202:203] offset0:48 offset1:49
	ds_read_b64 v[4:5], v1
	s_waitcnt lgkmcnt(0)
	v_cmp_neq_f64_e32 vcc_lo, 0, v[4:5]
	s_and_b32 exec_lo, exec_lo, vcc_lo
	s_cbranch_execz .LBB99_129
; %bb.128:
	v_div_scale_f64 v[6:7], null, v[4:5], v[4:5], 1.0
	v_rcp_f64_e32 v[8:9], v[6:7]
	v_fma_f64 v[10:11], -v[6:7], v[8:9], 1.0
	v_fma_f64 v[8:9], v[8:9], v[10:11], v[8:9]
	v_fma_f64 v[10:11], -v[6:7], v[8:9], 1.0
	v_fma_f64 v[8:9], v[8:9], v[10:11], v[8:9]
	v_div_scale_f64 v[10:11], vcc_lo, 1.0, v[4:5], 1.0
	v_mul_f64 v[204:205], v[10:11], v[8:9]
	v_fma_f64 v[6:7], -v[6:7], v[204:205], v[10:11]
	v_div_fmas_f64 v[6:7], v[6:7], v[8:9], v[204:205]
	v_div_fixup_f64 v[4:5], v[6:7], v[4:5], 1.0
	ds_write_b64 v1, v[4:5]
.LBB99_129:
	s_or_b32 exec_lo, exec_lo, s1
	s_waitcnt lgkmcnt(0)
	s_barrier
	buffer_gl0_inv
	ds_read_b64 v[4:5], v1
	s_mov_b32 s1, exec_lo
	s_waitcnt lgkmcnt(0)
	buffer_store_dword v4, off, s[12:15], 0 offset:200 ; 4-byte Folded Spill
	buffer_store_dword v5, off, s[12:15], 0 offset:204 ; 4-byte Folded Spill
	v_cmpx_lt_u32_e32 25, v0
	s_cbranch_execz .LBB99_131
; %bb.130:
	s_clause 0x1
	buffer_load_dword v4, off, s[12:15], 0 offset:200
	buffer_load_dword v5, off, s[12:15], 0 offset:204
	s_waitcnt vmcnt(0)
	v_mul_f64 v[126:127], v[4:5], v[126:127]
	ds_read2_b64 v[4:7], v236 offset0:26 offset1:27
	s_waitcnt lgkmcnt(0)
	v_fma_f64 v[156:157], -v[126:127], v[4:5], v[156:157]
	v_fma_f64 v[124:125], -v[126:127], v[6:7], v[124:125]
	ds_read2_b64 v[4:7], v236 offset0:28 offset1:29
	s_waitcnt lgkmcnt(0)
	v_fma_f64 v[154:155], -v[126:127], v[4:5], v[154:155]
	v_fma_f64 v[122:123], -v[126:127], v[6:7], v[122:123]
	;; [unrolled: 4-line block ×12, first 2 shown]
.LBB99_131:
	s_or_b32 exec_lo, exec_lo, s1
	s_mov_b32 s1, exec_lo
	s_waitcnt_vscnt null, 0x0
	s_barrier
	buffer_gl0_inv
	v_cmpx_eq_u32_e32 26, v0
	s_cbranch_execz .LBB99_134
; %bb.132:
	ds_write_b64 v1, v[156:157]
	ds_write2_b64 v236, v[124:125], v[154:155] offset0:27 offset1:28
	ds_write2_b64 v236, v[122:123], v[152:153] offset0:29 offset1:30
	;; [unrolled: 1-line block ×11, first 2 shown]
	ds_write_b64 v236, v[202:203] offset:392
	ds_read_b64 v[4:5], v1
	s_waitcnt lgkmcnt(0)
	v_cmp_neq_f64_e32 vcc_lo, 0, v[4:5]
	s_and_b32 exec_lo, exec_lo, vcc_lo
	s_cbranch_execz .LBB99_134
; %bb.133:
	v_div_scale_f64 v[6:7], null, v[4:5], v[4:5], 1.0
	v_rcp_f64_e32 v[8:9], v[6:7]
	v_fma_f64 v[10:11], -v[6:7], v[8:9], 1.0
	v_fma_f64 v[8:9], v[8:9], v[10:11], v[8:9]
	v_fma_f64 v[10:11], -v[6:7], v[8:9], 1.0
	v_fma_f64 v[8:9], v[8:9], v[10:11], v[8:9]
	v_div_scale_f64 v[10:11], vcc_lo, 1.0, v[4:5], 1.0
	v_mul_f64 v[204:205], v[10:11], v[8:9]
	v_fma_f64 v[6:7], -v[6:7], v[204:205], v[10:11]
	v_div_fmas_f64 v[6:7], v[6:7], v[8:9], v[204:205]
	v_div_fixup_f64 v[4:5], v[6:7], v[4:5], 1.0
	ds_write_b64 v1, v[4:5]
.LBB99_134:
	s_or_b32 exec_lo, exec_lo, s1
	s_waitcnt lgkmcnt(0)
	s_barrier
	buffer_gl0_inv
	ds_read_b64 v[4:5], v1
	s_mov_b32 s1, exec_lo
	s_waitcnt lgkmcnt(0)
	buffer_store_dword v4, off, s[12:15], 0 offset:208 ; 4-byte Folded Spill
	buffer_store_dword v5, off, s[12:15], 0 offset:212 ; 4-byte Folded Spill
	v_cmpx_lt_u32_e32 26, v0
	s_cbranch_execz .LBB99_136
; %bb.135:
	s_clause 0x1
	buffer_load_dword v4, off, s[12:15], 0 offset:208
	buffer_load_dword v5, off, s[12:15], 0 offset:212
	s_waitcnt vmcnt(0)
	v_mul_f64 v[156:157], v[4:5], v[156:157]
	ds_read2_b64 v[4:7], v236 offset0:27 offset1:28
	s_waitcnt lgkmcnt(0)
	v_fma_f64 v[124:125], -v[156:157], v[4:5], v[124:125]
	v_fma_f64 v[154:155], -v[156:157], v[6:7], v[154:155]
	ds_read2_b64 v[4:7], v236 offset0:29 offset1:30
	s_waitcnt lgkmcnt(0)
	v_fma_f64 v[122:123], -v[156:157], v[4:5], v[122:123]
	v_fma_f64 v[152:153], -v[156:157], v[6:7], v[152:153]
	;; [unrolled: 4-line block ×10, first 2 shown]
	ds_read2_b64 v[4:7], v236 offset0:47 offset1:48
	s_waitcnt lgkmcnt(0)
	v_fma_f64 v[104:105], -v[156:157], v[4:5], v[104:105]
	ds_read_b64 v[4:5], v236 offset:392
	v_fma_f64 v[134:135], -v[156:157], v[6:7], v[134:135]
	s_waitcnt lgkmcnt(0)
	v_fma_f64 v[202:203], -v[156:157], v[4:5], v[202:203]
.LBB99_136:
	s_or_b32 exec_lo, exec_lo, s1
	s_mov_b32 s1, exec_lo
	s_waitcnt_vscnt null, 0x0
	s_barrier
	buffer_gl0_inv
	v_cmpx_eq_u32_e32 27, v0
	s_cbranch_execz .LBB99_139
; %bb.137:
	v_mov_b32_e32 v4, v154
	v_mov_b32_e32 v5, v155
	v_mov_b32_e32 v6, v122
	v_mov_b32_e32 v7, v123
	ds_write_b64 v1, v[124:125]
	ds_write2_b64 v236, v[4:5], v[6:7] offset0:28 offset1:29
	v_mov_b32_e32 v4, v152
	v_mov_b32_e32 v5, v153
	v_mov_b32_e32 v6, v120
	v_mov_b32_e32 v7, v121
	ds_write2_b64 v236, v[4:5], v[6:7] offset0:30 offset1:31
	v_mov_b32_e32 v4, v150
	v_mov_b32_e32 v5, v151
	v_mov_b32_e32 v6, v118
	v_mov_b32_e32 v7, v119
	;; [unrolled: 5-line block ×9, first 2 shown]
	ds_write2_b64 v236, v[4:5], v[6:7] offset0:46 offset1:47
	v_mov_b32_e32 v4, v134
	v_mov_b32_e32 v5, v135
	ds_write2_b64 v236, v[4:5], v[202:203] offset0:48 offset1:49
	ds_read_b64 v[4:5], v1
	s_waitcnt lgkmcnt(0)
	v_cmp_neq_f64_e32 vcc_lo, 0, v[4:5]
	s_and_b32 exec_lo, exec_lo, vcc_lo
	s_cbranch_execz .LBB99_139
; %bb.138:
	v_div_scale_f64 v[6:7], null, v[4:5], v[4:5], 1.0
	v_rcp_f64_e32 v[8:9], v[6:7]
	v_fma_f64 v[10:11], -v[6:7], v[8:9], 1.0
	v_fma_f64 v[8:9], v[8:9], v[10:11], v[8:9]
	v_fma_f64 v[10:11], -v[6:7], v[8:9], 1.0
	v_fma_f64 v[8:9], v[8:9], v[10:11], v[8:9]
	v_div_scale_f64 v[10:11], vcc_lo, 1.0, v[4:5], 1.0
	v_mul_f64 v[206:207], v[10:11], v[8:9]
	v_fma_f64 v[6:7], -v[6:7], v[206:207], v[10:11]
	v_div_fmas_f64 v[6:7], v[6:7], v[8:9], v[206:207]
	v_div_fixup_f64 v[4:5], v[6:7], v[4:5], 1.0
	ds_write_b64 v1, v[4:5]
.LBB99_139:
	s_or_b32 exec_lo, exec_lo, s1
	s_waitcnt lgkmcnt(0)
	s_barrier
	buffer_gl0_inv
	ds_read_b64 v[4:5], v1
	s_mov_b32 s1, exec_lo
	s_waitcnt lgkmcnt(0)
	buffer_store_dword v4, off, s[12:15], 0 offset:216 ; 4-byte Folded Spill
	buffer_store_dword v5, off, s[12:15], 0 offset:220 ; 4-byte Folded Spill
	v_cmpx_lt_u32_e32 27, v0
	s_cbranch_execz .LBB99_141
; %bb.140:
	s_clause 0x1
	buffer_load_dword v4, off, s[12:15], 0 offset:216
	buffer_load_dword v5, off, s[12:15], 0 offset:220
	s_waitcnt vmcnt(0)
	v_mul_f64 v[124:125], v[4:5], v[124:125]
	ds_read2_b64 v[4:7], v236 offset0:28 offset1:29
	s_waitcnt lgkmcnt(0)
	v_fma_f64 v[154:155], -v[124:125], v[4:5], v[154:155]
	v_fma_f64 v[122:123], -v[124:125], v[6:7], v[122:123]
	ds_read2_b64 v[4:7], v236 offset0:30 offset1:31
	s_waitcnt lgkmcnt(0)
	v_fma_f64 v[152:153], -v[124:125], v[4:5], v[152:153]
	v_fma_f64 v[120:121], -v[124:125], v[6:7], v[120:121]
	;; [unrolled: 4-line block ×11, first 2 shown]
.LBB99_141:
	s_or_b32 exec_lo, exec_lo, s1
	s_mov_b32 s1, exec_lo
	s_waitcnt_vscnt null, 0x0
	s_barrier
	buffer_gl0_inv
	v_cmpx_eq_u32_e32 28, v0
	s_cbranch_execz .LBB99_144
; %bb.142:
	ds_write_b64 v1, v[154:155]
	ds_write2_b64 v236, v[122:123], v[152:153] offset0:29 offset1:30
	ds_write2_b64 v236, v[120:121], v[150:151] offset0:31 offset1:32
	;; [unrolled: 1-line block ×10, first 2 shown]
	ds_write_b64 v236, v[202:203] offset:392
	ds_read_b64 v[4:5], v1
	s_waitcnt lgkmcnt(0)
	v_cmp_neq_f64_e32 vcc_lo, 0, v[4:5]
	s_and_b32 exec_lo, exec_lo, vcc_lo
	s_cbranch_execz .LBB99_144
; %bb.143:
	v_div_scale_f64 v[6:7], null, v[4:5], v[4:5], 1.0
	v_rcp_f64_e32 v[8:9], v[6:7]
	v_fma_f64 v[10:11], -v[6:7], v[8:9], 1.0
	v_fma_f64 v[8:9], v[8:9], v[10:11], v[8:9]
	v_fma_f64 v[10:11], -v[6:7], v[8:9], 1.0
	v_fma_f64 v[8:9], v[8:9], v[10:11], v[8:9]
	v_div_scale_f64 v[10:11], vcc_lo, 1.0, v[4:5], 1.0
	v_mul_f64 v[208:209], v[10:11], v[8:9]
	v_fma_f64 v[6:7], -v[6:7], v[208:209], v[10:11]
	v_div_fmas_f64 v[6:7], v[6:7], v[8:9], v[208:209]
	v_div_fixup_f64 v[4:5], v[6:7], v[4:5], 1.0
	ds_write_b64 v1, v[4:5]
.LBB99_144:
	s_or_b32 exec_lo, exec_lo, s1
	s_waitcnt lgkmcnt(0)
	s_barrier
	buffer_gl0_inv
	ds_read_b64 v[4:5], v1
	s_mov_b32 s1, exec_lo
	s_waitcnt lgkmcnt(0)
	buffer_store_dword v4, off, s[12:15], 0 offset:224 ; 4-byte Folded Spill
	buffer_store_dword v5, off, s[12:15], 0 offset:228 ; 4-byte Folded Spill
	v_cmpx_lt_u32_e32 28, v0
	s_cbranch_execz .LBB99_146
; %bb.145:
	s_clause 0x1
	buffer_load_dword v4, off, s[12:15], 0 offset:224
	buffer_load_dword v5, off, s[12:15], 0 offset:228
	s_waitcnt vmcnt(0)
	v_mul_f64 v[154:155], v[4:5], v[154:155]
	ds_read2_b64 v[4:7], v236 offset0:29 offset1:30
	s_waitcnt lgkmcnt(0)
	v_fma_f64 v[122:123], -v[154:155], v[4:5], v[122:123]
	v_fma_f64 v[152:153], -v[154:155], v[6:7], v[152:153]
	ds_read2_b64 v[4:7], v236 offset0:31 offset1:32
	s_waitcnt lgkmcnt(0)
	v_fma_f64 v[120:121], -v[154:155], v[4:5], v[120:121]
	v_fma_f64 v[150:151], -v[154:155], v[6:7], v[150:151]
	;; [unrolled: 4-line block ×9, first 2 shown]
	ds_read2_b64 v[4:7], v236 offset0:47 offset1:48
	s_waitcnt lgkmcnt(0)
	v_fma_f64 v[104:105], -v[154:155], v[4:5], v[104:105]
	ds_read_b64 v[4:5], v236 offset:392
	v_fma_f64 v[134:135], -v[154:155], v[6:7], v[134:135]
	s_waitcnt lgkmcnt(0)
	v_fma_f64 v[202:203], -v[154:155], v[4:5], v[202:203]
.LBB99_146:
	s_or_b32 exec_lo, exec_lo, s1
	s_mov_b32 s1, exec_lo
	s_waitcnt_vscnt null, 0x0
	s_barrier
	buffer_gl0_inv
	v_cmpx_eq_u32_e32 29, v0
	s_cbranch_execz .LBB99_149
; %bb.147:
	v_mov_b32_e32 v4, v152
	v_mov_b32_e32 v5, v153
	;; [unrolled: 1-line block ×4, first 2 shown]
	ds_write_b64 v1, v[122:123]
	ds_write2_b64 v236, v[4:5], v[6:7] offset0:30 offset1:31
	v_mov_b32_e32 v4, v150
	v_mov_b32_e32 v5, v151
	v_mov_b32_e32 v6, v118
	v_mov_b32_e32 v7, v119
	ds_write2_b64 v236, v[4:5], v[6:7] offset0:32 offset1:33
	v_mov_b32_e32 v4, v148
	v_mov_b32_e32 v5, v149
	v_mov_b32_e32 v6, v116
	v_mov_b32_e32 v7, v117
	;; [unrolled: 5-line block ×8, first 2 shown]
	ds_write2_b64 v236, v[4:5], v[6:7] offset0:46 offset1:47
	v_mov_b32_e32 v4, v134
	v_mov_b32_e32 v5, v135
	ds_write2_b64 v236, v[4:5], v[202:203] offset0:48 offset1:49
	ds_read_b64 v[4:5], v1
	s_waitcnt lgkmcnt(0)
	v_cmp_neq_f64_e32 vcc_lo, 0, v[4:5]
	s_and_b32 exec_lo, exec_lo, vcc_lo
	s_cbranch_execz .LBB99_149
; %bb.148:
	v_div_scale_f64 v[6:7], null, v[4:5], v[4:5], 1.0
	v_rcp_f64_e32 v[8:9], v[6:7]
	v_fma_f64 v[10:11], -v[6:7], v[8:9], 1.0
	v_fma_f64 v[8:9], v[8:9], v[10:11], v[8:9]
	v_fma_f64 v[10:11], -v[6:7], v[8:9], 1.0
	v_fma_f64 v[8:9], v[8:9], v[10:11], v[8:9]
	v_div_scale_f64 v[10:11], vcc_lo, 1.0, v[4:5], 1.0
	v_mul_f64 v[210:211], v[10:11], v[8:9]
	v_fma_f64 v[6:7], -v[6:7], v[210:211], v[10:11]
	v_div_fmas_f64 v[6:7], v[6:7], v[8:9], v[210:211]
	v_div_fixup_f64 v[4:5], v[6:7], v[4:5], 1.0
	ds_write_b64 v1, v[4:5]
.LBB99_149:
	s_or_b32 exec_lo, exec_lo, s1
	s_waitcnt lgkmcnt(0)
	s_barrier
	buffer_gl0_inv
	ds_read_b64 v[234:235], v1
	s_mov_b32 s1, exec_lo
	v_cmpx_lt_u32_e32 29, v0
	s_cbranch_execz .LBB99_151
; %bb.150:
	s_waitcnt lgkmcnt(0)
	v_mul_f64 v[122:123], v[234:235], v[122:123]
	ds_read2_b64 v[4:7], v236 offset0:30 offset1:31
	s_waitcnt lgkmcnt(0)
	v_fma_f64 v[152:153], -v[122:123], v[4:5], v[152:153]
	v_fma_f64 v[120:121], -v[122:123], v[6:7], v[120:121]
	ds_read2_b64 v[4:7], v236 offset0:32 offset1:33
	s_waitcnt lgkmcnt(0)
	v_fma_f64 v[150:151], -v[122:123], v[4:5], v[150:151]
	v_fma_f64 v[118:119], -v[122:123], v[6:7], v[118:119]
	ds_read2_b64 v[4:7], v236 offset0:34 offset1:35
	s_waitcnt lgkmcnt(0)
	v_fma_f64 v[148:149], -v[122:123], v[4:5], v[148:149]
	v_fma_f64 v[116:117], -v[122:123], v[6:7], v[116:117]
	ds_read2_b64 v[4:7], v236 offset0:36 offset1:37
	s_waitcnt lgkmcnt(0)
	v_fma_f64 v[146:147], -v[122:123], v[4:5], v[146:147]
	v_fma_f64 v[114:115], -v[122:123], v[6:7], v[114:115]
	ds_read2_b64 v[4:7], v236 offset0:38 offset1:39
	s_waitcnt lgkmcnt(0)
	v_fma_f64 v[144:145], -v[122:123], v[4:5], v[144:145]
	v_fma_f64 v[112:113], -v[122:123], v[6:7], v[112:113]
	ds_read2_b64 v[4:7], v236 offset0:40 offset1:41
	s_waitcnt lgkmcnt(0)
	v_fma_f64 v[142:143], -v[122:123], v[4:5], v[142:143]
	v_fma_f64 v[110:111], -v[122:123], v[6:7], v[110:111]
	ds_read2_b64 v[4:7], v236 offset0:42 offset1:43
	s_waitcnt lgkmcnt(0)
	v_fma_f64 v[140:141], -v[122:123], v[4:5], v[140:141]
	v_fma_f64 v[108:109], -v[122:123], v[6:7], v[108:109]
	ds_read2_b64 v[4:7], v236 offset0:44 offset1:45
	s_waitcnt lgkmcnt(0)
	v_fma_f64 v[138:139], -v[122:123], v[4:5], v[138:139]
	v_fma_f64 v[106:107], -v[122:123], v[6:7], v[106:107]
	ds_read2_b64 v[4:7], v236 offset0:46 offset1:47
	s_waitcnt lgkmcnt(0)
	v_fma_f64 v[136:137], -v[122:123], v[4:5], v[136:137]
	v_fma_f64 v[104:105], -v[122:123], v[6:7], v[104:105]
	ds_read2_b64 v[4:7], v236 offset0:48 offset1:49
	s_waitcnt lgkmcnt(0)
	v_fma_f64 v[134:135], -v[122:123], v[4:5], v[134:135]
	v_fma_f64 v[202:203], -v[122:123], v[6:7], v[202:203]
.LBB99_151:
	s_or_b32 exec_lo, exec_lo, s1
	s_mov_b32 s1, exec_lo
	s_waitcnt lgkmcnt(0)
	s_barrier
	buffer_gl0_inv
	v_cmpx_eq_u32_e32 30, v0
	s_cbranch_execz .LBB99_154
; %bb.152:
	ds_write_b64 v1, v[152:153]
	ds_write2_b64 v236, v[120:121], v[150:151] offset0:31 offset1:32
	ds_write2_b64 v236, v[118:119], v[148:149] offset0:33 offset1:34
	;; [unrolled: 1-line block ×9, first 2 shown]
	ds_write_b64 v236, v[202:203] offset:392
	ds_read_b64 v[4:5], v1
	s_waitcnt lgkmcnt(0)
	v_cmp_neq_f64_e32 vcc_lo, 0, v[4:5]
	s_and_b32 exec_lo, exec_lo, vcc_lo
	s_cbranch_execz .LBB99_154
; %bb.153:
	v_div_scale_f64 v[6:7], null, v[4:5], v[4:5], 1.0
	v_rcp_f64_e32 v[8:9], v[6:7]
	v_fma_f64 v[10:11], -v[6:7], v[8:9], 1.0
	v_fma_f64 v[8:9], v[8:9], v[10:11], v[8:9]
	v_fma_f64 v[10:11], -v[6:7], v[8:9], 1.0
	v_fma_f64 v[8:9], v[8:9], v[10:11], v[8:9]
	v_div_scale_f64 v[10:11], vcc_lo, 1.0, v[4:5], 1.0
	v_mul_f64 v[212:213], v[10:11], v[8:9]
	v_fma_f64 v[6:7], -v[6:7], v[212:213], v[10:11]
	v_div_fmas_f64 v[6:7], v[6:7], v[8:9], v[212:213]
	v_div_fixup_f64 v[4:5], v[6:7], v[4:5], 1.0
	ds_write_b64 v1, v[4:5]
.LBB99_154:
	s_or_b32 exec_lo, exec_lo, s1
	s_waitcnt lgkmcnt(0)
	s_barrier
	buffer_gl0_inv
	ds_read_b64 v[206:207], v1
	s_mov_b32 s1, exec_lo
	v_cmpx_lt_u32_e32 30, v0
	s_cbranch_execz .LBB99_156
; %bb.155:
	s_waitcnt lgkmcnt(0)
	v_mul_f64 v[152:153], v[206:207], v[152:153]
	ds_read2_b64 v[4:7], v236 offset0:31 offset1:32
	s_waitcnt lgkmcnt(0)
	v_fma_f64 v[120:121], -v[152:153], v[4:5], v[120:121]
	v_fma_f64 v[150:151], -v[152:153], v[6:7], v[150:151]
	ds_read2_b64 v[4:7], v236 offset0:33 offset1:34
	s_waitcnt lgkmcnt(0)
	v_fma_f64 v[118:119], -v[152:153], v[4:5], v[118:119]
	v_fma_f64 v[148:149], -v[152:153], v[6:7], v[148:149]
	;; [unrolled: 4-line block ×8, first 2 shown]
	ds_read2_b64 v[4:7], v236 offset0:47 offset1:48
	s_waitcnt lgkmcnt(0)
	v_fma_f64 v[104:105], -v[152:153], v[4:5], v[104:105]
	ds_read_b64 v[4:5], v236 offset:392
	v_fma_f64 v[134:135], -v[152:153], v[6:7], v[134:135]
	s_waitcnt lgkmcnt(0)
	v_fma_f64 v[202:203], -v[152:153], v[4:5], v[202:203]
.LBB99_156:
	s_or_b32 exec_lo, exec_lo, s1
	s_mov_b32 s1, exec_lo
	s_waitcnt lgkmcnt(0)
	s_barrier
	buffer_gl0_inv
	v_cmpx_eq_u32_e32 31, v0
	s_cbranch_execz .LBB99_159
; %bb.157:
	v_mov_b32_e32 v4, v150
	v_mov_b32_e32 v5, v151
	;; [unrolled: 1-line block ×4, first 2 shown]
	ds_write_b64 v1, v[120:121]
	ds_write2_b64 v236, v[4:5], v[6:7] offset0:32 offset1:33
	v_mov_b32_e32 v4, v148
	v_mov_b32_e32 v5, v149
	v_mov_b32_e32 v6, v116
	v_mov_b32_e32 v7, v117
	ds_write2_b64 v236, v[4:5], v[6:7] offset0:34 offset1:35
	v_mov_b32_e32 v4, v146
	v_mov_b32_e32 v5, v147
	v_mov_b32_e32 v6, v114
	v_mov_b32_e32 v7, v115
	;; [unrolled: 5-line block ×7, first 2 shown]
	ds_write2_b64 v236, v[4:5], v[6:7] offset0:46 offset1:47
	v_mov_b32_e32 v4, v134
	v_mov_b32_e32 v5, v135
	ds_write2_b64 v236, v[4:5], v[202:203] offset0:48 offset1:49
	ds_read_b64 v[4:5], v1
	s_waitcnt lgkmcnt(0)
	v_cmp_neq_f64_e32 vcc_lo, 0, v[4:5]
	s_and_b32 exec_lo, exec_lo, vcc_lo
	s_cbranch_execz .LBB99_159
; %bb.158:
	v_div_scale_f64 v[6:7], null, v[4:5], v[4:5], 1.0
	v_rcp_f64_e32 v[8:9], v[6:7]
	v_fma_f64 v[10:11], -v[6:7], v[8:9], 1.0
	v_fma_f64 v[8:9], v[8:9], v[10:11], v[8:9]
	v_fma_f64 v[10:11], -v[6:7], v[8:9], 1.0
	v_fma_f64 v[8:9], v[8:9], v[10:11], v[8:9]
	v_div_scale_f64 v[10:11], vcc_lo, 1.0, v[4:5], 1.0
	v_mul_f64 v[214:215], v[10:11], v[8:9]
	v_fma_f64 v[6:7], -v[6:7], v[214:215], v[10:11]
	v_div_fmas_f64 v[6:7], v[6:7], v[8:9], v[214:215]
	v_div_fixup_f64 v[4:5], v[6:7], v[4:5], 1.0
	ds_write_b64 v1, v[4:5]
.LBB99_159:
	s_or_b32 exec_lo, exec_lo, s1
	s_waitcnt lgkmcnt(0)
	s_barrier
	buffer_gl0_inv
	ds_read_b64 v[238:239], v1
	s_mov_b32 s1, exec_lo
	v_cmpx_lt_u32_e32 31, v0
	s_cbranch_execz .LBB99_161
; %bb.160:
	s_waitcnt lgkmcnt(0)
	v_mul_f64 v[120:121], v[238:239], v[120:121]
	ds_read2_b64 v[4:7], v236 offset0:32 offset1:33
	s_waitcnt lgkmcnt(0)
	v_fma_f64 v[150:151], -v[120:121], v[4:5], v[150:151]
	v_fma_f64 v[118:119], -v[120:121], v[6:7], v[118:119]
	ds_read2_b64 v[4:7], v236 offset0:34 offset1:35
	s_waitcnt lgkmcnt(0)
	v_fma_f64 v[148:149], -v[120:121], v[4:5], v[148:149]
	v_fma_f64 v[116:117], -v[120:121], v[6:7], v[116:117]
	ds_read2_b64 v[4:7], v236 offset0:36 offset1:37
	s_waitcnt lgkmcnt(0)
	v_fma_f64 v[146:147], -v[120:121], v[4:5], v[146:147]
	v_fma_f64 v[114:115], -v[120:121], v[6:7], v[114:115]
	ds_read2_b64 v[4:7], v236 offset0:38 offset1:39
	s_waitcnt lgkmcnt(0)
	v_fma_f64 v[144:145], -v[120:121], v[4:5], v[144:145]
	v_fma_f64 v[112:113], -v[120:121], v[6:7], v[112:113]
	ds_read2_b64 v[4:7], v236 offset0:40 offset1:41
	s_waitcnt lgkmcnt(0)
	v_fma_f64 v[142:143], -v[120:121], v[4:5], v[142:143]
	v_fma_f64 v[110:111], -v[120:121], v[6:7], v[110:111]
	ds_read2_b64 v[4:7], v236 offset0:42 offset1:43
	s_waitcnt lgkmcnt(0)
	v_fma_f64 v[140:141], -v[120:121], v[4:5], v[140:141]
	v_fma_f64 v[108:109], -v[120:121], v[6:7], v[108:109]
	ds_read2_b64 v[4:7], v236 offset0:44 offset1:45
	s_waitcnt lgkmcnt(0)
	v_fma_f64 v[138:139], -v[120:121], v[4:5], v[138:139]
	v_fma_f64 v[106:107], -v[120:121], v[6:7], v[106:107]
	ds_read2_b64 v[4:7], v236 offset0:46 offset1:47
	s_waitcnt lgkmcnt(0)
	v_fma_f64 v[136:137], -v[120:121], v[4:5], v[136:137]
	v_fma_f64 v[104:105], -v[120:121], v[6:7], v[104:105]
	ds_read2_b64 v[4:7], v236 offset0:48 offset1:49
	s_waitcnt lgkmcnt(0)
	v_fma_f64 v[134:135], -v[120:121], v[4:5], v[134:135]
	v_fma_f64 v[202:203], -v[120:121], v[6:7], v[202:203]
.LBB99_161:
	s_or_b32 exec_lo, exec_lo, s1
	s_mov_b32 s1, exec_lo
	s_waitcnt lgkmcnt(0)
	s_barrier
	buffer_gl0_inv
	v_cmpx_eq_u32_e32 32, v0
	s_cbranch_execz .LBB99_164
; %bb.162:
	ds_write_b64 v1, v[150:151]
	ds_write2_b64 v236, v[118:119], v[148:149] offset0:33 offset1:34
	ds_write2_b64 v236, v[116:117], v[146:147] offset0:35 offset1:36
	;; [unrolled: 1-line block ×8, first 2 shown]
	ds_write_b64 v236, v[202:203] offset:392
	ds_read_b64 v[4:5], v1
	s_waitcnt lgkmcnt(0)
	v_cmp_neq_f64_e32 vcc_lo, 0, v[4:5]
	s_and_b32 exec_lo, exec_lo, vcc_lo
	s_cbranch_execz .LBB99_164
; %bb.163:
	v_div_scale_f64 v[6:7], null, v[4:5], v[4:5], 1.0
	v_rcp_f64_e32 v[8:9], v[6:7]
	v_fma_f64 v[10:11], -v[6:7], v[8:9], 1.0
	v_fma_f64 v[8:9], v[8:9], v[10:11], v[8:9]
	v_fma_f64 v[10:11], -v[6:7], v[8:9], 1.0
	v_fma_f64 v[8:9], v[8:9], v[10:11], v[8:9]
	v_div_scale_f64 v[10:11], vcc_lo, 1.0, v[4:5], 1.0
	v_mul_f64 v[216:217], v[10:11], v[8:9]
	v_fma_f64 v[6:7], -v[6:7], v[216:217], v[10:11]
	v_div_fmas_f64 v[6:7], v[6:7], v[8:9], v[216:217]
	v_div_fixup_f64 v[4:5], v[6:7], v[4:5], 1.0
	ds_write_b64 v1, v[4:5]
.LBB99_164:
	s_or_b32 exec_lo, exec_lo, s1
	s_waitcnt lgkmcnt(0)
	s_barrier
	buffer_gl0_inv
	ds_read_b64 v[210:211], v1
	s_mov_b32 s1, exec_lo
	v_cmpx_lt_u32_e32 32, v0
	s_cbranch_execz .LBB99_166
; %bb.165:
	s_waitcnt lgkmcnt(0)
	v_mul_f64 v[150:151], v[210:211], v[150:151]
	ds_read2_b64 v[4:7], v236 offset0:33 offset1:34
	s_waitcnt lgkmcnt(0)
	v_fma_f64 v[118:119], -v[150:151], v[4:5], v[118:119]
	v_fma_f64 v[148:149], -v[150:151], v[6:7], v[148:149]
	ds_read2_b64 v[4:7], v236 offset0:35 offset1:36
	s_waitcnt lgkmcnt(0)
	v_fma_f64 v[116:117], -v[150:151], v[4:5], v[116:117]
	v_fma_f64 v[146:147], -v[150:151], v[6:7], v[146:147]
	;; [unrolled: 4-line block ×7, first 2 shown]
	ds_read2_b64 v[4:7], v236 offset0:47 offset1:48
	s_waitcnt lgkmcnt(0)
	v_fma_f64 v[104:105], -v[150:151], v[4:5], v[104:105]
	ds_read_b64 v[4:5], v236 offset:392
	v_fma_f64 v[134:135], -v[150:151], v[6:7], v[134:135]
	s_waitcnt lgkmcnt(0)
	v_fma_f64 v[202:203], -v[150:151], v[4:5], v[202:203]
.LBB99_166:
	s_or_b32 exec_lo, exec_lo, s1
	s_mov_b32 s1, exec_lo
	s_waitcnt lgkmcnt(0)
	s_barrier
	buffer_gl0_inv
	v_cmpx_eq_u32_e32 33, v0
	s_cbranch_execz .LBB99_169
; %bb.167:
	v_mov_b32_e32 v4, v148
	v_mov_b32_e32 v5, v149
	;; [unrolled: 1-line block ×4, first 2 shown]
	ds_write_b64 v1, v[118:119]
	ds_write2_b64 v236, v[4:5], v[6:7] offset0:34 offset1:35
	v_mov_b32_e32 v4, v146
	v_mov_b32_e32 v5, v147
	v_mov_b32_e32 v6, v114
	v_mov_b32_e32 v7, v115
	ds_write2_b64 v236, v[4:5], v[6:7] offset0:36 offset1:37
	v_mov_b32_e32 v4, v144
	v_mov_b32_e32 v5, v145
	v_mov_b32_e32 v6, v112
	v_mov_b32_e32 v7, v113
	;; [unrolled: 5-line block ×6, first 2 shown]
	ds_write2_b64 v236, v[4:5], v[6:7] offset0:46 offset1:47
	v_mov_b32_e32 v4, v134
	v_mov_b32_e32 v5, v135
	ds_write2_b64 v236, v[4:5], v[202:203] offset0:48 offset1:49
	ds_read_b64 v[4:5], v1
	s_waitcnt lgkmcnt(0)
	v_cmp_neq_f64_e32 vcc_lo, 0, v[4:5]
	s_and_b32 exec_lo, exec_lo, vcc_lo
	s_cbranch_execz .LBB99_169
; %bb.168:
	v_div_scale_f64 v[6:7], null, v[4:5], v[4:5], 1.0
	v_rcp_f64_e32 v[8:9], v[6:7]
	v_fma_f64 v[10:11], -v[6:7], v[8:9], 1.0
	v_fma_f64 v[8:9], v[8:9], v[10:11], v[8:9]
	v_fma_f64 v[10:11], -v[6:7], v[8:9], 1.0
	v_fma_f64 v[8:9], v[8:9], v[10:11], v[8:9]
	v_div_scale_f64 v[10:11], vcc_lo, 1.0, v[4:5], 1.0
	v_mul_f64 v[218:219], v[10:11], v[8:9]
	v_fma_f64 v[6:7], -v[6:7], v[218:219], v[10:11]
	v_div_fmas_f64 v[6:7], v[6:7], v[8:9], v[218:219]
	v_div_fixup_f64 v[4:5], v[6:7], v[4:5], 1.0
	ds_write_b64 v1, v[4:5]
.LBB99_169:
	s_or_b32 exec_lo, exec_lo, s1
	s_waitcnt lgkmcnt(0)
	s_barrier
	buffer_gl0_inv
	ds_read_b64 v[212:213], v1
	s_mov_b32 s1, exec_lo
	v_cmpx_lt_u32_e32 33, v0
	s_cbranch_execz .LBB99_171
; %bb.170:
	s_waitcnt lgkmcnt(0)
	v_mul_f64 v[118:119], v[212:213], v[118:119]
	ds_read2_b64 v[4:7], v236 offset0:34 offset1:35
	s_waitcnt lgkmcnt(0)
	v_fma_f64 v[148:149], -v[118:119], v[4:5], v[148:149]
	v_fma_f64 v[116:117], -v[118:119], v[6:7], v[116:117]
	ds_read2_b64 v[4:7], v236 offset0:36 offset1:37
	s_waitcnt lgkmcnt(0)
	v_fma_f64 v[146:147], -v[118:119], v[4:5], v[146:147]
	v_fma_f64 v[114:115], -v[118:119], v[6:7], v[114:115]
	;; [unrolled: 4-line block ×8, first 2 shown]
.LBB99_171:
	s_or_b32 exec_lo, exec_lo, s1
	s_mov_b32 s1, exec_lo
	s_waitcnt lgkmcnt(0)
	s_barrier
	buffer_gl0_inv
	v_cmpx_eq_u32_e32 34, v0
	s_cbranch_execz .LBB99_174
; %bb.172:
	ds_write_b64 v1, v[148:149]
	ds_write2_b64 v236, v[116:117], v[146:147] offset0:35 offset1:36
	ds_write2_b64 v236, v[114:115], v[144:145] offset0:37 offset1:38
	;; [unrolled: 1-line block ×7, first 2 shown]
	ds_write_b64 v236, v[202:203] offset:392
	ds_read_b64 v[4:5], v1
	s_waitcnt lgkmcnt(0)
	v_cmp_neq_f64_e32 vcc_lo, 0, v[4:5]
	s_and_b32 exec_lo, exec_lo, vcc_lo
	s_cbranch_execz .LBB99_174
; %bb.173:
	v_div_scale_f64 v[6:7], null, v[4:5], v[4:5], 1.0
	v_rcp_f64_e32 v[8:9], v[6:7]
	v_fma_f64 v[10:11], -v[6:7], v[8:9], 1.0
	v_fma_f64 v[8:9], v[8:9], v[10:11], v[8:9]
	v_fma_f64 v[10:11], -v[6:7], v[8:9], 1.0
	v_fma_f64 v[8:9], v[8:9], v[10:11], v[8:9]
	v_div_scale_f64 v[10:11], vcc_lo, 1.0, v[4:5], 1.0
	v_mul_f64 v[220:221], v[10:11], v[8:9]
	v_fma_f64 v[6:7], -v[6:7], v[220:221], v[10:11]
	v_div_fmas_f64 v[6:7], v[6:7], v[8:9], v[220:221]
	v_div_fixup_f64 v[4:5], v[6:7], v[4:5], 1.0
	ds_write_b64 v1, v[4:5]
.LBB99_174:
	s_or_b32 exec_lo, exec_lo, s1
	s_waitcnt lgkmcnt(0)
	s_barrier
	buffer_gl0_inv
	ds_read_b64 v[214:215], v1
	s_mov_b32 s1, exec_lo
	v_cmpx_lt_u32_e32 34, v0
	s_cbranch_execz .LBB99_176
; %bb.175:
	s_waitcnt lgkmcnt(0)
	v_mul_f64 v[148:149], v[214:215], v[148:149]
	ds_read2_b64 v[4:7], v236 offset0:35 offset1:36
	s_waitcnt lgkmcnt(0)
	v_fma_f64 v[116:117], -v[148:149], v[4:5], v[116:117]
	v_fma_f64 v[146:147], -v[148:149], v[6:7], v[146:147]
	ds_read2_b64 v[4:7], v236 offset0:37 offset1:38
	s_waitcnt lgkmcnt(0)
	v_fma_f64 v[114:115], -v[148:149], v[4:5], v[114:115]
	v_fma_f64 v[144:145], -v[148:149], v[6:7], v[144:145]
	;; [unrolled: 4-line block ×6, first 2 shown]
	ds_read2_b64 v[4:7], v236 offset0:47 offset1:48
	s_waitcnt lgkmcnt(0)
	v_fma_f64 v[104:105], -v[148:149], v[4:5], v[104:105]
	ds_read_b64 v[4:5], v236 offset:392
	v_fma_f64 v[134:135], -v[148:149], v[6:7], v[134:135]
	s_waitcnt lgkmcnt(0)
	v_fma_f64 v[202:203], -v[148:149], v[4:5], v[202:203]
.LBB99_176:
	s_or_b32 exec_lo, exec_lo, s1
	s_mov_b32 s1, exec_lo
	s_waitcnt lgkmcnt(0)
	s_barrier
	buffer_gl0_inv
	v_cmpx_eq_u32_e32 35, v0
	s_cbranch_execz .LBB99_179
; %bb.177:
	v_mov_b32_e32 v4, v146
	v_mov_b32_e32 v5, v147
	;; [unrolled: 1-line block ×4, first 2 shown]
	ds_write_b64 v1, v[116:117]
	ds_write2_b64 v236, v[4:5], v[6:7] offset0:36 offset1:37
	v_mov_b32_e32 v4, v144
	v_mov_b32_e32 v5, v145
	v_mov_b32_e32 v6, v112
	v_mov_b32_e32 v7, v113
	ds_write2_b64 v236, v[4:5], v[6:7] offset0:38 offset1:39
	v_mov_b32_e32 v4, v142
	v_mov_b32_e32 v5, v143
	v_mov_b32_e32 v6, v110
	v_mov_b32_e32 v7, v111
	;; [unrolled: 5-line block ×5, first 2 shown]
	ds_write2_b64 v236, v[4:5], v[6:7] offset0:46 offset1:47
	v_mov_b32_e32 v4, v134
	v_mov_b32_e32 v5, v135
	ds_write2_b64 v236, v[4:5], v[202:203] offset0:48 offset1:49
	ds_read_b64 v[4:5], v1
	s_waitcnt lgkmcnt(0)
	v_cmp_neq_f64_e32 vcc_lo, 0, v[4:5]
	s_and_b32 exec_lo, exec_lo, vcc_lo
	s_cbranch_execz .LBB99_179
; %bb.178:
	v_div_scale_f64 v[6:7], null, v[4:5], v[4:5], 1.0
	v_rcp_f64_e32 v[8:9], v[6:7]
	v_fma_f64 v[10:11], -v[6:7], v[8:9], 1.0
	v_fma_f64 v[8:9], v[8:9], v[10:11], v[8:9]
	v_fma_f64 v[10:11], -v[6:7], v[8:9], 1.0
	v_fma_f64 v[8:9], v[8:9], v[10:11], v[8:9]
	v_div_scale_f64 v[10:11], vcc_lo, 1.0, v[4:5], 1.0
	v_mul_f64 v[222:223], v[10:11], v[8:9]
	v_fma_f64 v[6:7], -v[6:7], v[222:223], v[10:11]
	v_div_fmas_f64 v[6:7], v[6:7], v[8:9], v[222:223]
	v_div_fixup_f64 v[4:5], v[6:7], v[4:5], 1.0
	ds_write_b64 v1, v[4:5]
.LBB99_179:
	s_or_b32 exec_lo, exec_lo, s1
	s_waitcnt lgkmcnt(0)
	s_barrier
	buffer_gl0_inv
	ds_read_b64 v[216:217], v1
	s_mov_b32 s1, exec_lo
	v_cmpx_lt_u32_e32 35, v0
	s_cbranch_execz .LBB99_181
; %bb.180:
	s_waitcnt lgkmcnt(0)
	v_mul_f64 v[116:117], v[216:217], v[116:117]
	ds_read2_b64 v[4:7], v236 offset0:36 offset1:37
	s_waitcnt lgkmcnt(0)
	v_fma_f64 v[146:147], -v[116:117], v[4:5], v[146:147]
	v_fma_f64 v[114:115], -v[116:117], v[6:7], v[114:115]
	ds_read2_b64 v[4:7], v236 offset0:38 offset1:39
	s_waitcnt lgkmcnt(0)
	v_fma_f64 v[144:145], -v[116:117], v[4:5], v[144:145]
	v_fma_f64 v[112:113], -v[116:117], v[6:7], v[112:113]
	;; [unrolled: 4-line block ×7, first 2 shown]
.LBB99_181:
	s_or_b32 exec_lo, exec_lo, s1
	s_mov_b32 s1, exec_lo
	s_waitcnt lgkmcnt(0)
	s_barrier
	buffer_gl0_inv
	v_cmpx_eq_u32_e32 36, v0
	s_cbranch_execz .LBB99_184
; %bb.182:
	ds_write_b64 v1, v[146:147]
	ds_write2_b64 v236, v[114:115], v[144:145] offset0:37 offset1:38
	ds_write2_b64 v236, v[112:113], v[142:143] offset0:39 offset1:40
	;; [unrolled: 1-line block ×6, first 2 shown]
	ds_write_b64 v236, v[202:203] offset:392
	ds_read_b64 v[4:5], v1
	s_waitcnt lgkmcnt(0)
	v_cmp_neq_f64_e32 vcc_lo, 0, v[4:5]
	s_and_b32 exec_lo, exec_lo, vcc_lo
	s_cbranch_execz .LBB99_184
; %bb.183:
	v_div_scale_f64 v[6:7], null, v[4:5], v[4:5], 1.0
	v_rcp_f64_e32 v[8:9], v[6:7]
	v_fma_f64 v[10:11], -v[6:7], v[8:9], 1.0
	v_fma_f64 v[8:9], v[8:9], v[10:11], v[8:9]
	v_fma_f64 v[10:11], -v[6:7], v[8:9], 1.0
	v_fma_f64 v[8:9], v[8:9], v[10:11], v[8:9]
	v_div_scale_f64 v[10:11], vcc_lo, 1.0, v[4:5], 1.0
	v_mul_f64 v[224:225], v[10:11], v[8:9]
	v_fma_f64 v[6:7], -v[6:7], v[224:225], v[10:11]
	v_div_fmas_f64 v[6:7], v[6:7], v[8:9], v[224:225]
	v_div_fixup_f64 v[4:5], v[6:7], v[4:5], 1.0
	ds_write_b64 v1, v[4:5]
.LBB99_184:
	s_or_b32 exec_lo, exec_lo, s1
	s_waitcnt lgkmcnt(0)
	s_barrier
	buffer_gl0_inv
	ds_read_b64 v[218:219], v1
	s_mov_b32 s1, exec_lo
	v_cmpx_lt_u32_e32 36, v0
	s_cbranch_execz .LBB99_186
; %bb.185:
	s_waitcnt lgkmcnt(0)
	v_mul_f64 v[146:147], v[218:219], v[146:147]
	ds_read2_b64 v[4:7], v236 offset0:37 offset1:38
	s_waitcnt lgkmcnt(0)
	v_fma_f64 v[114:115], -v[146:147], v[4:5], v[114:115]
	v_fma_f64 v[144:145], -v[146:147], v[6:7], v[144:145]
	ds_read2_b64 v[4:7], v236 offset0:39 offset1:40
	s_waitcnt lgkmcnt(0)
	v_fma_f64 v[112:113], -v[146:147], v[4:5], v[112:113]
	v_fma_f64 v[142:143], -v[146:147], v[6:7], v[142:143]
	;; [unrolled: 4-line block ×5, first 2 shown]
	ds_read2_b64 v[4:7], v236 offset0:47 offset1:48
	s_waitcnt lgkmcnt(0)
	v_fma_f64 v[104:105], -v[146:147], v[4:5], v[104:105]
	ds_read_b64 v[4:5], v236 offset:392
	v_fma_f64 v[134:135], -v[146:147], v[6:7], v[134:135]
	s_waitcnt lgkmcnt(0)
	v_fma_f64 v[202:203], -v[146:147], v[4:5], v[202:203]
.LBB99_186:
	s_or_b32 exec_lo, exec_lo, s1
	s_mov_b32 s1, exec_lo
	s_waitcnt lgkmcnt(0)
	s_barrier
	buffer_gl0_inv
	v_cmpx_eq_u32_e32 37, v0
	s_cbranch_execz .LBB99_189
; %bb.187:
	v_mov_b32_e32 v4, v144
	v_mov_b32_e32 v5, v145
	;; [unrolled: 1-line block ×4, first 2 shown]
	ds_write_b64 v1, v[114:115]
	ds_write2_b64 v236, v[4:5], v[6:7] offset0:38 offset1:39
	v_mov_b32_e32 v4, v142
	v_mov_b32_e32 v5, v143
	v_mov_b32_e32 v6, v110
	v_mov_b32_e32 v7, v111
	ds_write2_b64 v236, v[4:5], v[6:7] offset0:40 offset1:41
	v_mov_b32_e32 v4, v140
	v_mov_b32_e32 v5, v141
	v_mov_b32_e32 v6, v108
	v_mov_b32_e32 v7, v109
	;; [unrolled: 5-line block ×4, first 2 shown]
	ds_write2_b64 v236, v[4:5], v[6:7] offset0:46 offset1:47
	v_mov_b32_e32 v4, v134
	v_mov_b32_e32 v5, v135
	ds_write2_b64 v236, v[4:5], v[202:203] offset0:48 offset1:49
	ds_read_b64 v[4:5], v1
	s_waitcnt lgkmcnt(0)
	v_cmp_neq_f64_e32 vcc_lo, 0, v[4:5]
	s_and_b32 exec_lo, exec_lo, vcc_lo
	s_cbranch_execz .LBB99_189
; %bb.188:
	v_div_scale_f64 v[6:7], null, v[4:5], v[4:5], 1.0
	v_rcp_f64_e32 v[8:9], v[6:7]
	v_fma_f64 v[10:11], -v[6:7], v[8:9], 1.0
	v_fma_f64 v[8:9], v[8:9], v[10:11], v[8:9]
	v_fma_f64 v[10:11], -v[6:7], v[8:9], 1.0
	v_fma_f64 v[8:9], v[8:9], v[10:11], v[8:9]
	v_div_scale_f64 v[10:11], vcc_lo, 1.0, v[4:5], 1.0
	v_mul_f64 v[226:227], v[10:11], v[8:9]
	v_fma_f64 v[6:7], -v[6:7], v[226:227], v[10:11]
	v_div_fmas_f64 v[6:7], v[6:7], v[8:9], v[226:227]
	v_div_fixup_f64 v[4:5], v[6:7], v[4:5], 1.0
	ds_write_b64 v1, v[4:5]
.LBB99_189:
	s_or_b32 exec_lo, exec_lo, s1
	s_waitcnt lgkmcnt(0)
	s_barrier
	buffer_gl0_inv
	ds_read_b64 v[220:221], v1
	s_mov_b32 s1, exec_lo
	v_cmpx_lt_u32_e32 37, v0
	s_cbranch_execz .LBB99_191
; %bb.190:
	s_waitcnt lgkmcnt(0)
	v_mul_f64 v[114:115], v[220:221], v[114:115]
	ds_read2_b64 v[4:7], v236 offset0:38 offset1:39
	s_waitcnt lgkmcnt(0)
	v_fma_f64 v[144:145], -v[114:115], v[4:5], v[144:145]
	v_fma_f64 v[112:113], -v[114:115], v[6:7], v[112:113]
	ds_read2_b64 v[4:7], v236 offset0:40 offset1:41
	s_waitcnt lgkmcnt(0)
	v_fma_f64 v[142:143], -v[114:115], v[4:5], v[142:143]
	v_fma_f64 v[110:111], -v[114:115], v[6:7], v[110:111]
	;; [unrolled: 4-line block ×6, first 2 shown]
.LBB99_191:
	s_or_b32 exec_lo, exec_lo, s1
	s_mov_b32 s1, exec_lo
	s_waitcnt lgkmcnt(0)
	s_barrier
	buffer_gl0_inv
	v_cmpx_eq_u32_e32 38, v0
	s_cbranch_execz .LBB99_194
; %bb.192:
	ds_write_b64 v1, v[144:145]
	ds_write2_b64 v236, v[112:113], v[142:143] offset0:39 offset1:40
	ds_write2_b64 v236, v[110:111], v[140:141] offset0:41 offset1:42
	;; [unrolled: 1-line block ×5, first 2 shown]
	ds_write_b64 v236, v[202:203] offset:392
	ds_read_b64 v[4:5], v1
	s_waitcnt lgkmcnt(0)
	v_cmp_neq_f64_e32 vcc_lo, 0, v[4:5]
	s_and_b32 exec_lo, exec_lo, vcc_lo
	s_cbranch_execz .LBB99_194
; %bb.193:
	v_div_scale_f64 v[6:7], null, v[4:5], v[4:5], 1.0
	v_rcp_f64_e32 v[8:9], v[6:7]
	v_fma_f64 v[10:11], -v[6:7], v[8:9], 1.0
	v_fma_f64 v[8:9], v[8:9], v[10:11], v[8:9]
	v_fma_f64 v[10:11], -v[6:7], v[8:9], 1.0
	v_fma_f64 v[8:9], v[8:9], v[10:11], v[8:9]
	v_div_scale_f64 v[10:11], vcc_lo, 1.0, v[4:5], 1.0
	v_mul_f64 v[228:229], v[10:11], v[8:9]
	v_fma_f64 v[6:7], -v[6:7], v[228:229], v[10:11]
	v_div_fmas_f64 v[6:7], v[6:7], v[8:9], v[228:229]
	v_div_fixup_f64 v[4:5], v[6:7], v[4:5], 1.0
	ds_write_b64 v1, v[4:5]
.LBB99_194:
	s_or_b32 exec_lo, exec_lo, s1
	s_waitcnt lgkmcnt(0)
	s_barrier
	buffer_gl0_inv
	ds_read_b64 v[222:223], v1
	s_mov_b32 s1, exec_lo
	v_cmpx_lt_u32_e32 38, v0
	s_cbranch_execz .LBB99_196
; %bb.195:
	s_waitcnt lgkmcnt(0)
	v_mul_f64 v[144:145], v[222:223], v[144:145]
	ds_read2_b64 v[4:7], v236 offset0:39 offset1:40
	s_waitcnt lgkmcnt(0)
	v_fma_f64 v[112:113], -v[144:145], v[4:5], v[112:113]
	v_fma_f64 v[142:143], -v[144:145], v[6:7], v[142:143]
	ds_read2_b64 v[4:7], v236 offset0:41 offset1:42
	s_waitcnt lgkmcnt(0)
	v_fma_f64 v[110:111], -v[144:145], v[4:5], v[110:111]
	v_fma_f64 v[140:141], -v[144:145], v[6:7], v[140:141]
	ds_read2_b64 v[4:7], v236 offset0:43 offset1:44
	s_waitcnt lgkmcnt(0)
	v_fma_f64 v[108:109], -v[144:145], v[4:5], v[108:109]
	v_fma_f64 v[138:139], -v[144:145], v[6:7], v[138:139]
	ds_read2_b64 v[4:7], v236 offset0:45 offset1:46
	s_waitcnt lgkmcnt(0)
	v_fma_f64 v[106:107], -v[144:145], v[4:5], v[106:107]
	v_fma_f64 v[136:137], -v[144:145], v[6:7], v[136:137]
	ds_read2_b64 v[4:7], v236 offset0:47 offset1:48
	s_waitcnt lgkmcnt(0)
	v_fma_f64 v[104:105], -v[144:145], v[4:5], v[104:105]
	ds_read_b64 v[4:5], v236 offset:392
	v_fma_f64 v[134:135], -v[144:145], v[6:7], v[134:135]
	s_waitcnt lgkmcnt(0)
	v_fma_f64 v[202:203], -v[144:145], v[4:5], v[202:203]
.LBB99_196:
	s_or_b32 exec_lo, exec_lo, s1
	s_mov_b32 s1, exec_lo
	s_waitcnt lgkmcnt(0)
	s_barrier
	buffer_gl0_inv
	v_cmpx_eq_u32_e32 39, v0
	s_cbranch_execz .LBB99_199
; %bb.197:
	v_mov_b32_e32 v4, v142
	v_mov_b32_e32 v5, v143
	;; [unrolled: 1-line block ×4, first 2 shown]
	ds_write_b64 v1, v[112:113]
	ds_write2_b64 v236, v[4:5], v[6:7] offset0:40 offset1:41
	v_mov_b32_e32 v4, v140
	v_mov_b32_e32 v5, v141
	v_mov_b32_e32 v6, v108
	v_mov_b32_e32 v7, v109
	ds_write2_b64 v236, v[4:5], v[6:7] offset0:42 offset1:43
	v_mov_b32_e32 v4, v138
	v_mov_b32_e32 v5, v139
	v_mov_b32_e32 v6, v106
	v_mov_b32_e32 v7, v107
	;; [unrolled: 5-line block ×3, first 2 shown]
	ds_write2_b64 v236, v[4:5], v[6:7] offset0:46 offset1:47
	v_mov_b32_e32 v4, v134
	v_mov_b32_e32 v5, v135
	ds_write2_b64 v236, v[4:5], v[202:203] offset0:48 offset1:49
	ds_read_b64 v[4:5], v1
	s_waitcnt lgkmcnt(0)
	v_cmp_neq_f64_e32 vcc_lo, 0, v[4:5]
	s_and_b32 exec_lo, exec_lo, vcc_lo
	s_cbranch_execz .LBB99_199
; %bb.198:
	v_div_scale_f64 v[6:7], null, v[4:5], v[4:5], 1.0
	v_rcp_f64_e32 v[8:9], v[6:7]
	v_fma_f64 v[10:11], -v[6:7], v[8:9], 1.0
	v_fma_f64 v[8:9], v[8:9], v[10:11], v[8:9]
	v_fma_f64 v[10:11], -v[6:7], v[8:9], 1.0
	v_fma_f64 v[8:9], v[8:9], v[10:11], v[8:9]
	v_div_scale_f64 v[10:11], vcc_lo, 1.0, v[4:5], 1.0
	v_mul_f64 v[230:231], v[10:11], v[8:9]
	v_fma_f64 v[6:7], -v[6:7], v[230:231], v[10:11]
	v_div_fmas_f64 v[6:7], v[6:7], v[8:9], v[230:231]
	v_div_fixup_f64 v[4:5], v[6:7], v[4:5], 1.0
	ds_write_b64 v1, v[4:5]
.LBB99_199:
	s_or_b32 exec_lo, exec_lo, s1
	s_waitcnt lgkmcnt(0)
	s_barrier
	buffer_gl0_inv
	ds_read_b64 v[224:225], v1
	s_mov_b32 s1, exec_lo
	v_cmpx_lt_u32_e32 39, v0
	s_cbranch_execz .LBB99_201
; %bb.200:
	s_waitcnt lgkmcnt(0)
	v_mul_f64 v[112:113], v[224:225], v[112:113]
	ds_read2_b64 v[4:7], v236 offset0:40 offset1:41
	s_waitcnt lgkmcnt(0)
	v_fma_f64 v[142:143], -v[112:113], v[4:5], v[142:143]
	v_fma_f64 v[110:111], -v[112:113], v[6:7], v[110:111]
	ds_read2_b64 v[4:7], v236 offset0:42 offset1:43
	s_waitcnt lgkmcnt(0)
	v_fma_f64 v[140:141], -v[112:113], v[4:5], v[140:141]
	v_fma_f64 v[108:109], -v[112:113], v[6:7], v[108:109]
	;; [unrolled: 4-line block ×5, first 2 shown]
.LBB99_201:
	s_or_b32 exec_lo, exec_lo, s1
	s_mov_b32 s1, exec_lo
	s_waitcnt lgkmcnt(0)
	s_barrier
	buffer_gl0_inv
	v_cmpx_eq_u32_e32 40, v0
	s_cbranch_execz .LBB99_204
; %bb.202:
	ds_write_b64 v1, v[142:143]
	ds_write2_b64 v236, v[110:111], v[140:141] offset0:41 offset1:42
	ds_write2_b64 v236, v[108:109], v[138:139] offset0:43 offset1:44
	;; [unrolled: 1-line block ×4, first 2 shown]
	ds_write_b64 v236, v[202:203] offset:392
	ds_read_b64 v[4:5], v1
	s_waitcnt lgkmcnt(0)
	v_cmp_neq_f64_e32 vcc_lo, 0, v[4:5]
	s_and_b32 exec_lo, exec_lo, vcc_lo
	s_cbranch_execz .LBB99_204
; %bb.203:
	v_div_scale_f64 v[6:7], null, v[4:5], v[4:5], 1.0
	v_rcp_f64_e32 v[8:9], v[6:7]
	v_fma_f64 v[10:11], -v[6:7], v[8:9], 1.0
	v_fma_f64 v[8:9], v[8:9], v[10:11], v[8:9]
	v_fma_f64 v[10:11], -v[6:7], v[8:9], 1.0
	v_fma_f64 v[8:9], v[8:9], v[10:11], v[8:9]
	v_div_scale_f64 v[10:11], vcc_lo, 1.0, v[4:5], 1.0
	v_mul_f64 v[232:233], v[10:11], v[8:9]
	v_fma_f64 v[6:7], -v[6:7], v[232:233], v[10:11]
	v_div_fmas_f64 v[6:7], v[6:7], v[8:9], v[232:233]
	v_div_fixup_f64 v[4:5], v[6:7], v[4:5], 1.0
	ds_write_b64 v1, v[4:5]
.LBB99_204:
	s_or_b32 exec_lo, exec_lo, s1
	s_waitcnt lgkmcnt(0)
	s_barrier
	buffer_gl0_inv
	ds_read_b64 v[226:227], v1
	s_mov_b32 s1, exec_lo
	v_cmpx_lt_u32_e32 40, v0
	s_cbranch_execz .LBB99_206
; %bb.205:
	s_waitcnt lgkmcnt(0)
	v_mul_f64 v[142:143], v[226:227], v[142:143]
	ds_read2_b64 v[4:7], v236 offset0:41 offset1:42
	s_waitcnt lgkmcnt(0)
	v_fma_f64 v[110:111], -v[142:143], v[4:5], v[110:111]
	v_fma_f64 v[140:141], -v[142:143], v[6:7], v[140:141]
	ds_read2_b64 v[4:7], v236 offset0:43 offset1:44
	s_waitcnt lgkmcnt(0)
	v_fma_f64 v[108:109], -v[142:143], v[4:5], v[108:109]
	v_fma_f64 v[138:139], -v[142:143], v[6:7], v[138:139]
	;; [unrolled: 4-line block ×3, first 2 shown]
	ds_read2_b64 v[4:7], v236 offset0:47 offset1:48
	s_waitcnt lgkmcnt(0)
	v_fma_f64 v[104:105], -v[142:143], v[4:5], v[104:105]
	ds_read_b64 v[4:5], v236 offset:392
	v_fma_f64 v[134:135], -v[142:143], v[6:7], v[134:135]
	s_waitcnt lgkmcnt(0)
	v_fma_f64 v[202:203], -v[142:143], v[4:5], v[202:203]
.LBB99_206:
	s_or_b32 exec_lo, exec_lo, s1
	s_mov_b32 s1, exec_lo
	s_waitcnt lgkmcnt(0)
	s_barrier
	buffer_gl0_inv
	v_cmpx_eq_u32_e32 41, v0
	s_cbranch_execz .LBB99_209
; %bb.207:
	v_mov_b32_e32 v4, v140
	v_mov_b32_e32 v5, v141
	;; [unrolled: 1-line block ×4, first 2 shown]
	ds_write_b64 v1, v[110:111]
	ds_write2_b64 v236, v[4:5], v[6:7] offset0:42 offset1:43
	v_mov_b32_e32 v4, v138
	v_mov_b32_e32 v5, v139
	;; [unrolled: 1-line block ×4, first 2 shown]
	ds_write2_b64 v236, v[4:5], v[6:7] offset0:44 offset1:45
	v_mov_b32_e32 v4, v136
	v_mov_b32_e32 v5, v137
	v_mov_b32_e32 v6, v104
	v_mov_b32_e32 v7, v105
	ds_write2_b64 v236, v[4:5], v[6:7] offset0:46 offset1:47
	v_mov_b32_e32 v4, v134
	v_mov_b32_e32 v5, v135
	ds_write2_b64 v236, v[4:5], v[202:203] offset0:48 offset1:49
	ds_read_b64 v[4:5], v1
	s_waitcnt lgkmcnt(0)
	v_cmp_neq_f64_e32 vcc_lo, 0, v[4:5]
	s_and_b32 exec_lo, exec_lo, vcc_lo
	s_cbranch_execz .LBB99_209
; %bb.208:
	v_div_scale_f64 v[6:7], null, v[4:5], v[4:5], 1.0
	v_mov_b32_e32 v12, v234
	v_mov_b32_e32 v13, v235
	v_rcp_f64_e32 v[8:9], v[6:7]
	v_fma_f64 v[10:11], -v[6:7], v[8:9], 1.0
	v_fma_f64 v[8:9], v[8:9], v[10:11], v[8:9]
	v_fma_f64 v[10:11], -v[6:7], v[8:9], 1.0
	v_fma_f64 v[8:9], v[8:9], v[10:11], v[8:9]
	v_div_scale_f64 v[10:11], vcc_lo, 1.0, v[4:5], 1.0
	v_mul_f64 v[234:235], v[10:11], v[8:9]
	v_fma_f64 v[6:7], -v[6:7], v[234:235], v[10:11]
	v_div_fmas_f64 v[6:7], v[6:7], v[8:9], v[234:235]
	v_mov_b32_e32 v235, v13
	v_mov_b32_e32 v234, v12
	v_div_fixup_f64 v[4:5], v[6:7], v[4:5], 1.0
	ds_write_b64 v1, v[4:5]
.LBB99_209:
	s_or_b32 exec_lo, exec_lo, s1
	s_waitcnt lgkmcnt(0)
	s_barrier
	buffer_gl0_inv
	ds_read_b64 v[228:229], v1
	s_mov_b32 s1, exec_lo
	v_cmpx_lt_u32_e32 41, v0
	s_cbranch_execz .LBB99_211
; %bb.210:
	s_waitcnt lgkmcnt(0)
	v_mul_f64 v[110:111], v[228:229], v[110:111]
	ds_read2_b64 v[4:7], v236 offset0:42 offset1:43
	s_waitcnt lgkmcnt(0)
	v_fma_f64 v[140:141], -v[110:111], v[4:5], v[140:141]
	v_fma_f64 v[108:109], -v[110:111], v[6:7], v[108:109]
	ds_read2_b64 v[4:7], v236 offset0:44 offset1:45
	s_waitcnt lgkmcnt(0)
	v_fma_f64 v[138:139], -v[110:111], v[4:5], v[138:139]
	v_fma_f64 v[106:107], -v[110:111], v[6:7], v[106:107]
	;; [unrolled: 4-line block ×4, first 2 shown]
.LBB99_211:
	s_or_b32 exec_lo, exec_lo, s1
	s_mov_b32 s1, exec_lo
	s_waitcnt lgkmcnt(0)
	s_barrier
	buffer_gl0_inv
	v_cmpx_eq_u32_e32 42, v0
	s_cbranch_execz .LBB99_214
; %bb.212:
	ds_write_b64 v1, v[140:141]
	ds_write2_b64 v236, v[108:109], v[138:139] offset0:43 offset1:44
	ds_write2_b64 v236, v[106:107], v[136:137] offset0:45 offset1:46
	;; [unrolled: 1-line block ×3, first 2 shown]
	ds_write_b64 v236, v[202:203] offset:392
	ds_read_b64 v[4:5], v1
	s_waitcnt lgkmcnt(0)
	v_cmp_neq_f64_e32 vcc_lo, 0, v[4:5]
	s_and_b32 exec_lo, exec_lo, vcc_lo
	s_cbranch_execz .LBB99_214
; %bb.213:
	v_div_scale_f64 v[6:7], null, v[4:5], v[4:5], 1.0
	v_mov_b32_e32 v204, v238
	v_mov_b32_e32 v205, v239
	v_rcp_f64_e32 v[8:9], v[6:7]
	v_fma_f64 v[10:11], -v[6:7], v[8:9], 1.0
	v_fma_f64 v[8:9], v[8:9], v[10:11], v[8:9]
	v_fma_f64 v[10:11], -v[6:7], v[8:9], 1.0
	v_fma_f64 v[8:9], v[8:9], v[10:11], v[8:9]
	v_div_scale_f64 v[10:11], vcc_lo, 1.0, v[4:5], 1.0
	v_mul_f64 v[237:238], v[10:11], v[8:9]
	v_fma_f64 v[6:7], -v[6:7], v[237:238], v[10:11]
	v_div_fmas_f64 v[6:7], v[6:7], v[8:9], v[237:238]
	v_mov_b32_e32 v239, v205
	v_mov_b32_e32 v238, v204
	v_div_fixup_f64 v[4:5], v[6:7], v[4:5], 1.0
	ds_write_b64 v1, v[4:5]
.LBB99_214:
	s_or_b32 exec_lo, exec_lo, s1
	s_waitcnt lgkmcnt(0)
	s_barrier
	buffer_gl0_inv
	ds_read_b64 v[232:233], v1
	s_mov_b32 s1, exec_lo
	v_cmpx_lt_u32_e32 42, v0
	s_cbranch_execz .LBB99_216
; %bb.215:
	s_waitcnt lgkmcnt(0)
	v_mul_f64 v[140:141], v[232:233], v[140:141]
	ds_read2_b64 v[4:7], v236 offset0:43 offset1:44
	s_waitcnt lgkmcnt(0)
	v_fma_f64 v[108:109], -v[140:141], v[4:5], v[108:109]
	v_fma_f64 v[138:139], -v[140:141], v[6:7], v[138:139]
	ds_read2_b64 v[4:7], v236 offset0:45 offset1:46
	s_waitcnt lgkmcnt(0)
	v_fma_f64 v[106:107], -v[140:141], v[4:5], v[106:107]
	v_fma_f64 v[136:137], -v[140:141], v[6:7], v[136:137]
	ds_read2_b64 v[4:7], v236 offset0:47 offset1:48
	s_waitcnt lgkmcnt(0)
	v_fma_f64 v[104:105], -v[140:141], v[4:5], v[104:105]
	ds_read_b64 v[4:5], v236 offset:392
	v_fma_f64 v[134:135], -v[140:141], v[6:7], v[134:135]
	s_waitcnt lgkmcnt(0)
	v_fma_f64 v[202:203], -v[140:141], v[4:5], v[202:203]
.LBB99_216:
	s_or_b32 exec_lo, exec_lo, s1
	s_mov_b32 s1, exec_lo
	s_waitcnt lgkmcnt(0)
	s_barrier
	buffer_gl0_inv
	v_cmpx_eq_u32_e32 43, v0
	s_cbranch_execz .LBB99_219
; %bb.217:
	v_mov_b32_e32 v4, v138
	v_mov_b32_e32 v5, v139
	;; [unrolled: 1-line block ×4, first 2 shown]
	ds_write_b64 v1, v[108:109]
	ds_write2_b64 v236, v[4:5], v[6:7] offset0:44 offset1:45
	v_mov_b32_e32 v4, v136
	v_mov_b32_e32 v5, v137
	;; [unrolled: 1-line block ×4, first 2 shown]
	ds_write2_b64 v236, v[4:5], v[6:7] offset0:46 offset1:47
	v_mov_b32_e32 v4, v134
	v_mov_b32_e32 v5, v135
	ds_write2_b64 v236, v[4:5], v[202:203] offset0:48 offset1:49
	ds_read_b64 v[4:5], v1
	s_waitcnt lgkmcnt(0)
	v_cmp_neq_f64_e32 vcc_lo, 0, v[4:5]
	s_and_b32 exec_lo, exec_lo, vcc_lo
	s_cbranch_execz .LBB99_219
; %bb.218:
	v_div_scale_f64 v[6:7], null, v[4:5], v[4:5], 1.0
	v_rcp_f64_e32 v[8:9], v[6:7]
	v_fma_f64 v[10:11], -v[6:7], v[8:9], 1.0
	v_fma_f64 v[8:9], v[8:9], v[10:11], v[8:9]
	v_fma_f64 v[10:11], -v[6:7], v[8:9], 1.0
	v_fma_f64 v[8:9], v[8:9], v[10:11], v[8:9]
	v_div_scale_f64 v[10:11], vcc_lo, 1.0, v[4:5], 1.0
	v_mul_f64 v[240:241], v[10:11], v[8:9]
	v_fma_f64 v[6:7], -v[6:7], v[240:241], v[10:11]
	v_div_fmas_f64 v[6:7], v[6:7], v[8:9], v[240:241]
	v_div_fixup_f64 v[4:5], v[6:7], v[4:5], 1.0
	ds_write_b64 v1, v[4:5]
.LBB99_219:
	s_or_b32 exec_lo, exec_lo, s1
	s_waitcnt lgkmcnt(0)
	s_barrier
	buffer_gl0_inv
	ds_read_b64 v[208:209], v1
	s_mov_b32 s1, exec_lo
	v_cmpx_lt_u32_e32 43, v0
	s_cbranch_execz .LBB99_221
; %bb.220:
	s_waitcnt lgkmcnt(0)
	v_mul_f64 v[108:109], v[208:209], v[108:109]
	ds_read2_b64 v[4:7], v236 offset0:44 offset1:45
	s_waitcnt lgkmcnt(0)
	v_fma_f64 v[138:139], -v[108:109], v[4:5], v[138:139]
	v_fma_f64 v[106:107], -v[108:109], v[6:7], v[106:107]
	ds_read2_b64 v[4:7], v236 offset0:46 offset1:47
	s_waitcnt lgkmcnt(0)
	v_fma_f64 v[136:137], -v[108:109], v[4:5], v[136:137]
	v_fma_f64 v[104:105], -v[108:109], v[6:7], v[104:105]
	;; [unrolled: 4-line block ×3, first 2 shown]
.LBB99_221:
	s_or_b32 exec_lo, exec_lo, s1
	s_mov_b32 s1, exec_lo
	s_waitcnt lgkmcnt(0)
	s_barrier
	buffer_gl0_inv
	v_cmpx_eq_u32_e32 44, v0
	s_cbranch_execz .LBB99_224
; %bb.222:
	ds_write_b64 v1, v[138:139]
	ds_write2_b64 v236, v[106:107], v[136:137] offset0:45 offset1:46
	ds_write2_b64 v236, v[104:105], v[134:135] offset0:47 offset1:48
	ds_write_b64 v236, v[202:203] offset:392
	ds_read_b64 v[4:5], v1
	s_waitcnt lgkmcnt(0)
	v_cmp_neq_f64_e32 vcc_lo, 0, v[4:5]
	s_and_b32 exec_lo, exec_lo, vcc_lo
	s_cbranch_execz .LBB99_224
; %bb.223:
	v_div_scale_f64 v[6:7], null, v[4:5], v[4:5], 1.0
	v_rcp_f64_e32 v[8:9], v[6:7]
	v_fma_f64 v[10:11], -v[6:7], v[8:9], 1.0
	v_fma_f64 v[8:9], v[8:9], v[10:11], v[8:9]
	v_fma_f64 v[10:11], -v[6:7], v[8:9], 1.0
	v_fma_f64 v[8:9], v[8:9], v[10:11], v[8:9]
	v_div_scale_f64 v[10:11], vcc_lo, 1.0, v[4:5], 1.0
	v_mul_f64 v[242:243], v[10:11], v[8:9]
	v_fma_f64 v[6:7], -v[6:7], v[242:243], v[10:11]
	v_div_fmas_f64 v[6:7], v[6:7], v[8:9], v[242:243]
	v_div_fixup_f64 v[4:5], v[6:7], v[4:5], 1.0
	ds_write_b64 v1, v[4:5]
.LBB99_224:
	s_or_b32 exec_lo, exec_lo, s1
	s_waitcnt lgkmcnt(0)
	s_barrier
	buffer_gl0_inv
	ds_read_b64 v[242:243], v1
	s_mov_b32 s1, exec_lo
	v_cmpx_lt_u32_e32 44, v0
	s_cbranch_execz .LBB99_226
; %bb.225:
	s_waitcnt lgkmcnt(0)
	v_mul_f64 v[138:139], v[242:243], v[138:139]
	ds_read2_b64 v[4:7], v236 offset0:45 offset1:46
	s_waitcnt lgkmcnt(0)
	v_fma_f64 v[106:107], -v[138:139], v[4:5], v[106:107]
	v_fma_f64 v[136:137], -v[138:139], v[6:7], v[136:137]
	ds_read2_b64 v[4:7], v236 offset0:47 offset1:48
	s_waitcnt lgkmcnt(0)
	v_fma_f64 v[104:105], -v[138:139], v[4:5], v[104:105]
	ds_read_b64 v[4:5], v236 offset:392
	v_fma_f64 v[134:135], -v[138:139], v[6:7], v[134:135]
	s_waitcnt lgkmcnt(0)
	v_fma_f64 v[202:203], -v[138:139], v[4:5], v[202:203]
.LBB99_226:
	s_or_b32 exec_lo, exec_lo, s1
	s_mov_b32 s1, exec_lo
	s_waitcnt lgkmcnt(0)
	s_barrier
	buffer_gl0_inv
	v_cmpx_eq_u32_e32 45, v0
	s_cbranch_execz .LBB99_229
; %bb.227:
	v_mov_b32_e32 v4, v136
	v_mov_b32_e32 v5, v137
	;; [unrolled: 1-line block ×4, first 2 shown]
	ds_write_b64 v1, v[106:107]
	ds_write2_b64 v236, v[4:5], v[6:7] offset0:46 offset1:47
	v_mov_b32_e32 v4, v134
	v_mov_b32_e32 v5, v135
	ds_write2_b64 v236, v[4:5], v[202:203] offset0:48 offset1:49
	ds_read_b64 v[4:5], v1
	s_waitcnt lgkmcnt(0)
	v_cmp_neq_f64_e32 vcc_lo, 0, v[4:5]
	s_and_b32 exec_lo, exec_lo, vcc_lo
	s_cbranch_execz .LBB99_229
; %bb.228:
	v_div_scale_f64 v[6:7], null, v[4:5], v[4:5], 1.0
	v_rcp_f64_e32 v[8:9], v[6:7]
	v_fma_f64 v[10:11], -v[6:7], v[8:9], 1.0
	v_fma_f64 v[8:9], v[8:9], v[10:11], v[8:9]
	v_fma_f64 v[10:11], -v[6:7], v[8:9], 1.0
	v_fma_f64 v[8:9], v[8:9], v[10:11], v[8:9]
	v_div_scale_f64 v[10:11], vcc_lo, 1.0, v[4:5], 1.0
	v_mul_f64 v[244:245], v[10:11], v[8:9]
	v_fma_f64 v[6:7], -v[6:7], v[244:245], v[10:11]
	v_div_fmas_f64 v[6:7], v[6:7], v[8:9], v[244:245]
	v_div_fixup_f64 v[4:5], v[6:7], v[4:5], 1.0
	ds_write_b64 v1, v[4:5]
.LBB99_229:
	s_or_b32 exec_lo, exec_lo, s1
	s_waitcnt lgkmcnt(0)
	s_barrier
	buffer_gl0_inv
	ds_read_b64 v[244:245], v1
	s_mov_b32 s1, exec_lo
	v_cmpx_lt_u32_e32 45, v0
	s_cbranch_execz .LBB99_231
; %bb.230:
	s_waitcnt lgkmcnt(0)
	v_mul_f64 v[106:107], v[244:245], v[106:107]
	ds_read2_b64 v[4:7], v236 offset0:46 offset1:47
	s_waitcnt lgkmcnt(0)
	v_fma_f64 v[136:137], -v[106:107], v[4:5], v[136:137]
	v_fma_f64 v[104:105], -v[106:107], v[6:7], v[104:105]
	ds_read2_b64 v[4:7], v236 offset0:48 offset1:49
	s_waitcnt lgkmcnt(0)
	v_fma_f64 v[134:135], -v[106:107], v[4:5], v[134:135]
	v_fma_f64 v[202:203], -v[106:107], v[6:7], v[202:203]
.LBB99_231:
	s_or_b32 exec_lo, exec_lo, s1
	s_mov_b32 s1, exec_lo
	s_waitcnt lgkmcnt(0)
	s_barrier
	buffer_gl0_inv
	v_cmpx_eq_u32_e32 46, v0
	s_cbranch_execz .LBB99_234
; %bb.232:
	ds_write_b64 v1, v[136:137]
	ds_write2_b64 v236, v[104:105], v[134:135] offset0:47 offset1:48
	ds_write_b64 v236, v[202:203] offset:392
	ds_read_b64 v[4:5], v1
	s_waitcnt lgkmcnt(0)
	v_cmp_neq_f64_e32 vcc_lo, 0, v[4:5]
	s_and_b32 exec_lo, exec_lo, vcc_lo
	s_cbranch_execz .LBB99_234
; %bb.233:
	v_div_scale_f64 v[6:7], null, v[4:5], v[4:5], 1.0
	v_rcp_f64_e32 v[8:9], v[6:7]
	v_fma_f64 v[10:11], -v[6:7], v[8:9], 1.0
	v_fma_f64 v[8:9], v[8:9], v[10:11], v[8:9]
	v_fma_f64 v[10:11], -v[6:7], v[8:9], 1.0
	v_fma_f64 v[8:9], v[8:9], v[10:11], v[8:9]
	v_div_scale_f64 v[10:11], vcc_lo, 1.0, v[4:5], 1.0
	v_mul_f64 v[12:13], v[10:11], v[8:9]
	v_fma_f64 v[6:7], -v[6:7], v[12:13], v[10:11]
	v_div_fmas_f64 v[6:7], v[6:7], v[8:9], v[12:13]
	v_div_fixup_f64 v[4:5], v[6:7], v[4:5], 1.0
	ds_write_b64 v1, v[4:5]
.LBB99_234:
	s_or_b32 exec_lo, exec_lo, s1
	s_waitcnt lgkmcnt(0)
	s_barrier
	buffer_gl0_inv
	ds_read_b64 v[4:5], v1
	s_mov_b32 s1, exec_lo
	v_cmpx_lt_u32_e32 46, v0
	s_cbranch_execz .LBB99_236
; %bb.235:
	s_waitcnt lgkmcnt(0)
	v_mul_f64 v[136:137], v[4:5], v[136:137]
	ds_read2_b64 v[6:9], v236 offset0:47 offset1:48
	s_waitcnt lgkmcnt(0)
	v_fma_f64 v[104:105], -v[136:137], v[6:7], v[104:105]
	ds_read_b64 v[6:7], v236 offset:392
	v_fma_f64 v[134:135], -v[136:137], v[8:9], v[134:135]
	s_waitcnt lgkmcnt(0)
	v_fma_f64 v[202:203], -v[136:137], v[6:7], v[202:203]
.LBB99_236:
	s_or_b32 exec_lo, exec_lo, s1
	s_mov_b32 s1, exec_lo
	s_waitcnt lgkmcnt(0)
	s_barrier
	buffer_gl0_inv
	v_cmpx_eq_u32_e32 47, v0
	s_cbranch_execz .LBB99_239
; %bb.237:
	v_mov_b32_e32 v6, v134
	v_mov_b32_e32 v7, v135
	ds_write_b64 v1, v[104:105]
	ds_write2_b64 v236, v[6:7], v[202:203] offset0:48 offset1:49
	ds_read_b64 v[6:7], v1
	s_waitcnt lgkmcnt(0)
	v_cmp_neq_f64_e32 vcc_lo, 0, v[6:7]
	s_and_b32 exec_lo, exec_lo, vcc_lo
	s_cbranch_execz .LBB99_239
; %bb.238:
	v_div_scale_f64 v[8:9], null, v[6:7], v[6:7], 1.0
	v_mov_b32_e32 v205, v3
	v_mov_b32_e32 v204, v2
	;; [unrolled: 1-line block ×6, first 2 shown]
	v_rcp_f64_e32 v[10:11], v[8:9]
	v_fma_f64 v[12:13], -v[8:9], v[10:11], 1.0
	v_fma_f64 v[10:11], v[10:11], v[12:13], v[10:11]
	v_fma_f64 v[12:13], -v[8:9], v[10:11], 1.0
	v_fma_f64 v[10:11], v[10:11], v[12:13], v[10:11]
	v_div_scale_f64 v[12:13], vcc_lo, 1.0, v[6:7], 1.0
	v_mul_f64 v[14:15], v[12:13], v[10:11]
	v_fma_f64 v[8:9], -v[8:9], v[14:15], v[12:13]
	v_div_fmas_f64 v[8:9], v[8:9], v[10:11], v[14:15]
	v_mov_b32_e32 v14, v100
	v_mov_b32_e32 v15, v101
	;; [unrolled: 1-line block ×6, first 2 shown]
	v_div_fixup_f64 v[6:7], v[8:9], v[6:7], 1.0
	ds_write_b64 v1, v[6:7]
.LBB99_239:
	s_or_b32 exec_lo, exec_lo, s1
	s_waitcnt lgkmcnt(0)
	s_barrier
	buffer_gl0_inv
	ds_read_b64 v[6:7], v1
	s_mov_b32 s1, exec_lo
	v_cmpx_lt_u32_e32 47, v0
	s_cbranch_execz .LBB99_241
; %bb.240:
	s_waitcnt lgkmcnt(0)
	v_mul_f64 v[104:105], v[6:7], v[104:105]
	ds_read2_b64 v[8:11], v236 offset0:48 offset1:49
	s_waitcnt lgkmcnt(0)
	v_fma_f64 v[134:135], -v[104:105], v[8:9], v[134:135]
	v_fma_f64 v[202:203], -v[104:105], v[10:11], v[202:203]
.LBB99_241:
	s_or_b32 exec_lo, exec_lo, s1
	s_mov_b32 s1, exec_lo
	s_waitcnt lgkmcnt(0)
	s_barrier
	buffer_gl0_inv
	v_cmpx_eq_u32_e32 48, v0
	s_cbranch_execz .LBB99_244
; %bb.242:
	ds_write_b64 v1, v[134:135]
	ds_write_b64 v236, v[202:203] offset:392
	ds_read_b64 v[8:9], v1
	s_waitcnt lgkmcnt(0)
	v_cmp_neq_f64_e32 vcc_lo, 0, v[8:9]
	s_and_b32 exec_lo, exec_lo, vcc_lo
	s_cbranch_execz .LBB99_244
; %bb.243:
	v_div_scale_f64 v[10:11], null, v[8:9], v[8:9], 1.0
	v_mov_b32_e32 v231, v229
	v_mov_b32_e32 v230, v228
	;; [unrolled: 1-line block ×20, first 2 shown]
	v_rcp_f64_e32 v[12:13], v[10:11]
	v_mov_b32_e32 v210, v238
	v_mov_b32_e32 v211, v239
	;; [unrolled: 1-line block ×23, first 2 shown]
	v_fma_f64 v[14:15], -v[10:11], v[12:13], 1.0
	v_mov_b32_e32 v250, v248
	v_mov_b32_e32 v249, v103
	;; [unrolled: 1-line block ×21, first 2 shown]
	v_fma_f64 v[12:13], v[12:13], v[14:15], v[12:13]
	v_mov_b32_e32 v85, v83
	v_mov_b32_e32 v84, v82
	;; [unrolled: 1-line block ×21, first 2 shown]
	v_fma_f64 v[14:15], -v[10:11], v[12:13], 1.0
	v_mov_b32_e32 v64, v62
	v_mov_b32_e32 v63, v61
	;; [unrolled: 1-line block ×21, first 2 shown]
	v_fma_f64 v[12:13], v[12:13], v[14:15], v[12:13]
	v_div_scale_f64 v[14:15], vcc_lo, 1.0, v[8:9], 1.0
	v_mov_b32_e32 v43, v41
	v_mov_b32_e32 v42, v40
	v_mov_b32_e32 v41, v39
	v_mov_b32_e32 v40, v38
	v_mov_b32_e32 v39, v37
	v_mov_b32_e32 v38, v36
	v_mov_b32_e32 v37, v35
	v_mov_b32_e32 v36, v34
	v_mov_b32_e32 v35, v33
	v_mov_b32_e32 v34, v32
	v_mov_b32_e32 v33, v31
	v_mov_b32_e32 v32, v30
	v_mov_b32_e32 v31, v29
	v_mov_b32_e32 v30, v28
	v_mov_b32_e32 v29, v27
	v_mov_b32_e32 v28, v26
	v_mov_b32_e32 v27, v25
	v_mov_b32_e32 v26, v24
	v_mov_b32_e32 v25, v23
	v_mov_b32_e32 v24, v22
	v_mov_b32_e32 v23, v21
	v_mov_b32_e32 v22, v20
	v_mov_b32_e32 v21, v19
	v_mov_b32_e32 v20, v18
	v_mov_b32_e32 v19, v17
	v_mov_b32_e32 v18, v16
	v_mul_f64 v[16:17], v[14:15], v[12:13]
	v_mov_b32_e32 v238, v181
	v_mov_b32_e32 v237, v180
	;; [unrolled: 1-line block ×12, first 2 shown]
	v_fma_f64 v[10:11], -v[10:11], v[16:17], v[14:15]
	v_mov_b32_e32 v14, v100
	v_mov_b32_e32 v15, v101
	;; [unrolled: 1-line block ×21, first 2 shown]
	v_div_fmas_f64 v[10:11], v[10:11], v[12:13], v[16:17]
	v_mov_b32_e32 v16, v18
	v_mov_b32_e32 v17, v19
	;; [unrolled: 1-line block ×63, first 2 shown]
	v_div_fixup_f64 v[8:9], v[10:11], v[8:9], 1.0
	v_mov_b32_e32 v79, v81
	v_mov_b32_e32 v80, v82
	;; [unrolled: 1-line block ×48, first 2 shown]
	ds_write_b64 v1, v[8:9]
.LBB99_244:
	s_or_b32 exec_lo, exec_lo, s1
	s_waitcnt lgkmcnt(0)
	s_barrier
	buffer_gl0_inv
	ds_read_b64 v[8:9], v1
	s_mov_b32 s1, exec_lo
	v_cmpx_lt_u32_e32 48, v0
	s_cbranch_execz .LBB99_246
; %bb.245:
	s_waitcnt lgkmcnt(0)
	v_mul_f64 v[134:135], v[8:9], v[134:135]
	ds_read_b64 v[10:11], v236 offset:392
	s_waitcnt lgkmcnt(0)
	v_fma_f64 v[202:203], -v[134:135], v[10:11], v[202:203]
.LBB99_246:
	s_or_b32 exec_lo, exec_lo, s1
	s_mov_b32 s1, exec_lo
	s_waitcnt lgkmcnt(0)
	s_barrier
	buffer_gl0_inv
	v_cmpx_eq_u32_e32 49, v0
	s_cbranch_execz .LBB99_249
; %bb.247:
	v_cmp_neq_f64_e32 vcc_lo, 0, v[202:203]
	ds_write_b64 v1, v[202:203]
	s_and_b32 exec_lo, exec_lo, vcc_lo
	s_cbranch_execz .LBB99_249
; %bb.248:
	v_div_scale_f64 v[10:11], null, v[202:203], v[202:203], 1.0
	v_mov_b32_e32 v205, v3
	v_mov_b32_e32 v204, v2
	;; [unrolled: 1-line block ×20, first 2 shown]
	v_rcp_f64_e32 v[12:13], v[10:11]
	v_mov_b32_e32 v87, v85
	v_mov_b32_e32 v86, v84
	;; [unrolled: 1-line block ×23, first 2 shown]
	v_fma_f64 v[14:15], -v[10:11], v[12:13], 1.0
	v_mov_b32_e32 v64, v62
	v_mov_b32_e32 v63, v61
	;; [unrolled: 1-line block ×21, first 2 shown]
	v_fma_f64 v[12:13], v[12:13], v[14:15], v[12:13]
	v_mov_b32_e32 v43, v41
	v_mov_b32_e32 v42, v40
	;; [unrolled: 1-line block ×21, first 2 shown]
	v_fma_f64 v[14:15], -v[10:11], v[12:13], 1.0
	v_mov_b32_e32 v22, v20
	v_mov_b32_e32 v21, v19
	;; [unrolled: 1-line block ×5, first 2 shown]
	v_fma_f64 v[12:13], v[12:13], v[14:15], v[12:13]
	v_div_scale_f64 v[14:15], vcc_lo, 1.0, v[202:203], 1.0
	v_mul_f64 v[16:17], v[14:15], v[12:13]
	v_fma_f64 v[10:11], -v[10:11], v[16:17], v[14:15]
	v_mov_b32_e32 v14, v100
	v_mov_b32_e32 v15, v101
	;; [unrolled: 1-line block ×6, first 2 shown]
	v_div_fmas_f64 v[10:11], v[10:11], v[12:13], v[16:17]
	v_mov_b32_e32 v16, v18
	v_mov_b32_e32 v17, v19
	;; [unrolled: 1-line block ×51, first 2 shown]
	v_div_fixup_f64 v[10:11], v[10:11], v[202:203], 1.0
	v_mov_b32_e32 v67, v69
	v_mov_b32_e32 v68, v70
	;; [unrolled: 1-line block ×33, first 2 shown]
	ds_write_b64 v1, v[10:11]
.LBB99_249:
	s_or_b32 exec_lo, exec_lo, s1
	s_waitcnt lgkmcnt(0)
	s_barrier
	buffer_gl0_inv
	ds_read_b64 v[236:237], v1
	s_waitcnt lgkmcnt(0)
	s_barrier
	buffer_gl0_inv
	s_and_saveexec_b32 s1, s0
	s_cbranch_execz .LBB99_252
; %bb.250:
	s_clause 0x1
	buffer_load_dword v10, off, s[12:15], 0 offset:64
	buffer_load_dword v11, off, s[12:15], 0 offset:68
	v_cmp_eq_f64_e32 vcc_lo, 0, v[16:17]
	v_cmp_neq_f64_e64 s0, 0, v[38:39]
	s_load_dwordx2 s[2:3], s[4:5], 0x28
	v_cndmask_b32_e64 v1, 0, 1, vcc_lo
	s_or_b32 vcc_lo, s0, vcc_lo
	v_cndmask_b32_e32 v1, 2, v1, vcc_lo
	v_cmp_eq_f64_e32 vcc_lo, 0, v[246:247]
	v_cmp_eq_u32_e64 s0, 0, v1
	s_and_b32 s0, vcc_lo, s0
	v_cmp_eq_f64_e32 vcc_lo, 0, v[248:249]
	v_cndmask_b32_e64 v1, v1, 3, s0
	v_cmp_eq_u32_e64 s0, 0, v1
	s_and_b32 s0, vcc_lo, s0
	v_cmp_eq_f64_e32 vcc_lo, 0, v[250:251]
	v_cndmask_b32_e64 v1, v1, 4, s0
	v_cmp_eq_u32_e64 s0, 0, v1
	s_and_b32 s0, vcc_lo, s0
	v_cmp_eq_f64_e32 vcc_lo, 0, v[252:253]
	v_cndmask_b32_e64 v1, v1, 5, s0
	v_cmp_eq_u32_e64 s0, 0, v1
	s_and_b32 s0, vcc_lo, s0
	v_cmp_eq_f64_e32 vcc_lo, 0, v[254:255]
	v_cndmask_b32_e64 v1, v1, 6, s0
	v_cmp_eq_u32_e64 s0, 0, v1
	s_and_b32 s0, vcc_lo, s0
	v_cmp_eq_f64_e32 vcc_lo, 0, v[14:15]
	v_cndmask_b32_e64 v1, v1, 7, s0
	v_cmp_eq_u32_e64 s0, 0, v1
	s_and_b32 s0, vcc_lo, s0
	v_cndmask_b32_e64 v1, v1, 8, s0
	v_cmp_eq_u32_e64 s0, 0, v1
	s_waitcnt vmcnt(0)
	v_cmp_eq_f64_e32 vcc_lo, 0, v[10:11]
	s_clause 0x1
	buffer_load_dword v10, off, s[12:15], 0 offset:72
	buffer_load_dword v11, off, s[12:15], 0 offset:76
	s_and_b32 s0, vcc_lo, s0
	v_cndmask_b32_e64 v1, v1, 9, s0
	v_cmp_eq_u32_e64 s0, 0, v1
	s_waitcnt vmcnt(0)
	v_cmp_eq_f64_e32 vcc_lo, 0, v[10:11]
	s_clause 0x1
	buffer_load_dword v10, off, s[12:15], 0 offset:80
	buffer_load_dword v11, off, s[12:15], 0 offset:84
	s_and_b32 s0, vcc_lo, s0
	v_cndmask_b32_e64 v1, v1, 10, s0
	v_cmp_eq_u32_e64 s0, 0, v1
	s_waitcnt vmcnt(0)
	v_cmp_eq_f64_e32 vcc_lo, 0, v[10:11]
	s_clause 0x1
	buffer_load_dword v10, off, s[12:15], 0 offset:88
	buffer_load_dword v11, off, s[12:15], 0 offset:92
	s_and_b32 s0, vcc_lo, s0
	v_cndmask_b32_e64 v1, v1, 11, s0
	v_cmp_eq_u32_e64 s0, 0, v1
	s_waitcnt vmcnt(0)
	v_cmp_eq_f64_e32 vcc_lo, 0, v[10:11]
	s_clause 0x1
	buffer_load_dword v10, off, s[12:15], 0 offset:96
	buffer_load_dword v11, off, s[12:15], 0 offset:100
	s_and_b32 s0, vcc_lo, s0
	v_cndmask_b32_e64 v1, v1, 12, s0
	v_cmp_eq_u32_e64 s0, 0, v1
	s_waitcnt vmcnt(0)
	v_cmp_eq_f64_e32 vcc_lo, 0, v[10:11]
	s_clause 0x1
	buffer_load_dword v10, off, s[12:15], 0 offset:104
	buffer_load_dword v11, off, s[12:15], 0 offset:108
	s_and_b32 s0, vcc_lo, s0
	v_cndmask_b32_e64 v1, v1, 13, s0
	v_cmp_eq_u32_e64 s0, 0, v1
	s_waitcnt vmcnt(0)
	v_cmp_eq_f64_e32 vcc_lo, 0, v[10:11]
	s_clause 0x1
	buffer_load_dword v10, off, s[12:15], 0 offset:112
	buffer_load_dword v11, off, s[12:15], 0 offset:116
	s_and_b32 s0, vcc_lo, s0
	v_cndmask_b32_e64 v1, v1, 14, s0
	v_cmp_eq_u32_e64 s0, 0, v1
	s_waitcnt vmcnt(0)
	v_cmp_eq_f64_e32 vcc_lo, 0, v[10:11]
	s_clause 0x1
	buffer_load_dword v10, off, s[12:15], 0 offset:120
	buffer_load_dword v11, off, s[12:15], 0 offset:124
	s_and_b32 s0, vcc_lo, s0
	v_cndmask_b32_e64 v1, v1, 15, s0
	v_cmp_eq_u32_e64 s0, 0, v1
	s_waitcnt vmcnt(0)
	v_cmp_eq_f64_e32 vcc_lo, 0, v[10:11]
	s_clause 0x1
	buffer_load_dword v10, off, s[12:15], 0 offset:128
	buffer_load_dword v11, off, s[12:15], 0 offset:132
	s_and_b32 s0, vcc_lo, s0
	v_cndmask_b32_e64 v1, v1, 16, s0
	v_cmp_eq_u32_e64 s0, 0, v1
	s_waitcnt vmcnt(0)
	v_cmp_eq_f64_e32 vcc_lo, 0, v[10:11]
	s_clause 0x1
	buffer_load_dword v10, off, s[12:15], 0 offset:136
	buffer_load_dword v11, off, s[12:15], 0 offset:140
	s_and_b32 s0, vcc_lo, s0
	v_cndmask_b32_e64 v1, v1, 17, s0
	v_cmp_eq_u32_e64 s0, 0, v1
	s_waitcnt vmcnt(0)
	v_cmp_eq_f64_e32 vcc_lo, 0, v[10:11]
	s_clause 0x1
	buffer_load_dword v10, off, s[12:15], 0 offset:144
	buffer_load_dword v11, off, s[12:15], 0 offset:148
	s_and_b32 s0, vcc_lo, s0
	v_cndmask_b32_e64 v1, v1, 18, s0
	v_cmp_eq_u32_e64 s0, 0, v1
	s_waitcnt vmcnt(0)
	v_cmp_eq_f64_e32 vcc_lo, 0, v[10:11]
	s_clause 0x1
	buffer_load_dword v10, off, s[12:15], 0 offset:152
	buffer_load_dword v11, off, s[12:15], 0 offset:156
	s_and_b32 s0, vcc_lo, s0
	v_cndmask_b32_e64 v1, v1, 19, s0
	v_cmp_eq_u32_e64 s0, 0, v1
	s_waitcnt vmcnt(0)
	v_cmp_eq_f64_e32 vcc_lo, 0, v[10:11]
	s_clause 0x1
	buffer_load_dword v10, off, s[12:15], 0 offset:160
	buffer_load_dword v11, off, s[12:15], 0 offset:164
	s_and_b32 s0, vcc_lo, s0
	v_cndmask_b32_e64 v1, v1, 20, s0
	v_cmp_eq_u32_e64 s0, 0, v1
	s_waitcnt vmcnt(0)
	v_cmp_eq_f64_e32 vcc_lo, 0, v[10:11]
	s_clause 0x1
	buffer_load_dword v10, off, s[12:15], 0 offset:168
	buffer_load_dword v11, off, s[12:15], 0 offset:172
	s_and_b32 s0, vcc_lo, s0
	v_cndmask_b32_e64 v1, v1, 21, s0
	v_cmp_eq_u32_e64 s0, 0, v1
	s_waitcnt vmcnt(0)
	v_cmp_eq_f64_e32 vcc_lo, 0, v[10:11]
	s_clause 0x1
	buffer_load_dword v10, off, s[12:15], 0 offset:176
	buffer_load_dword v11, off, s[12:15], 0 offset:180
	s_and_b32 s0, vcc_lo, s0
	v_cndmask_b32_e64 v1, v1, 22, s0
	v_cmp_eq_u32_e64 s0, 0, v1
	s_waitcnt vmcnt(0)
	v_cmp_eq_f64_e32 vcc_lo, 0, v[10:11]
	s_clause 0x1
	buffer_load_dword v10, off, s[12:15], 0 offset:184
	buffer_load_dword v11, off, s[12:15], 0 offset:188
	s_and_b32 s0, vcc_lo, s0
	v_cndmask_b32_e64 v1, v1, 23, s0
	v_cmp_eq_u32_e64 s0, 0, v1
	s_waitcnt vmcnt(0)
	v_cmp_eq_f64_e32 vcc_lo, 0, v[10:11]
	s_clause 0x1
	buffer_load_dword v10, off, s[12:15], 0 offset:192
	buffer_load_dword v11, off, s[12:15], 0 offset:196
	s_and_b32 s0, vcc_lo, s0
	v_cndmask_b32_e64 v1, v1, 24, s0
	v_cmp_eq_u32_e64 s0, 0, v1
	s_waitcnt vmcnt(0)
	v_cmp_eq_f64_e32 vcc_lo, 0, v[10:11]
	s_clause 0x1
	buffer_load_dword v10, off, s[12:15], 0 offset:200
	buffer_load_dword v11, off, s[12:15], 0 offset:204
	s_and_b32 s0, vcc_lo, s0
	v_cndmask_b32_e64 v1, v1, 25, s0
	v_cmp_eq_u32_e64 s0, 0, v1
	s_waitcnt vmcnt(0)
	v_cmp_eq_f64_e32 vcc_lo, 0, v[10:11]
	s_clause 0x1
	buffer_load_dword v10, off, s[12:15], 0 offset:208
	buffer_load_dword v11, off, s[12:15], 0 offset:212
	s_and_b32 s0, vcc_lo, s0
	v_cndmask_b32_e64 v1, v1, 26, s0
	v_cmp_eq_u32_e64 s0, 0, v1
	s_waitcnt vmcnt(0)
	v_cmp_eq_f64_e32 vcc_lo, 0, v[10:11]
	s_clause 0x1
	buffer_load_dword v10, off, s[12:15], 0 offset:216
	buffer_load_dword v11, off, s[12:15], 0 offset:220
	s_and_b32 s0, vcc_lo, s0
	v_cndmask_b32_e64 v1, v1, 27, s0
	v_cmp_eq_u32_e64 s0, 0, v1
	s_waitcnt vmcnt(0)
	v_cmp_eq_f64_e32 vcc_lo, 0, v[10:11]
	s_clause 0x1
	buffer_load_dword v10, off, s[12:15], 0 offset:224
	buffer_load_dword v11, off, s[12:15], 0 offset:228
	s_and_b32 s0, vcc_lo, s0
	v_cndmask_b32_e64 v1, v1, 28, s0
	v_cmp_eq_u32_e64 s0, 0, v1
	s_waitcnt vmcnt(0)
	v_cmp_eq_f64_e32 vcc_lo, 0, v[10:11]
	s_and_b32 s0, vcc_lo, s0
	v_cmp_eq_f64_e32 vcc_lo, 0, v[234:235]
	v_cndmask_b32_e64 v1, v1, 29, s0
	v_cmp_eq_u32_e64 s0, 0, v1
	s_and_b32 s0, vcc_lo, s0
	v_cmp_eq_f64_e32 vcc_lo, 0, v[206:207]
	v_cndmask_b32_e64 v1, v1, 30, s0
	v_cmp_eq_u32_e64 s0, 0, v1
	;; [unrolled: 4-line block ×21, first 2 shown]
	s_and_b32 s0, vcc_lo, s0
	v_cndmask_b32_e64 v4, v1, 50, s0
	v_lshlrev_b64 v[1:2], 2, v[2:3]
	v_cmp_ne_u32_e64 s0, 0, v4
	s_waitcnt lgkmcnt(0)
	v_add_co_u32 v1, vcc_lo, s2, v1
	v_add_co_ci_u32_e64 v2, null, s3, v2, vcc_lo
	global_load_dword v3, v[1:2], off
	s_waitcnt vmcnt(0)
	v_cmp_eq_u32_e32 vcc_lo, 0, v3
	s_and_b32 s0, vcc_lo, s0
	s_and_b32 exec_lo, exec_lo, s0
	s_cbranch_execz .LBB99_252
; %bb.251:
	v_add_nc_u32_e32 v3, s9, v4
	global_store_dword v[1:2], v3, off
.LBB99_252:
	s_or_b32 exec_lo, exec_lo, s1
	flat_store_dwordx2 v[100:101], v[164:165]
	flat_store_dwordx2 v[102:103], v[182:183]
	s_clause 0x1
	buffer_load_dword v3, off, s[12:15], 0
	buffer_load_dword v4, off, s[12:15], 0 offset:4
	v_mul_f64 v[1:2], v[236:237], v[202:203]
	v_cmp_lt_u32_e32 vcc_lo, 49, v0
	v_cndmask_b32_e32 v2, v203, v2, vcc_lo
	v_cndmask_b32_e32 v1, v202, v1, vcc_lo
	s_waitcnt vmcnt(0)
	flat_store_dwordx2 v[3:4], v[200:201]
	s_clause 0x1
	buffer_load_dword v3, off, s[12:15], 0 offset:8
	buffer_load_dword v4, off, s[12:15], 0 offset:12
	s_waitcnt vmcnt(0)
	flat_store_dwordx2 v[3:4], v[180:181]
	s_clause 0x1
	buffer_load_dword v3, off, s[12:15], 0 offset:16
	buffer_load_dword v4, off, s[12:15], 0 offset:20
	s_waitcnt vmcnt(0)
	flat_store_dwordx2 v[3:4], v[198:199]
	s_clause 0x1
	buffer_load_dword v3, off, s[12:15], 0 offset:24
	buffer_load_dword v4, off, s[12:15], 0 offset:28
	s_waitcnt vmcnt(0)
	flat_store_dwordx2 v[3:4], v[178:179]
	s_clause 0x1
	buffer_load_dword v3, off, s[12:15], 0 offset:32
	buffer_load_dword v4, off, s[12:15], 0 offset:36
	s_waitcnt vmcnt(0)
	flat_store_dwordx2 v[3:4], v[196:197]
	s_clause 0x1
	buffer_load_dword v3, off, s[12:15], 0 offset:40
	buffer_load_dword v4, off, s[12:15], 0 offset:44
	s_waitcnt vmcnt(0)
	flat_store_dwordx2 v[3:4], v[176:177]
	s_clause 0x1
	buffer_load_dword v3, off, s[12:15], 0 offset:48
	buffer_load_dword v4, off, s[12:15], 0 offset:52
	s_waitcnt vmcnt(0)
	flat_store_dwordx2 v[3:4], v[194:195]
	flat_store_dwordx2 v[18:19], v[174:175]
	;; [unrolled: 1-line block ×10, first 2 shown]
	s_clause 0x1
	buffer_load_dword v3, off, s[12:15], 0 offset:56
	buffer_load_dword v4, off, s[12:15], 0 offset:60
	s_waitcnt vmcnt(0)
	flat_store_dwordx2 v[3:4], v[184:185]
	flat_store_dwordx2 v[36:37], v[132:133]
	;; [unrolled: 1-line block ×32, first 2 shown]
.LBB99_253:
	s_endpgm
	.section	.rodata,"a",@progbits
	.p2align	6, 0x0
	.amdhsa_kernel _ZN9rocsolver6v33100L23getf2_npvt_small_kernelILi50EdiiPKPdEEvT1_T3_lS5_lPT2_S5_S5_
		.amdhsa_group_segment_fixed_size 0
		.amdhsa_private_segment_fixed_size 236
		.amdhsa_kernarg_size 312
		.amdhsa_user_sgpr_count 6
		.amdhsa_user_sgpr_private_segment_buffer 1
		.amdhsa_user_sgpr_dispatch_ptr 0
		.amdhsa_user_sgpr_queue_ptr 0
		.amdhsa_user_sgpr_kernarg_segment_ptr 1
		.amdhsa_user_sgpr_dispatch_id 0
		.amdhsa_user_sgpr_flat_scratch_init 0
		.amdhsa_user_sgpr_private_segment_size 0
		.amdhsa_wavefront_size32 1
		.amdhsa_uses_dynamic_stack 0
		.amdhsa_system_sgpr_private_segment_wavefront_offset 1
		.amdhsa_system_sgpr_workgroup_id_x 1
		.amdhsa_system_sgpr_workgroup_id_y 1
		.amdhsa_system_sgpr_workgroup_id_z 0
		.amdhsa_system_sgpr_workgroup_info 0
		.amdhsa_system_vgpr_workitem_id 1
		.amdhsa_next_free_vgpr 256
		.amdhsa_next_free_sgpr 16
		.amdhsa_reserve_vcc 1
		.amdhsa_reserve_flat_scratch 1
		.amdhsa_float_round_mode_32 0
		.amdhsa_float_round_mode_16_64 0
		.amdhsa_float_denorm_mode_32 3
		.amdhsa_float_denorm_mode_16_64 3
		.amdhsa_dx10_clamp 1
		.amdhsa_ieee_mode 1
		.amdhsa_fp16_overflow 0
		.amdhsa_workgroup_processor_mode 1
		.amdhsa_memory_ordered 1
		.amdhsa_forward_progress 1
		.amdhsa_shared_vgpr_count 0
		.amdhsa_exception_fp_ieee_invalid_op 0
		.amdhsa_exception_fp_denorm_src 0
		.amdhsa_exception_fp_ieee_div_zero 0
		.amdhsa_exception_fp_ieee_overflow 0
		.amdhsa_exception_fp_ieee_underflow 0
		.amdhsa_exception_fp_ieee_inexact 0
		.amdhsa_exception_int_div_zero 0
	.end_amdhsa_kernel
	.section	.text._ZN9rocsolver6v33100L23getf2_npvt_small_kernelILi50EdiiPKPdEEvT1_T3_lS5_lPT2_S5_S5_,"axG",@progbits,_ZN9rocsolver6v33100L23getf2_npvt_small_kernelILi50EdiiPKPdEEvT1_T3_lS5_lPT2_S5_S5_,comdat
.Lfunc_end99:
	.size	_ZN9rocsolver6v33100L23getf2_npvt_small_kernelILi50EdiiPKPdEEvT1_T3_lS5_lPT2_S5_S5_, .Lfunc_end99-_ZN9rocsolver6v33100L23getf2_npvt_small_kernelILi50EdiiPKPdEEvT1_T3_lS5_lPT2_S5_S5_
                                        ; -- End function
	.set _ZN9rocsolver6v33100L23getf2_npvt_small_kernelILi50EdiiPKPdEEvT1_T3_lS5_lPT2_S5_S5_.num_vgpr, 256
	.set _ZN9rocsolver6v33100L23getf2_npvt_small_kernelILi50EdiiPKPdEEvT1_T3_lS5_lPT2_S5_S5_.num_agpr, 0
	.set _ZN9rocsolver6v33100L23getf2_npvt_small_kernelILi50EdiiPKPdEEvT1_T3_lS5_lPT2_S5_S5_.numbered_sgpr, 16
	.set _ZN9rocsolver6v33100L23getf2_npvt_small_kernelILi50EdiiPKPdEEvT1_T3_lS5_lPT2_S5_S5_.num_named_barrier, 0
	.set _ZN9rocsolver6v33100L23getf2_npvt_small_kernelILi50EdiiPKPdEEvT1_T3_lS5_lPT2_S5_S5_.private_seg_size, 236
	.set _ZN9rocsolver6v33100L23getf2_npvt_small_kernelILi50EdiiPKPdEEvT1_T3_lS5_lPT2_S5_S5_.uses_vcc, 1
	.set _ZN9rocsolver6v33100L23getf2_npvt_small_kernelILi50EdiiPKPdEEvT1_T3_lS5_lPT2_S5_S5_.uses_flat_scratch, 1
	.set _ZN9rocsolver6v33100L23getf2_npvt_small_kernelILi50EdiiPKPdEEvT1_T3_lS5_lPT2_S5_S5_.has_dyn_sized_stack, 0
	.set _ZN9rocsolver6v33100L23getf2_npvt_small_kernelILi50EdiiPKPdEEvT1_T3_lS5_lPT2_S5_S5_.has_recursion, 0
	.set _ZN9rocsolver6v33100L23getf2_npvt_small_kernelILi50EdiiPKPdEEvT1_T3_lS5_lPT2_S5_S5_.has_indirect_call, 0
	.section	.AMDGPU.csdata,"",@progbits
; Kernel info:
; codeLenInByte = 44816
; TotalNumSgprs: 18
; NumVgprs: 256
; ScratchSize: 236
; MemoryBound: 0
; FloatMode: 240
; IeeeMode: 1
; LDSByteSize: 0 bytes/workgroup (compile time only)
; SGPRBlocks: 0
; VGPRBlocks: 31
; NumSGPRsForWavesPerEU: 18
; NumVGPRsForWavesPerEU: 256
; Occupancy: 4
; WaveLimiterHint : 1
; COMPUTE_PGM_RSRC2:SCRATCH_EN: 1
; COMPUTE_PGM_RSRC2:USER_SGPR: 6
; COMPUTE_PGM_RSRC2:TRAP_HANDLER: 0
; COMPUTE_PGM_RSRC2:TGID_X_EN: 1
; COMPUTE_PGM_RSRC2:TGID_Y_EN: 1
; COMPUTE_PGM_RSRC2:TGID_Z_EN: 0
; COMPUTE_PGM_RSRC2:TIDIG_COMP_CNT: 1
	.section	.text._ZN9rocsolver6v33100L18getf2_small_kernelILi51EdiiPKPdEEvT1_T3_lS5_lPS5_llPT2_S5_S5_S7_l,"axG",@progbits,_ZN9rocsolver6v33100L18getf2_small_kernelILi51EdiiPKPdEEvT1_T3_lS5_lPS5_llPT2_S5_S5_S7_l,comdat
	.globl	_ZN9rocsolver6v33100L18getf2_small_kernelILi51EdiiPKPdEEvT1_T3_lS5_lPS5_llPT2_S5_S5_S7_l ; -- Begin function _ZN9rocsolver6v33100L18getf2_small_kernelILi51EdiiPKPdEEvT1_T3_lS5_lPS5_llPT2_S5_S5_S7_l
	.p2align	8
	.type	_ZN9rocsolver6v33100L18getf2_small_kernelILi51EdiiPKPdEEvT1_T3_lS5_lPS5_llPT2_S5_S5_S7_l,@function
_ZN9rocsolver6v33100L18getf2_small_kernelILi51EdiiPKPdEEvT1_T3_lS5_lPS5_llPT2_S5_S5_S7_l: ; @_ZN9rocsolver6v33100L18getf2_small_kernelILi51EdiiPKPdEEvT1_T3_lS5_lPS5_llPT2_S5_S5_S7_l
; %bb.0:
	s_clause 0x1
	s_load_dword s0, s[4:5], 0x6c
	s_load_dwordx2 s[12:13], s[4:5], 0x48
	s_waitcnt lgkmcnt(0)
	s_lshr_b32 s0, s0, 16
	v_mad_u64_u32 v[2:3], null, s7, s0, v[1:2]
	s_mov_b32 s0, exec_lo
	v_cmpx_gt_i32_e64 s12, v2
	s_cbranch_execz .LBB100_864
; %bb.1:
	s_clause 0x1
	s_load_dwordx4 s[0:3], s[4:5], 0x8
	s_load_dwordx4 s[8:11], s[4:5], 0x50
	v_ashrrev_i32_e32 v3, 31, v2
	v_lshlrev_b64 v[4:5], 3, v[2:3]
	s_waitcnt lgkmcnt(0)
	v_add_co_u32 v4, vcc_lo, s0, v4
	v_add_co_ci_u32_e64 v5, null, s1, v5, vcc_lo
	s_cmp_eq_u64 s[8:9], 0
	s_cselect_b32 s6, -1, 0
	global_load_dwordx2 v[6:7], v[4:5], off
	v_mov_b32_e32 v4, 0
	v_mov_b32_e32 v5, 0
	s_and_b32 vcc_lo, exec_lo, s6
	s_cbranch_vccnz .LBB100_3
; %bb.2:
	v_mul_lo_u32 v8, s11, v2
	v_mul_lo_u32 v9, s10, v3
	v_mad_u64_u32 v[4:5], null, s10, v2, 0
	v_add3_u32 v5, v5, v9, v8
	v_lshlrev_b64 v[4:5], 2, v[4:5]
	v_add_co_u32 v4, vcc_lo, s8, v4
	v_add_co_ci_u32_e64 v5, null, s9, v5, vcc_lo
.LBB100_3:
	s_clause 0x1
	s_load_dword s8, s[4:5], 0x18
	s_load_dword s7, s[4:5], 0x0
	s_lshl_b64 s[0:1], s[2:3], 3
	v_lshlrev_b32_e32 v158, 3, v0
	s_waitcnt vmcnt(0)
	v_add_co_u32 v112, vcc_lo, v6, s0
	v_add_co_ci_u32_e64 v113, null, s1, v7, vcc_lo
	s_waitcnt lgkmcnt(0)
	v_add3_u32 v8, s8, s8, v0
	s_ashr_i32 s9, s8, 31
	s_max_i32 s0, s7, 51
	s_lshl_b64 s[10:11], s[8:9], 3
	v_mul_lo_u32 v1, s0, v1
	v_add_nc_u32_e32 v10, s8, v8
	v_ashrrev_i32_e32 v9, 31, v8
	s_cmp_lt_i32 s7, 2
	v_ashrrev_i32_e32 v11, 31, v10
	v_add_nc_u32_e32 v12, s8, v10
	v_lshlrev_b64 v[8:9], 3, v[8:9]
	v_lshlrev_b64 v[6:7], 3, v[10:11]
	v_add_nc_u32_e32 v10, s8, v12
	v_ashrrev_i32_e32 v13, 31, v12
	v_add_co_u32 v8, vcc_lo, v112, v8
	v_add_co_ci_u32_e64 v9, null, v113, v9, vcc_lo
	v_add_nc_u32_e32 v14, s8, v10
	v_ashrrev_i32_e32 v11, 31, v10
	v_lshlrev_b64 v[12:13], 3, v[12:13]
	v_add_co_u32 v6, vcc_lo, v112, v6
	v_add_nc_u32_e32 v16, s8, v14
	v_ashrrev_i32_e32 v15, 31, v14
	v_lshlrev_b64 v[10:11], 3, v[10:11]
	v_add_co_ci_u32_e64 v7, null, v113, v7, vcc_lo
	v_add_nc_u32_e32 v18, s8, v16
	v_ashrrev_i32_e32 v17, 31, v16
	v_lshlrev_b64 v[14:15], 3, v[14:15]
	v_add_co_u32 v12, vcc_lo, v112, v12
	v_add_nc_u32_e32 v20, s8, v18
	v_ashrrev_i32_e32 v19, 31, v18
	v_lshlrev_b64 v[16:17], 3, v[16:17]
	v_add_co_ci_u32_e64 v13, null, v113, v13, vcc_lo
	v_add_nc_u32_e32 v22, s8, v20
	v_ashrrev_i32_e32 v21, 31, v20
	v_add_co_u32 v10, vcc_lo, v112, v10
	v_lshlrev_b64 v[18:19], 3, v[18:19]
	v_add_nc_u32_e32 v24, s8, v22
	v_ashrrev_i32_e32 v23, 31, v22
	v_add_co_ci_u32_e64 v11, null, v113, v11, vcc_lo
	v_add_co_u32 v14, vcc_lo, v112, v14
	v_add_nc_u32_e32 v26, s8, v24
	v_ashrrev_i32_e32 v25, 31, v24
	v_lshlrev_b64 v[20:21], 3, v[20:21]
	v_add_co_ci_u32_e64 v15, null, v113, v15, vcc_lo
	v_add_nc_u32_e32 v28, s8, v26
	v_ashrrev_i32_e32 v27, 31, v26
	v_add_co_u32 v16, vcc_lo, v112, v16
	v_lshlrev_b64 v[22:23], 3, v[22:23]
	v_add_nc_u32_e32 v30, s8, v28
	v_ashrrev_i32_e32 v29, 31, v28
	v_add_co_ci_u32_e64 v17, null, v113, v17, vcc_lo
	v_add_co_u32 v18, vcc_lo, v112, v18
	v_add_nc_u32_e32 v32, s8, v30
	v_lshlrev_b64 v[24:25], 3, v[24:25]
	v_ashrrev_i32_e32 v31, 31, v30
	v_add_co_ci_u32_e64 v19, null, v113, v19, vcc_lo
	v_add_nc_u32_e32 v34, s8, v32
	v_add_co_u32 v20, vcc_lo, v112, v20
	v_lshlrev_b64 v[26:27], 3, v[26:27]
	v_ashrrev_i32_e32 v33, 31, v32
	v_add_nc_u32_e32 v36, s8, v34
	v_add_co_ci_u32_e64 v21, null, v113, v21, vcc_lo
	v_add_co_u32 v22, vcc_lo, v112, v22
	v_add_nc_u32_e32 v38, s8, v36
	v_lshlrev_b64 v[28:29], 3, v[28:29]
	v_ashrrev_i32_e32 v35, 31, v34
	v_add_co_ci_u32_e64 v23, null, v113, v23, vcc_lo
	v_add_nc_u32_e32 v40, s8, v38
	v_add_co_u32 v24, vcc_lo, v112, v24
	v_lshlrev_b64 v[30:31], 3, v[30:31]
	v_ashrrev_i32_e32 v37, 31, v36
	v_add_nc_u32_e32 v42, s8, v40
	;; [unrolled: 11-line block ×3, first 2 shown]
	v_add_co_ci_u32_e64 v29, null, v113, v29, vcc_lo
	v_add_co_u32 v30, vcc_lo, v112, v30
	v_add_nc_u32_e32 v50, s8, v48
	v_lshlrev_b64 v[36:37], 3, v[36:37]
	v_ashrrev_i32_e32 v43, 31, v42
	v_add_co_ci_u32_e64 v31, null, v113, v31, vcc_lo
	v_add_nc_u32_e32 v52, s8, v50
	v_add_co_u32 v32, vcc_lo, v112, v32
	v_lshlrev_b64 v[38:39], 3, v[38:39]
	v_ashrrev_i32_e32 v45, 31, v44
	v_add_co_ci_u32_e64 v33, null, v113, v33, vcc_lo
	v_add_co_u32 v34, vcc_lo, v112, v34
	v_lshlrev_b64 v[40:41], 3, v[40:41]
	v_ashrrev_i32_e32 v47, 31, v46
	v_add_co_ci_u32_e64 v35, null, v113, v35, vcc_lo
	v_add_co_u32 v36, vcc_lo, v112, v36
	v_lshlrev_b64 v[42:43], 3, v[42:43]
	v_add_nc_u32_e32 v54, s8, v52
	v_ashrrev_i32_e32 v49, 31, v48
	v_add_co_ci_u32_e64 v37, null, v113, v37, vcc_lo
	v_add_co_u32 v38, vcc_lo, v112, v38
	v_lshlrev_b64 v[44:45], 3, v[44:45]
	v_ashrrev_i32_e32 v51, 31, v50
	v_add_co_ci_u32_e64 v39, null, v113, v39, vcc_lo
	v_add_co_u32 v40, vcc_lo, v112, v40
	v_lshlrev_b64 v[46:47], 3, v[46:47]
	v_ashrrev_i32_e32 v53, 31, v52
	v_add_nc_u32_e32 v56, s8, v54
	v_add_co_ci_u32_e64 v41, null, v113, v41, vcc_lo
	v_add_co_u32 v42, vcc_lo, v112, v42
	v_lshlrev_b64 v[48:49], 3, v[48:49]
	v_ashrrev_i32_e32 v55, 31, v54
	v_add_co_ci_u32_e64 v43, null, v113, v43, vcc_lo
	v_add_co_u32 v44, vcc_lo, v112, v44
	v_lshlrev_b64 v[50:51], 3, v[50:51]
	v_add_co_ci_u32_e64 v45, null, v113, v45, vcc_lo
	v_add_co_u32 v46, vcc_lo, v112, v46
	v_lshlrev_b64 v[52:53], 3, v[52:53]
	v_add_nc_u32_e32 v58, s8, v56
	v_add_co_ci_u32_e64 v47, null, v113, v47, vcc_lo
	v_add_co_u32 v48, vcc_lo, v112, v48
	v_lshlrev_b64 v[54:55], 3, v[54:55]
	v_ashrrev_i32_e32 v57, 31, v56
	v_add_co_ci_u32_e64 v49, null, v113, v49, vcc_lo
	v_add_co_u32 v50, vcc_lo, v112, v50
	v_ashrrev_i32_e32 v59, 31, v58
	v_add_nc_u32_e32 v60, s8, v58
	v_add_co_ci_u32_e64 v51, null, v113, v51, vcc_lo
	v_add_co_u32 v52, vcc_lo, v112, v52
	v_lshlrev_b64 v[56:57], 3, v[56:57]
	v_add_co_ci_u32_e64 v53, null, v113, v53, vcc_lo
	v_add_co_u32 v106, vcc_lo, v112, v54
	v_add_co_ci_u32_e64 v107, null, v113, v55, vcc_lo
	v_lshlrev_b64 v[54:55], 3, v[58:59]
	v_ashrrev_i32_e32 v61, 31, v60
	v_add_nc_u32_e32 v58, s8, v60
	v_add_co_u32 v108, vcc_lo, v112, v56
	v_add_co_ci_u32_e64 v109, null, v113, v57, vcc_lo
	v_lshlrev_b64 v[56:57], 3, v[60:61]
	v_ashrrev_i32_e32 v59, 31, v58
	v_add_nc_u32_e32 v60, s8, v58
	;; [unrolled: 5-line block ×19, first 2 shown]
	v_add_co_u32 v146, vcc_lo, v112, v56
	v_add_co_ci_u32_e64 v147, null, v113, v57, vcc_lo
	v_lshlrev_b64 v[56:57], 3, v[60:61]
	v_add_nc_u32_e32 v60, s8, v58
	v_ashrrev_i32_e32 v59, 31, v58
	v_add_co_u32 v148, vcc_lo, v112, v54
	v_add_co_ci_u32_e64 v149, null, v113, v55, vcc_lo
	v_ashrrev_i32_e32 v61, 31, v60
	v_lshlrev_b64 v[54:55], 3, v[58:59]
	v_add_co_u32 v150, vcc_lo, v112, v56
	v_add_co_ci_u32_e64 v151, null, v113, v57, vcc_lo
	v_lshlrev_b64 v[56:57], 3, v[60:61]
	v_add_nc_u32_e32 v58, s8, v60
	v_add_co_u32 v152, vcc_lo, v112, v54
	v_add_co_ci_u32_e64 v153, null, v113, v55, vcc_lo
	v_ashrrev_i32_e32 v59, 31, v58
	v_add_co_u32 v154, vcc_lo, v112, v56
	v_add_co_ci_u32_e64 v155, null, v113, v57, vcc_lo
	v_add_co_u32 v56, vcc_lo, v112, v158
	v_add_co_ci_u32_e64 v57, null, 0, v113, vcc_lo
	v_lshlrev_b64 v[54:55], 3, v[58:59]
	v_add_co_u32 v58, vcc_lo, v56, s10
	v_add_co_ci_u32_e64 v59, null, s11, v57, vcc_lo
	v_add_co_u32 v156, vcc_lo, v112, v54
	v_add_co_ci_u32_e64 v157, null, v113, v55, vcc_lo
	s_clause 0x32
	flat_load_dwordx2 v[104:105], v[56:57]
	flat_load_dwordx2 v[102:103], v[58:59]
	;; [unrolled: 1-line block ×51, first 2 shown]
	v_lshl_add_u32 v114, v1, 3, 0
	v_lshlrev_b32_e32 v115, 3, v1
	v_mov_b32_e32 v110, 0
	v_add_nc_u32_e32 v108, v114, v158
	s_waitcnt vmcnt(50) lgkmcnt(50)
	ds_write_b64 v108, v[104:105]
	s_waitcnt vmcnt(0) lgkmcnt(0)
	s_barrier
	buffer_gl0_inv
	ds_read_b64 v[108:109], v114
	s_cbranch_scc1 .LBB100_6
; %bb.4:
	v_add3_u32 v1, v115, 0, 8
	v_mov_b32_e32 v110, 0
	s_mov_b32 s0, 1
.LBB100_5:                              ; =>This Inner Loop Header: Depth=1
	ds_read_b64 v[116:117], v1
	v_add_nc_u32_e32 v1, 8, v1
	s_waitcnt lgkmcnt(0)
	v_cmp_lt_f64_e64 vcc_lo, |v[108:109]|, |v[116:117]|
	v_cndmask_b32_e32 v109, v109, v117, vcc_lo
	v_cndmask_b32_e32 v108, v108, v116, vcc_lo
	v_cndmask_b32_e64 v110, v110, s0, vcc_lo
	s_add_i32 s0, s0, 1
	s_cmp_eq_u32 s7, s0
	s_cbranch_scc0 .LBB100_5
.LBB100_6:
	s_mov_b32 s0, exec_lo
                                        ; implicit-def: $vgpr117
	v_cmpx_ne_u32_e64 v0, v110
	s_xor_b32 s0, exec_lo, s0
	s_cbranch_execz .LBB100_12
; %bb.7:
	s_mov_b32 s1, exec_lo
	v_cmpx_eq_u32_e32 0, v0
	s_cbranch_execz .LBB100_11
; %bb.8:
	v_cmp_ne_u32_e32 vcc_lo, 0, v110
	s_xor_b32 s2, s6, -1
	s_and_b32 s3, s2, vcc_lo
	s_and_saveexec_b32 s2, s3
	s_cbranch_execz .LBB100_10
; %bb.9:
	v_ashrrev_i32_e32 v111, 31, v110
	v_lshlrev_b64 v[0:1], 2, v[110:111]
	v_add_co_u32 v0, vcc_lo, v4, v0
	v_add_co_ci_u32_e64 v1, null, v5, v1, vcc_lo
	s_clause 0x1
	global_load_dword v111, v[0:1], off
	global_load_dword v116, v[4:5], off
	s_waitcnt vmcnt(1)
	global_store_dword v[4:5], v111, off
	s_waitcnt vmcnt(0)
	global_store_dword v[0:1], v116, off
.LBB100_10:
	s_or_b32 exec_lo, exec_lo, s2
	v_mov_b32_e32 v0, v110
.LBB100_11:
	s_or_b32 exec_lo, exec_lo, s1
	v_mov_b32_e32 v117, v0
                                        ; implicit-def: $vgpr0
.LBB100_12:
	s_or_saveexec_b32 s0, s0
	v_mov_b32_e32 v116, v117
	s_xor_b32 exec_lo, exec_lo, s0
	s_cbranch_execz .LBB100_14
; %bb.13:
	v_mov_b32_e32 v117, 0
	v_mov_b32_e32 v116, v0
	ds_write2_b64 v114, v[102:103], v[100:101] offset0:1 offset1:2
	ds_write2_b64 v114, v[98:99], v[96:97] offset0:3 offset1:4
	;; [unrolled: 1-line block ×25, first 2 shown]
.LBB100_14:
	s_or_b32 exec_lo, exec_lo, s0
	s_waitcnt lgkmcnt(0)
	v_cmp_eq_f64_e64 s0, 0, v[108:109]
	s_mov_b32 s1, exec_lo
	s_waitcnt_vscnt null, 0x0
	s_barrier
	buffer_gl0_inv
	v_cmpx_lt_i32_e32 0, v117
	s_cbranch_execz .LBB100_16
; %bb.15:
	v_div_scale_f64 v[0:1], null, v[108:109], v[108:109], 1.0
	v_div_scale_f64 v[120:121], vcc_lo, 1.0, v[108:109], 1.0
	v_rcp_f64_e32 v[110:111], v[0:1]
	v_fma_f64 v[118:119], -v[0:1], v[110:111], 1.0
	v_fma_f64 v[110:111], v[110:111], v[118:119], v[110:111]
	v_fma_f64 v[118:119], -v[0:1], v[110:111], 1.0
	v_fma_f64 v[110:111], v[110:111], v[118:119], v[110:111]
	v_mul_f64 v[118:119], v[120:121], v[110:111]
	v_fma_f64 v[0:1], -v[0:1], v[118:119], v[120:121]
	v_div_fmas_f64 v[0:1], v[0:1], v[110:111], v[118:119]
	v_div_fixup_f64 v[0:1], v[0:1], v[108:109], 1.0
	v_cndmask_b32_e64 v1, v1, v109, s0
	v_cndmask_b32_e64 v0, v0, v108, s0
	ds_read2_b64 v[108:111], v114 offset0:1 offset1:2
	ds_read2_b64 v[118:121], v114 offset0:3 offset1:4
	;; [unrolled: 1-line block ×20, first 2 shown]
	v_mul_f64 v[104:105], v[0:1], v[104:105]
	s_waitcnt lgkmcnt(19)
	v_fma_f64 v[102:103], -v[104:105], v[108:109], v[102:103]
	v_fma_f64 v[100:101], -v[104:105], v[110:111], v[100:101]
	ds_read2_b64 v[108:111], v114 offset0:41 offset1:42
	ds_read2_b64 v[194:197], v114 offset0:43 offset1:44
	s_waitcnt lgkmcnt(20)
	v_fma_f64 v[98:99], -v[104:105], v[118:119], v[98:99]
	v_fma_f64 v[96:97], -v[104:105], v[120:121], v[96:97]
	s_waitcnt lgkmcnt(19)
	v_fma_f64 v[94:95], -v[104:105], v[122:123], v[94:95]
	v_fma_f64 v[92:93], -v[104:105], v[124:125], v[92:93]
	ds_read2_b64 v[118:121], v114 offset0:45 offset1:46
	ds_read2_b64 v[122:125], v114 offset0:47 offset1:48
	s_waitcnt lgkmcnt(20)
	v_fma_f64 v[88:89], -v[104:105], v[126:127], v[88:89]
	v_fma_f64 v[90:91], -v[104:105], v[128:129], v[90:91]
	ds_read2_b64 v[126:129], v114 offset0:49 offset1:50
	s_waitcnt lgkmcnt(20)
	v_fma_f64 v[84:85], -v[104:105], v[130:131], v[84:85]
	v_fma_f64 v[86:87], -v[104:105], v[132:133], v[86:87]
	s_waitcnt lgkmcnt(19)
	v_fma_f64 v[82:83], -v[104:105], v[134:135], v[82:83]
	v_fma_f64 v[80:81], -v[104:105], v[136:137], v[80:81]
	s_waitcnt lgkmcnt(18)
	v_fma_f64 v[78:79], -v[104:105], v[138:139], v[78:79]
	v_fma_f64 v[76:77], -v[104:105], v[140:141], v[76:77]
	s_waitcnt lgkmcnt(17)
	v_fma_f64 v[74:75], -v[104:105], v[142:143], v[74:75]
	v_fma_f64 v[72:73], -v[104:105], v[144:145], v[72:73]
	s_waitcnt lgkmcnt(16)
	v_fma_f64 v[68:69], -v[104:105], v[146:147], v[68:69]
	v_fma_f64 v[70:71], -v[104:105], v[148:149], v[70:71]
	s_waitcnt lgkmcnt(15)
	v_fma_f64 v[64:65], -v[104:105], v[150:151], v[64:65]
	v_fma_f64 v[66:67], -v[104:105], v[152:153], v[66:67]
	s_waitcnt lgkmcnt(14)
	v_fma_f64 v[62:63], -v[104:105], v[154:155], v[62:63]
	v_fma_f64 v[60:61], -v[104:105], v[156:157], v[60:61]
	s_waitcnt lgkmcnt(13)
	v_fma_f64 v[58:59], -v[104:105], v[158:159], v[58:59]
	v_fma_f64 v[56:57], -v[104:105], v[160:161], v[56:57]
	s_waitcnt lgkmcnt(12)
	v_fma_f64 v[54:55], -v[104:105], v[162:163], v[54:55]
	v_fma_f64 v[52:53], -v[104:105], v[164:165], v[52:53]
	s_waitcnt lgkmcnt(11)
	v_fma_f64 v[48:49], -v[104:105], v[166:167], v[48:49]
	v_fma_f64 v[50:51], -v[104:105], v[168:169], v[50:51]
	s_waitcnt lgkmcnt(10)
	v_fma_f64 v[44:45], -v[104:105], v[170:171], v[44:45]
	v_fma_f64 v[46:47], -v[104:105], v[172:173], v[46:47]
	s_waitcnt lgkmcnt(9)
	v_fma_f64 v[42:43], -v[104:105], v[174:175], v[42:43]
	v_fma_f64 v[40:41], -v[104:105], v[176:177], v[40:41]
	s_waitcnt lgkmcnt(8)
	v_fma_f64 v[38:39], -v[104:105], v[178:179], v[38:39]
	v_fma_f64 v[36:37], -v[104:105], v[180:181], v[36:37]
	s_waitcnt lgkmcnt(7)
	v_fma_f64 v[34:35], -v[104:105], v[182:183], v[34:35]
	v_fma_f64 v[32:33], -v[104:105], v[184:185], v[32:33]
	s_waitcnt lgkmcnt(6)
	v_fma_f64 v[28:29], -v[104:105], v[186:187], v[28:29]
	v_fma_f64 v[30:31], -v[104:105], v[188:189], v[30:31]
	s_waitcnt lgkmcnt(5)
	v_fma_f64 v[24:25], -v[104:105], v[190:191], v[24:25]
	v_fma_f64 v[26:27], -v[104:105], v[192:193], v[26:27]
	s_waitcnt lgkmcnt(4)
	v_fma_f64 v[22:23], -v[104:105], v[108:109], v[22:23]
	v_fma_f64 v[20:21], -v[104:105], v[110:111], v[20:21]
	s_waitcnt lgkmcnt(3)
	v_fma_f64 v[18:19], -v[104:105], v[194:195], v[18:19]
	v_fma_f64 v[16:17], -v[104:105], v[196:197], v[16:17]
	s_waitcnt lgkmcnt(2)
	v_fma_f64 v[14:15], -v[104:105], v[118:119], v[14:15]
	v_fma_f64 v[12:13], -v[104:105], v[120:121], v[12:13]
	s_waitcnt lgkmcnt(1)
	v_fma_f64 v[8:9], -v[104:105], v[122:123], v[8:9]
	v_fma_f64 v[10:11], -v[104:105], v[124:125], v[10:11]
	s_waitcnt lgkmcnt(0)
	v_fma_f64 v[6:7], -v[104:105], v[126:127], v[6:7]
	v_fma_f64 v[106:107], -v[104:105], v[128:129], v[106:107]
.LBB100_16:
	s_or_b32 exec_lo, exec_lo, s1
	v_lshl_add_u32 v0, v117, 3, v114
	s_barrier
	buffer_gl0_inv
	v_mov_b32_e32 v108, 1
	ds_write_b64 v0, v[102:103]
	s_waitcnt lgkmcnt(0)
	s_barrier
	buffer_gl0_inv
	ds_read_b64 v[0:1], v114 offset:8
	s_cmp_lt_i32 s7, 3
	s_cbranch_scc1 .LBB100_19
; %bb.17:
	v_add3_u32 v109, v115, 0, 16
	v_mov_b32_e32 v108, 1
	s_mov_b32 s1, 2
.LBB100_18:                             ; =>This Inner Loop Header: Depth=1
	ds_read_b64 v[110:111], v109
	v_add_nc_u32_e32 v109, 8, v109
	s_waitcnt lgkmcnt(0)
	v_cmp_lt_f64_e64 vcc_lo, |v[0:1]|, |v[110:111]|
	v_cndmask_b32_e32 v1, v1, v111, vcc_lo
	v_cndmask_b32_e32 v0, v0, v110, vcc_lo
	v_cndmask_b32_e64 v108, v108, s1, vcc_lo
	s_add_i32 s1, s1, 1
	s_cmp_lg_u32 s7, s1
	s_cbranch_scc1 .LBB100_18
.LBB100_19:
	s_mov_b32 s1, exec_lo
	v_cmpx_ne_u32_e64 v117, v108
	s_xor_b32 s1, exec_lo, s1
	s_cbranch_execz .LBB100_25
; %bb.20:
	s_mov_b32 s2, exec_lo
	v_cmpx_eq_u32_e32 1, v117
	s_cbranch_execz .LBB100_24
; %bb.21:
	v_cmp_ne_u32_e32 vcc_lo, 1, v108
	s_xor_b32 s3, s6, -1
	s_and_b32 s9, s3, vcc_lo
	s_and_saveexec_b32 s3, s9
	s_cbranch_execz .LBB100_23
; %bb.22:
	v_ashrrev_i32_e32 v109, 31, v108
	v_lshlrev_b64 v[109:110], 2, v[108:109]
	v_add_co_u32 v109, vcc_lo, v4, v109
	v_add_co_ci_u32_e64 v110, null, v5, v110, vcc_lo
	s_clause 0x1
	global_load_dword v111, v[109:110], off
	global_load_dword v116, v[4:5], off offset:4
	s_waitcnt vmcnt(1)
	global_store_dword v[4:5], v111, off offset:4
	s_waitcnt vmcnt(0)
	global_store_dword v[109:110], v116, off
.LBB100_23:
	s_or_b32 exec_lo, exec_lo, s3
	v_mov_b32_e32 v116, v108
	v_mov_b32_e32 v117, v108
.LBB100_24:
	s_or_b32 exec_lo, exec_lo, s2
.LBB100_25:
	s_andn2_saveexec_b32 s1, s1
	s_cbranch_execz .LBB100_27
; %bb.26:
	v_mov_b32_e32 v108, v100
	v_mov_b32_e32 v109, v101
	v_mov_b32_e32 v110, v98
	v_mov_b32_e32 v111, v99
	v_mov_b32_e32 v117, v96
	v_mov_b32_e32 v118, v97
	v_mov_b32_e32 v119, v94
	v_mov_b32_e32 v120, v95
	v_mov_b32_e32 v121, v92
	v_mov_b32_e32 v122, v93
	v_mov_b32_e32 v123, v88
	v_mov_b32_e32 v124, v89
	v_mov_b32_e32 v125, v90
	v_mov_b32_e32 v126, v91
	v_mov_b32_e32 v127, v84
	v_mov_b32_e32 v128, v85
	v_mov_b32_e32 v129, v86
	v_mov_b32_e32 v130, v87
	v_mov_b32_e32 v131, v82
	v_mov_b32_e32 v132, v83
	ds_write2_b64 v114, v[108:109], v[110:111] offset0:2 offset1:3
	ds_write2_b64 v114, v[117:118], v[119:120] offset0:4 offset1:5
	ds_write2_b64 v114, v[121:122], v[123:124] offset0:6 offset1:7
	ds_write2_b64 v114, v[125:126], v[127:128] offset0:8 offset1:9
	ds_write2_b64 v114, v[129:130], v[131:132] offset0:10 offset1:11
	v_mov_b32_e32 v108, v80
	v_mov_b32_e32 v109, v81
	v_mov_b32_e32 v110, v78
	v_mov_b32_e32 v111, v79
	v_mov_b32_e32 v117, v76
	v_mov_b32_e32 v118, v77
	v_mov_b32_e32 v119, v74
	v_mov_b32_e32 v120, v75
	v_mov_b32_e32 v121, v72
	v_mov_b32_e32 v122, v73
	v_mov_b32_e32 v123, v68
	v_mov_b32_e32 v124, v69
	v_mov_b32_e32 v125, v70
	v_mov_b32_e32 v126, v71
	v_mov_b32_e32 v127, v64
	v_mov_b32_e32 v128, v65
	v_mov_b32_e32 v129, v66
	v_mov_b32_e32 v130, v67
	v_mov_b32_e32 v131, v62
	v_mov_b32_e32 v132, v63
	ds_write2_b64 v114, v[108:109], v[110:111] offset0:12 offset1:13
	ds_write2_b64 v114, v[117:118], v[119:120] offset0:14 offset1:15
	ds_write2_b64 v114, v[121:122], v[123:124] offset0:16 offset1:17
	ds_write2_b64 v114, v[125:126], v[127:128] offset0:18 offset1:19
	ds_write2_b64 v114, v[129:130], v[131:132] offset0:20 offset1:21
	;; [unrolled: 25-line block ×4, first 2 shown]
	v_mov_b32_e32 v108, v20
	v_mov_b32_e32 v109, v21
	;; [unrolled: 1-line block ×17, first 2 shown]
	ds_write2_b64 v114, v[108:109], v[110:111] offset0:42 offset1:43
	ds_write2_b64 v114, v[118:119], v[120:121] offset0:44 offset1:45
	;; [unrolled: 1-line block ×4, first 2 shown]
	ds_write_b64 v114, v[106:107] offset:400
.LBB100_27:
	s_or_b32 exec_lo, exec_lo, s1
	s_waitcnt lgkmcnt(0)
	v_cmp_neq_f64_e64 s1, 0, v[0:1]
	s_mov_b32 s2, exec_lo
	s_waitcnt_vscnt null, 0x0
	s_barrier
	buffer_gl0_inv
	v_cmpx_lt_i32_e32 1, v117
	s_cbranch_execz .LBB100_29
; %bb.28:
	v_div_scale_f64 v[108:109], null, v[0:1], v[0:1], 1.0
	v_div_scale_f64 v[120:121], vcc_lo, 1.0, v[0:1], 1.0
	v_rcp_f64_e32 v[110:111], v[108:109]
	v_fma_f64 v[118:119], -v[108:109], v[110:111], 1.0
	v_fma_f64 v[110:111], v[110:111], v[118:119], v[110:111]
	v_fma_f64 v[118:119], -v[108:109], v[110:111], 1.0
	v_fma_f64 v[110:111], v[110:111], v[118:119], v[110:111]
	v_mul_f64 v[118:119], v[120:121], v[110:111]
	v_fma_f64 v[108:109], -v[108:109], v[118:119], v[120:121]
	v_div_fmas_f64 v[108:109], v[108:109], v[110:111], v[118:119]
	v_div_fixup_f64 v[108:109], v[108:109], v[0:1], 1.0
	v_cndmask_b32_e64 v1, v1, v109, s1
	v_cndmask_b32_e64 v0, v0, v108, s1
	ds_read2_b64 v[108:111], v114 offset0:2 offset1:3
	ds_read2_b64 v[118:121], v114 offset0:4 offset1:5
	;; [unrolled: 1-line block ×4, first 2 shown]
	v_mul_f64 v[102:103], v[0:1], v[102:103]
	ds_read2_b64 v[130:133], v114 offset0:10 offset1:11
	ds_read2_b64 v[134:137], v114 offset0:12 offset1:13
	;; [unrolled: 1-line block ×20, first 2 shown]
	ds_read_b64 v[0:1], v114 offset:400
	s_waitcnt lgkmcnt(24)
	v_fma_f64 v[100:101], -v[102:103], v[108:109], v[100:101]
	v_fma_f64 v[98:99], -v[102:103], v[110:111], v[98:99]
	s_waitcnt lgkmcnt(23)
	v_fma_f64 v[96:97], -v[102:103], v[118:119], v[96:97]
	v_fma_f64 v[94:95], -v[102:103], v[120:121], v[94:95]
	;; [unrolled: 3-line block ×24, first 2 shown]
	s_waitcnt lgkmcnt(0)
	v_fma_f64 v[106:107], -v[102:103], v[0:1], v[106:107]
.LBB100_29:
	s_or_b32 exec_lo, exec_lo, s2
	v_lshl_add_u32 v0, v117, 3, v114
	s_barrier
	buffer_gl0_inv
	v_mov_b32_e32 v108, 2
	ds_write_b64 v0, v[100:101]
	s_waitcnt lgkmcnt(0)
	s_barrier
	buffer_gl0_inv
	ds_read_b64 v[0:1], v114 offset:16
	s_cmp_lt_i32 s7, 4
	s_mov_b32 s2, 3
	s_cbranch_scc1 .LBB100_32
; %bb.30:
	v_add3_u32 v109, v115, 0, 24
	v_mov_b32_e32 v108, 2
.LBB100_31:                             ; =>This Inner Loop Header: Depth=1
	ds_read_b64 v[110:111], v109
	v_add_nc_u32_e32 v109, 8, v109
	s_waitcnt lgkmcnt(0)
	v_cmp_lt_f64_e64 vcc_lo, |v[0:1]|, |v[110:111]|
	v_cndmask_b32_e32 v1, v1, v111, vcc_lo
	v_cndmask_b32_e32 v0, v0, v110, vcc_lo
	v_cndmask_b32_e64 v108, v108, s2, vcc_lo
	s_add_i32 s2, s2, 1
	s_cmp_lg_u32 s7, s2
	s_cbranch_scc1 .LBB100_31
.LBB100_32:
	v_cndmask_b32_e64 v109, 2, 1, s0
	v_cndmask_b32_e64 v110, 0, 1, s0
	s_mov_b32 s0, exec_lo
	v_cndmask_b32_e64 v111, v109, v110, s1
	s_waitcnt lgkmcnt(0)
	v_cmpx_eq_f64_e32 0, v[0:1]
	s_xor_b32 s0, exec_lo, s0
; %bb.33:
	v_cmp_ne_u32_e32 vcc_lo, 0, v111
	v_cndmask_b32_e32 v111, 3, v111, vcc_lo
; %bb.34:
	s_andn2_saveexec_b32 s0, s0
	s_cbranch_execz .LBB100_36
; %bb.35:
	v_div_scale_f64 v[109:110], null, v[0:1], v[0:1], 1.0
	v_rcp_f64_e32 v[118:119], v[109:110]
	v_fma_f64 v[120:121], -v[109:110], v[118:119], 1.0
	v_fma_f64 v[118:119], v[118:119], v[120:121], v[118:119]
	v_fma_f64 v[120:121], -v[109:110], v[118:119], 1.0
	v_fma_f64 v[118:119], v[118:119], v[120:121], v[118:119]
	v_div_scale_f64 v[120:121], vcc_lo, 1.0, v[0:1], 1.0
	v_mul_f64 v[122:123], v[120:121], v[118:119]
	v_fma_f64 v[109:110], -v[109:110], v[122:123], v[120:121]
	v_div_fmas_f64 v[109:110], v[109:110], v[118:119], v[122:123]
	v_div_fixup_f64 v[0:1], v[109:110], v[0:1], 1.0
.LBB100_36:
	s_or_b32 exec_lo, exec_lo, s0
	s_mov_b32 s0, exec_lo
	v_cmpx_ne_u32_e64 v117, v108
	s_xor_b32 s0, exec_lo, s0
	s_cbranch_execz .LBB100_42
; %bb.37:
	s_mov_b32 s1, exec_lo
	v_cmpx_eq_u32_e32 2, v117
	s_cbranch_execz .LBB100_41
; %bb.38:
	v_cmp_ne_u32_e32 vcc_lo, 2, v108
	s_xor_b32 s2, s6, -1
	s_and_b32 s3, s2, vcc_lo
	s_and_saveexec_b32 s2, s3
	s_cbranch_execz .LBB100_40
; %bb.39:
	v_ashrrev_i32_e32 v109, 31, v108
	v_lshlrev_b64 v[109:110], 2, v[108:109]
	v_add_co_u32 v109, vcc_lo, v4, v109
	v_add_co_ci_u32_e64 v110, null, v5, v110, vcc_lo
	s_clause 0x1
	global_load_dword v116, v[109:110], off
	global_load_dword v117, v[4:5], off offset:8
	s_waitcnt vmcnt(1)
	global_store_dword v[4:5], v116, off offset:8
	s_waitcnt vmcnt(0)
	global_store_dword v[109:110], v117, off
.LBB100_40:
	s_or_b32 exec_lo, exec_lo, s2
	v_mov_b32_e32 v116, v108
	v_mov_b32_e32 v117, v108
.LBB100_41:
	s_or_b32 exec_lo, exec_lo, s1
.LBB100_42:
	s_andn2_saveexec_b32 s0, s0
	s_cbranch_execz .LBB100_44
; %bb.43:
	v_mov_b32_e32 v117, 2
	ds_write2_b64 v114, v[98:99], v[96:97] offset0:3 offset1:4
	ds_write2_b64 v114, v[94:95], v[92:93] offset0:5 offset1:6
	;; [unrolled: 1-line block ×24, first 2 shown]
.LBB100_44:
	s_or_b32 exec_lo, exec_lo, s0
	s_mov_b32 s0, exec_lo
	s_waitcnt lgkmcnt(0)
	s_waitcnt_vscnt null, 0x0
	s_barrier
	buffer_gl0_inv
	v_cmpx_lt_i32_e32 2, v117
	s_cbranch_execz .LBB100_46
; %bb.45:
	v_mul_f64 v[100:101], v[0:1], v[100:101]
	ds_read2_b64 v[118:121], v114 offset0:3 offset1:4
	ds_read2_b64 v[122:125], v114 offset0:5 offset1:6
	;; [unrolled: 1-line block ×12, first 2 shown]
	s_waitcnt lgkmcnt(11)
	v_fma_f64 v[98:99], -v[100:101], v[118:119], v[98:99]
	v_fma_f64 v[96:97], -v[100:101], v[120:121], v[96:97]
	ds_read2_b64 v[118:121], v114 offset0:27 offset1:28
	s_waitcnt lgkmcnt(11)
	v_fma_f64 v[94:95], -v[100:101], v[122:123], v[94:95]
	v_fma_f64 v[92:93], -v[100:101], v[124:125], v[92:93]
	s_waitcnt lgkmcnt(10)
	v_fma_f64 v[88:89], -v[100:101], v[126:127], v[88:89]
	v_fma_f64 v[90:91], -v[100:101], v[128:129], v[90:91]
	;; [unrolled: 3-line block ×7, first 2 shown]
	ds_read2_b64 v[122:125], v114 offset0:29 offset1:30
	s_waitcnt lgkmcnt(5)
	v_fma_f64 v[64:65], -v[100:101], v[150:151], v[64:65]
	v_fma_f64 v[66:67], -v[100:101], v[152:153], v[66:67]
	ds_read2_b64 v[126:129], v114 offset0:31 offset1:32
	ds_read2_b64 v[130:133], v114 offset0:33 offset1:34
	s_waitcnt lgkmcnt(6)
	v_fma_f64 v[62:63], -v[100:101], v[154:155], v[62:63]
	v_fma_f64 v[60:61], -v[100:101], v[156:157], v[60:61]
	ds_read2_b64 v[134:137], v114 offset0:35 offset1:36
	ds_read2_b64 v[138:141], v114 offset0:37 offset1:38
	s_waitcnt lgkmcnt(7)
	v_fma_f64 v[58:59], -v[100:101], v[158:159], v[58:59]
	v_fma_f64 v[56:57], -v[100:101], v[160:161], v[56:57]
	ds_read2_b64 v[142:145], v114 offset0:39 offset1:40
	ds_read2_b64 v[146:149], v114 offset0:41 offset1:42
	ds_read2_b64 v[150:153], v114 offset0:43 offset1:44
	;; [unrolled: 1-line block ×3, first 2 shown]
	s_waitcnt lgkmcnt(9)
	v_fma_f64 v[48:49], -v[100:101], v[118:119], v[48:49]
	v_fma_f64 v[50:51], -v[100:101], v[120:121], v[50:51]
	ds_read2_b64 v[118:121], v114 offset0:47 offset1:48
	ds_read2_b64 v[158:161], v114 offset0:49 offset1:50
	v_fma_f64 v[54:55], -v[100:101], v[162:163], v[54:55]
	v_fma_f64 v[52:53], -v[100:101], v[164:165], v[52:53]
	s_waitcnt lgkmcnt(10)
	v_fma_f64 v[44:45], -v[100:101], v[122:123], v[44:45]
	v_fma_f64 v[46:47], -v[100:101], v[124:125], v[46:47]
	s_waitcnt lgkmcnt(9)
	;; [unrolled: 3-line block ×11, first 2 shown]
	v_fma_f64 v[6:7], -v[100:101], v[158:159], v[6:7]
	v_fma_f64 v[106:107], -v[100:101], v[160:161], v[106:107]
.LBB100_46:
	s_or_b32 exec_lo, exec_lo, s0
	v_lshl_add_u32 v0, v117, 3, v114
	s_barrier
	buffer_gl0_inv
	v_mov_b32_e32 v108, 3
	ds_write_b64 v0, v[98:99]
	s_waitcnt lgkmcnt(0)
	s_barrier
	buffer_gl0_inv
	ds_read_b64 v[0:1], v114 offset:24
	s_cmp_lt_i32 s7, 5
	s_cbranch_scc1 .LBB100_49
; %bb.47:
	v_mov_b32_e32 v108, 3
	v_add3_u32 v109, v115, 0, 32
	s_mov_b32 s0, 4
.LBB100_48:                             ; =>This Inner Loop Header: Depth=1
	ds_read_b64 v[118:119], v109
	v_add_nc_u32_e32 v109, 8, v109
	s_waitcnt lgkmcnt(0)
	v_cmp_lt_f64_e64 vcc_lo, |v[0:1]|, |v[118:119]|
	v_cndmask_b32_e32 v1, v1, v119, vcc_lo
	v_cndmask_b32_e32 v0, v0, v118, vcc_lo
	v_cndmask_b32_e64 v108, v108, s0, vcc_lo
	s_add_i32 s0, s0, 1
	s_cmp_lg_u32 s7, s0
	s_cbranch_scc1 .LBB100_48
.LBB100_49:
	s_mov_b32 s0, exec_lo
	s_waitcnt lgkmcnt(0)
	v_cmpx_eq_f64_e32 0, v[0:1]
	s_xor_b32 s0, exec_lo, s0
; %bb.50:
	v_cmp_ne_u32_e32 vcc_lo, 0, v111
	v_cndmask_b32_e32 v111, 4, v111, vcc_lo
; %bb.51:
	s_andn2_saveexec_b32 s0, s0
	s_cbranch_execz .LBB100_53
; %bb.52:
	v_div_scale_f64 v[109:110], null, v[0:1], v[0:1], 1.0
	v_rcp_f64_e32 v[118:119], v[109:110]
	v_fma_f64 v[120:121], -v[109:110], v[118:119], 1.0
	v_fma_f64 v[118:119], v[118:119], v[120:121], v[118:119]
	v_fma_f64 v[120:121], -v[109:110], v[118:119], 1.0
	v_fma_f64 v[118:119], v[118:119], v[120:121], v[118:119]
	v_div_scale_f64 v[120:121], vcc_lo, 1.0, v[0:1], 1.0
	v_mul_f64 v[122:123], v[120:121], v[118:119]
	v_fma_f64 v[109:110], -v[109:110], v[122:123], v[120:121]
	v_div_fmas_f64 v[109:110], v[109:110], v[118:119], v[122:123]
	v_div_fixup_f64 v[0:1], v[109:110], v[0:1], 1.0
.LBB100_53:
	s_or_b32 exec_lo, exec_lo, s0
	s_mov_b32 s0, exec_lo
	v_cmpx_ne_u32_e64 v117, v108
	s_xor_b32 s0, exec_lo, s0
	s_cbranch_execz .LBB100_59
; %bb.54:
	s_mov_b32 s1, exec_lo
	v_cmpx_eq_u32_e32 3, v117
	s_cbranch_execz .LBB100_58
; %bb.55:
	v_cmp_ne_u32_e32 vcc_lo, 3, v108
	s_xor_b32 s2, s6, -1
	s_and_b32 s3, s2, vcc_lo
	s_and_saveexec_b32 s2, s3
	s_cbranch_execz .LBB100_57
; %bb.56:
	v_ashrrev_i32_e32 v109, 31, v108
	v_lshlrev_b64 v[109:110], 2, v[108:109]
	v_add_co_u32 v109, vcc_lo, v4, v109
	v_add_co_ci_u32_e64 v110, null, v5, v110, vcc_lo
	s_clause 0x1
	global_load_dword v116, v[109:110], off
	global_load_dword v117, v[4:5], off offset:12
	s_waitcnt vmcnt(1)
	global_store_dword v[4:5], v116, off offset:12
	s_waitcnt vmcnt(0)
	global_store_dword v[109:110], v117, off
.LBB100_57:
	s_or_b32 exec_lo, exec_lo, s2
	v_mov_b32_e32 v116, v108
	v_mov_b32_e32 v117, v108
.LBB100_58:
	s_or_b32 exec_lo, exec_lo, s1
.LBB100_59:
	s_andn2_saveexec_b32 s0, s0
	s_cbranch_execz .LBB100_61
; %bb.60:
	v_mov_b32_e32 v108, v96
	v_mov_b32_e32 v109, v97
	;; [unrolled: 1-line block ×16, first 2 shown]
	ds_write2_b64 v114, v[108:109], v[117:118] offset0:4 offset1:5
	ds_write2_b64 v114, v[119:120], v[121:122] offset0:6 offset1:7
	ds_write2_b64 v114, v[123:124], v[125:126] offset0:8 offset1:9
	ds_write2_b64 v114, v[127:128], v[129:130] offset0:10 offset1:11
	v_mov_b32_e32 v108, v80
	v_mov_b32_e32 v109, v81
	v_mov_b32_e32 v117, v78
	v_mov_b32_e32 v118, v79
	v_mov_b32_e32 v119, v76
	v_mov_b32_e32 v120, v77
	v_mov_b32_e32 v121, v74
	v_mov_b32_e32 v122, v75
	v_mov_b32_e32 v123, v72
	v_mov_b32_e32 v124, v73
	v_mov_b32_e32 v125, v68
	v_mov_b32_e32 v126, v69
	v_mov_b32_e32 v127, v70
	v_mov_b32_e32 v128, v71
	v_mov_b32_e32 v129, v64
	v_mov_b32_e32 v130, v65
	v_mov_b32_e32 v131, v66
	v_mov_b32_e32 v132, v67
	v_mov_b32_e32 v133, v62
	v_mov_b32_e32 v134, v63
	ds_write2_b64 v114, v[108:109], v[117:118] offset0:12 offset1:13
	ds_write2_b64 v114, v[119:120], v[121:122] offset0:14 offset1:15
	ds_write2_b64 v114, v[123:124], v[125:126] offset0:16 offset1:17
	ds_write2_b64 v114, v[127:128], v[129:130] offset0:18 offset1:19
	ds_write2_b64 v114, v[131:132], v[133:134] offset0:20 offset1:21
	v_mov_b32_e32 v108, v60
	v_mov_b32_e32 v109, v61
	v_mov_b32_e32 v117, v58
	v_mov_b32_e32 v118, v59
	v_mov_b32_e32 v119, v56
	v_mov_b32_e32 v120, v57
	v_mov_b32_e32 v121, v54
	v_mov_b32_e32 v122, v55
	v_mov_b32_e32 v123, v52
	v_mov_b32_e32 v124, v53
	v_mov_b32_e32 v125, v48
	v_mov_b32_e32 v126, v49
	v_mov_b32_e32 v127, v50
	v_mov_b32_e32 v128, v51
	v_mov_b32_e32 v129, v44
	v_mov_b32_e32 v130, v45
	v_mov_b32_e32 v131, v46
	v_mov_b32_e32 v132, v47
	v_mov_b32_e32 v133, v42
	v_mov_b32_e32 v134, v43
	ds_write2_b64 v114, v[108:109], v[117:118] offset0:22 offset1:23
	;; [unrolled: 25-line block ×3, first 2 shown]
	ds_write2_b64 v114, v[119:120], v[121:122] offset0:34 offset1:35
	ds_write2_b64 v114, v[123:124], v[125:126] offset0:36 offset1:37
	;; [unrolled: 1-line block ×4, first 2 shown]
	v_mov_b32_e32 v108, v20
	v_mov_b32_e32 v109, v21
	;; [unrolled: 1-line block ×8, first 2 shown]
	ds_write2_b64 v114, v[108:109], v[117:118] offset0:42 offset1:43
	v_mov_b32_e32 v117, 3
	v_mov_b32_e32 v123, v12
	v_mov_b32_e32 v124, v13
	v_mov_b32_e32 v125, v8
	v_mov_b32_e32 v126, v9
	v_mov_b32_e32 v127, v10
	v_mov_b32_e32 v128, v11
	v_mov_b32_e32 v129, v6
	v_mov_b32_e32 v130, v7
	ds_write2_b64 v114, v[119:120], v[121:122] offset0:44 offset1:45
	ds_write2_b64 v114, v[123:124], v[125:126] offset0:46 offset1:47
	;; [unrolled: 1-line block ×3, first 2 shown]
	ds_write_b64 v114, v[106:107] offset:400
.LBB100_61:
	s_or_b32 exec_lo, exec_lo, s0
	s_mov_b32 s0, exec_lo
	s_waitcnt lgkmcnt(0)
	s_waitcnt_vscnt null, 0x0
	s_barrier
	buffer_gl0_inv
	v_cmpx_lt_i32_e32 3, v117
	s_cbranch_execz .LBB100_63
; %bb.62:
	v_mul_f64 v[98:99], v[0:1], v[98:99]
	ds_read2_b64 v[118:121], v114 offset0:4 offset1:5
	ds_read2_b64 v[122:125], v114 offset0:6 offset1:7
	;; [unrolled: 1-line block ×12, first 2 shown]
	ds_read_b64 v[0:1], v114 offset:400
	s_waitcnt lgkmcnt(12)
	v_fma_f64 v[96:97], -v[98:99], v[118:119], v[96:97]
	v_fma_f64 v[94:95], -v[98:99], v[120:121], v[94:95]
	ds_read2_b64 v[118:121], v114 offset0:28 offset1:29
	s_waitcnt lgkmcnt(12)
	v_fma_f64 v[92:93], -v[98:99], v[122:123], v[92:93]
	v_fma_f64 v[88:89], -v[98:99], v[124:125], v[88:89]
	s_waitcnt lgkmcnt(11)
	v_fma_f64 v[90:91], -v[98:99], v[126:127], v[90:91]
	v_fma_f64 v[84:85], -v[98:99], v[128:129], v[84:85]
	;; [unrolled: 3-line block ×7, first 2 shown]
	ds_read2_b64 v[122:125], v114 offset0:30 offset1:31
	s_waitcnt lgkmcnt(6)
	v_fma_f64 v[66:67], -v[98:99], v[150:151], v[66:67]
	v_fma_f64 v[62:63], -v[98:99], v[152:153], v[62:63]
	ds_read2_b64 v[126:129], v114 offset0:32 offset1:33
	ds_read2_b64 v[130:133], v114 offset0:34 offset1:35
	s_waitcnt lgkmcnt(7)
	v_fma_f64 v[60:61], -v[98:99], v[154:155], v[60:61]
	v_fma_f64 v[58:59], -v[98:99], v[156:157], v[58:59]
	ds_read2_b64 v[134:137], v114 offset0:36 offset1:37
	ds_read2_b64 v[138:141], v114 offset0:38 offset1:39
	;; [unrolled: 1-line block ×6, first 2 shown]
	s_waitcnt lgkmcnt(9)
	v_fma_f64 v[50:51], -v[98:99], v[118:119], v[50:51]
	v_fma_f64 v[44:45], -v[98:99], v[120:121], v[44:45]
	ds_read2_b64 v[118:121], v114 offset0:48 offset1:49
	v_fma_f64 v[56:57], -v[98:99], v[158:159], v[56:57]
	v_fma_f64 v[54:55], -v[98:99], v[160:161], v[54:55]
	;; [unrolled: 1-line block ×4, first 2 shown]
	s_waitcnt lgkmcnt(9)
	v_fma_f64 v[46:47], -v[98:99], v[122:123], v[46:47]
	v_fma_f64 v[42:43], -v[98:99], v[124:125], v[42:43]
	;; [unrolled: 1-line block ×3, first 2 shown]
	s_waitcnt lgkmcnt(8)
	v_fma_f64 v[40:41], -v[98:99], v[126:127], v[40:41]
	v_fma_f64 v[38:39], -v[98:99], v[128:129], v[38:39]
	s_waitcnt lgkmcnt(7)
	v_fma_f64 v[36:37], -v[98:99], v[130:131], v[36:37]
	v_fma_f64 v[34:35], -v[98:99], v[132:133], v[34:35]
	;; [unrolled: 3-line block ×9, first 2 shown]
.LBB100_63:
	s_or_b32 exec_lo, exec_lo, s0
	v_lshl_add_u32 v0, v117, 3, v114
	s_barrier
	buffer_gl0_inv
	v_mov_b32_e32 v108, 4
	ds_write_b64 v0, v[96:97]
	s_waitcnt lgkmcnt(0)
	s_barrier
	buffer_gl0_inv
	ds_read_b64 v[0:1], v114 offset:32
	s_cmp_lt_i32 s7, 6
	s_cbranch_scc1 .LBB100_66
; %bb.64:
	v_add3_u32 v109, v115, 0, 40
	v_mov_b32_e32 v108, 4
	s_mov_b32 s0, 5
.LBB100_65:                             ; =>This Inner Loop Header: Depth=1
	ds_read_b64 v[118:119], v109
	v_add_nc_u32_e32 v109, 8, v109
	s_waitcnt lgkmcnt(0)
	v_cmp_lt_f64_e64 vcc_lo, |v[0:1]|, |v[118:119]|
	v_cndmask_b32_e32 v1, v1, v119, vcc_lo
	v_cndmask_b32_e32 v0, v0, v118, vcc_lo
	v_cndmask_b32_e64 v108, v108, s0, vcc_lo
	s_add_i32 s0, s0, 1
	s_cmp_lg_u32 s7, s0
	s_cbranch_scc1 .LBB100_65
.LBB100_66:
	s_mov_b32 s0, exec_lo
	s_waitcnt lgkmcnt(0)
	v_cmpx_eq_f64_e32 0, v[0:1]
	s_xor_b32 s0, exec_lo, s0
; %bb.67:
	v_cmp_ne_u32_e32 vcc_lo, 0, v111
	v_cndmask_b32_e32 v111, 5, v111, vcc_lo
; %bb.68:
	s_andn2_saveexec_b32 s0, s0
	s_cbranch_execz .LBB100_70
; %bb.69:
	v_div_scale_f64 v[109:110], null, v[0:1], v[0:1], 1.0
	v_rcp_f64_e32 v[118:119], v[109:110]
	v_fma_f64 v[120:121], -v[109:110], v[118:119], 1.0
	v_fma_f64 v[118:119], v[118:119], v[120:121], v[118:119]
	v_fma_f64 v[120:121], -v[109:110], v[118:119], 1.0
	v_fma_f64 v[118:119], v[118:119], v[120:121], v[118:119]
	v_div_scale_f64 v[120:121], vcc_lo, 1.0, v[0:1], 1.0
	v_mul_f64 v[122:123], v[120:121], v[118:119]
	v_fma_f64 v[109:110], -v[109:110], v[122:123], v[120:121]
	v_div_fmas_f64 v[109:110], v[109:110], v[118:119], v[122:123]
	v_div_fixup_f64 v[0:1], v[109:110], v[0:1], 1.0
.LBB100_70:
	s_or_b32 exec_lo, exec_lo, s0
	s_mov_b32 s0, exec_lo
	v_cmpx_ne_u32_e64 v117, v108
	s_xor_b32 s0, exec_lo, s0
	s_cbranch_execz .LBB100_76
; %bb.71:
	s_mov_b32 s1, exec_lo
	v_cmpx_eq_u32_e32 4, v117
	s_cbranch_execz .LBB100_75
; %bb.72:
	v_cmp_ne_u32_e32 vcc_lo, 4, v108
	s_xor_b32 s2, s6, -1
	s_and_b32 s3, s2, vcc_lo
	s_and_saveexec_b32 s2, s3
	s_cbranch_execz .LBB100_74
; %bb.73:
	v_ashrrev_i32_e32 v109, 31, v108
	v_lshlrev_b64 v[109:110], 2, v[108:109]
	v_add_co_u32 v109, vcc_lo, v4, v109
	v_add_co_ci_u32_e64 v110, null, v5, v110, vcc_lo
	s_clause 0x1
	global_load_dword v116, v[109:110], off
	global_load_dword v117, v[4:5], off offset:16
	s_waitcnt vmcnt(1)
	global_store_dword v[4:5], v116, off offset:16
	s_waitcnt vmcnt(0)
	global_store_dword v[109:110], v117, off
.LBB100_74:
	s_or_b32 exec_lo, exec_lo, s2
	v_mov_b32_e32 v116, v108
	v_mov_b32_e32 v117, v108
.LBB100_75:
	s_or_b32 exec_lo, exec_lo, s1
.LBB100_76:
	s_andn2_saveexec_b32 s0, s0
	s_cbranch_execz .LBB100_78
; %bb.77:
	v_mov_b32_e32 v117, 4
	ds_write2_b64 v114, v[94:95], v[92:93] offset0:5 offset1:6
	ds_write2_b64 v114, v[88:89], v[90:91] offset0:7 offset1:8
	;; [unrolled: 1-line block ×23, first 2 shown]
.LBB100_78:
	s_or_b32 exec_lo, exec_lo, s0
	s_mov_b32 s0, exec_lo
	s_waitcnt lgkmcnt(0)
	s_waitcnt_vscnt null, 0x0
	s_barrier
	buffer_gl0_inv
	v_cmpx_lt_i32_e32 4, v117
	s_cbranch_execz .LBB100_80
; %bb.79:
	v_mul_f64 v[96:97], v[0:1], v[96:97]
	ds_read2_b64 v[118:121], v114 offset0:5 offset1:6
	ds_read2_b64 v[122:125], v114 offset0:7 offset1:8
	;; [unrolled: 1-line block ×11, first 2 shown]
	s_waitcnt lgkmcnt(10)
	v_fma_f64 v[94:95], -v[96:97], v[118:119], v[94:95]
	v_fma_f64 v[92:93], -v[96:97], v[120:121], v[92:93]
	ds_read2_b64 v[118:121], v114 offset0:27 offset1:28
	s_waitcnt lgkmcnt(10)
	v_fma_f64 v[88:89], -v[96:97], v[122:123], v[88:89]
	v_fma_f64 v[90:91], -v[96:97], v[124:125], v[90:91]
	s_waitcnt lgkmcnt(9)
	v_fma_f64 v[84:85], -v[96:97], v[126:127], v[84:85]
	v_fma_f64 v[86:87], -v[96:97], v[128:129], v[86:87]
	;; [unrolled: 3-line block ×6, first 2 shown]
	ds_read2_b64 v[122:125], v114 offset0:29 offset1:30
	s_waitcnt lgkmcnt(5)
	v_fma_f64 v[64:65], -v[96:97], v[146:147], v[64:65]
	v_fma_f64 v[66:67], -v[96:97], v[148:149], v[66:67]
	ds_read2_b64 v[126:129], v114 offset0:31 offset1:32
	ds_read2_b64 v[130:133], v114 offset0:33 offset1:34
	s_waitcnt lgkmcnt(6)
	v_fma_f64 v[62:63], -v[96:97], v[150:151], v[62:63]
	v_fma_f64 v[60:61], -v[96:97], v[152:153], v[60:61]
	ds_read2_b64 v[134:137], v114 offset0:35 offset1:36
	;; [unrolled: 5-line block ×5, first 2 shown]
	ds_read2_b64 v[158:161], v114 offset0:49 offset1:50
	s_waitcnt lgkmcnt(10)
	v_fma_f64 v[44:45], -v[96:97], v[122:123], v[44:45]
	v_fma_f64 v[46:47], -v[96:97], v[124:125], v[46:47]
	s_waitcnt lgkmcnt(9)
	v_fma_f64 v[42:43], -v[96:97], v[126:127], v[42:43]
	v_fma_f64 v[40:41], -v[96:97], v[128:129], v[40:41]
	;; [unrolled: 3-line block ×11, first 2 shown]
.LBB100_80:
	s_or_b32 exec_lo, exec_lo, s0
	v_lshl_add_u32 v0, v117, 3, v114
	s_barrier
	buffer_gl0_inv
	v_mov_b32_e32 v108, 5
	ds_write_b64 v0, v[94:95]
	s_waitcnt lgkmcnt(0)
	s_barrier
	buffer_gl0_inv
	ds_read_b64 v[0:1], v114 offset:40
	s_cmp_lt_i32 s7, 7
	s_cbranch_scc1 .LBB100_83
; %bb.81:
	v_add3_u32 v109, v115, 0, 48
	v_mov_b32_e32 v108, 5
	s_mov_b32 s0, 6
.LBB100_82:                             ; =>This Inner Loop Header: Depth=1
	ds_read_b64 v[118:119], v109
	v_add_nc_u32_e32 v109, 8, v109
	s_waitcnt lgkmcnt(0)
	v_cmp_lt_f64_e64 vcc_lo, |v[0:1]|, |v[118:119]|
	v_cndmask_b32_e32 v1, v1, v119, vcc_lo
	v_cndmask_b32_e32 v0, v0, v118, vcc_lo
	v_cndmask_b32_e64 v108, v108, s0, vcc_lo
	s_add_i32 s0, s0, 1
	s_cmp_lg_u32 s7, s0
	s_cbranch_scc1 .LBB100_82
.LBB100_83:
	s_mov_b32 s0, exec_lo
	s_waitcnt lgkmcnt(0)
	v_cmpx_eq_f64_e32 0, v[0:1]
	s_xor_b32 s0, exec_lo, s0
; %bb.84:
	v_cmp_ne_u32_e32 vcc_lo, 0, v111
	v_cndmask_b32_e32 v111, 6, v111, vcc_lo
; %bb.85:
	s_andn2_saveexec_b32 s0, s0
	s_cbranch_execz .LBB100_87
; %bb.86:
	v_div_scale_f64 v[109:110], null, v[0:1], v[0:1], 1.0
	v_rcp_f64_e32 v[118:119], v[109:110]
	v_fma_f64 v[120:121], -v[109:110], v[118:119], 1.0
	v_fma_f64 v[118:119], v[118:119], v[120:121], v[118:119]
	v_fma_f64 v[120:121], -v[109:110], v[118:119], 1.0
	v_fma_f64 v[118:119], v[118:119], v[120:121], v[118:119]
	v_div_scale_f64 v[120:121], vcc_lo, 1.0, v[0:1], 1.0
	v_mul_f64 v[122:123], v[120:121], v[118:119]
	v_fma_f64 v[109:110], -v[109:110], v[122:123], v[120:121]
	v_div_fmas_f64 v[109:110], v[109:110], v[118:119], v[122:123]
	v_div_fixup_f64 v[0:1], v[109:110], v[0:1], 1.0
.LBB100_87:
	s_or_b32 exec_lo, exec_lo, s0
	s_mov_b32 s0, exec_lo
	v_cmpx_ne_u32_e64 v117, v108
	s_xor_b32 s0, exec_lo, s0
	s_cbranch_execz .LBB100_93
; %bb.88:
	s_mov_b32 s1, exec_lo
	v_cmpx_eq_u32_e32 5, v117
	s_cbranch_execz .LBB100_92
; %bb.89:
	v_cmp_ne_u32_e32 vcc_lo, 5, v108
	s_xor_b32 s2, s6, -1
	s_and_b32 s3, s2, vcc_lo
	s_and_saveexec_b32 s2, s3
	s_cbranch_execz .LBB100_91
; %bb.90:
	v_ashrrev_i32_e32 v109, 31, v108
	v_lshlrev_b64 v[109:110], 2, v[108:109]
	v_add_co_u32 v109, vcc_lo, v4, v109
	v_add_co_ci_u32_e64 v110, null, v5, v110, vcc_lo
	s_clause 0x1
	global_load_dword v116, v[109:110], off
	global_load_dword v117, v[4:5], off offset:20
	s_waitcnt vmcnt(1)
	global_store_dword v[4:5], v116, off offset:20
	s_waitcnt vmcnt(0)
	global_store_dword v[109:110], v117, off
.LBB100_91:
	s_or_b32 exec_lo, exec_lo, s2
	v_mov_b32_e32 v116, v108
	v_mov_b32_e32 v117, v108
.LBB100_92:
	s_or_b32 exec_lo, exec_lo, s1
.LBB100_93:
	s_andn2_saveexec_b32 s0, s0
	s_cbranch_execz .LBB100_95
; %bb.94:
	v_mov_b32_e32 v108, v92
	v_mov_b32_e32 v109, v93
	;; [unrolled: 1-line block ×12, first 2 shown]
	ds_write2_b64 v114, v[108:109], v[117:118] offset0:6 offset1:7
	ds_write2_b64 v114, v[119:120], v[121:122] offset0:8 offset1:9
	ds_write2_b64 v114, v[123:124], v[125:126] offset0:10 offset1:11
	v_mov_b32_e32 v108, v80
	v_mov_b32_e32 v109, v81
	v_mov_b32_e32 v117, v78
	v_mov_b32_e32 v118, v79
	v_mov_b32_e32 v119, v76
	v_mov_b32_e32 v120, v77
	v_mov_b32_e32 v121, v74
	v_mov_b32_e32 v122, v75
	v_mov_b32_e32 v123, v72
	v_mov_b32_e32 v124, v73
	v_mov_b32_e32 v125, v68
	v_mov_b32_e32 v126, v69
	v_mov_b32_e32 v127, v70
	v_mov_b32_e32 v128, v71
	v_mov_b32_e32 v129, v64
	v_mov_b32_e32 v130, v65
	v_mov_b32_e32 v131, v66
	v_mov_b32_e32 v132, v67
	v_mov_b32_e32 v133, v62
	v_mov_b32_e32 v134, v63
	ds_write2_b64 v114, v[108:109], v[117:118] offset0:12 offset1:13
	ds_write2_b64 v114, v[119:120], v[121:122] offset0:14 offset1:15
	ds_write2_b64 v114, v[123:124], v[125:126] offset0:16 offset1:17
	ds_write2_b64 v114, v[127:128], v[129:130] offset0:18 offset1:19
	ds_write2_b64 v114, v[131:132], v[133:134] offset0:20 offset1:21
	v_mov_b32_e32 v108, v60
	v_mov_b32_e32 v109, v61
	v_mov_b32_e32 v117, v58
	v_mov_b32_e32 v118, v59
	v_mov_b32_e32 v119, v56
	v_mov_b32_e32 v120, v57
	v_mov_b32_e32 v121, v54
	v_mov_b32_e32 v122, v55
	v_mov_b32_e32 v123, v52
	v_mov_b32_e32 v124, v53
	v_mov_b32_e32 v125, v48
	v_mov_b32_e32 v126, v49
	v_mov_b32_e32 v127, v50
	v_mov_b32_e32 v128, v51
	v_mov_b32_e32 v129, v44
	v_mov_b32_e32 v130, v45
	v_mov_b32_e32 v131, v46
	v_mov_b32_e32 v132, v47
	v_mov_b32_e32 v133, v42
	v_mov_b32_e32 v134, v43
	ds_write2_b64 v114, v[108:109], v[117:118] offset0:22 offset1:23
	ds_write2_b64 v114, v[119:120], v[121:122] offset0:24 offset1:25
	;; [unrolled: 25-line block ×3, first 2 shown]
	ds_write2_b64 v114, v[123:124], v[125:126] offset0:36 offset1:37
	ds_write2_b64 v114, v[127:128], v[129:130] offset0:38 offset1:39
	ds_write2_b64 v114, v[131:132], v[133:134] offset0:40 offset1:41
	v_mov_b32_e32 v108, v20
	v_mov_b32_e32 v109, v21
	;; [unrolled: 1-line block ×8, first 2 shown]
	ds_write2_b64 v114, v[108:109], v[117:118] offset0:42 offset1:43
	v_mov_b32_e32 v117, 5
	v_mov_b32_e32 v123, v12
	;; [unrolled: 1-line block ×9, first 2 shown]
	ds_write2_b64 v114, v[119:120], v[121:122] offset0:44 offset1:45
	ds_write2_b64 v114, v[123:124], v[125:126] offset0:46 offset1:47
	;; [unrolled: 1-line block ×3, first 2 shown]
	ds_write_b64 v114, v[106:107] offset:400
.LBB100_95:
	s_or_b32 exec_lo, exec_lo, s0
	s_mov_b32 s0, exec_lo
	s_waitcnt lgkmcnt(0)
	s_waitcnt_vscnt null, 0x0
	s_barrier
	buffer_gl0_inv
	v_cmpx_lt_i32_e32 5, v117
	s_cbranch_execz .LBB100_97
; %bb.96:
	v_mul_f64 v[94:95], v[0:1], v[94:95]
	ds_read2_b64 v[118:121], v114 offset0:6 offset1:7
	ds_read2_b64 v[122:125], v114 offset0:8 offset1:9
	;; [unrolled: 1-line block ×11, first 2 shown]
	ds_read_b64 v[0:1], v114 offset:400
	s_waitcnt lgkmcnt(11)
	v_fma_f64 v[92:93], -v[94:95], v[118:119], v[92:93]
	v_fma_f64 v[88:89], -v[94:95], v[120:121], v[88:89]
	ds_read2_b64 v[118:121], v114 offset0:28 offset1:29
	s_waitcnt lgkmcnt(11)
	v_fma_f64 v[90:91], -v[94:95], v[122:123], v[90:91]
	v_fma_f64 v[84:85], -v[94:95], v[124:125], v[84:85]
	s_waitcnt lgkmcnt(10)
	v_fma_f64 v[86:87], -v[94:95], v[126:127], v[86:87]
	v_fma_f64 v[82:83], -v[94:95], v[128:129], v[82:83]
	;; [unrolled: 3-line block ×6, first 2 shown]
	ds_read2_b64 v[122:125], v114 offset0:30 offset1:31
	s_waitcnt lgkmcnt(6)
	v_fma_f64 v[66:67], -v[94:95], v[146:147], v[66:67]
	v_fma_f64 v[62:63], -v[94:95], v[148:149], v[62:63]
	ds_read2_b64 v[126:129], v114 offset0:32 offset1:33
	ds_read2_b64 v[130:133], v114 offset0:34 offset1:35
	s_waitcnt lgkmcnt(7)
	v_fma_f64 v[60:61], -v[94:95], v[150:151], v[60:61]
	v_fma_f64 v[58:59], -v[94:95], v[152:153], v[58:59]
	ds_read2_b64 v[134:137], v114 offset0:36 offset1:37
	;; [unrolled: 5-line block ×3, first 2 shown]
	ds_read2_b64 v[146:149], v114 offset0:42 offset1:43
	ds_read2_b64 v[150:153], v114 offset0:44 offset1:45
	;; [unrolled: 1-line block ×3, first 2 shown]
	s_waitcnt lgkmcnt(9)
	v_fma_f64 v[50:51], -v[94:95], v[118:119], v[50:51]
	v_fma_f64 v[44:45], -v[94:95], v[120:121], v[44:45]
	ds_read2_b64 v[118:121], v114 offset0:48 offset1:49
	v_fma_f64 v[52:53], -v[94:95], v[158:159], v[52:53]
	v_fma_f64 v[48:49], -v[94:95], v[160:161], v[48:49]
	s_waitcnt lgkmcnt(9)
	v_fma_f64 v[46:47], -v[94:95], v[122:123], v[46:47]
	v_fma_f64 v[42:43], -v[94:95], v[124:125], v[42:43]
	v_fma_f64 v[106:107], -v[94:95], v[0:1], v[106:107]
	s_waitcnt lgkmcnt(8)
	v_fma_f64 v[40:41], -v[94:95], v[126:127], v[40:41]
	v_fma_f64 v[38:39], -v[94:95], v[128:129], v[38:39]
	s_waitcnt lgkmcnt(7)
	v_fma_f64 v[36:37], -v[94:95], v[130:131], v[36:37]
	v_fma_f64 v[34:35], -v[94:95], v[132:133], v[34:35]
	;; [unrolled: 3-line block ×9, first 2 shown]
.LBB100_97:
	s_or_b32 exec_lo, exec_lo, s0
	v_lshl_add_u32 v0, v117, 3, v114
	s_barrier
	buffer_gl0_inv
	v_mov_b32_e32 v108, 6
	ds_write_b64 v0, v[92:93]
	s_waitcnt lgkmcnt(0)
	s_barrier
	buffer_gl0_inv
	ds_read_b64 v[0:1], v114 offset:48
	s_cmp_lt_i32 s7, 8
	s_cbranch_scc1 .LBB100_100
; %bb.98:
	v_add3_u32 v109, v115, 0, 56
	v_mov_b32_e32 v108, 6
	s_mov_b32 s0, 7
.LBB100_99:                             ; =>This Inner Loop Header: Depth=1
	ds_read_b64 v[118:119], v109
	v_add_nc_u32_e32 v109, 8, v109
	s_waitcnt lgkmcnt(0)
	v_cmp_lt_f64_e64 vcc_lo, |v[0:1]|, |v[118:119]|
	v_cndmask_b32_e32 v1, v1, v119, vcc_lo
	v_cndmask_b32_e32 v0, v0, v118, vcc_lo
	v_cndmask_b32_e64 v108, v108, s0, vcc_lo
	s_add_i32 s0, s0, 1
	s_cmp_lg_u32 s7, s0
	s_cbranch_scc1 .LBB100_99
.LBB100_100:
	s_mov_b32 s0, exec_lo
	s_waitcnt lgkmcnt(0)
	v_cmpx_eq_f64_e32 0, v[0:1]
	s_xor_b32 s0, exec_lo, s0
; %bb.101:
	v_cmp_ne_u32_e32 vcc_lo, 0, v111
	v_cndmask_b32_e32 v111, 7, v111, vcc_lo
; %bb.102:
	s_andn2_saveexec_b32 s0, s0
	s_cbranch_execz .LBB100_104
; %bb.103:
	v_div_scale_f64 v[109:110], null, v[0:1], v[0:1], 1.0
	v_rcp_f64_e32 v[118:119], v[109:110]
	v_fma_f64 v[120:121], -v[109:110], v[118:119], 1.0
	v_fma_f64 v[118:119], v[118:119], v[120:121], v[118:119]
	v_fma_f64 v[120:121], -v[109:110], v[118:119], 1.0
	v_fma_f64 v[118:119], v[118:119], v[120:121], v[118:119]
	v_div_scale_f64 v[120:121], vcc_lo, 1.0, v[0:1], 1.0
	v_mul_f64 v[122:123], v[120:121], v[118:119]
	v_fma_f64 v[109:110], -v[109:110], v[122:123], v[120:121]
	v_div_fmas_f64 v[109:110], v[109:110], v[118:119], v[122:123]
	v_div_fixup_f64 v[0:1], v[109:110], v[0:1], 1.0
.LBB100_104:
	s_or_b32 exec_lo, exec_lo, s0
	s_mov_b32 s0, exec_lo
	v_cmpx_ne_u32_e64 v117, v108
	s_xor_b32 s0, exec_lo, s0
	s_cbranch_execz .LBB100_110
; %bb.105:
	s_mov_b32 s1, exec_lo
	v_cmpx_eq_u32_e32 6, v117
	s_cbranch_execz .LBB100_109
; %bb.106:
	v_cmp_ne_u32_e32 vcc_lo, 6, v108
	s_xor_b32 s2, s6, -1
	s_and_b32 s3, s2, vcc_lo
	s_and_saveexec_b32 s2, s3
	s_cbranch_execz .LBB100_108
; %bb.107:
	v_ashrrev_i32_e32 v109, 31, v108
	v_lshlrev_b64 v[109:110], 2, v[108:109]
	v_add_co_u32 v109, vcc_lo, v4, v109
	v_add_co_ci_u32_e64 v110, null, v5, v110, vcc_lo
	s_clause 0x1
	global_load_dword v116, v[109:110], off
	global_load_dword v117, v[4:5], off offset:24
	s_waitcnt vmcnt(1)
	global_store_dword v[4:5], v116, off offset:24
	s_waitcnt vmcnt(0)
	global_store_dword v[109:110], v117, off
.LBB100_108:
	s_or_b32 exec_lo, exec_lo, s2
	v_mov_b32_e32 v116, v108
	v_mov_b32_e32 v117, v108
.LBB100_109:
	s_or_b32 exec_lo, exec_lo, s1
.LBB100_110:
	s_andn2_saveexec_b32 s0, s0
	s_cbranch_execz .LBB100_112
; %bb.111:
	v_mov_b32_e32 v117, 6
	ds_write2_b64 v114, v[88:89], v[90:91] offset0:7 offset1:8
	ds_write2_b64 v114, v[84:85], v[86:87] offset0:9 offset1:10
	;; [unrolled: 1-line block ×22, first 2 shown]
.LBB100_112:
	s_or_b32 exec_lo, exec_lo, s0
	s_mov_b32 s0, exec_lo
	s_waitcnt lgkmcnt(0)
	s_waitcnt_vscnt null, 0x0
	s_barrier
	buffer_gl0_inv
	v_cmpx_lt_i32_e32 6, v117
	s_cbranch_execz .LBB100_114
; %bb.113:
	v_mul_f64 v[92:93], v[0:1], v[92:93]
	ds_read2_b64 v[118:121], v114 offset0:7 offset1:8
	ds_read2_b64 v[122:125], v114 offset0:9 offset1:10
	;; [unrolled: 1-line block ×11, first 2 shown]
	s_waitcnt lgkmcnt(10)
	v_fma_f64 v[88:89], -v[92:93], v[118:119], v[88:89]
	v_fma_f64 v[90:91], -v[92:93], v[120:121], v[90:91]
	s_waitcnt lgkmcnt(9)
	v_fma_f64 v[84:85], -v[92:93], v[122:123], v[84:85]
	v_fma_f64 v[86:87], -v[92:93], v[124:125], v[86:87]
	;; [unrolled: 3-line block ×6, first 2 shown]
	ds_read2_b64 v[118:121], v114 offset0:29 offset1:30
	ds_read2_b64 v[122:125], v114 offset0:31 offset1:32
	s_waitcnt lgkmcnt(6)
	v_fma_f64 v[64:65], -v[92:93], v[142:143], v[64:65]
	v_fma_f64 v[66:67], -v[92:93], v[144:145], v[66:67]
	s_waitcnt lgkmcnt(5)
	v_fma_f64 v[62:63], -v[92:93], v[146:147], v[62:63]
	ds_read2_b64 v[126:129], v114 offset0:33 offset1:34
	ds_read2_b64 v[130:133], v114 offset0:35 offset1:36
	v_fma_f64 v[60:61], -v[92:93], v[148:149], v[60:61]
	s_waitcnt lgkmcnt(6)
	v_fma_f64 v[58:59], -v[92:93], v[150:151], v[58:59]
	ds_read2_b64 v[134:137], v114 offset0:37 offset1:38
	ds_read2_b64 v[138:141], v114 offset0:39 offset1:40
	v_fma_f64 v[56:57], -v[92:93], v[152:153], v[56:57]
	s_waitcnt lgkmcnt(7)
	v_fma_f64 v[54:55], -v[92:93], v[154:155], v[54:55]
	ds_read2_b64 v[142:145], v114 offset0:41 offset1:42
	ds_read2_b64 v[146:149], v114 offset0:43 offset1:44
	v_fma_f64 v[52:53], -v[92:93], v[156:157], v[52:53]
	s_waitcnt lgkmcnt(8)
	v_fma_f64 v[48:49], -v[92:93], v[158:159], v[48:49]
	ds_read2_b64 v[150:153], v114 offset0:45 offset1:46
	ds_read2_b64 v[154:157], v114 offset0:47 offset1:48
	v_fma_f64 v[50:51], -v[92:93], v[160:161], v[50:51]
	ds_read2_b64 v[158:161], v114 offset0:49 offset1:50
	s_waitcnt lgkmcnt(10)
	v_fma_f64 v[44:45], -v[92:93], v[118:119], v[44:45]
	v_fma_f64 v[46:47], -v[92:93], v[120:121], v[46:47]
	s_waitcnt lgkmcnt(9)
	v_fma_f64 v[42:43], -v[92:93], v[122:123], v[42:43]
	v_fma_f64 v[40:41], -v[92:93], v[124:125], v[40:41]
	;; [unrolled: 3-line block ×11, first 2 shown]
.LBB100_114:
	s_or_b32 exec_lo, exec_lo, s0
	v_lshl_add_u32 v0, v117, 3, v114
	s_barrier
	buffer_gl0_inv
	v_mov_b32_e32 v108, 7
	ds_write_b64 v0, v[88:89]
	s_waitcnt lgkmcnt(0)
	s_barrier
	buffer_gl0_inv
	ds_read_b64 v[0:1], v114 offset:56
	s_cmp_lt_i32 s7, 9
	s_cbranch_scc1 .LBB100_117
; %bb.115:
	v_add3_u32 v109, v115, 0, 64
	v_mov_b32_e32 v108, 7
	s_mov_b32 s0, 8
.LBB100_116:                            ; =>This Inner Loop Header: Depth=1
	ds_read_b64 v[118:119], v109
	v_add_nc_u32_e32 v109, 8, v109
	s_waitcnt lgkmcnt(0)
	v_cmp_lt_f64_e64 vcc_lo, |v[0:1]|, |v[118:119]|
	v_cndmask_b32_e32 v1, v1, v119, vcc_lo
	v_cndmask_b32_e32 v0, v0, v118, vcc_lo
	v_cndmask_b32_e64 v108, v108, s0, vcc_lo
	s_add_i32 s0, s0, 1
	s_cmp_lg_u32 s7, s0
	s_cbranch_scc1 .LBB100_116
.LBB100_117:
	s_mov_b32 s0, exec_lo
	s_waitcnt lgkmcnt(0)
	v_cmpx_eq_f64_e32 0, v[0:1]
	s_xor_b32 s0, exec_lo, s0
; %bb.118:
	v_cmp_ne_u32_e32 vcc_lo, 0, v111
	v_cndmask_b32_e32 v111, 8, v111, vcc_lo
; %bb.119:
	s_andn2_saveexec_b32 s0, s0
	s_cbranch_execz .LBB100_121
; %bb.120:
	v_div_scale_f64 v[109:110], null, v[0:1], v[0:1], 1.0
	v_rcp_f64_e32 v[118:119], v[109:110]
	v_fma_f64 v[120:121], -v[109:110], v[118:119], 1.0
	v_fma_f64 v[118:119], v[118:119], v[120:121], v[118:119]
	v_fma_f64 v[120:121], -v[109:110], v[118:119], 1.0
	v_fma_f64 v[118:119], v[118:119], v[120:121], v[118:119]
	v_div_scale_f64 v[120:121], vcc_lo, 1.0, v[0:1], 1.0
	v_mul_f64 v[122:123], v[120:121], v[118:119]
	v_fma_f64 v[109:110], -v[109:110], v[122:123], v[120:121]
	v_div_fmas_f64 v[109:110], v[109:110], v[118:119], v[122:123]
	v_div_fixup_f64 v[0:1], v[109:110], v[0:1], 1.0
.LBB100_121:
	s_or_b32 exec_lo, exec_lo, s0
	s_mov_b32 s0, exec_lo
	v_cmpx_ne_u32_e64 v117, v108
	s_xor_b32 s0, exec_lo, s0
	s_cbranch_execz .LBB100_127
; %bb.122:
	s_mov_b32 s1, exec_lo
	v_cmpx_eq_u32_e32 7, v117
	s_cbranch_execz .LBB100_126
; %bb.123:
	v_cmp_ne_u32_e32 vcc_lo, 7, v108
	s_xor_b32 s2, s6, -1
	s_and_b32 s3, s2, vcc_lo
	s_and_saveexec_b32 s2, s3
	s_cbranch_execz .LBB100_125
; %bb.124:
	v_ashrrev_i32_e32 v109, 31, v108
	v_lshlrev_b64 v[109:110], 2, v[108:109]
	v_add_co_u32 v109, vcc_lo, v4, v109
	v_add_co_ci_u32_e64 v110, null, v5, v110, vcc_lo
	s_clause 0x1
	global_load_dword v116, v[109:110], off
	global_load_dword v117, v[4:5], off offset:28
	s_waitcnt vmcnt(1)
	global_store_dword v[4:5], v116, off offset:28
	s_waitcnt vmcnt(0)
	global_store_dword v[109:110], v117, off
.LBB100_125:
	s_or_b32 exec_lo, exec_lo, s2
	v_mov_b32_e32 v116, v108
	v_mov_b32_e32 v117, v108
.LBB100_126:
	s_or_b32 exec_lo, exec_lo, s1
.LBB100_127:
	s_andn2_saveexec_b32 s0, s0
	s_cbranch_execz .LBB100_129
; %bb.128:
	v_mov_b32_e32 v108, v90
	v_mov_b32_e32 v109, v91
	;; [unrolled: 1-line block ×8, first 2 shown]
	ds_write2_b64 v114, v[108:109], v[117:118] offset0:8 offset1:9
	ds_write2_b64 v114, v[119:120], v[121:122] offset0:10 offset1:11
	v_mov_b32_e32 v108, v80
	v_mov_b32_e32 v109, v81
	v_mov_b32_e32 v117, v78
	v_mov_b32_e32 v118, v79
	v_mov_b32_e32 v119, v76
	v_mov_b32_e32 v120, v77
	v_mov_b32_e32 v121, v74
	v_mov_b32_e32 v122, v75
	v_mov_b32_e32 v123, v72
	v_mov_b32_e32 v124, v73
	v_mov_b32_e32 v125, v68
	v_mov_b32_e32 v126, v69
	v_mov_b32_e32 v127, v70
	v_mov_b32_e32 v128, v71
	v_mov_b32_e32 v129, v64
	v_mov_b32_e32 v130, v65
	v_mov_b32_e32 v131, v66
	v_mov_b32_e32 v132, v67
	v_mov_b32_e32 v133, v62
	v_mov_b32_e32 v134, v63
	ds_write2_b64 v114, v[108:109], v[117:118] offset0:12 offset1:13
	ds_write2_b64 v114, v[119:120], v[121:122] offset0:14 offset1:15
	ds_write2_b64 v114, v[123:124], v[125:126] offset0:16 offset1:17
	ds_write2_b64 v114, v[127:128], v[129:130] offset0:18 offset1:19
	ds_write2_b64 v114, v[131:132], v[133:134] offset0:20 offset1:21
	v_mov_b32_e32 v108, v60
	v_mov_b32_e32 v109, v61
	v_mov_b32_e32 v117, v58
	v_mov_b32_e32 v118, v59
	v_mov_b32_e32 v119, v56
	v_mov_b32_e32 v120, v57
	v_mov_b32_e32 v121, v54
	v_mov_b32_e32 v122, v55
	v_mov_b32_e32 v123, v52
	v_mov_b32_e32 v124, v53
	v_mov_b32_e32 v125, v48
	v_mov_b32_e32 v126, v49
	v_mov_b32_e32 v127, v50
	v_mov_b32_e32 v128, v51
	v_mov_b32_e32 v129, v44
	v_mov_b32_e32 v130, v45
	v_mov_b32_e32 v131, v46
	v_mov_b32_e32 v132, v47
	v_mov_b32_e32 v133, v42
	v_mov_b32_e32 v134, v43
	ds_write2_b64 v114, v[108:109], v[117:118] offset0:22 offset1:23
	ds_write2_b64 v114, v[119:120], v[121:122] offset0:24 offset1:25
	ds_write2_b64 v114, v[123:124], v[125:126] offset0:26 offset1:27
	;; [unrolled: 25-line block ×3, first 2 shown]
	ds_write2_b64 v114, v[127:128], v[129:130] offset0:38 offset1:39
	ds_write2_b64 v114, v[131:132], v[133:134] offset0:40 offset1:41
	v_mov_b32_e32 v108, v20
	v_mov_b32_e32 v109, v21
	;; [unrolled: 1-line block ×8, first 2 shown]
	ds_write2_b64 v114, v[108:109], v[117:118] offset0:42 offset1:43
	v_mov_b32_e32 v117, 7
	v_mov_b32_e32 v123, v12
	;; [unrolled: 1-line block ×9, first 2 shown]
	ds_write2_b64 v114, v[119:120], v[121:122] offset0:44 offset1:45
	ds_write2_b64 v114, v[123:124], v[125:126] offset0:46 offset1:47
	;; [unrolled: 1-line block ×3, first 2 shown]
	ds_write_b64 v114, v[106:107] offset:400
.LBB100_129:
	s_or_b32 exec_lo, exec_lo, s0
	s_mov_b32 s0, exec_lo
	s_waitcnt lgkmcnt(0)
	s_waitcnt_vscnt null, 0x0
	s_barrier
	buffer_gl0_inv
	v_cmpx_lt_i32_e32 7, v117
	s_cbranch_execz .LBB100_131
; %bb.130:
	v_mul_f64 v[88:89], v[0:1], v[88:89]
	ds_read2_b64 v[118:121], v114 offset0:8 offset1:9
	ds_read2_b64 v[122:125], v114 offset0:10 offset1:11
	;; [unrolled: 1-line block ×11, first 2 shown]
	ds_read_b64 v[0:1], v114 offset:400
	s_waitcnt lgkmcnt(11)
	v_fma_f64 v[90:91], -v[88:89], v[118:119], v[90:91]
	v_fma_f64 v[84:85], -v[88:89], v[120:121], v[84:85]
	s_waitcnt lgkmcnt(10)
	v_fma_f64 v[86:87], -v[88:89], v[122:123], v[86:87]
	v_fma_f64 v[82:83], -v[88:89], v[124:125], v[82:83]
	;; [unrolled: 3-line block ×6, first 2 shown]
	ds_read2_b64 v[118:121], v114 offset0:30 offset1:31
	ds_read2_b64 v[122:125], v114 offset0:32 offset1:33
	s_waitcnt lgkmcnt(7)
	v_fma_f64 v[66:67], -v[88:89], v[142:143], v[66:67]
	v_fma_f64 v[62:63], -v[88:89], v[144:145], v[62:63]
	s_waitcnt lgkmcnt(6)
	v_fma_f64 v[60:61], -v[88:89], v[146:147], v[60:61]
	ds_read2_b64 v[126:129], v114 offset0:34 offset1:35
	ds_read2_b64 v[130:133], v114 offset0:36 offset1:37
	v_fma_f64 v[58:59], -v[88:89], v[148:149], v[58:59]
	s_waitcnt lgkmcnt(7)
	v_fma_f64 v[56:57], -v[88:89], v[150:151], v[56:57]
	ds_read2_b64 v[134:137], v114 offset0:38 offset1:39
	ds_read2_b64 v[138:141], v114 offset0:40 offset1:41
	;; [unrolled: 5-line block ×3, first 2 shown]
	v_fma_f64 v[48:49], -v[88:89], v[156:157], v[48:49]
	ds_read2_b64 v[150:153], v114 offset0:46 offset1:47
	ds_read2_b64 v[154:157], v114 offset0:48 offset1:49
	s_waitcnt lgkmcnt(11)
	v_fma_f64 v[50:51], -v[88:89], v[158:159], v[50:51]
	v_fma_f64 v[44:45], -v[88:89], v[160:161], v[44:45]
	s_waitcnt lgkmcnt(9)
	v_fma_f64 v[46:47], -v[88:89], v[118:119], v[46:47]
	v_fma_f64 v[42:43], -v[88:89], v[120:121], v[42:43]
	s_waitcnt lgkmcnt(8)
	v_fma_f64 v[40:41], -v[88:89], v[122:123], v[40:41]
	v_fma_f64 v[38:39], -v[88:89], v[124:125], v[38:39]
	v_fma_f64 v[106:107], -v[88:89], v[0:1], v[106:107]
	s_waitcnt lgkmcnt(7)
	v_fma_f64 v[36:37], -v[88:89], v[126:127], v[36:37]
	v_fma_f64 v[34:35], -v[88:89], v[128:129], v[34:35]
	s_waitcnt lgkmcnt(6)
	v_fma_f64 v[32:33], -v[88:89], v[130:131], v[32:33]
	;; [unrolled: 3-line block ×8, first 2 shown]
	v_fma_f64 v[6:7], -v[88:89], v[156:157], v[6:7]
.LBB100_131:
	s_or_b32 exec_lo, exec_lo, s0
	v_lshl_add_u32 v0, v117, 3, v114
	s_barrier
	buffer_gl0_inv
	v_mov_b32_e32 v108, 8
	ds_write_b64 v0, v[90:91]
	s_waitcnt lgkmcnt(0)
	s_barrier
	buffer_gl0_inv
	ds_read_b64 v[0:1], v114 offset:64
	s_cmp_lt_i32 s7, 10
	s_cbranch_scc1 .LBB100_134
; %bb.132:
	v_add3_u32 v109, v115, 0, 0x48
	v_mov_b32_e32 v108, 8
	s_mov_b32 s0, 9
.LBB100_133:                            ; =>This Inner Loop Header: Depth=1
	ds_read_b64 v[118:119], v109
	v_add_nc_u32_e32 v109, 8, v109
	s_waitcnt lgkmcnt(0)
	v_cmp_lt_f64_e64 vcc_lo, |v[0:1]|, |v[118:119]|
	v_cndmask_b32_e32 v1, v1, v119, vcc_lo
	v_cndmask_b32_e32 v0, v0, v118, vcc_lo
	v_cndmask_b32_e64 v108, v108, s0, vcc_lo
	s_add_i32 s0, s0, 1
	s_cmp_lg_u32 s7, s0
	s_cbranch_scc1 .LBB100_133
.LBB100_134:
	s_mov_b32 s0, exec_lo
	s_waitcnt lgkmcnt(0)
	v_cmpx_eq_f64_e32 0, v[0:1]
	s_xor_b32 s0, exec_lo, s0
; %bb.135:
	v_cmp_ne_u32_e32 vcc_lo, 0, v111
	v_cndmask_b32_e32 v111, 9, v111, vcc_lo
; %bb.136:
	s_andn2_saveexec_b32 s0, s0
	s_cbranch_execz .LBB100_138
; %bb.137:
	v_div_scale_f64 v[109:110], null, v[0:1], v[0:1], 1.0
	v_rcp_f64_e32 v[118:119], v[109:110]
	v_fma_f64 v[120:121], -v[109:110], v[118:119], 1.0
	v_fma_f64 v[118:119], v[118:119], v[120:121], v[118:119]
	v_fma_f64 v[120:121], -v[109:110], v[118:119], 1.0
	v_fma_f64 v[118:119], v[118:119], v[120:121], v[118:119]
	v_div_scale_f64 v[120:121], vcc_lo, 1.0, v[0:1], 1.0
	v_mul_f64 v[122:123], v[120:121], v[118:119]
	v_fma_f64 v[109:110], -v[109:110], v[122:123], v[120:121]
	v_div_fmas_f64 v[109:110], v[109:110], v[118:119], v[122:123]
	v_div_fixup_f64 v[0:1], v[109:110], v[0:1], 1.0
.LBB100_138:
	s_or_b32 exec_lo, exec_lo, s0
	s_mov_b32 s0, exec_lo
	v_cmpx_ne_u32_e64 v117, v108
	s_xor_b32 s0, exec_lo, s0
	s_cbranch_execz .LBB100_144
; %bb.139:
	s_mov_b32 s1, exec_lo
	v_cmpx_eq_u32_e32 8, v117
	s_cbranch_execz .LBB100_143
; %bb.140:
	v_cmp_ne_u32_e32 vcc_lo, 8, v108
	s_xor_b32 s2, s6, -1
	s_and_b32 s3, s2, vcc_lo
	s_and_saveexec_b32 s2, s3
	s_cbranch_execz .LBB100_142
; %bb.141:
	v_ashrrev_i32_e32 v109, 31, v108
	v_lshlrev_b64 v[109:110], 2, v[108:109]
	v_add_co_u32 v109, vcc_lo, v4, v109
	v_add_co_ci_u32_e64 v110, null, v5, v110, vcc_lo
	s_clause 0x1
	global_load_dword v116, v[109:110], off
	global_load_dword v117, v[4:5], off offset:32
	s_waitcnt vmcnt(1)
	global_store_dword v[4:5], v116, off offset:32
	s_waitcnt vmcnt(0)
	global_store_dword v[109:110], v117, off
.LBB100_142:
	s_or_b32 exec_lo, exec_lo, s2
	v_mov_b32_e32 v116, v108
	v_mov_b32_e32 v117, v108
.LBB100_143:
	s_or_b32 exec_lo, exec_lo, s1
.LBB100_144:
	s_andn2_saveexec_b32 s0, s0
	s_cbranch_execz .LBB100_146
; %bb.145:
	v_mov_b32_e32 v117, 8
	ds_write2_b64 v114, v[84:85], v[86:87] offset0:9 offset1:10
	ds_write2_b64 v114, v[82:83], v[80:81] offset0:11 offset1:12
	;; [unrolled: 1-line block ×21, first 2 shown]
.LBB100_146:
	s_or_b32 exec_lo, exec_lo, s0
	s_mov_b32 s0, exec_lo
	s_waitcnt lgkmcnt(0)
	s_waitcnt_vscnt null, 0x0
	s_barrier
	buffer_gl0_inv
	v_cmpx_lt_i32_e32 8, v117
	s_cbranch_execz .LBB100_148
; %bb.147:
	v_mul_f64 v[90:91], v[0:1], v[90:91]
	ds_read2_b64 v[118:121], v114 offset0:9 offset1:10
	ds_read2_b64 v[122:125], v114 offset0:11 offset1:12
	;; [unrolled: 1-line block ×11, first 2 shown]
	s_waitcnt lgkmcnt(10)
	v_fma_f64 v[84:85], -v[90:91], v[118:119], v[84:85]
	v_fma_f64 v[86:87], -v[90:91], v[120:121], v[86:87]
	s_waitcnt lgkmcnt(9)
	v_fma_f64 v[82:83], -v[90:91], v[122:123], v[82:83]
	v_fma_f64 v[80:81], -v[90:91], v[124:125], v[80:81]
	;; [unrolled: 3-line block ×6, first 2 shown]
	ds_read2_b64 v[118:121], v114 offset0:31 offset1:32
	ds_read2_b64 v[122:125], v114 offset0:33 offset1:34
	s_waitcnt lgkmcnt(6)
	v_fma_f64 v[62:63], -v[90:91], v[142:143], v[62:63]
	v_fma_f64 v[60:61], -v[90:91], v[144:145], v[60:61]
	ds_read2_b64 v[126:129], v114 offset0:35 offset1:36
	ds_read2_b64 v[130:133], v114 offset0:37 offset1:38
	s_waitcnt lgkmcnt(7)
	v_fma_f64 v[58:59], -v[90:91], v[146:147], v[58:59]
	v_fma_f64 v[56:57], -v[90:91], v[148:149], v[56:57]
	;; [unrolled: 5-line block ×5, first 2 shown]
	s_waitcnt lgkmcnt(9)
	v_fma_f64 v[42:43], -v[90:91], v[118:119], v[42:43]
	v_fma_f64 v[40:41], -v[90:91], v[120:121], v[40:41]
	s_waitcnt lgkmcnt(8)
	v_fma_f64 v[38:39], -v[90:91], v[122:123], v[38:39]
	v_fma_f64 v[36:37], -v[90:91], v[124:125], v[36:37]
	;; [unrolled: 3-line block ×10, first 2 shown]
.LBB100_148:
	s_or_b32 exec_lo, exec_lo, s0
	v_lshl_add_u32 v0, v117, 3, v114
	s_barrier
	buffer_gl0_inv
	v_mov_b32_e32 v108, 9
	ds_write_b64 v0, v[84:85]
	s_waitcnt lgkmcnt(0)
	s_barrier
	buffer_gl0_inv
	ds_read_b64 v[0:1], v114 offset:72
	s_cmp_lt_i32 s7, 11
	s_cbranch_scc1 .LBB100_151
; %bb.149:
	v_add3_u32 v109, v115, 0, 0x50
	v_mov_b32_e32 v108, 9
	s_mov_b32 s0, 10
.LBB100_150:                            ; =>This Inner Loop Header: Depth=1
	ds_read_b64 v[118:119], v109
	v_add_nc_u32_e32 v109, 8, v109
	s_waitcnt lgkmcnt(0)
	v_cmp_lt_f64_e64 vcc_lo, |v[0:1]|, |v[118:119]|
	v_cndmask_b32_e32 v1, v1, v119, vcc_lo
	v_cndmask_b32_e32 v0, v0, v118, vcc_lo
	v_cndmask_b32_e64 v108, v108, s0, vcc_lo
	s_add_i32 s0, s0, 1
	s_cmp_lg_u32 s7, s0
	s_cbranch_scc1 .LBB100_150
.LBB100_151:
	s_mov_b32 s0, exec_lo
	s_waitcnt lgkmcnt(0)
	v_cmpx_eq_f64_e32 0, v[0:1]
	s_xor_b32 s0, exec_lo, s0
; %bb.152:
	v_cmp_ne_u32_e32 vcc_lo, 0, v111
	v_cndmask_b32_e32 v111, 10, v111, vcc_lo
; %bb.153:
	s_andn2_saveexec_b32 s0, s0
	s_cbranch_execz .LBB100_155
; %bb.154:
	v_div_scale_f64 v[109:110], null, v[0:1], v[0:1], 1.0
	v_rcp_f64_e32 v[118:119], v[109:110]
	v_fma_f64 v[120:121], -v[109:110], v[118:119], 1.0
	v_fma_f64 v[118:119], v[118:119], v[120:121], v[118:119]
	v_fma_f64 v[120:121], -v[109:110], v[118:119], 1.0
	v_fma_f64 v[118:119], v[118:119], v[120:121], v[118:119]
	v_div_scale_f64 v[120:121], vcc_lo, 1.0, v[0:1], 1.0
	v_mul_f64 v[122:123], v[120:121], v[118:119]
	v_fma_f64 v[109:110], -v[109:110], v[122:123], v[120:121]
	v_div_fmas_f64 v[109:110], v[109:110], v[118:119], v[122:123]
	v_div_fixup_f64 v[0:1], v[109:110], v[0:1], 1.0
.LBB100_155:
	s_or_b32 exec_lo, exec_lo, s0
	s_mov_b32 s0, exec_lo
	v_cmpx_ne_u32_e64 v117, v108
	s_xor_b32 s0, exec_lo, s0
	s_cbranch_execz .LBB100_161
; %bb.156:
	s_mov_b32 s1, exec_lo
	v_cmpx_eq_u32_e32 9, v117
	s_cbranch_execz .LBB100_160
; %bb.157:
	v_cmp_ne_u32_e32 vcc_lo, 9, v108
	s_xor_b32 s2, s6, -1
	s_and_b32 s3, s2, vcc_lo
	s_and_saveexec_b32 s2, s3
	s_cbranch_execz .LBB100_159
; %bb.158:
	v_ashrrev_i32_e32 v109, 31, v108
	v_lshlrev_b64 v[109:110], 2, v[108:109]
	v_add_co_u32 v109, vcc_lo, v4, v109
	v_add_co_ci_u32_e64 v110, null, v5, v110, vcc_lo
	s_clause 0x1
	global_load_dword v116, v[109:110], off
	global_load_dword v117, v[4:5], off offset:36
	s_waitcnt vmcnt(1)
	global_store_dword v[4:5], v116, off offset:36
	s_waitcnt vmcnt(0)
	global_store_dword v[109:110], v117, off
.LBB100_159:
	s_or_b32 exec_lo, exec_lo, s2
	v_mov_b32_e32 v116, v108
	v_mov_b32_e32 v117, v108
.LBB100_160:
	s_or_b32 exec_lo, exec_lo, s1
.LBB100_161:
	s_andn2_saveexec_b32 s0, s0
	s_cbranch_execz .LBB100_163
; %bb.162:
	v_mov_b32_e32 v108, v86
	v_mov_b32_e32 v109, v87
	;; [unrolled: 1-line block ×8, first 2 shown]
	ds_write2_b64 v114, v[108:109], v[117:118] offset0:10 offset1:11
	v_mov_b32_e32 v108, v78
	v_mov_b32_e32 v109, v79
	v_mov_b32_e32 v117, v76
	v_mov_b32_e32 v118, v77
	v_mov_b32_e32 v123, v72
	v_mov_b32_e32 v124, v73
	v_mov_b32_e32 v125, v68
	v_mov_b32_e32 v126, v69
	v_mov_b32_e32 v127, v70
	v_mov_b32_e32 v128, v71
	v_mov_b32_e32 v129, v64
	v_mov_b32_e32 v130, v65
	v_mov_b32_e32 v131, v66
	v_mov_b32_e32 v132, v67
	v_mov_b32_e32 v133, v62
	v_mov_b32_e32 v134, v63
	ds_write2_b64 v114, v[119:120], v[108:109] offset0:12 offset1:13
	ds_write2_b64 v114, v[117:118], v[121:122] offset0:14 offset1:15
	ds_write2_b64 v114, v[123:124], v[125:126] offset0:16 offset1:17
	ds_write2_b64 v114, v[127:128], v[129:130] offset0:18 offset1:19
	ds_write2_b64 v114, v[131:132], v[133:134] offset0:20 offset1:21
	v_mov_b32_e32 v108, v60
	v_mov_b32_e32 v109, v61
	v_mov_b32_e32 v117, v58
	v_mov_b32_e32 v118, v59
	v_mov_b32_e32 v119, v56
	v_mov_b32_e32 v120, v57
	v_mov_b32_e32 v121, v54
	v_mov_b32_e32 v122, v55
	v_mov_b32_e32 v123, v52
	v_mov_b32_e32 v124, v53
	v_mov_b32_e32 v125, v48
	v_mov_b32_e32 v126, v49
	v_mov_b32_e32 v127, v50
	v_mov_b32_e32 v128, v51
	v_mov_b32_e32 v129, v44
	v_mov_b32_e32 v130, v45
	v_mov_b32_e32 v131, v46
	v_mov_b32_e32 v132, v47
	v_mov_b32_e32 v133, v42
	v_mov_b32_e32 v134, v43
	ds_write2_b64 v114, v[108:109], v[117:118] offset0:22 offset1:23
	ds_write2_b64 v114, v[119:120], v[121:122] offset0:24 offset1:25
	ds_write2_b64 v114, v[123:124], v[125:126] offset0:26 offset1:27
	ds_write2_b64 v114, v[127:128], v[129:130] offset0:28 offset1:29
	ds_write2_b64 v114, v[131:132], v[133:134] offset0:30 offset1:31
	v_mov_b32_e32 v108, v40
	v_mov_b32_e32 v109, v41
	v_mov_b32_e32 v117, v38
	v_mov_b32_e32 v118, v39
	;; [unrolled: 25-line block ×3, first 2 shown]
	v_mov_b32_e32 v119, v16
	v_mov_b32_e32 v120, v17
	;; [unrolled: 1-line block ×4, first 2 shown]
	ds_write2_b64 v114, v[108:109], v[117:118] offset0:42 offset1:43
	v_mov_b32_e32 v117, 9
	v_mov_b32_e32 v123, v12
	;; [unrolled: 1-line block ×9, first 2 shown]
	ds_write2_b64 v114, v[119:120], v[121:122] offset0:44 offset1:45
	ds_write2_b64 v114, v[123:124], v[125:126] offset0:46 offset1:47
	;; [unrolled: 1-line block ×3, first 2 shown]
	ds_write_b64 v114, v[106:107] offset:400
.LBB100_163:
	s_or_b32 exec_lo, exec_lo, s0
	s_mov_b32 s0, exec_lo
	s_waitcnt lgkmcnt(0)
	s_waitcnt_vscnt null, 0x0
	s_barrier
	buffer_gl0_inv
	v_cmpx_lt_i32_e32 9, v117
	s_cbranch_execz .LBB100_165
; %bb.164:
	v_mul_f64 v[84:85], v[0:1], v[84:85]
	ds_read2_b64 v[118:121], v114 offset0:10 offset1:11
	ds_read2_b64 v[122:125], v114 offset0:12 offset1:13
	;; [unrolled: 1-line block ×11, first 2 shown]
	ds_read_b64 v[0:1], v114 offset:400
	s_waitcnt lgkmcnt(11)
	v_fma_f64 v[86:87], -v[84:85], v[118:119], v[86:87]
	v_fma_f64 v[82:83], -v[84:85], v[120:121], v[82:83]
	s_waitcnt lgkmcnt(10)
	v_fma_f64 v[80:81], -v[84:85], v[122:123], v[80:81]
	v_fma_f64 v[78:79], -v[84:85], v[124:125], v[78:79]
	;; [unrolled: 3-line block ×6, first 2 shown]
	ds_read2_b64 v[118:121], v114 offset0:32 offset1:33
	ds_read2_b64 v[122:125], v114 offset0:34 offset1:35
	s_waitcnt lgkmcnt(7)
	v_fma_f64 v[60:61], -v[84:85], v[142:143], v[60:61]
	v_fma_f64 v[58:59], -v[84:85], v[144:145], v[58:59]
	ds_read2_b64 v[126:129], v114 offset0:36 offset1:37
	ds_read2_b64 v[130:133], v114 offset0:38 offset1:39
	s_waitcnt lgkmcnt(8)
	v_fma_f64 v[56:57], -v[84:85], v[146:147], v[56:57]
	v_fma_f64 v[54:55], -v[84:85], v[148:149], v[54:55]
	;; [unrolled: 5-line block ×3, first 2 shown]
	ds_read2_b64 v[142:145], v114 offset0:44 offset1:45
	ds_read2_b64 v[146:149], v114 offset0:46 offset1:47
	;; [unrolled: 1-line block ×3, first 2 shown]
	s_waitcnt lgkmcnt(11)
	v_fma_f64 v[50:51], -v[84:85], v[154:155], v[50:51]
	v_fma_f64 v[44:45], -v[84:85], v[156:157], v[44:45]
	s_waitcnt lgkmcnt(10)
	v_fma_f64 v[46:47], -v[84:85], v[158:159], v[46:47]
	v_fma_f64 v[42:43], -v[84:85], v[160:161], v[42:43]
	s_waitcnt lgkmcnt(9)
	v_fma_f64 v[106:107], -v[84:85], v[0:1], v[106:107]
	s_waitcnt lgkmcnt(8)
	v_fma_f64 v[40:41], -v[84:85], v[118:119], v[40:41]
	v_fma_f64 v[38:39], -v[84:85], v[120:121], v[38:39]
	s_waitcnt lgkmcnt(7)
	v_fma_f64 v[36:37], -v[84:85], v[122:123], v[36:37]
	;; [unrolled: 3-line block ×9, first 2 shown]
	v_fma_f64 v[6:7], -v[84:85], v[152:153], v[6:7]
.LBB100_165:
	s_or_b32 exec_lo, exec_lo, s0
	v_lshl_add_u32 v0, v117, 3, v114
	s_barrier
	buffer_gl0_inv
	v_mov_b32_e32 v108, 10
	ds_write_b64 v0, v[86:87]
	s_waitcnt lgkmcnt(0)
	s_barrier
	buffer_gl0_inv
	ds_read_b64 v[0:1], v114 offset:80
	s_cmp_lt_i32 s7, 12
	s_cbranch_scc1 .LBB100_168
; %bb.166:
	v_add3_u32 v109, v115, 0, 0x58
	v_mov_b32_e32 v108, 10
	s_mov_b32 s0, 11
.LBB100_167:                            ; =>This Inner Loop Header: Depth=1
	ds_read_b64 v[118:119], v109
	v_add_nc_u32_e32 v109, 8, v109
	s_waitcnt lgkmcnt(0)
	v_cmp_lt_f64_e64 vcc_lo, |v[0:1]|, |v[118:119]|
	v_cndmask_b32_e32 v1, v1, v119, vcc_lo
	v_cndmask_b32_e32 v0, v0, v118, vcc_lo
	v_cndmask_b32_e64 v108, v108, s0, vcc_lo
	s_add_i32 s0, s0, 1
	s_cmp_lg_u32 s7, s0
	s_cbranch_scc1 .LBB100_167
.LBB100_168:
	s_mov_b32 s0, exec_lo
	s_waitcnt lgkmcnt(0)
	v_cmpx_eq_f64_e32 0, v[0:1]
	s_xor_b32 s0, exec_lo, s0
; %bb.169:
	v_cmp_ne_u32_e32 vcc_lo, 0, v111
	v_cndmask_b32_e32 v111, 11, v111, vcc_lo
; %bb.170:
	s_andn2_saveexec_b32 s0, s0
	s_cbranch_execz .LBB100_172
; %bb.171:
	v_div_scale_f64 v[109:110], null, v[0:1], v[0:1], 1.0
	v_rcp_f64_e32 v[118:119], v[109:110]
	v_fma_f64 v[120:121], -v[109:110], v[118:119], 1.0
	v_fma_f64 v[118:119], v[118:119], v[120:121], v[118:119]
	v_fma_f64 v[120:121], -v[109:110], v[118:119], 1.0
	v_fma_f64 v[118:119], v[118:119], v[120:121], v[118:119]
	v_div_scale_f64 v[120:121], vcc_lo, 1.0, v[0:1], 1.0
	v_mul_f64 v[122:123], v[120:121], v[118:119]
	v_fma_f64 v[109:110], -v[109:110], v[122:123], v[120:121]
	v_div_fmas_f64 v[109:110], v[109:110], v[118:119], v[122:123]
	v_div_fixup_f64 v[0:1], v[109:110], v[0:1], 1.0
.LBB100_172:
	s_or_b32 exec_lo, exec_lo, s0
	s_mov_b32 s0, exec_lo
	v_cmpx_ne_u32_e64 v117, v108
	s_xor_b32 s0, exec_lo, s0
	s_cbranch_execz .LBB100_178
; %bb.173:
	s_mov_b32 s1, exec_lo
	v_cmpx_eq_u32_e32 10, v117
	s_cbranch_execz .LBB100_177
; %bb.174:
	v_cmp_ne_u32_e32 vcc_lo, 10, v108
	s_xor_b32 s2, s6, -1
	s_and_b32 s3, s2, vcc_lo
	s_and_saveexec_b32 s2, s3
	s_cbranch_execz .LBB100_176
; %bb.175:
	v_ashrrev_i32_e32 v109, 31, v108
	v_lshlrev_b64 v[109:110], 2, v[108:109]
	v_add_co_u32 v109, vcc_lo, v4, v109
	v_add_co_ci_u32_e64 v110, null, v5, v110, vcc_lo
	s_clause 0x1
	global_load_dword v116, v[109:110], off
	global_load_dword v117, v[4:5], off offset:40
	s_waitcnt vmcnt(1)
	global_store_dword v[4:5], v116, off offset:40
	s_waitcnt vmcnt(0)
	global_store_dword v[109:110], v117, off
.LBB100_176:
	s_or_b32 exec_lo, exec_lo, s2
	v_mov_b32_e32 v116, v108
	v_mov_b32_e32 v117, v108
.LBB100_177:
	s_or_b32 exec_lo, exec_lo, s1
.LBB100_178:
	s_andn2_saveexec_b32 s0, s0
	s_cbranch_execz .LBB100_180
; %bb.179:
	v_mov_b32_e32 v117, 10
	ds_write2_b64 v114, v[82:83], v[80:81] offset0:11 offset1:12
	ds_write2_b64 v114, v[78:79], v[76:77] offset0:13 offset1:14
	;; [unrolled: 1-line block ×20, first 2 shown]
.LBB100_180:
	s_or_b32 exec_lo, exec_lo, s0
	s_mov_b32 s0, exec_lo
	s_waitcnt lgkmcnt(0)
	s_waitcnt_vscnt null, 0x0
	s_barrier
	buffer_gl0_inv
	v_cmpx_lt_i32_e32 10, v117
	s_cbranch_execz .LBB100_182
; %bb.181:
	v_mul_f64 v[86:87], v[0:1], v[86:87]
	ds_read2_b64 v[118:121], v114 offset0:11 offset1:12
	ds_read2_b64 v[122:125], v114 offset0:13 offset1:14
	ds_read2_b64 v[126:129], v114 offset0:15 offset1:16
	ds_read2_b64 v[130:133], v114 offset0:17 offset1:18
	ds_read2_b64 v[134:137], v114 offset0:19 offset1:20
	ds_read2_b64 v[138:141], v114 offset0:21 offset1:22
	ds_read2_b64 v[142:145], v114 offset0:23 offset1:24
	ds_read2_b64 v[146:149], v114 offset0:25 offset1:26
	ds_read2_b64 v[150:153], v114 offset0:27 offset1:28
	ds_read2_b64 v[154:157], v114 offset0:29 offset1:30
	ds_read2_b64 v[158:161], v114 offset0:31 offset1:32
	s_waitcnt lgkmcnt(10)
	v_fma_f64 v[82:83], -v[86:87], v[118:119], v[82:83]
	v_fma_f64 v[80:81], -v[86:87], v[120:121], v[80:81]
	s_waitcnt lgkmcnt(9)
	v_fma_f64 v[78:79], -v[86:87], v[122:123], v[78:79]
	v_fma_f64 v[76:77], -v[86:87], v[124:125], v[76:77]
	;; [unrolled: 3-line block ×5, first 2 shown]
	s_waitcnt lgkmcnt(5)
	v_fma_f64 v[62:63], -v[86:87], v[138:139], v[62:63]
	ds_read2_b64 v[118:121], v114 offset0:33 offset1:34
	ds_read2_b64 v[122:125], v114 offset0:35 offset1:36
	v_fma_f64 v[60:61], -v[86:87], v[140:141], v[60:61]
	s_waitcnt lgkmcnt(6)
	v_fma_f64 v[58:59], -v[86:87], v[142:143], v[58:59]
	ds_read2_b64 v[126:129], v114 offset0:37 offset1:38
	ds_read2_b64 v[130:133], v114 offset0:39 offset1:40
	v_fma_f64 v[56:57], -v[86:87], v[144:145], v[56:57]
	;; [unrolled: 5-line block ×4, first 2 shown]
	ds_read2_b64 v[150:153], v114 offset0:49 offset1:50
	s_waitcnt lgkmcnt(10)
	v_fma_f64 v[44:45], -v[86:87], v[154:155], v[44:45]
	v_fma_f64 v[46:47], -v[86:87], v[156:157], v[46:47]
	s_waitcnt lgkmcnt(9)
	v_fma_f64 v[42:43], -v[86:87], v[158:159], v[42:43]
	v_fma_f64 v[40:41], -v[86:87], v[160:161], v[40:41]
	;; [unrolled: 3-line block ×11, first 2 shown]
.LBB100_182:
	s_or_b32 exec_lo, exec_lo, s0
	v_lshl_add_u32 v0, v117, 3, v114
	s_barrier
	buffer_gl0_inv
	v_mov_b32_e32 v108, 11
	ds_write_b64 v0, v[82:83]
	s_waitcnt lgkmcnt(0)
	s_barrier
	buffer_gl0_inv
	ds_read_b64 v[0:1], v114 offset:88
	s_cmp_lt_i32 s7, 13
	s_cbranch_scc1 .LBB100_185
; %bb.183:
	v_add3_u32 v109, v115, 0, 0x60
	v_mov_b32_e32 v108, 11
	s_mov_b32 s0, 12
.LBB100_184:                            ; =>This Inner Loop Header: Depth=1
	ds_read_b64 v[118:119], v109
	v_add_nc_u32_e32 v109, 8, v109
	s_waitcnt lgkmcnt(0)
	v_cmp_lt_f64_e64 vcc_lo, |v[0:1]|, |v[118:119]|
	v_cndmask_b32_e32 v1, v1, v119, vcc_lo
	v_cndmask_b32_e32 v0, v0, v118, vcc_lo
	v_cndmask_b32_e64 v108, v108, s0, vcc_lo
	s_add_i32 s0, s0, 1
	s_cmp_lg_u32 s7, s0
	s_cbranch_scc1 .LBB100_184
.LBB100_185:
	s_mov_b32 s0, exec_lo
	s_waitcnt lgkmcnt(0)
	v_cmpx_eq_f64_e32 0, v[0:1]
	s_xor_b32 s0, exec_lo, s0
; %bb.186:
	v_cmp_ne_u32_e32 vcc_lo, 0, v111
	v_cndmask_b32_e32 v111, 12, v111, vcc_lo
; %bb.187:
	s_andn2_saveexec_b32 s0, s0
	s_cbranch_execz .LBB100_189
; %bb.188:
	v_div_scale_f64 v[109:110], null, v[0:1], v[0:1], 1.0
	v_rcp_f64_e32 v[118:119], v[109:110]
	v_fma_f64 v[120:121], -v[109:110], v[118:119], 1.0
	v_fma_f64 v[118:119], v[118:119], v[120:121], v[118:119]
	v_fma_f64 v[120:121], -v[109:110], v[118:119], 1.0
	v_fma_f64 v[118:119], v[118:119], v[120:121], v[118:119]
	v_div_scale_f64 v[120:121], vcc_lo, 1.0, v[0:1], 1.0
	v_mul_f64 v[122:123], v[120:121], v[118:119]
	v_fma_f64 v[109:110], -v[109:110], v[122:123], v[120:121]
	v_div_fmas_f64 v[109:110], v[109:110], v[118:119], v[122:123]
	v_div_fixup_f64 v[0:1], v[109:110], v[0:1], 1.0
.LBB100_189:
	s_or_b32 exec_lo, exec_lo, s0
	s_mov_b32 s0, exec_lo
	v_cmpx_ne_u32_e64 v117, v108
	s_xor_b32 s0, exec_lo, s0
	s_cbranch_execz .LBB100_195
; %bb.190:
	s_mov_b32 s1, exec_lo
	v_cmpx_eq_u32_e32 11, v117
	s_cbranch_execz .LBB100_194
; %bb.191:
	v_cmp_ne_u32_e32 vcc_lo, 11, v108
	s_xor_b32 s2, s6, -1
	s_and_b32 s3, s2, vcc_lo
	s_and_saveexec_b32 s2, s3
	s_cbranch_execz .LBB100_193
; %bb.192:
	v_ashrrev_i32_e32 v109, 31, v108
	v_lshlrev_b64 v[109:110], 2, v[108:109]
	v_add_co_u32 v109, vcc_lo, v4, v109
	v_add_co_ci_u32_e64 v110, null, v5, v110, vcc_lo
	s_clause 0x1
	global_load_dword v116, v[109:110], off
	global_load_dword v117, v[4:5], off offset:44
	s_waitcnt vmcnt(1)
	global_store_dword v[4:5], v116, off offset:44
	s_waitcnt vmcnt(0)
	global_store_dword v[109:110], v117, off
.LBB100_193:
	s_or_b32 exec_lo, exec_lo, s2
	v_mov_b32_e32 v116, v108
	v_mov_b32_e32 v117, v108
.LBB100_194:
	s_or_b32 exec_lo, exec_lo, s1
.LBB100_195:
	s_andn2_saveexec_b32 s0, s0
	s_cbranch_execz .LBB100_197
; %bb.196:
	v_mov_b32_e32 v108, v80
	v_mov_b32_e32 v109, v81
	v_mov_b32_e32 v117, v78
	v_mov_b32_e32 v118, v79
	v_mov_b32_e32 v119, v76
	v_mov_b32_e32 v120, v77
	v_mov_b32_e32 v121, v74
	v_mov_b32_e32 v122, v75
	v_mov_b32_e32 v123, v72
	v_mov_b32_e32 v124, v73
	v_mov_b32_e32 v125, v68
	v_mov_b32_e32 v126, v69
	v_mov_b32_e32 v127, v70
	v_mov_b32_e32 v128, v71
	v_mov_b32_e32 v129, v64
	v_mov_b32_e32 v130, v65
	v_mov_b32_e32 v131, v66
	v_mov_b32_e32 v132, v67
	v_mov_b32_e32 v133, v62
	v_mov_b32_e32 v134, v63
	ds_write2_b64 v114, v[108:109], v[117:118] offset0:12 offset1:13
	ds_write2_b64 v114, v[119:120], v[121:122] offset0:14 offset1:15
	ds_write2_b64 v114, v[123:124], v[125:126] offset0:16 offset1:17
	ds_write2_b64 v114, v[127:128], v[129:130] offset0:18 offset1:19
	ds_write2_b64 v114, v[131:132], v[133:134] offset0:20 offset1:21
	v_mov_b32_e32 v108, v60
	v_mov_b32_e32 v109, v61
	v_mov_b32_e32 v117, v58
	v_mov_b32_e32 v118, v59
	v_mov_b32_e32 v119, v56
	v_mov_b32_e32 v120, v57
	v_mov_b32_e32 v121, v54
	v_mov_b32_e32 v122, v55
	v_mov_b32_e32 v123, v52
	v_mov_b32_e32 v124, v53
	v_mov_b32_e32 v125, v48
	v_mov_b32_e32 v126, v49
	v_mov_b32_e32 v127, v50
	v_mov_b32_e32 v128, v51
	v_mov_b32_e32 v129, v44
	v_mov_b32_e32 v130, v45
	v_mov_b32_e32 v131, v46
	v_mov_b32_e32 v132, v47
	v_mov_b32_e32 v133, v42
	v_mov_b32_e32 v134, v43
	ds_write2_b64 v114, v[108:109], v[117:118] offset0:22 offset1:23
	ds_write2_b64 v114, v[119:120], v[121:122] offset0:24 offset1:25
	ds_write2_b64 v114, v[123:124], v[125:126] offset0:26 offset1:27
	ds_write2_b64 v114, v[127:128], v[129:130] offset0:28 offset1:29
	ds_write2_b64 v114, v[131:132], v[133:134] offset0:30 offset1:31
	;; [unrolled: 25-line block ×3, first 2 shown]
	v_mov_b32_e32 v108, v20
	v_mov_b32_e32 v109, v21
	;; [unrolled: 1-line block ×8, first 2 shown]
	ds_write2_b64 v114, v[108:109], v[117:118] offset0:42 offset1:43
	v_mov_b32_e32 v117, 11
	v_mov_b32_e32 v123, v12
	;; [unrolled: 1-line block ×9, first 2 shown]
	ds_write2_b64 v114, v[119:120], v[121:122] offset0:44 offset1:45
	ds_write2_b64 v114, v[123:124], v[125:126] offset0:46 offset1:47
	ds_write2_b64 v114, v[127:128], v[129:130] offset0:48 offset1:49
	ds_write_b64 v114, v[106:107] offset:400
.LBB100_197:
	s_or_b32 exec_lo, exec_lo, s0
	s_mov_b32 s0, exec_lo
	s_waitcnt lgkmcnt(0)
	s_waitcnt_vscnt null, 0x0
	s_barrier
	buffer_gl0_inv
	v_cmpx_lt_i32_e32 11, v117
	s_cbranch_execz .LBB100_199
; %bb.198:
	v_mul_f64 v[82:83], v[0:1], v[82:83]
	ds_read2_b64 v[118:121], v114 offset0:12 offset1:13
	ds_read2_b64 v[122:125], v114 offset0:14 offset1:15
	;; [unrolled: 1-line block ×11, first 2 shown]
	ds_read_b64 v[0:1], v114 offset:400
	s_waitcnt lgkmcnt(11)
	v_fma_f64 v[80:81], -v[82:83], v[118:119], v[80:81]
	v_fma_f64 v[78:79], -v[82:83], v[120:121], v[78:79]
	s_waitcnt lgkmcnt(10)
	v_fma_f64 v[76:77], -v[82:83], v[122:123], v[76:77]
	v_fma_f64 v[74:75], -v[82:83], v[124:125], v[74:75]
	;; [unrolled: 3-line block ×5, first 2 shown]
	s_waitcnt lgkmcnt(6)
	v_fma_f64 v[60:61], -v[82:83], v[138:139], v[60:61]
	ds_read2_b64 v[118:121], v114 offset0:34 offset1:35
	ds_read2_b64 v[122:125], v114 offset0:36 offset1:37
	v_fma_f64 v[58:59], -v[82:83], v[140:141], v[58:59]
	s_waitcnt lgkmcnt(7)
	v_fma_f64 v[56:57], -v[82:83], v[142:143], v[56:57]
	ds_read2_b64 v[126:129], v114 offset0:38 offset1:39
	ds_read2_b64 v[130:133], v114 offset0:40 offset1:41
	v_fma_f64 v[54:55], -v[82:83], v[144:145], v[54:55]
	;; [unrolled: 5-line block ×3, first 2 shown]
	ds_read2_b64 v[142:145], v114 offset0:46 offset1:47
	ds_read2_b64 v[146:149], v114 offset0:48 offset1:49
	s_waitcnt lgkmcnt(11)
	v_fma_f64 v[50:51], -v[82:83], v[150:151], v[50:51]
	v_fma_f64 v[44:45], -v[82:83], v[152:153], v[44:45]
	s_waitcnt lgkmcnt(10)
	v_fma_f64 v[46:47], -v[82:83], v[154:155], v[46:47]
	v_fma_f64 v[42:43], -v[82:83], v[156:157], v[42:43]
	;; [unrolled: 3-line block ×3, first 2 shown]
	s_waitcnt lgkmcnt(8)
	v_fma_f64 v[106:107], -v[82:83], v[0:1], v[106:107]
	s_waitcnt lgkmcnt(7)
	v_fma_f64 v[36:37], -v[82:83], v[118:119], v[36:37]
	v_fma_f64 v[34:35], -v[82:83], v[120:121], v[34:35]
	s_waitcnt lgkmcnt(6)
	v_fma_f64 v[32:33], -v[82:83], v[122:123], v[32:33]
	;; [unrolled: 3-line block ×8, first 2 shown]
	v_fma_f64 v[6:7], -v[82:83], v[148:149], v[6:7]
.LBB100_199:
	s_or_b32 exec_lo, exec_lo, s0
	v_lshl_add_u32 v0, v117, 3, v114
	s_barrier
	buffer_gl0_inv
	v_mov_b32_e32 v108, 12
	ds_write_b64 v0, v[80:81]
	s_waitcnt lgkmcnt(0)
	s_barrier
	buffer_gl0_inv
	ds_read_b64 v[0:1], v114 offset:96
	s_cmp_lt_i32 s7, 14
	s_cbranch_scc1 .LBB100_202
; %bb.200:
	v_add3_u32 v109, v115, 0, 0x68
	v_mov_b32_e32 v108, 12
	s_mov_b32 s0, 13
.LBB100_201:                            ; =>This Inner Loop Header: Depth=1
	ds_read_b64 v[118:119], v109
	v_add_nc_u32_e32 v109, 8, v109
	s_waitcnt lgkmcnt(0)
	v_cmp_lt_f64_e64 vcc_lo, |v[0:1]|, |v[118:119]|
	v_cndmask_b32_e32 v1, v1, v119, vcc_lo
	v_cndmask_b32_e32 v0, v0, v118, vcc_lo
	v_cndmask_b32_e64 v108, v108, s0, vcc_lo
	s_add_i32 s0, s0, 1
	s_cmp_lg_u32 s7, s0
	s_cbranch_scc1 .LBB100_201
.LBB100_202:
	s_mov_b32 s0, exec_lo
	s_waitcnt lgkmcnt(0)
	v_cmpx_eq_f64_e32 0, v[0:1]
	s_xor_b32 s0, exec_lo, s0
; %bb.203:
	v_cmp_ne_u32_e32 vcc_lo, 0, v111
	v_cndmask_b32_e32 v111, 13, v111, vcc_lo
; %bb.204:
	s_andn2_saveexec_b32 s0, s0
	s_cbranch_execz .LBB100_206
; %bb.205:
	v_div_scale_f64 v[109:110], null, v[0:1], v[0:1], 1.0
	v_rcp_f64_e32 v[118:119], v[109:110]
	v_fma_f64 v[120:121], -v[109:110], v[118:119], 1.0
	v_fma_f64 v[118:119], v[118:119], v[120:121], v[118:119]
	v_fma_f64 v[120:121], -v[109:110], v[118:119], 1.0
	v_fma_f64 v[118:119], v[118:119], v[120:121], v[118:119]
	v_div_scale_f64 v[120:121], vcc_lo, 1.0, v[0:1], 1.0
	v_mul_f64 v[122:123], v[120:121], v[118:119]
	v_fma_f64 v[109:110], -v[109:110], v[122:123], v[120:121]
	v_div_fmas_f64 v[109:110], v[109:110], v[118:119], v[122:123]
	v_div_fixup_f64 v[0:1], v[109:110], v[0:1], 1.0
.LBB100_206:
	s_or_b32 exec_lo, exec_lo, s0
	s_mov_b32 s0, exec_lo
	v_cmpx_ne_u32_e64 v117, v108
	s_xor_b32 s0, exec_lo, s0
	s_cbranch_execz .LBB100_212
; %bb.207:
	s_mov_b32 s1, exec_lo
	v_cmpx_eq_u32_e32 12, v117
	s_cbranch_execz .LBB100_211
; %bb.208:
	v_cmp_ne_u32_e32 vcc_lo, 12, v108
	s_xor_b32 s2, s6, -1
	s_and_b32 s3, s2, vcc_lo
	s_and_saveexec_b32 s2, s3
	s_cbranch_execz .LBB100_210
; %bb.209:
	v_ashrrev_i32_e32 v109, 31, v108
	v_lshlrev_b64 v[109:110], 2, v[108:109]
	v_add_co_u32 v109, vcc_lo, v4, v109
	v_add_co_ci_u32_e64 v110, null, v5, v110, vcc_lo
	s_clause 0x1
	global_load_dword v116, v[109:110], off
	global_load_dword v117, v[4:5], off offset:48
	s_waitcnt vmcnt(1)
	global_store_dword v[4:5], v116, off offset:48
	s_waitcnt vmcnt(0)
	global_store_dword v[109:110], v117, off
.LBB100_210:
	s_or_b32 exec_lo, exec_lo, s2
	v_mov_b32_e32 v116, v108
	v_mov_b32_e32 v117, v108
.LBB100_211:
	s_or_b32 exec_lo, exec_lo, s1
.LBB100_212:
	s_andn2_saveexec_b32 s0, s0
	s_cbranch_execz .LBB100_214
; %bb.213:
	v_mov_b32_e32 v117, 12
	ds_write2_b64 v114, v[78:79], v[76:77] offset0:13 offset1:14
	ds_write2_b64 v114, v[74:75], v[72:73] offset0:15 offset1:16
	;; [unrolled: 1-line block ×19, first 2 shown]
.LBB100_214:
	s_or_b32 exec_lo, exec_lo, s0
	s_mov_b32 s0, exec_lo
	s_waitcnt lgkmcnt(0)
	s_waitcnt_vscnt null, 0x0
	s_barrier
	buffer_gl0_inv
	v_cmpx_lt_i32_e32 12, v117
	s_cbranch_execz .LBB100_216
; %bb.215:
	v_mul_f64 v[80:81], v[0:1], v[80:81]
	ds_read2_b64 v[118:121], v114 offset0:13 offset1:14
	ds_read2_b64 v[122:125], v114 offset0:15 offset1:16
	;; [unrolled: 1-line block ×12, first 2 shown]
	s_waitcnt lgkmcnt(11)
	v_fma_f64 v[78:79], -v[80:81], v[118:119], v[78:79]
	v_fma_f64 v[76:77], -v[80:81], v[120:121], v[76:77]
	s_waitcnt lgkmcnt(10)
	v_fma_f64 v[74:75], -v[80:81], v[122:123], v[74:75]
	v_fma_f64 v[72:73], -v[80:81], v[124:125], v[72:73]
	;; [unrolled: 3-line block ×5, first 2 shown]
	s_waitcnt lgkmcnt(6)
	v_fma_f64 v[58:59], -v[80:81], v[138:139], v[58:59]
	ds_read2_b64 v[118:121], v114 offset0:37 offset1:38
	ds_read2_b64 v[122:125], v114 offset0:39 offset1:40
	v_fma_f64 v[56:57], -v[80:81], v[140:141], v[56:57]
	s_waitcnt lgkmcnt(7)
	v_fma_f64 v[54:55], -v[80:81], v[142:143], v[54:55]
	ds_read2_b64 v[126:129], v114 offset0:41 offset1:42
	ds_read2_b64 v[130:133], v114 offset0:43 offset1:44
	v_fma_f64 v[52:53], -v[80:81], v[144:145], v[52:53]
	ds_read2_b64 v[134:137], v114 offset0:45 offset1:46
	ds_read2_b64 v[138:141], v114 offset0:47 offset1:48
	ds_read2_b64 v[142:145], v114 offset0:49 offset1:50
	s_waitcnt lgkmcnt(11)
	v_fma_f64 v[48:49], -v[80:81], v[146:147], v[48:49]
	v_fma_f64 v[50:51], -v[80:81], v[148:149], v[50:51]
	s_waitcnt lgkmcnt(10)
	v_fma_f64 v[44:45], -v[80:81], v[150:151], v[44:45]
	v_fma_f64 v[46:47], -v[80:81], v[152:153], v[46:47]
	;; [unrolled: 3-line block ×12, first 2 shown]
.LBB100_216:
	s_or_b32 exec_lo, exec_lo, s0
	v_lshl_add_u32 v0, v117, 3, v114
	s_barrier
	buffer_gl0_inv
	v_mov_b32_e32 v108, 13
	ds_write_b64 v0, v[78:79]
	s_waitcnt lgkmcnt(0)
	s_barrier
	buffer_gl0_inv
	ds_read_b64 v[0:1], v114 offset:104
	s_cmp_lt_i32 s7, 15
	s_cbranch_scc1 .LBB100_219
; %bb.217:
	v_add3_u32 v109, v115, 0, 0x70
	v_mov_b32_e32 v108, 13
	s_mov_b32 s0, 14
.LBB100_218:                            ; =>This Inner Loop Header: Depth=1
	ds_read_b64 v[118:119], v109
	v_add_nc_u32_e32 v109, 8, v109
	s_waitcnt lgkmcnt(0)
	v_cmp_lt_f64_e64 vcc_lo, |v[0:1]|, |v[118:119]|
	v_cndmask_b32_e32 v1, v1, v119, vcc_lo
	v_cndmask_b32_e32 v0, v0, v118, vcc_lo
	v_cndmask_b32_e64 v108, v108, s0, vcc_lo
	s_add_i32 s0, s0, 1
	s_cmp_lg_u32 s7, s0
	s_cbranch_scc1 .LBB100_218
.LBB100_219:
	s_mov_b32 s0, exec_lo
	s_waitcnt lgkmcnt(0)
	v_cmpx_eq_f64_e32 0, v[0:1]
	s_xor_b32 s0, exec_lo, s0
; %bb.220:
	v_cmp_ne_u32_e32 vcc_lo, 0, v111
	v_cndmask_b32_e32 v111, 14, v111, vcc_lo
; %bb.221:
	s_andn2_saveexec_b32 s0, s0
	s_cbranch_execz .LBB100_223
; %bb.222:
	v_div_scale_f64 v[109:110], null, v[0:1], v[0:1], 1.0
	v_rcp_f64_e32 v[118:119], v[109:110]
	v_fma_f64 v[120:121], -v[109:110], v[118:119], 1.0
	v_fma_f64 v[118:119], v[118:119], v[120:121], v[118:119]
	v_fma_f64 v[120:121], -v[109:110], v[118:119], 1.0
	v_fma_f64 v[118:119], v[118:119], v[120:121], v[118:119]
	v_div_scale_f64 v[120:121], vcc_lo, 1.0, v[0:1], 1.0
	v_mul_f64 v[122:123], v[120:121], v[118:119]
	v_fma_f64 v[109:110], -v[109:110], v[122:123], v[120:121]
	v_div_fmas_f64 v[109:110], v[109:110], v[118:119], v[122:123]
	v_div_fixup_f64 v[0:1], v[109:110], v[0:1], 1.0
.LBB100_223:
	s_or_b32 exec_lo, exec_lo, s0
	s_mov_b32 s0, exec_lo
	v_cmpx_ne_u32_e64 v117, v108
	s_xor_b32 s0, exec_lo, s0
	s_cbranch_execz .LBB100_229
; %bb.224:
	s_mov_b32 s1, exec_lo
	v_cmpx_eq_u32_e32 13, v117
	s_cbranch_execz .LBB100_228
; %bb.225:
	v_cmp_ne_u32_e32 vcc_lo, 13, v108
	s_xor_b32 s2, s6, -1
	s_and_b32 s3, s2, vcc_lo
	s_and_saveexec_b32 s2, s3
	s_cbranch_execz .LBB100_227
; %bb.226:
	v_ashrrev_i32_e32 v109, 31, v108
	v_lshlrev_b64 v[109:110], 2, v[108:109]
	v_add_co_u32 v109, vcc_lo, v4, v109
	v_add_co_ci_u32_e64 v110, null, v5, v110, vcc_lo
	s_clause 0x1
	global_load_dword v116, v[109:110], off
	global_load_dword v117, v[4:5], off offset:52
	s_waitcnt vmcnt(1)
	global_store_dword v[4:5], v116, off offset:52
	s_waitcnt vmcnt(0)
	global_store_dword v[109:110], v117, off
.LBB100_227:
	s_or_b32 exec_lo, exec_lo, s2
	v_mov_b32_e32 v116, v108
	v_mov_b32_e32 v117, v108
.LBB100_228:
	s_or_b32 exec_lo, exec_lo, s1
.LBB100_229:
	s_andn2_saveexec_b32 s0, s0
	s_cbranch_execz .LBB100_231
; %bb.230:
	v_mov_b32_e32 v108, v76
	v_mov_b32_e32 v109, v77
	;; [unrolled: 1-line block ×16, first 2 shown]
	ds_write2_b64 v114, v[108:109], v[117:118] offset0:14 offset1:15
	ds_write2_b64 v114, v[119:120], v[121:122] offset0:16 offset1:17
	;; [unrolled: 1-line block ×4, first 2 shown]
	v_mov_b32_e32 v108, v60
	v_mov_b32_e32 v109, v61
	;; [unrolled: 1-line block ×20, first 2 shown]
	ds_write2_b64 v114, v[108:109], v[117:118] offset0:22 offset1:23
	ds_write2_b64 v114, v[119:120], v[121:122] offset0:24 offset1:25
	;; [unrolled: 1-line block ×5, first 2 shown]
	v_mov_b32_e32 v108, v40
	v_mov_b32_e32 v109, v41
	;; [unrolled: 1-line block ×20, first 2 shown]
	ds_write2_b64 v114, v[108:109], v[117:118] offset0:32 offset1:33
	ds_write2_b64 v114, v[119:120], v[121:122] offset0:34 offset1:35
	;; [unrolled: 1-line block ×5, first 2 shown]
	v_mov_b32_e32 v108, v20
	v_mov_b32_e32 v109, v21
	;; [unrolled: 1-line block ×8, first 2 shown]
	ds_write2_b64 v114, v[108:109], v[117:118] offset0:42 offset1:43
	v_mov_b32_e32 v117, 13
	v_mov_b32_e32 v123, v12
	;; [unrolled: 1-line block ×9, first 2 shown]
	ds_write2_b64 v114, v[119:120], v[121:122] offset0:44 offset1:45
	ds_write2_b64 v114, v[123:124], v[125:126] offset0:46 offset1:47
	;; [unrolled: 1-line block ×3, first 2 shown]
	ds_write_b64 v114, v[106:107] offset:400
.LBB100_231:
	s_or_b32 exec_lo, exec_lo, s0
	s_mov_b32 s0, exec_lo
	s_waitcnt lgkmcnt(0)
	s_waitcnt_vscnt null, 0x0
	s_barrier
	buffer_gl0_inv
	v_cmpx_lt_i32_e32 13, v117
	s_cbranch_execz .LBB100_233
; %bb.232:
	v_mul_f64 v[78:79], v[0:1], v[78:79]
	ds_read2_b64 v[118:121], v114 offset0:14 offset1:15
	ds_read2_b64 v[122:125], v114 offset0:16 offset1:17
	;; [unrolled: 1-line block ×12, first 2 shown]
	ds_read_b64 v[0:1], v114 offset:400
	s_waitcnt lgkmcnt(12)
	v_fma_f64 v[76:77], -v[78:79], v[118:119], v[76:77]
	v_fma_f64 v[74:75], -v[78:79], v[120:121], v[74:75]
	s_waitcnt lgkmcnt(11)
	v_fma_f64 v[72:73], -v[78:79], v[122:123], v[72:73]
	v_fma_f64 v[68:69], -v[78:79], v[124:125], v[68:69]
	;; [unrolled: 3-line block ×5, first 2 shown]
	s_waitcnt lgkmcnt(7)
	v_fma_f64 v[56:57], -v[78:79], v[138:139], v[56:57]
	ds_read2_b64 v[118:121], v114 offset0:38 offset1:39
	ds_read2_b64 v[122:125], v114 offset0:40 offset1:41
	v_fma_f64 v[54:55], -v[78:79], v[140:141], v[54:55]
	ds_read2_b64 v[126:129], v114 offset0:42 offset1:43
	ds_read2_b64 v[130:133], v114 offset0:44 offset1:45
	;; [unrolled: 1-line block ×4, first 2 shown]
	s_waitcnt lgkmcnt(12)
	v_fma_f64 v[52:53], -v[78:79], v[142:143], v[52:53]
	v_fma_f64 v[48:49], -v[78:79], v[144:145], v[48:49]
	s_waitcnt lgkmcnt(11)
	v_fma_f64 v[50:51], -v[78:79], v[146:147], v[50:51]
	v_fma_f64 v[44:45], -v[78:79], v[148:149], v[44:45]
	;; [unrolled: 3-line block ×6, first 2 shown]
	s_waitcnt lgkmcnt(6)
	v_fma_f64 v[106:107], -v[78:79], v[0:1], v[106:107]
	s_waitcnt lgkmcnt(5)
	v_fma_f64 v[30:31], -v[78:79], v[118:119], v[30:31]
	v_fma_f64 v[24:25], -v[78:79], v[120:121], v[24:25]
	s_waitcnt lgkmcnt(4)
	v_fma_f64 v[26:27], -v[78:79], v[122:123], v[26:27]
	;; [unrolled: 3-line block ×6, first 2 shown]
	v_fma_f64 v[6:7], -v[78:79], v[140:141], v[6:7]
.LBB100_233:
	s_or_b32 exec_lo, exec_lo, s0
	v_lshl_add_u32 v0, v117, 3, v114
	s_barrier
	buffer_gl0_inv
	v_mov_b32_e32 v108, 14
	ds_write_b64 v0, v[76:77]
	s_waitcnt lgkmcnt(0)
	s_barrier
	buffer_gl0_inv
	ds_read_b64 v[0:1], v114 offset:112
	s_cmp_lt_i32 s7, 16
	s_cbranch_scc1 .LBB100_236
; %bb.234:
	v_add3_u32 v109, v115, 0, 0x78
	v_mov_b32_e32 v108, 14
	s_mov_b32 s0, 15
.LBB100_235:                            ; =>This Inner Loop Header: Depth=1
	ds_read_b64 v[118:119], v109
	v_add_nc_u32_e32 v109, 8, v109
	s_waitcnt lgkmcnt(0)
	v_cmp_lt_f64_e64 vcc_lo, |v[0:1]|, |v[118:119]|
	v_cndmask_b32_e32 v1, v1, v119, vcc_lo
	v_cndmask_b32_e32 v0, v0, v118, vcc_lo
	v_cndmask_b32_e64 v108, v108, s0, vcc_lo
	s_add_i32 s0, s0, 1
	s_cmp_lg_u32 s7, s0
	s_cbranch_scc1 .LBB100_235
.LBB100_236:
	s_mov_b32 s0, exec_lo
	s_waitcnt lgkmcnt(0)
	v_cmpx_eq_f64_e32 0, v[0:1]
	s_xor_b32 s0, exec_lo, s0
; %bb.237:
	v_cmp_ne_u32_e32 vcc_lo, 0, v111
	v_cndmask_b32_e32 v111, 15, v111, vcc_lo
; %bb.238:
	s_andn2_saveexec_b32 s0, s0
	s_cbranch_execz .LBB100_240
; %bb.239:
	v_div_scale_f64 v[109:110], null, v[0:1], v[0:1], 1.0
	v_rcp_f64_e32 v[118:119], v[109:110]
	v_fma_f64 v[120:121], -v[109:110], v[118:119], 1.0
	v_fma_f64 v[118:119], v[118:119], v[120:121], v[118:119]
	v_fma_f64 v[120:121], -v[109:110], v[118:119], 1.0
	v_fma_f64 v[118:119], v[118:119], v[120:121], v[118:119]
	v_div_scale_f64 v[120:121], vcc_lo, 1.0, v[0:1], 1.0
	v_mul_f64 v[122:123], v[120:121], v[118:119]
	v_fma_f64 v[109:110], -v[109:110], v[122:123], v[120:121]
	v_div_fmas_f64 v[109:110], v[109:110], v[118:119], v[122:123]
	v_div_fixup_f64 v[0:1], v[109:110], v[0:1], 1.0
.LBB100_240:
	s_or_b32 exec_lo, exec_lo, s0
	s_mov_b32 s0, exec_lo
	v_cmpx_ne_u32_e64 v117, v108
	s_xor_b32 s0, exec_lo, s0
	s_cbranch_execz .LBB100_246
; %bb.241:
	s_mov_b32 s1, exec_lo
	v_cmpx_eq_u32_e32 14, v117
	s_cbranch_execz .LBB100_245
; %bb.242:
	v_cmp_ne_u32_e32 vcc_lo, 14, v108
	s_xor_b32 s2, s6, -1
	s_and_b32 s3, s2, vcc_lo
	s_and_saveexec_b32 s2, s3
	s_cbranch_execz .LBB100_244
; %bb.243:
	v_ashrrev_i32_e32 v109, 31, v108
	v_lshlrev_b64 v[109:110], 2, v[108:109]
	v_add_co_u32 v109, vcc_lo, v4, v109
	v_add_co_ci_u32_e64 v110, null, v5, v110, vcc_lo
	s_clause 0x1
	global_load_dword v116, v[109:110], off
	global_load_dword v117, v[4:5], off offset:56
	s_waitcnt vmcnt(1)
	global_store_dword v[4:5], v116, off offset:56
	s_waitcnt vmcnt(0)
	global_store_dword v[109:110], v117, off
.LBB100_244:
	s_or_b32 exec_lo, exec_lo, s2
	v_mov_b32_e32 v116, v108
	v_mov_b32_e32 v117, v108
.LBB100_245:
	s_or_b32 exec_lo, exec_lo, s1
.LBB100_246:
	s_andn2_saveexec_b32 s0, s0
	s_cbranch_execz .LBB100_248
; %bb.247:
	v_mov_b32_e32 v117, 14
	ds_write2_b64 v114, v[74:75], v[72:73] offset0:15 offset1:16
	ds_write2_b64 v114, v[68:69], v[70:71] offset0:17 offset1:18
	;; [unrolled: 1-line block ×18, first 2 shown]
.LBB100_248:
	s_or_b32 exec_lo, exec_lo, s0
	s_mov_b32 s0, exec_lo
	s_waitcnt lgkmcnt(0)
	s_waitcnt_vscnt null, 0x0
	s_barrier
	buffer_gl0_inv
	v_cmpx_lt_i32_e32 14, v117
	s_cbranch_execz .LBB100_250
; %bb.249:
	v_mul_f64 v[76:77], v[0:1], v[76:77]
	ds_read2_b64 v[118:121], v114 offset0:15 offset1:16
	ds_read2_b64 v[122:125], v114 offset0:17 offset1:18
	;; [unrolled: 1-line block ×12, first 2 shown]
	s_waitcnt lgkmcnt(11)
	v_fma_f64 v[74:75], -v[76:77], v[118:119], v[74:75]
	v_fma_f64 v[72:73], -v[76:77], v[120:121], v[72:73]
	s_waitcnt lgkmcnt(10)
	v_fma_f64 v[68:69], -v[76:77], v[122:123], v[68:69]
	v_fma_f64 v[70:71], -v[76:77], v[124:125], v[70:71]
	;; [unrolled: 3-line block ×5, first 2 shown]
	ds_read2_b64 v[118:121], v114 offset0:39 offset1:40
	ds_read2_b64 v[122:125], v114 offset0:41 offset1:42
	s_waitcnt lgkmcnt(8)
	v_fma_f64 v[54:55], -v[76:77], v[138:139], v[54:55]
	v_fma_f64 v[52:53], -v[76:77], v[140:141], v[52:53]
	ds_read2_b64 v[126:129], v114 offset0:43 offset1:44
	ds_read2_b64 v[130:133], v114 offset0:45 offset1:46
	;; [unrolled: 1-line block ×4, first 2 shown]
	s_waitcnt lgkmcnt(11)
	v_fma_f64 v[48:49], -v[76:77], v[142:143], v[48:49]
	v_fma_f64 v[50:51], -v[76:77], v[144:145], v[50:51]
	s_waitcnt lgkmcnt(10)
	v_fma_f64 v[44:45], -v[76:77], v[146:147], v[44:45]
	v_fma_f64 v[46:47], -v[76:77], v[148:149], v[46:47]
	;; [unrolled: 3-line block ×12, first 2 shown]
.LBB100_250:
	s_or_b32 exec_lo, exec_lo, s0
	v_lshl_add_u32 v0, v117, 3, v114
	s_barrier
	buffer_gl0_inv
	v_mov_b32_e32 v108, 15
	ds_write_b64 v0, v[74:75]
	s_waitcnt lgkmcnt(0)
	s_barrier
	buffer_gl0_inv
	ds_read_b64 v[0:1], v114 offset:120
	s_cmp_lt_i32 s7, 17
	s_cbranch_scc1 .LBB100_253
; %bb.251:
	v_add3_u32 v109, v115, 0, 0x80
	v_mov_b32_e32 v108, 15
	s_mov_b32 s0, 16
.LBB100_252:                            ; =>This Inner Loop Header: Depth=1
	ds_read_b64 v[118:119], v109
	v_add_nc_u32_e32 v109, 8, v109
	s_waitcnt lgkmcnt(0)
	v_cmp_lt_f64_e64 vcc_lo, |v[0:1]|, |v[118:119]|
	v_cndmask_b32_e32 v1, v1, v119, vcc_lo
	v_cndmask_b32_e32 v0, v0, v118, vcc_lo
	v_cndmask_b32_e64 v108, v108, s0, vcc_lo
	s_add_i32 s0, s0, 1
	s_cmp_lg_u32 s7, s0
	s_cbranch_scc1 .LBB100_252
.LBB100_253:
	s_mov_b32 s0, exec_lo
	s_waitcnt lgkmcnt(0)
	v_cmpx_eq_f64_e32 0, v[0:1]
	s_xor_b32 s0, exec_lo, s0
; %bb.254:
	v_cmp_ne_u32_e32 vcc_lo, 0, v111
	v_cndmask_b32_e32 v111, 16, v111, vcc_lo
; %bb.255:
	s_andn2_saveexec_b32 s0, s0
	s_cbranch_execz .LBB100_257
; %bb.256:
	v_div_scale_f64 v[109:110], null, v[0:1], v[0:1], 1.0
	v_rcp_f64_e32 v[118:119], v[109:110]
	v_fma_f64 v[120:121], -v[109:110], v[118:119], 1.0
	v_fma_f64 v[118:119], v[118:119], v[120:121], v[118:119]
	v_fma_f64 v[120:121], -v[109:110], v[118:119], 1.0
	v_fma_f64 v[118:119], v[118:119], v[120:121], v[118:119]
	v_div_scale_f64 v[120:121], vcc_lo, 1.0, v[0:1], 1.0
	v_mul_f64 v[122:123], v[120:121], v[118:119]
	v_fma_f64 v[109:110], -v[109:110], v[122:123], v[120:121]
	v_div_fmas_f64 v[109:110], v[109:110], v[118:119], v[122:123]
	v_div_fixup_f64 v[0:1], v[109:110], v[0:1], 1.0
.LBB100_257:
	s_or_b32 exec_lo, exec_lo, s0
	s_mov_b32 s0, exec_lo
	v_cmpx_ne_u32_e64 v117, v108
	s_xor_b32 s0, exec_lo, s0
	s_cbranch_execz .LBB100_263
; %bb.258:
	s_mov_b32 s1, exec_lo
	v_cmpx_eq_u32_e32 15, v117
	s_cbranch_execz .LBB100_262
; %bb.259:
	v_cmp_ne_u32_e32 vcc_lo, 15, v108
	s_xor_b32 s2, s6, -1
	s_and_b32 s3, s2, vcc_lo
	s_and_saveexec_b32 s2, s3
	s_cbranch_execz .LBB100_261
; %bb.260:
	v_ashrrev_i32_e32 v109, 31, v108
	v_lshlrev_b64 v[109:110], 2, v[108:109]
	v_add_co_u32 v109, vcc_lo, v4, v109
	v_add_co_ci_u32_e64 v110, null, v5, v110, vcc_lo
	s_clause 0x1
	global_load_dword v116, v[109:110], off
	global_load_dword v117, v[4:5], off offset:60
	s_waitcnt vmcnt(1)
	global_store_dword v[4:5], v116, off offset:60
	s_waitcnt vmcnt(0)
	global_store_dword v[109:110], v117, off
.LBB100_261:
	s_or_b32 exec_lo, exec_lo, s2
	v_mov_b32_e32 v116, v108
	v_mov_b32_e32 v117, v108
.LBB100_262:
	s_or_b32 exec_lo, exec_lo, s1
.LBB100_263:
	s_andn2_saveexec_b32 s0, s0
	s_cbranch_execz .LBB100_265
; %bb.264:
	v_mov_b32_e32 v108, v72
	v_mov_b32_e32 v109, v73
	;; [unrolled: 1-line block ×12, first 2 shown]
	ds_write2_b64 v114, v[108:109], v[117:118] offset0:16 offset1:17
	ds_write2_b64 v114, v[119:120], v[121:122] offset0:18 offset1:19
	;; [unrolled: 1-line block ×3, first 2 shown]
	v_mov_b32_e32 v108, v60
	v_mov_b32_e32 v109, v61
	;; [unrolled: 1-line block ×20, first 2 shown]
	ds_write2_b64 v114, v[108:109], v[117:118] offset0:22 offset1:23
	ds_write2_b64 v114, v[119:120], v[121:122] offset0:24 offset1:25
	;; [unrolled: 1-line block ×5, first 2 shown]
	v_mov_b32_e32 v108, v40
	v_mov_b32_e32 v109, v41
	;; [unrolled: 1-line block ×20, first 2 shown]
	ds_write2_b64 v114, v[108:109], v[117:118] offset0:32 offset1:33
	ds_write2_b64 v114, v[119:120], v[121:122] offset0:34 offset1:35
	;; [unrolled: 1-line block ×5, first 2 shown]
	v_mov_b32_e32 v108, v20
	v_mov_b32_e32 v109, v21
	v_mov_b32_e32 v117, v18
	v_mov_b32_e32 v118, v19
	v_mov_b32_e32 v119, v16
	v_mov_b32_e32 v120, v17
	v_mov_b32_e32 v121, v14
	v_mov_b32_e32 v122, v15
	ds_write2_b64 v114, v[108:109], v[117:118] offset0:42 offset1:43
	v_mov_b32_e32 v117, 15
	v_mov_b32_e32 v123, v12
	;; [unrolled: 1-line block ×9, first 2 shown]
	ds_write2_b64 v114, v[119:120], v[121:122] offset0:44 offset1:45
	ds_write2_b64 v114, v[123:124], v[125:126] offset0:46 offset1:47
	;; [unrolled: 1-line block ×3, first 2 shown]
	ds_write_b64 v114, v[106:107] offset:400
.LBB100_265:
	s_or_b32 exec_lo, exec_lo, s0
	s_mov_b32 s0, exec_lo
	s_waitcnt lgkmcnt(0)
	s_waitcnt_vscnt null, 0x0
	s_barrier
	buffer_gl0_inv
	v_cmpx_lt_i32_e32 15, v117
	s_cbranch_execz .LBB100_267
; %bb.266:
	v_mul_f64 v[74:75], v[0:1], v[74:75]
	ds_read2_b64 v[118:121], v114 offset0:16 offset1:17
	ds_read2_b64 v[122:125], v114 offset0:18 offset1:19
	ds_read2_b64 v[126:129], v114 offset0:20 offset1:21
	ds_read2_b64 v[130:133], v114 offset0:22 offset1:23
	ds_read2_b64 v[134:137], v114 offset0:24 offset1:25
	ds_read2_b64 v[138:141], v114 offset0:26 offset1:27
	ds_read2_b64 v[142:145], v114 offset0:28 offset1:29
	ds_read2_b64 v[146:149], v114 offset0:30 offset1:31
	ds_read2_b64 v[150:153], v114 offset0:32 offset1:33
	ds_read2_b64 v[154:157], v114 offset0:34 offset1:35
	ds_read2_b64 v[158:161], v114 offset0:36 offset1:37
	ds_read2_b64 v[162:165], v114 offset0:38 offset1:39
	ds_read_b64 v[0:1], v114 offset:400
	s_waitcnt lgkmcnt(12)
	v_fma_f64 v[72:73], -v[74:75], v[118:119], v[72:73]
	v_fma_f64 v[68:69], -v[74:75], v[120:121], v[68:69]
	s_waitcnt lgkmcnt(11)
	v_fma_f64 v[70:71], -v[74:75], v[122:123], v[70:71]
	v_fma_f64 v[64:65], -v[74:75], v[124:125], v[64:65]
	;; [unrolled: 3-line block ×5, first 2 shown]
	ds_read2_b64 v[118:121], v114 offset0:40 offset1:41
	ds_read2_b64 v[122:125], v114 offset0:42 offset1:43
	;; [unrolled: 1-line block ×5, first 2 shown]
	s_waitcnt lgkmcnt(12)
	v_fma_f64 v[52:53], -v[74:75], v[138:139], v[52:53]
	v_fma_f64 v[48:49], -v[74:75], v[140:141], v[48:49]
	s_waitcnt lgkmcnt(11)
	v_fma_f64 v[50:51], -v[74:75], v[142:143], v[50:51]
	v_fma_f64 v[44:45], -v[74:75], v[144:145], v[44:45]
	;; [unrolled: 3-line block ×7, first 2 shown]
	s_waitcnt lgkmcnt(5)
	v_fma_f64 v[106:107], -v[74:75], v[0:1], v[106:107]
	s_waitcnt lgkmcnt(4)
	v_fma_f64 v[26:27], -v[74:75], v[118:119], v[26:27]
	v_fma_f64 v[22:23], -v[74:75], v[120:121], v[22:23]
	s_waitcnt lgkmcnt(3)
	v_fma_f64 v[20:21], -v[74:75], v[122:123], v[20:21]
	;; [unrolled: 3-line block ×5, first 2 shown]
	v_fma_f64 v[6:7], -v[74:75], v[136:137], v[6:7]
.LBB100_267:
	s_or_b32 exec_lo, exec_lo, s0
	v_lshl_add_u32 v0, v117, 3, v114
	s_barrier
	buffer_gl0_inv
	v_mov_b32_e32 v108, 16
	ds_write_b64 v0, v[72:73]
	s_waitcnt lgkmcnt(0)
	s_barrier
	buffer_gl0_inv
	ds_read_b64 v[0:1], v114 offset:128
	s_cmp_lt_i32 s7, 18
	s_cbranch_scc1 .LBB100_270
; %bb.268:
	v_add3_u32 v109, v115, 0, 0x88
	v_mov_b32_e32 v108, 16
	s_mov_b32 s0, 17
.LBB100_269:                            ; =>This Inner Loop Header: Depth=1
	ds_read_b64 v[118:119], v109
	v_add_nc_u32_e32 v109, 8, v109
	s_waitcnt lgkmcnt(0)
	v_cmp_lt_f64_e64 vcc_lo, |v[0:1]|, |v[118:119]|
	v_cndmask_b32_e32 v1, v1, v119, vcc_lo
	v_cndmask_b32_e32 v0, v0, v118, vcc_lo
	v_cndmask_b32_e64 v108, v108, s0, vcc_lo
	s_add_i32 s0, s0, 1
	s_cmp_lg_u32 s7, s0
	s_cbranch_scc1 .LBB100_269
.LBB100_270:
	s_mov_b32 s0, exec_lo
	s_waitcnt lgkmcnt(0)
	v_cmpx_eq_f64_e32 0, v[0:1]
	s_xor_b32 s0, exec_lo, s0
; %bb.271:
	v_cmp_ne_u32_e32 vcc_lo, 0, v111
	v_cndmask_b32_e32 v111, 17, v111, vcc_lo
; %bb.272:
	s_andn2_saveexec_b32 s0, s0
	s_cbranch_execz .LBB100_274
; %bb.273:
	v_div_scale_f64 v[109:110], null, v[0:1], v[0:1], 1.0
	v_rcp_f64_e32 v[118:119], v[109:110]
	v_fma_f64 v[120:121], -v[109:110], v[118:119], 1.0
	v_fma_f64 v[118:119], v[118:119], v[120:121], v[118:119]
	v_fma_f64 v[120:121], -v[109:110], v[118:119], 1.0
	v_fma_f64 v[118:119], v[118:119], v[120:121], v[118:119]
	v_div_scale_f64 v[120:121], vcc_lo, 1.0, v[0:1], 1.0
	v_mul_f64 v[122:123], v[120:121], v[118:119]
	v_fma_f64 v[109:110], -v[109:110], v[122:123], v[120:121]
	v_div_fmas_f64 v[109:110], v[109:110], v[118:119], v[122:123]
	v_div_fixup_f64 v[0:1], v[109:110], v[0:1], 1.0
.LBB100_274:
	s_or_b32 exec_lo, exec_lo, s0
	s_mov_b32 s0, exec_lo
	v_cmpx_ne_u32_e64 v117, v108
	s_xor_b32 s0, exec_lo, s0
	s_cbranch_execz .LBB100_280
; %bb.275:
	s_mov_b32 s1, exec_lo
	v_cmpx_eq_u32_e32 16, v117
	s_cbranch_execz .LBB100_279
; %bb.276:
	v_cmp_ne_u32_e32 vcc_lo, 16, v108
	s_xor_b32 s2, s6, -1
	s_and_b32 s3, s2, vcc_lo
	s_and_saveexec_b32 s2, s3
	s_cbranch_execz .LBB100_278
; %bb.277:
	v_ashrrev_i32_e32 v109, 31, v108
	v_lshlrev_b64 v[109:110], 2, v[108:109]
	v_add_co_u32 v109, vcc_lo, v4, v109
	v_add_co_ci_u32_e64 v110, null, v5, v110, vcc_lo
	s_clause 0x1
	global_load_dword v116, v[109:110], off
	global_load_dword v117, v[4:5], off offset:64
	s_waitcnt vmcnt(1)
	global_store_dword v[4:5], v116, off offset:64
	s_waitcnt vmcnt(0)
	global_store_dword v[109:110], v117, off
.LBB100_278:
	s_or_b32 exec_lo, exec_lo, s2
	v_mov_b32_e32 v116, v108
	v_mov_b32_e32 v117, v108
.LBB100_279:
	s_or_b32 exec_lo, exec_lo, s1
.LBB100_280:
	s_andn2_saveexec_b32 s0, s0
	s_cbranch_execz .LBB100_282
; %bb.281:
	v_mov_b32_e32 v117, 16
	ds_write2_b64 v114, v[68:69], v[70:71] offset0:17 offset1:18
	ds_write2_b64 v114, v[64:65], v[66:67] offset0:19 offset1:20
	;; [unrolled: 1-line block ×17, first 2 shown]
.LBB100_282:
	s_or_b32 exec_lo, exec_lo, s0
	s_mov_b32 s0, exec_lo
	s_waitcnt lgkmcnt(0)
	s_waitcnt_vscnt null, 0x0
	s_barrier
	buffer_gl0_inv
	v_cmpx_lt_i32_e32 16, v117
	s_cbranch_execz .LBB100_284
; %bb.283:
	v_mul_f64 v[72:73], v[0:1], v[72:73]
	ds_read2_b64 v[118:121], v114 offset0:17 offset1:18
	ds_read2_b64 v[122:125], v114 offset0:19 offset1:20
	;; [unrolled: 1-line block ×13, first 2 shown]
	s_waitcnt lgkmcnt(12)
	v_fma_f64 v[68:69], -v[72:73], v[118:119], v[68:69]
	v_fma_f64 v[70:71], -v[72:73], v[120:121], v[70:71]
	s_waitcnt lgkmcnt(11)
	v_fma_f64 v[64:65], -v[72:73], v[122:123], v[64:65]
	v_fma_f64 v[66:67], -v[72:73], v[124:125], v[66:67]
	;; [unrolled: 3-line block ×4, first 2 shown]
	ds_read2_b64 v[118:121], v114 offset0:43 offset1:44
	ds_read2_b64 v[122:125], v114 offset0:45 offset1:46
	;; [unrolled: 1-line block ×4, first 2 shown]
	s_waitcnt lgkmcnt(12)
	v_fma_f64 v[54:55], -v[72:73], v[134:135], v[54:55]
	v_fma_f64 v[52:53], -v[72:73], v[136:137], v[52:53]
	s_waitcnt lgkmcnt(11)
	v_fma_f64 v[48:49], -v[72:73], v[138:139], v[48:49]
	v_fma_f64 v[50:51], -v[72:73], v[140:141], v[50:51]
	;; [unrolled: 3-line block ×13, first 2 shown]
.LBB100_284:
	s_or_b32 exec_lo, exec_lo, s0
	v_lshl_add_u32 v0, v117, 3, v114
	s_barrier
	buffer_gl0_inv
	v_mov_b32_e32 v108, 17
	ds_write_b64 v0, v[68:69]
	s_waitcnt lgkmcnt(0)
	s_barrier
	buffer_gl0_inv
	ds_read_b64 v[0:1], v114 offset:136
	s_cmp_lt_i32 s7, 19
	s_cbranch_scc1 .LBB100_287
; %bb.285:
	v_add3_u32 v109, v115, 0, 0x90
	v_mov_b32_e32 v108, 17
	s_mov_b32 s0, 18
.LBB100_286:                            ; =>This Inner Loop Header: Depth=1
	ds_read_b64 v[118:119], v109
	v_add_nc_u32_e32 v109, 8, v109
	s_waitcnt lgkmcnt(0)
	v_cmp_lt_f64_e64 vcc_lo, |v[0:1]|, |v[118:119]|
	v_cndmask_b32_e32 v1, v1, v119, vcc_lo
	v_cndmask_b32_e32 v0, v0, v118, vcc_lo
	v_cndmask_b32_e64 v108, v108, s0, vcc_lo
	s_add_i32 s0, s0, 1
	s_cmp_lg_u32 s7, s0
	s_cbranch_scc1 .LBB100_286
.LBB100_287:
	s_mov_b32 s0, exec_lo
	s_waitcnt lgkmcnt(0)
	v_cmpx_eq_f64_e32 0, v[0:1]
	s_xor_b32 s0, exec_lo, s0
; %bb.288:
	v_cmp_ne_u32_e32 vcc_lo, 0, v111
	v_cndmask_b32_e32 v111, 18, v111, vcc_lo
; %bb.289:
	s_andn2_saveexec_b32 s0, s0
	s_cbranch_execz .LBB100_291
; %bb.290:
	v_div_scale_f64 v[109:110], null, v[0:1], v[0:1], 1.0
	v_rcp_f64_e32 v[118:119], v[109:110]
	v_fma_f64 v[120:121], -v[109:110], v[118:119], 1.0
	v_fma_f64 v[118:119], v[118:119], v[120:121], v[118:119]
	v_fma_f64 v[120:121], -v[109:110], v[118:119], 1.0
	v_fma_f64 v[118:119], v[118:119], v[120:121], v[118:119]
	v_div_scale_f64 v[120:121], vcc_lo, 1.0, v[0:1], 1.0
	v_mul_f64 v[122:123], v[120:121], v[118:119]
	v_fma_f64 v[109:110], -v[109:110], v[122:123], v[120:121]
	v_div_fmas_f64 v[109:110], v[109:110], v[118:119], v[122:123]
	v_div_fixup_f64 v[0:1], v[109:110], v[0:1], 1.0
.LBB100_291:
	s_or_b32 exec_lo, exec_lo, s0
	s_mov_b32 s0, exec_lo
	v_cmpx_ne_u32_e64 v117, v108
	s_xor_b32 s0, exec_lo, s0
	s_cbranch_execz .LBB100_297
; %bb.292:
	s_mov_b32 s1, exec_lo
	v_cmpx_eq_u32_e32 17, v117
	s_cbranch_execz .LBB100_296
; %bb.293:
	v_cmp_ne_u32_e32 vcc_lo, 17, v108
	s_xor_b32 s2, s6, -1
	s_and_b32 s3, s2, vcc_lo
	s_and_saveexec_b32 s2, s3
	s_cbranch_execz .LBB100_295
; %bb.294:
	v_ashrrev_i32_e32 v109, 31, v108
	v_lshlrev_b64 v[109:110], 2, v[108:109]
	v_add_co_u32 v109, vcc_lo, v4, v109
	v_add_co_ci_u32_e64 v110, null, v5, v110, vcc_lo
	s_clause 0x1
	global_load_dword v116, v[109:110], off
	global_load_dword v117, v[4:5], off offset:68
	s_waitcnt vmcnt(1)
	global_store_dword v[4:5], v116, off offset:68
	s_waitcnt vmcnt(0)
	global_store_dword v[109:110], v117, off
.LBB100_295:
	s_or_b32 exec_lo, exec_lo, s2
	v_mov_b32_e32 v116, v108
	v_mov_b32_e32 v117, v108
.LBB100_296:
	s_or_b32 exec_lo, exec_lo, s1
.LBB100_297:
	s_andn2_saveexec_b32 s0, s0
	s_cbranch_execz .LBB100_299
; %bb.298:
	v_mov_b32_e32 v108, v70
	v_mov_b32_e32 v109, v71
	;; [unrolled: 1-line block ×8, first 2 shown]
	ds_write2_b64 v114, v[108:109], v[117:118] offset0:18 offset1:19
	ds_write2_b64 v114, v[119:120], v[121:122] offset0:20 offset1:21
	v_mov_b32_e32 v108, v60
	v_mov_b32_e32 v109, v61
	;; [unrolled: 1-line block ×20, first 2 shown]
	ds_write2_b64 v114, v[108:109], v[117:118] offset0:22 offset1:23
	ds_write2_b64 v114, v[119:120], v[121:122] offset0:24 offset1:25
	;; [unrolled: 1-line block ×5, first 2 shown]
	v_mov_b32_e32 v108, v40
	v_mov_b32_e32 v109, v41
	;; [unrolled: 1-line block ×20, first 2 shown]
	ds_write2_b64 v114, v[108:109], v[117:118] offset0:32 offset1:33
	ds_write2_b64 v114, v[119:120], v[121:122] offset0:34 offset1:35
	ds_write2_b64 v114, v[123:124], v[125:126] offset0:36 offset1:37
	ds_write2_b64 v114, v[127:128], v[129:130] offset0:38 offset1:39
	ds_write2_b64 v114, v[131:132], v[133:134] offset0:40 offset1:41
	v_mov_b32_e32 v108, v20
	v_mov_b32_e32 v109, v21
	;; [unrolled: 1-line block ×8, first 2 shown]
	ds_write2_b64 v114, v[108:109], v[117:118] offset0:42 offset1:43
	v_mov_b32_e32 v117, 17
	v_mov_b32_e32 v123, v12
	v_mov_b32_e32 v124, v13
	v_mov_b32_e32 v125, v8
	v_mov_b32_e32 v126, v9
	v_mov_b32_e32 v127, v10
	v_mov_b32_e32 v128, v11
	v_mov_b32_e32 v129, v6
	v_mov_b32_e32 v130, v7
	ds_write2_b64 v114, v[119:120], v[121:122] offset0:44 offset1:45
	ds_write2_b64 v114, v[123:124], v[125:126] offset0:46 offset1:47
	;; [unrolled: 1-line block ×3, first 2 shown]
	ds_write_b64 v114, v[106:107] offset:400
.LBB100_299:
	s_or_b32 exec_lo, exec_lo, s0
	s_mov_b32 s0, exec_lo
	s_waitcnt lgkmcnt(0)
	s_waitcnt_vscnt null, 0x0
	s_barrier
	buffer_gl0_inv
	v_cmpx_lt_i32_e32 17, v117
	s_cbranch_execz .LBB100_301
; %bb.300:
	v_mul_f64 v[68:69], v[0:1], v[68:69]
	ds_read2_b64 v[118:121], v114 offset0:18 offset1:19
	ds_read2_b64 v[122:125], v114 offset0:20 offset1:21
	;; [unrolled: 1-line block ×13, first 2 shown]
	ds_read_b64 v[0:1], v114 offset:400
	s_waitcnt lgkmcnt(13)
	v_fma_f64 v[70:71], -v[68:69], v[118:119], v[70:71]
	v_fma_f64 v[64:65], -v[68:69], v[120:121], v[64:65]
	s_waitcnt lgkmcnt(12)
	v_fma_f64 v[66:67], -v[68:69], v[122:123], v[66:67]
	v_fma_f64 v[62:63], -v[68:69], v[124:125], v[62:63]
	;; [unrolled: 3-line block ×3, first 2 shown]
	ds_read2_b64 v[118:121], v114 offset0:44 offset1:45
	ds_read2_b64 v[122:125], v114 offset0:46 offset1:47
	;; [unrolled: 1-line block ×3, first 2 shown]
	s_waitcnt lgkmcnt(13)
	v_fma_f64 v[56:57], -v[68:69], v[130:131], v[56:57]
	v_fma_f64 v[54:55], -v[68:69], v[132:133], v[54:55]
	s_waitcnt lgkmcnt(12)
	v_fma_f64 v[52:53], -v[68:69], v[134:135], v[52:53]
	v_fma_f64 v[48:49], -v[68:69], v[136:137], v[48:49]
	;; [unrolled: 3-line block ×13, first 2 shown]
	v_fma_f64 v[106:107], -v[68:69], v[0:1], v[106:107]
.LBB100_301:
	s_or_b32 exec_lo, exec_lo, s0
	v_lshl_add_u32 v0, v117, 3, v114
	s_barrier
	buffer_gl0_inv
	v_mov_b32_e32 v108, 18
	ds_write_b64 v0, v[70:71]
	s_waitcnt lgkmcnt(0)
	s_barrier
	buffer_gl0_inv
	ds_read_b64 v[0:1], v114 offset:144
	s_cmp_lt_i32 s7, 20
	s_cbranch_scc1 .LBB100_304
; %bb.302:
	v_add3_u32 v109, v115, 0, 0x98
	v_mov_b32_e32 v108, 18
	s_mov_b32 s0, 19
.LBB100_303:                            ; =>This Inner Loop Header: Depth=1
	ds_read_b64 v[118:119], v109
	v_add_nc_u32_e32 v109, 8, v109
	s_waitcnt lgkmcnt(0)
	v_cmp_lt_f64_e64 vcc_lo, |v[0:1]|, |v[118:119]|
	v_cndmask_b32_e32 v1, v1, v119, vcc_lo
	v_cndmask_b32_e32 v0, v0, v118, vcc_lo
	v_cndmask_b32_e64 v108, v108, s0, vcc_lo
	s_add_i32 s0, s0, 1
	s_cmp_lg_u32 s7, s0
	s_cbranch_scc1 .LBB100_303
.LBB100_304:
	s_mov_b32 s0, exec_lo
	s_waitcnt lgkmcnt(0)
	v_cmpx_eq_f64_e32 0, v[0:1]
	s_xor_b32 s0, exec_lo, s0
; %bb.305:
	v_cmp_ne_u32_e32 vcc_lo, 0, v111
	v_cndmask_b32_e32 v111, 19, v111, vcc_lo
; %bb.306:
	s_andn2_saveexec_b32 s0, s0
	s_cbranch_execz .LBB100_308
; %bb.307:
	v_div_scale_f64 v[109:110], null, v[0:1], v[0:1], 1.0
	v_rcp_f64_e32 v[118:119], v[109:110]
	v_fma_f64 v[120:121], -v[109:110], v[118:119], 1.0
	v_fma_f64 v[118:119], v[118:119], v[120:121], v[118:119]
	v_fma_f64 v[120:121], -v[109:110], v[118:119], 1.0
	v_fma_f64 v[118:119], v[118:119], v[120:121], v[118:119]
	v_div_scale_f64 v[120:121], vcc_lo, 1.0, v[0:1], 1.0
	v_mul_f64 v[122:123], v[120:121], v[118:119]
	v_fma_f64 v[109:110], -v[109:110], v[122:123], v[120:121]
	v_div_fmas_f64 v[109:110], v[109:110], v[118:119], v[122:123]
	v_div_fixup_f64 v[0:1], v[109:110], v[0:1], 1.0
.LBB100_308:
	s_or_b32 exec_lo, exec_lo, s0
	s_mov_b32 s0, exec_lo
	v_cmpx_ne_u32_e64 v117, v108
	s_xor_b32 s0, exec_lo, s0
	s_cbranch_execz .LBB100_314
; %bb.309:
	s_mov_b32 s1, exec_lo
	v_cmpx_eq_u32_e32 18, v117
	s_cbranch_execz .LBB100_313
; %bb.310:
	v_cmp_ne_u32_e32 vcc_lo, 18, v108
	s_xor_b32 s2, s6, -1
	s_and_b32 s3, s2, vcc_lo
	s_and_saveexec_b32 s2, s3
	s_cbranch_execz .LBB100_312
; %bb.311:
	v_ashrrev_i32_e32 v109, 31, v108
	v_lshlrev_b64 v[109:110], 2, v[108:109]
	v_add_co_u32 v109, vcc_lo, v4, v109
	v_add_co_ci_u32_e64 v110, null, v5, v110, vcc_lo
	s_clause 0x1
	global_load_dword v116, v[109:110], off
	global_load_dword v117, v[4:5], off offset:72
	s_waitcnt vmcnt(1)
	global_store_dword v[4:5], v116, off offset:72
	s_waitcnt vmcnt(0)
	global_store_dword v[109:110], v117, off
.LBB100_312:
	s_or_b32 exec_lo, exec_lo, s2
	v_mov_b32_e32 v116, v108
	v_mov_b32_e32 v117, v108
.LBB100_313:
	s_or_b32 exec_lo, exec_lo, s1
.LBB100_314:
	s_andn2_saveexec_b32 s0, s0
	s_cbranch_execz .LBB100_316
; %bb.315:
	v_mov_b32_e32 v117, 18
	ds_write2_b64 v114, v[64:65], v[66:67] offset0:19 offset1:20
	ds_write2_b64 v114, v[62:63], v[60:61] offset0:21 offset1:22
	;; [unrolled: 1-line block ×16, first 2 shown]
.LBB100_316:
	s_or_b32 exec_lo, exec_lo, s0
	s_mov_b32 s0, exec_lo
	s_waitcnt lgkmcnt(0)
	s_waitcnt_vscnt null, 0x0
	s_barrier
	buffer_gl0_inv
	v_cmpx_lt_i32_e32 18, v117
	s_cbranch_execz .LBB100_318
; %bb.317:
	v_mul_f64 v[70:71], v[0:1], v[70:71]
	ds_read2_b64 v[118:121], v114 offset0:19 offset1:20
	ds_read2_b64 v[122:125], v114 offset0:21 offset1:22
	;; [unrolled: 1-line block ×13, first 2 shown]
	s_waitcnt lgkmcnt(12)
	v_fma_f64 v[64:65], -v[70:71], v[118:119], v[64:65]
	v_fma_f64 v[66:67], -v[70:71], v[120:121], v[66:67]
	s_waitcnt lgkmcnt(11)
	v_fma_f64 v[62:63], -v[70:71], v[122:123], v[62:63]
	v_fma_f64 v[60:61], -v[70:71], v[124:125], v[60:61]
	;; [unrolled: 3-line block ×3, first 2 shown]
	ds_read2_b64 v[118:121], v114 offset0:45 offset1:46
	ds_read2_b64 v[122:125], v114 offset0:47 offset1:48
	;; [unrolled: 1-line block ×3, first 2 shown]
	s_waitcnt lgkmcnt(12)
	v_fma_f64 v[54:55], -v[70:71], v[130:131], v[54:55]
	v_fma_f64 v[52:53], -v[70:71], v[132:133], v[52:53]
	s_waitcnt lgkmcnt(11)
	v_fma_f64 v[48:49], -v[70:71], v[134:135], v[48:49]
	v_fma_f64 v[50:51], -v[70:71], v[136:137], v[50:51]
	;; [unrolled: 3-line block ×13, first 2 shown]
.LBB100_318:
	s_or_b32 exec_lo, exec_lo, s0
	v_lshl_add_u32 v0, v117, 3, v114
	s_barrier
	buffer_gl0_inv
	v_mov_b32_e32 v108, 19
	ds_write_b64 v0, v[64:65]
	s_waitcnt lgkmcnt(0)
	s_barrier
	buffer_gl0_inv
	ds_read_b64 v[0:1], v114 offset:152
	s_cmp_lt_i32 s7, 21
	s_cbranch_scc1 .LBB100_321
; %bb.319:
	v_add3_u32 v109, v115, 0, 0xa0
	v_mov_b32_e32 v108, 19
	s_mov_b32 s0, 20
.LBB100_320:                            ; =>This Inner Loop Header: Depth=1
	ds_read_b64 v[118:119], v109
	v_add_nc_u32_e32 v109, 8, v109
	s_waitcnt lgkmcnt(0)
	v_cmp_lt_f64_e64 vcc_lo, |v[0:1]|, |v[118:119]|
	v_cndmask_b32_e32 v1, v1, v119, vcc_lo
	v_cndmask_b32_e32 v0, v0, v118, vcc_lo
	v_cndmask_b32_e64 v108, v108, s0, vcc_lo
	s_add_i32 s0, s0, 1
	s_cmp_lg_u32 s7, s0
	s_cbranch_scc1 .LBB100_320
.LBB100_321:
	s_mov_b32 s0, exec_lo
	s_waitcnt lgkmcnt(0)
	v_cmpx_eq_f64_e32 0, v[0:1]
	s_xor_b32 s0, exec_lo, s0
; %bb.322:
	v_cmp_ne_u32_e32 vcc_lo, 0, v111
	v_cndmask_b32_e32 v111, 20, v111, vcc_lo
; %bb.323:
	s_andn2_saveexec_b32 s0, s0
	s_cbranch_execz .LBB100_325
; %bb.324:
	v_div_scale_f64 v[109:110], null, v[0:1], v[0:1], 1.0
	v_rcp_f64_e32 v[118:119], v[109:110]
	v_fma_f64 v[120:121], -v[109:110], v[118:119], 1.0
	v_fma_f64 v[118:119], v[118:119], v[120:121], v[118:119]
	v_fma_f64 v[120:121], -v[109:110], v[118:119], 1.0
	v_fma_f64 v[118:119], v[118:119], v[120:121], v[118:119]
	v_div_scale_f64 v[120:121], vcc_lo, 1.0, v[0:1], 1.0
	v_mul_f64 v[122:123], v[120:121], v[118:119]
	v_fma_f64 v[109:110], -v[109:110], v[122:123], v[120:121]
	v_div_fmas_f64 v[109:110], v[109:110], v[118:119], v[122:123]
	v_div_fixup_f64 v[0:1], v[109:110], v[0:1], 1.0
.LBB100_325:
	s_or_b32 exec_lo, exec_lo, s0
	s_mov_b32 s0, exec_lo
	v_cmpx_ne_u32_e64 v117, v108
	s_xor_b32 s0, exec_lo, s0
	s_cbranch_execz .LBB100_331
; %bb.326:
	s_mov_b32 s1, exec_lo
	v_cmpx_eq_u32_e32 19, v117
	s_cbranch_execz .LBB100_330
; %bb.327:
	v_cmp_ne_u32_e32 vcc_lo, 19, v108
	s_xor_b32 s2, s6, -1
	s_and_b32 s3, s2, vcc_lo
	s_and_saveexec_b32 s2, s3
	s_cbranch_execz .LBB100_329
; %bb.328:
	v_ashrrev_i32_e32 v109, 31, v108
	v_lshlrev_b64 v[109:110], 2, v[108:109]
	v_add_co_u32 v109, vcc_lo, v4, v109
	v_add_co_ci_u32_e64 v110, null, v5, v110, vcc_lo
	s_clause 0x1
	global_load_dword v116, v[109:110], off
	global_load_dword v117, v[4:5], off offset:76
	s_waitcnt vmcnt(1)
	global_store_dword v[4:5], v116, off offset:76
	s_waitcnt vmcnt(0)
	global_store_dword v[109:110], v117, off
.LBB100_329:
	s_or_b32 exec_lo, exec_lo, s2
	v_mov_b32_e32 v116, v108
	v_mov_b32_e32 v117, v108
.LBB100_330:
	s_or_b32 exec_lo, exec_lo, s1
.LBB100_331:
	s_andn2_saveexec_b32 s0, s0
	s_cbranch_execz .LBB100_333
; %bb.332:
	v_mov_b32_e32 v108, v66
	v_mov_b32_e32 v109, v67
	;; [unrolled: 1-line block ×8, first 2 shown]
	ds_write2_b64 v114, v[108:109], v[117:118] offset0:20 offset1:21
	v_mov_b32_e32 v108, v58
	v_mov_b32_e32 v109, v59
	;; [unrolled: 1-line block ×16, first 2 shown]
	ds_write2_b64 v114, v[119:120], v[108:109] offset0:22 offset1:23
	ds_write2_b64 v114, v[117:118], v[121:122] offset0:24 offset1:25
	;; [unrolled: 1-line block ×5, first 2 shown]
	v_mov_b32_e32 v108, v40
	v_mov_b32_e32 v109, v41
	;; [unrolled: 1-line block ×20, first 2 shown]
	ds_write2_b64 v114, v[108:109], v[117:118] offset0:32 offset1:33
	ds_write2_b64 v114, v[119:120], v[121:122] offset0:34 offset1:35
	;; [unrolled: 1-line block ×5, first 2 shown]
	v_mov_b32_e32 v108, v20
	v_mov_b32_e32 v109, v21
	v_mov_b32_e32 v117, v18
	v_mov_b32_e32 v118, v19
	v_mov_b32_e32 v119, v16
	v_mov_b32_e32 v120, v17
	v_mov_b32_e32 v121, v14
	v_mov_b32_e32 v122, v15
	ds_write2_b64 v114, v[108:109], v[117:118] offset0:42 offset1:43
	v_mov_b32_e32 v117, 19
	v_mov_b32_e32 v123, v12
	;; [unrolled: 1-line block ×9, first 2 shown]
	ds_write2_b64 v114, v[119:120], v[121:122] offset0:44 offset1:45
	ds_write2_b64 v114, v[123:124], v[125:126] offset0:46 offset1:47
	;; [unrolled: 1-line block ×3, first 2 shown]
	ds_write_b64 v114, v[106:107] offset:400
.LBB100_333:
	s_or_b32 exec_lo, exec_lo, s0
	s_mov_b32 s0, exec_lo
	s_waitcnt lgkmcnt(0)
	s_waitcnt_vscnt null, 0x0
	s_barrier
	buffer_gl0_inv
	v_cmpx_lt_i32_e32 19, v117
	s_cbranch_execz .LBB100_335
; %bb.334:
	v_mul_f64 v[64:65], v[0:1], v[64:65]
	ds_read2_b64 v[118:121], v114 offset0:20 offset1:21
	ds_read2_b64 v[122:125], v114 offset0:22 offset1:23
	;; [unrolled: 1-line block ×13, first 2 shown]
	ds_read_b64 v[0:1], v114 offset:400
	s_waitcnt lgkmcnt(13)
	v_fma_f64 v[66:67], -v[64:65], v[118:119], v[66:67]
	v_fma_f64 v[62:63], -v[64:65], v[120:121], v[62:63]
	s_waitcnt lgkmcnt(12)
	v_fma_f64 v[60:61], -v[64:65], v[122:123], v[60:61]
	v_fma_f64 v[58:59], -v[64:65], v[124:125], v[58:59]
	ds_read2_b64 v[118:121], v114 offset0:46 offset1:47
	ds_read2_b64 v[122:125], v114 offset0:48 offset1:49
	s_waitcnt lgkmcnt(13)
	v_fma_f64 v[56:57], -v[64:65], v[126:127], v[56:57]
	v_fma_f64 v[54:55], -v[64:65], v[128:129], v[54:55]
	s_waitcnt lgkmcnt(12)
	v_fma_f64 v[52:53], -v[64:65], v[130:131], v[52:53]
	v_fma_f64 v[48:49], -v[64:65], v[132:133], v[48:49]
	;; [unrolled: 3-line block ×13, first 2 shown]
	v_fma_f64 v[106:107], -v[64:65], v[0:1], v[106:107]
.LBB100_335:
	s_or_b32 exec_lo, exec_lo, s0
	v_lshl_add_u32 v0, v117, 3, v114
	s_barrier
	buffer_gl0_inv
	v_mov_b32_e32 v108, 20
	ds_write_b64 v0, v[66:67]
	s_waitcnt lgkmcnt(0)
	s_barrier
	buffer_gl0_inv
	ds_read_b64 v[0:1], v114 offset:160
	s_cmp_lt_i32 s7, 22
	s_cbranch_scc1 .LBB100_338
; %bb.336:
	v_add3_u32 v109, v115, 0, 0xa8
	v_mov_b32_e32 v108, 20
	s_mov_b32 s0, 21
.LBB100_337:                            ; =>This Inner Loop Header: Depth=1
	ds_read_b64 v[118:119], v109
	v_add_nc_u32_e32 v109, 8, v109
	s_waitcnt lgkmcnt(0)
	v_cmp_lt_f64_e64 vcc_lo, |v[0:1]|, |v[118:119]|
	v_cndmask_b32_e32 v1, v1, v119, vcc_lo
	v_cndmask_b32_e32 v0, v0, v118, vcc_lo
	v_cndmask_b32_e64 v108, v108, s0, vcc_lo
	s_add_i32 s0, s0, 1
	s_cmp_lg_u32 s7, s0
	s_cbranch_scc1 .LBB100_337
.LBB100_338:
	s_mov_b32 s0, exec_lo
	s_waitcnt lgkmcnt(0)
	v_cmpx_eq_f64_e32 0, v[0:1]
	s_xor_b32 s0, exec_lo, s0
; %bb.339:
	v_cmp_ne_u32_e32 vcc_lo, 0, v111
	v_cndmask_b32_e32 v111, 21, v111, vcc_lo
; %bb.340:
	s_andn2_saveexec_b32 s0, s0
	s_cbranch_execz .LBB100_342
; %bb.341:
	v_div_scale_f64 v[109:110], null, v[0:1], v[0:1], 1.0
	v_rcp_f64_e32 v[118:119], v[109:110]
	v_fma_f64 v[120:121], -v[109:110], v[118:119], 1.0
	v_fma_f64 v[118:119], v[118:119], v[120:121], v[118:119]
	v_fma_f64 v[120:121], -v[109:110], v[118:119], 1.0
	v_fma_f64 v[118:119], v[118:119], v[120:121], v[118:119]
	v_div_scale_f64 v[120:121], vcc_lo, 1.0, v[0:1], 1.0
	v_mul_f64 v[122:123], v[120:121], v[118:119]
	v_fma_f64 v[109:110], -v[109:110], v[122:123], v[120:121]
	v_div_fmas_f64 v[109:110], v[109:110], v[118:119], v[122:123]
	v_div_fixup_f64 v[0:1], v[109:110], v[0:1], 1.0
.LBB100_342:
	s_or_b32 exec_lo, exec_lo, s0
	s_mov_b32 s0, exec_lo
	v_cmpx_ne_u32_e64 v117, v108
	s_xor_b32 s0, exec_lo, s0
	s_cbranch_execz .LBB100_348
; %bb.343:
	s_mov_b32 s1, exec_lo
	v_cmpx_eq_u32_e32 20, v117
	s_cbranch_execz .LBB100_347
; %bb.344:
	v_cmp_ne_u32_e32 vcc_lo, 20, v108
	s_xor_b32 s2, s6, -1
	s_and_b32 s3, s2, vcc_lo
	s_and_saveexec_b32 s2, s3
	s_cbranch_execz .LBB100_346
; %bb.345:
	v_ashrrev_i32_e32 v109, 31, v108
	v_lshlrev_b64 v[109:110], 2, v[108:109]
	v_add_co_u32 v109, vcc_lo, v4, v109
	v_add_co_ci_u32_e64 v110, null, v5, v110, vcc_lo
	s_clause 0x1
	global_load_dword v116, v[109:110], off
	global_load_dword v117, v[4:5], off offset:80
	s_waitcnt vmcnt(1)
	global_store_dword v[4:5], v116, off offset:80
	s_waitcnt vmcnt(0)
	global_store_dword v[109:110], v117, off
.LBB100_346:
	s_or_b32 exec_lo, exec_lo, s2
	v_mov_b32_e32 v116, v108
	v_mov_b32_e32 v117, v108
.LBB100_347:
	s_or_b32 exec_lo, exec_lo, s1
.LBB100_348:
	s_andn2_saveexec_b32 s0, s0
	s_cbranch_execz .LBB100_350
; %bb.349:
	v_mov_b32_e32 v117, 20
	ds_write2_b64 v114, v[62:63], v[60:61] offset0:21 offset1:22
	ds_write2_b64 v114, v[58:59], v[56:57] offset0:23 offset1:24
	;; [unrolled: 1-line block ×15, first 2 shown]
.LBB100_350:
	s_or_b32 exec_lo, exec_lo, s0
	s_mov_b32 s0, exec_lo
	s_waitcnt lgkmcnt(0)
	s_waitcnt_vscnt null, 0x0
	s_barrier
	buffer_gl0_inv
	v_cmpx_lt_i32_e32 20, v117
	s_cbranch_execz .LBB100_352
; %bb.351:
	v_mul_f64 v[66:67], v[0:1], v[66:67]
	ds_read2_b64 v[118:121], v114 offset0:21 offset1:22
	ds_read2_b64 v[122:125], v114 offset0:23 offset1:24
	;; [unrolled: 1-line block ×14, first 2 shown]
	s_waitcnt lgkmcnt(13)
	v_fma_f64 v[62:63], -v[66:67], v[118:119], v[62:63]
	v_fma_f64 v[60:61], -v[66:67], v[120:121], v[60:61]
	ds_read2_b64 v[118:121], v114 offset0:49 offset1:50
	s_waitcnt lgkmcnt(13)
	v_fma_f64 v[58:59], -v[66:67], v[122:123], v[58:59]
	v_fma_f64 v[56:57], -v[66:67], v[124:125], v[56:57]
	s_waitcnt lgkmcnt(12)
	v_fma_f64 v[54:55], -v[66:67], v[126:127], v[54:55]
	v_fma_f64 v[52:53], -v[66:67], v[128:129], v[52:53]
	;; [unrolled: 3-line block ×14, first 2 shown]
.LBB100_352:
	s_or_b32 exec_lo, exec_lo, s0
	v_lshl_add_u32 v0, v117, 3, v114
	s_barrier
	buffer_gl0_inv
	v_mov_b32_e32 v108, 21
	ds_write_b64 v0, v[62:63]
	s_waitcnt lgkmcnt(0)
	s_barrier
	buffer_gl0_inv
	ds_read_b64 v[0:1], v114 offset:168
	s_cmp_lt_i32 s7, 23
	s_cbranch_scc1 .LBB100_355
; %bb.353:
	v_add3_u32 v109, v115, 0, 0xb0
	v_mov_b32_e32 v108, 21
	s_mov_b32 s0, 22
.LBB100_354:                            ; =>This Inner Loop Header: Depth=1
	ds_read_b64 v[118:119], v109
	v_add_nc_u32_e32 v109, 8, v109
	s_waitcnt lgkmcnt(0)
	v_cmp_lt_f64_e64 vcc_lo, |v[0:1]|, |v[118:119]|
	v_cndmask_b32_e32 v1, v1, v119, vcc_lo
	v_cndmask_b32_e32 v0, v0, v118, vcc_lo
	v_cndmask_b32_e64 v108, v108, s0, vcc_lo
	s_add_i32 s0, s0, 1
	s_cmp_lg_u32 s7, s0
	s_cbranch_scc1 .LBB100_354
.LBB100_355:
	s_mov_b32 s0, exec_lo
	s_waitcnt lgkmcnt(0)
	v_cmpx_eq_f64_e32 0, v[0:1]
	s_xor_b32 s0, exec_lo, s0
; %bb.356:
	v_cmp_ne_u32_e32 vcc_lo, 0, v111
	v_cndmask_b32_e32 v111, 22, v111, vcc_lo
; %bb.357:
	s_andn2_saveexec_b32 s0, s0
	s_cbranch_execz .LBB100_359
; %bb.358:
	v_div_scale_f64 v[109:110], null, v[0:1], v[0:1], 1.0
	v_rcp_f64_e32 v[118:119], v[109:110]
	v_fma_f64 v[120:121], -v[109:110], v[118:119], 1.0
	v_fma_f64 v[118:119], v[118:119], v[120:121], v[118:119]
	v_fma_f64 v[120:121], -v[109:110], v[118:119], 1.0
	v_fma_f64 v[118:119], v[118:119], v[120:121], v[118:119]
	v_div_scale_f64 v[120:121], vcc_lo, 1.0, v[0:1], 1.0
	v_mul_f64 v[122:123], v[120:121], v[118:119]
	v_fma_f64 v[109:110], -v[109:110], v[122:123], v[120:121]
	v_div_fmas_f64 v[109:110], v[109:110], v[118:119], v[122:123]
	v_div_fixup_f64 v[0:1], v[109:110], v[0:1], 1.0
.LBB100_359:
	s_or_b32 exec_lo, exec_lo, s0
	s_mov_b32 s0, exec_lo
	v_cmpx_ne_u32_e64 v117, v108
	s_xor_b32 s0, exec_lo, s0
	s_cbranch_execz .LBB100_365
; %bb.360:
	s_mov_b32 s1, exec_lo
	v_cmpx_eq_u32_e32 21, v117
	s_cbranch_execz .LBB100_364
; %bb.361:
	v_cmp_ne_u32_e32 vcc_lo, 21, v108
	s_xor_b32 s2, s6, -1
	s_and_b32 s3, s2, vcc_lo
	s_and_saveexec_b32 s2, s3
	s_cbranch_execz .LBB100_363
; %bb.362:
	v_ashrrev_i32_e32 v109, 31, v108
	v_lshlrev_b64 v[109:110], 2, v[108:109]
	v_add_co_u32 v109, vcc_lo, v4, v109
	v_add_co_ci_u32_e64 v110, null, v5, v110, vcc_lo
	s_clause 0x1
	global_load_dword v116, v[109:110], off
	global_load_dword v117, v[4:5], off offset:84
	s_waitcnt vmcnt(1)
	global_store_dword v[4:5], v116, off offset:84
	s_waitcnt vmcnt(0)
	global_store_dword v[109:110], v117, off
.LBB100_363:
	s_or_b32 exec_lo, exec_lo, s2
	v_mov_b32_e32 v116, v108
	v_mov_b32_e32 v117, v108
.LBB100_364:
	s_or_b32 exec_lo, exec_lo, s1
.LBB100_365:
	s_andn2_saveexec_b32 s0, s0
	s_cbranch_execz .LBB100_367
; %bb.366:
	v_mov_b32_e32 v108, v60
	v_mov_b32_e32 v109, v61
	;; [unrolled: 1-line block ×20, first 2 shown]
	ds_write2_b64 v114, v[108:109], v[117:118] offset0:22 offset1:23
	ds_write2_b64 v114, v[119:120], v[121:122] offset0:24 offset1:25
	;; [unrolled: 1-line block ×5, first 2 shown]
	v_mov_b32_e32 v108, v40
	v_mov_b32_e32 v109, v41
	;; [unrolled: 1-line block ×20, first 2 shown]
	ds_write2_b64 v114, v[108:109], v[117:118] offset0:32 offset1:33
	ds_write2_b64 v114, v[119:120], v[121:122] offset0:34 offset1:35
	;; [unrolled: 1-line block ×5, first 2 shown]
	v_mov_b32_e32 v108, v20
	v_mov_b32_e32 v109, v21
	v_mov_b32_e32 v117, v18
	v_mov_b32_e32 v118, v19
	v_mov_b32_e32 v119, v16
	v_mov_b32_e32 v120, v17
	v_mov_b32_e32 v121, v14
	v_mov_b32_e32 v122, v15
	ds_write2_b64 v114, v[108:109], v[117:118] offset0:42 offset1:43
	v_mov_b32_e32 v117, 21
	v_mov_b32_e32 v123, v12
	;; [unrolled: 1-line block ×9, first 2 shown]
	ds_write2_b64 v114, v[119:120], v[121:122] offset0:44 offset1:45
	ds_write2_b64 v114, v[123:124], v[125:126] offset0:46 offset1:47
	;; [unrolled: 1-line block ×3, first 2 shown]
	ds_write_b64 v114, v[106:107] offset:400
.LBB100_367:
	s_or_b32 exec_lo, exec_lo, s0
	s_mov_b32 s0, exec_lo
	s_waitcnt lgkmcnt(0)
	s_waitcnt_vscnt null, 0x0
	s_barrier
	buffer_gl0_inv
	v_cmpx_lt_i32_e32 21, v117
	s_cbranch_execz .LBB100_369
; %bb.368:
	v_mul_f64 v[62:63], v[0:1], v[62:63]
	ds_read2_b64 v[118:121], v114 offset0:22 offset1:23
	ds_read2_b64 v[122:125], v114 offset0:24 offset1:25
	;; [unrolled: 1-line block ×14, first 2 shown]
	ds_read_b64 v[0:1], v114 offset:400
	s_waitcnt lgkmcnt(14)
	v_fma_f64 v[60:61], -v[62:63], v[118:119], v[60:61]
	v_fma_f64 v[58:59], -v[62:63], v[120:121], v[58:59]
	s_waitcnt lgkmcnt(13)
	v_fma_f64 v[56:57], -v[62:63], v[122:123], v[56:57]
	v_fma_f64 v[54:55], -v[62:63], v[124:125], v[54:55]
	;; [unrolled: 3-line block ×14, first 2 shown]
	s_waitcnt lgkmcnt(0)
	v_fma_f64 v[106:107], -v[62:63], v[0:1], v[106:107]
.LBB100_369:
	s_or_b32 exec_lo, exec_lo, s0
	v_lshl_add_u32 v0, v117, 3, v114
	s_barrier
	buffer_gl0_inv
	v_mov_b32_e32 v108, 22
	ds_write_b64 v0, v[60:61]
	s_waitcnt lgkmcnt(0)
	s_barrier
	buffer_gl0_inv
	ds_read_b64 v[0:1], v114 offset:176
	s_cmp_lt_i32 s7, 24
	s_cbranch_scc1 .LBB100_372
; %bb.370:
	v_add3_u32 v109, v115, 0, 0xb8
	v_mov_b32_e32 v108, 22
	s_mov_b32 s0, 23
.LBB100_371:                            ; =>This Inner Loop Header: Depth=1
	ds_read_b64 v[118:119], v109
	v_add_nc_u32_e32 v109, 8, v109
	s_waitcnt lgkmcnt(0)
	v_cmp_lt_f64_e64 vcc_lo, |v[0:1]|, |v[118:119]|
	v_cndmask_b32_e32 v1, v1, v119, vcc_lo
	v_cndmask_b32_e32 v0, v0, v118, vcc_lo
	v_cndmask_b32_e64 v108, v108, s0, vcc_lo
	s_add_i32 s0, s0, 1
	s_cmp_lg_u32 s7, s0
	s_cbranch_scc1 .LBB100_371
.LBB100_372:
	s_mov_b32 s0, exec_lo
	s_waitcnt lgkmcnt(0)
	v_cmpx_eq_f64_e32 0, v[0:1]
	s_xor_b32 s0, exec_lo, s0
; %bb.373:
	v_cmp_ne_u32_e32 vcc_lo, 0, v111
	v_cndmask_b32_e32 v111, 23, v111, vcc_lo
; %bb.374:
	s_andn2_saveexec_b32 s0, s0
	s_cbranch_execz .LBB100_376
; %bb.375:
	v_div_scale_f64 v[109:110], null, v[0:1], v[0:1], 1.0
	v_rcp_f64_e32 v[118:119], v[109:110]
	v_fma_f64 v[120:121], -v[109:110], v[118:119], 1.0
	v_fma_f64 v[118:119], v[118:119], v[120:121], v[118:119]
	v_fma_f64 v[120:121], -v[109:110], v[118:119], 1.0
	v_fma_f64 v[118:119], v[118:119], v[120:121], v[118:119]
	v_div_scale_f64 v[120:121], vcc_lo, 1.0, v[0:1], 1.0
	v_mul_f64 v[122:123], v[120:121], v[118:119]
	v_fma_f64 v[109:110], -v[109:110], v[122:123], v[120:121]
	v_div_fmas_f64 v[109:110], v[109:110], v[118:119], v[122:123]
	v_div_fixup_f64 v[0:1], v[109:110], v[0:1], 1.0
.LBB100_376:
	s_or_b32 exec_lo, exec_lo, s0
	s_mov_b32 s0, exec_lo
	v_cmpx_ne_u32_e64 v117, v108
	s_xor_b32 s0, exec_lo, s0
	s_cbranch_execz .LBB100_382
; %bb.377:
	s_mov_b32 s1, exec_lo
	v_cmpx_eq_u32_e32 22, v117
	s_cbranch_execz .LBB100_381
; %bb.378:
	v_cmp_ne_u32_e32 vcc_lo, 22, v108
	s_xor_b32 s2, s6, -1
	s_and_b32 s3, s2, vcc_lo
	s_and_saveexec_b32 s2, s3
	s_cbranch_execz .LBB100_380
; %bb.379:
	v_ashrrev_i32_e32 v109, 31, v108
	v_lshlrev_b64 v[109:110], 2, v[108:109]
	v_add_co_u32 v109, vcc_lo, v4, v109
	v_add_co_ci_u32_e64 v110, null, v5, v110, vcc_lo
	s_clause 0x1
	global_load_dword v116, v[109:110], off
	global_load_dword v117, v[4:5], off offset:88
	s_waitcnt vmcnt(1)
	global_store_dword v[4:5], v116, off offset:88
	s_waitcnt vmcnt(0)
	global_store_dword v[109:110], v117, off
.LBB100_380:
	s_or_b32 exec_lo, exec_lo, s2
	v_mov_b32_e32 v116, v108
	v_mov_b32_e32 v117, v108
.LBB100_381:
	s_or_b32 exec_lo, exec_lo, s1
.LBB100_382:
	s_andn2_saveexec_b32 s0, s0
	s_cbranch_execz .LBB100_384
; %bb.383:
	v_mov_b32_e32 v117, 22
	ds_write2_b64 v114, v[58:59], v[56:57] offset0:23 offset1:24
	ds_write2_b64 v114, v[54:55], v[52:53] offset0:25 offset1:26
	;; [unrolled: 1-line block ×14, first 2 shown]
.LBB100_384:
	s_or_b32 exec_lo, exec_lo, s0
	s_mov_b32 s0, exec_lo
	s_waitcnt lgkmcnt(0)
	s_waitcnt_vscnt null, 0x0
	s_barrier
	buffer_gl0_inv
	v_cmpx_lt_i32_e32 22, v117
	s_cbranch_execz .LBB100_386
; %bb.385:
	v_mul_f64 v[60:61], v[0:1], v[60:61]
	ds_read2_b64 v[118:121], v114 offset0:23 offset1:24
	ds_read2_b64 v[122:125], v114 offset0:25 offset1:26
	;; [unrolled: 1-line block ×14, first 2 shown]
	s_waitcnt lgkmcnt(13)
	v_fma_f64 v[58:59], -v[60:61], v[118:119], v[58:59]
	v_fma_f64 v[56:57], -v[60:61], v[120:121], v[56:57]
	s_waitcnt lgkmcnt(12)
	v_fma_f64 v[54:55], -v[60:61], v[122:123], v[54:55]
	v_fma_f64 v[52:53], -v[60:61], v[124:125], v[52:53]
	;; [unrolled: 3-line block ×14, first 2 shown]
.LBB100_386:
	s_or_b32 exec_lo, exec_lo, s0
	v_lshl_add_u32 v0, v117, 3, v114
	s_barrier
	buffer_gl0_inv
	v_mov_b32_e32 v108, 23
	ds_write_b64 v0, v[58:59]
	s_waitcnt lgkmcnt(0)
	s_barrier
	buffer_gl0_inv
	ds_read_b64 v[0:1], v114 offset:184
	s_cmp_lt_i32 s7, 25
	s_cbranch_scc1 .LBB100_389
; %bb.387:
	v_add3_u32 v109, v115, 0, 0xc0
	v_mov_b32_e32 v108, 23
	s_mov_b32 s0, 24
.LBB100_388:                            ; =>This Inner Loop Header: Depth=1
	ds_read_b64 v[118:119], v109
	v_add_nc_u32_e32 v109, 8, v109
	s_waitcnt lgkmcnt(0)
	v_cmp_lt_f64_e64 vcc_lo, |v[0:1]|, |v[118:119]|
	v_cndmask_b32_e32 v1, v1, v119, vcc_lo
	v_cndmask_b32_e32 v0, v0, v118, vcc_lo
	v_cndmask_b32_e64 v108, v108, s0, vcc_lo
	s_add_i32 s0, s0, 1
	s_cmp_lg_u32 s7, s0
	s_cbranch_scc1 .LBB100_388
.LBB100_389:
	s_mov_b32 s0, exec_lo
	s_waitcnt lgkmcnt(0)
	v_cmpx_eq_f64_e32 0, v[0:1]
	s_xor_b32 s0, exec_lo, s0
; %bb.390:
	v_cmp_ne_u32_e32 vcc_lo, 0, v111
	v_cndmask_b32_e32 v111, 24, v111, vcc_lo
; %bb.391:
	s_andn2_saveexec_b32 s0, s0
	s_cbranch_execz .LBB100_393
; %bb.392:
	v_div_scale_f64 v[109:110], null, v[0:1], v[0:1], 1.0
	v_rcp_f64_e32 v[118:119], v[109:110]
	v_fma_f64 v[120:121], -v[109:110], v[118:119], 1.0
	v_fma_f64 v[118:119], v[118:119], v[120:121], v[118:119]
	v_fma_f64 v[120:121], -v[109:110], v[118:119], 1.0
	v_fma_f64 v[118:119], v[118:119], v[120:121], v[118:119]
	v_div_scale_f64 v[120:121], vcc_lo, 1.0, v[0:1], 1.0
	v_mul_f64 v[122:123], v[120:121], v[118:119]
	v_fma_f64 v[109:110], -v[109:110], v[122:123], v[120:121]
	v_div_fmas_f64 v[109:110], v[109:110], v[118:119], v[122:123]
	v_div_fixup_f64 v[0:1], v[109:110], v[0:1], 1.0
.LBB100_393:
	s_or_b32 exec_lo, exec_lo, s0
	s_mov_b32 s0, exec_lo
	v_cmpx_ne_u32_e64 v117, v108
	s_xor_b32 s0, exec_lo, s0
	s_cbranch_execz .LBB100_399
; %bb.394:
	s_mov_b32 s1, exec_lo
	v_cmpx_eq_u32_e32 23, v117
	s_cbranch_execz .LBB100_398
; %bb.395:
	v_cmp_ne_u32_e32 vcc_lo, 23, v108
	s_xor_b32 s2, s6, -1
	s_and_b32 s3, s2, vcc_lo
	s_and_saveexec_b32 s2, s3
	s_cbranch_execz .LBB100_397
; %bb.396:
	v_ashrrev_i32_e32 v109, 31, v108
	v_lshlrev_b64 v[109:110], 2, v[108:109]
	v_add_co_u32 v109, vcc_lo, v4, v109
	v_add_co_ci_u32_e64 v110, null, v5, v110, vcc_lo
	s_clause 0x1
	global_load_dword v116, v[109:110], off
	global_load_dword v117, v[4:5], off offset:92
	s_waitcnt vmcnt(1)
	global_store_dword v[4:5], v116, off offset:92
	s_waitcnt vmcnt(0)
	global_store_dword v[109:110], v117, off
.LBB100_397:
	s_or_b32 exec_lo, exec_lo, s2
	v_mov_b32_e32 v116, v108
	v_mov_b32_e32 v117, v108
.LBB100_398:
	s_or_b32 exec_lo, exec_lo, s1
.LBB100_399:
	s_andn2_saveexec_b32 s0, s0
	s_cbranch_execz .LBB100_401
; %bb.400:
	v_mov_b32_e32 v108, v56
	v_mov_b32_e32 v109, v57
	;; [unrolled: 1-line block ×16, first 2 shown]
	ds_write2_b64 v114, v[108:109], v[117:118] offset0:24 offset1:25
	ds_write2_b64 v114, v[119:120], v[121:122] offset0:26 offset1:27
	;; [unrolled: 1-line block ×4, first 2 shown]
	v_mov_b32_e32 v108, v40
	v_mov_b32_e32 v109, v41
	;; [unrolled: 1-line block ×20, first 2 shown]
	ds_write2_b64 v114, v[108:109], v[117:118] offset0:32 offset1:33
	ds_write2_b64 v114, v[119:120], v[121:122] offset0:34 offset1:35
	;; [unrolled: 1-line block ×5, first 2 shown]
	v_mov_b32_e32 v108, v20
	v_mov_b32_e32 v109, v21
	v_mov_b32_e32 v117, v18
	v_mov_b32_e32 v118, v19
	v_mov_b32_e32 v119, v16
	v_mov_b32_e32 v120, v17
	v_mov_b32_e32 v121, v14
	v_mov_b32_e32 v122, v15
	ds_write2_b64 v114, v[108:109], v[117:118] offset0:42 offset1:43
	v_mov_b32_e32 v117, 23
	v_mov_b32_e32 v123, v12
	;; [unrolled: 1-line block ×9, first 2 shown]
	ds_write2_b64 v114, v[119:120], v[121:122] offset0:44 offset1:45
	ds_write2_b64 v114, v[123:124], v[125:126] offset0:46 offset1:47
	;; [unrolled: 1-line block ×3, first 2 shown]
	ds_write_b64 v114, v[106:107] offset:400
.LBB100_401:
	s_or_b32 exec_lo, exec_lo, s0
	s_mov_b32 s0, exec_lo
	s_waitcnt lgkmcnt(0)
	s_waitcnt_vscnt null, 0x0
	s_barrier
	buffer_gl0_inv
	v_cmpx_lt_i32_e32 23, v117
	s_cbranch_execz .LBB100_403
; %bb.402:
	v_mul_f64 v[58:59], v[0:1], v[58:59]
	ds_read2_b64 v[118:121], v114 offset0:24 offset1:25
	ds_read2_b64 v[122:125], v114 offset0:26 offset1:27
	;; [unrolled: 1-line block ×13, first 2 shown]
	ds_read_b64 v[0:1], v114 offset:400
	s_waitcnt lgkmcnt(13)
	v_fma_f64 v[56:57], -v[58:59], v[118:119], v[56:57]
	v_fma_f64 v[54:55], -v[58:59], v[120:121], v[54:55]
	s_waitcnt lgkmcnt(12)
	v_fma_f64 v[52:53], -v[58:59], v[122:123], v[52:53]
	v_fma_f64 v[48:49], -v[58:59], v[124:125], v[48:49]
	;; [unrolled: 3-line block ×13, first 2 shown]
	s_waitcnt lgkmcnt(0)
	v_fma_f64 v[106:107], -v[58:59], v[0:1], v[106:107]
.LBB100_403:
	s_or_b32 exec_lo, exec_lo, s0
	v_lshl_add_u32 v0, v117, 3, v114
	s_barrier
	buffer_gl0_inv
	v_mov_b32_e32 v108, 24
	ds_write_b64 v0, v[56:57]
	s_waitcnt lgkmcnt(0)
	s_barrier
	buffer_gl0_inv
	ds_read_b64 v[0:1], v114 offset:192
	s_cmp_lt_i32 s7, 26
	s_cbranch_scc1 .LBB100_406
; %bb.404:
	v_add3_u32 v109, v115, 0, 0xc8
	v_mov_b32_e32 v108, 24
	s_mov_b32 s0, 25
.LBB100_405:                            ; =>This Inner Loop Header: Depth=1
	ds_read_b64 v[118:119], v109
	v_add_nc_u32_e32 v109, 8, v109
	s_waitcnt lgkmcnt(0)
	v_cmp_lt_f64_e64 vcc_lo, |v[0:1]|, |v[118:119]|
	v_cndmask_b32_e32 v1, v1, v119, vcc_lo
	v_cndmask_b32_e32 v0, v0, v118, vcc_lo
	v_cndmask_b32_e64 v108, v108, s0, vcc_lo
	s_add_i32 s0, s0, 1
	s_cmp_lg_u32 s7, s0
	s_cbranch_scc1 .LBB100_405
.LBB100_406:
	s_mov_b32 s0, exec_lo
	s_waitcnt lgkmcnt(0)
	v_cmpx_eq_f64_e32 0, v[0:1]
	s_xor_b32 s0, exec_lo, s0
; %bb.407:
	v_cmp_ne_u32_e32 vcc_lo, 0, v111
	v_cndmask_b32_e32 v111, 25, v111, vcc_lo
; %bb.408:
	s_andn2_saveexec_b32 s0, s0
	s_cbranch_execz .LBB100_410
; %bb.409:
	v_div_scale_f64 v[109:110], null, v[0:1], v[0:1], 1.0
	v_rcp_f64_e32 v[118:119], v[109:110]
	v_fma_f64 v[120:121], -v[109:110], v[118:119], 1.0
	v_fma_f64 v[118:119], v[118:119], v[120:121], v[118:119]
	v_fma_f64 v[120:121], -v[109:110], v[118:119], 1.0
	v_fma_f64 v[118:119], v[118:119], v[120:121], v[118:119]
	v_div_scale_f64 v[120:121], vcc_lo, 1.0, v[0:1], 1.0
	v_mul_f64 v[122:123], v[120:121], v[118:119]
	v_fma_f64 v[109:110], -v[109:110], v[122:123], v[120:121]
	v_div_fmas_f64 v[109:110], v[109:110], v[118:119], v[122:123]
	v_div_fixup_f64 v[0:1], v[109:110], v[0:1], 1.0
.LBB100_410:
	s_or_b32 exec_lo, exec_lo, s0
	s_mov_b32 s0, exec_lo
	v_cmpx_ne_u32_e64 v117, v108
	s_xor_b32 s0, exec_lo, s0
	s_cbranch_execz .LBB100_416
; %bb.411:
	s_mov_b32 s1, exec_lo
	v_cmpx_eq_u32_e32 24, v117
	s_cbranch_execz .LBB100_415
; %bb.412:
	v_cmp_ne_u32_e32 vcc_lo, 24, v108
	s_xor_b32 s2, s6, -1
	s_and_b32 s3, s2, vcc_lo
	s_and_saveexec_b32 s2, s3
	s_cbranch_execz .LBB100_414
; %bb.413:
	v_ashrrev_i32_e32 v109, 31, v108
	v_lshlrev_b64 v[109:110], 2, v[108:109]
	v_add_co_u32 v109, vcc_lo, v4, v109
	v_add_co_ci_u32_e64 v110, null, v5, v110, vcc_lo
	s_clause 0x1
	global_load_dword v116, v[109:110], off
	global_load_dword v117, v[4:5], off offset:96
	s_waitcnt vmcnt(1)
	global_store_dword v[4:5], v116, off offset:96
	s_waitcnt vmcnt(0)
	global_store_dword v[109:110], v117, off
.LBB100_414:
	s_or_b32 exec_lo, exec_lo, s2
	v_mov_b32_e32 v116, v108
	v_mov_b32_e32 v117, v108
.LBB100_415:
	s_or_b32 exec_lo, exec_lo, s1
.LBB100_416:
	s_andn2_saveexec_b32 s0, s0
	s_cbranch_execz .LBB100_418
; %bb.417:
	v_mov_b32_e32 v117, 24
	ds_write2_b64 v114, v[54:55], v[52:53] offset0:25 offset1:26
	ds_write2_b64 v114, v[48:49], v[50:51] offset0:27 offset1:28
	;; [unrolled: 1-line block ×13, first 2 shown]
.LBB100_418:
	s_or_b32 exec_lo, exec_lo, s0
	s_mov_b32 s0, exec_lo
	s_waitcnt lgkmcnt(0)
	s_waitcnt_vscnt null, 0x0
	s_barrier
	buffer_gl0_inv
	v_cmpx_lt_i32_e32 24, v117
	s_cbranch_execz .LBB100_420
; %bb.419:
	v_mul_f64 v[56:57], v[0:1], v[56:57]
	ds_read2_b64 v[118:121], v114 offset0:25 offset1:26
	ds_read2_b64 v[122:125], v114 offset0:27 offset1:28
	;; [unrolled: 1-line block ×13, first 2 shown]
	s_waitcnt lgkmcnt(12)
	v_fma_f64 v[54:55], -v[56:57], v[118:119], v[54:55]
	v_fma_f64 v[52:53], -v[56:57], v[120:121], v[52:53]
	s_waitcnt lgkmcnt(11)
	v_fma_f64 v[48:49], -v[56:57], v[122:123], v[48:49]
	v_fma_f64 v[50:51], -v[56:57], v[124:125], v[50:51]
	;; [unrolled: 3-line block ×13, first 2 shown]
.LBB100_420:
	s_or_b32 exec_lo, exec_lo, s0
	v_lshl_add_u32 v0, v117, 3, v114
	s_barrier
	buffer_gl0_inv
	v_mov_b32_e32 v108, 25
	ds_write_b64 v0, v[54:55]
	s_waitcnt lgkmcnt(0)
	s_barrier
	buffer_gl0_inv
	ds_read_b64 v[0:1], v114 offset:200
	s_cmp_lt_i32 s7, 27
	s_cbranch_scc1 .LBB100_423
; %bb.421:
	v_add3_u32 v109, v115, 0, 0xd0
	v_mov_b32_e32 v108, 25
	s_mov_b32 s0, 26
.LBB100_422:                            ; =>This Inner Loop Header: Depth=1
	ds_read_b64 v[118:119], v109
	v_add_nc_u32_e32 v109, 8, v109
	s_waitcnt lgkmcnt(0)
	v_cmp_lt_f64_e64 vcc_lo, |v[0:1]|, |v[118:119]|
	v_cndmask_b32_e32 v1, v1, v119, vcc_lo
	v_cndmask_b32_e32 v0, v0, v118, vcc_lo
	v_cndmask_b32_e64 v108, v108, s0, vcc_lo
	s_add_i32 s0, s0, 1
	s_cmp_lg_u32 s7, s0
	s_cbranch_scc1 .LBB100_422
.LBB100_423:
	s_mov_b32 s0, exec_lo
	s_waitcnt lgkmcnt(0)
	v_cmpx_eq_f64_e32 0, v[0:1]
	s_xor_b32 s0, exec_lo, s0
; %bb.424:
	v_cmp_ne_u32_e32 vcc_lo, 0, v111
	v_cndmask_b32_e32 v111, 26, v111, vcc_lo
; %bb.425:
	s_andn2_saveexec_b32 s0, s0
	s_cbranch_execz .LBB100_427
; %bb.426:
	v_div_scale_f64 v[109:110], null, v[0:1], v[0:1], 1.0
	v_rcp_f64_e32 v[118:119], v[109:110]
	v_fma_f64 v[120:121], -v[109:110], v[118:119], 1.0
	v_fma_f64 v[118:119], v[118:119], v[120:121], v[118:119]
	v_fma_f64 v[120:121], -v[109:110], v[118:119], 1.0
	v_fma_f64 v[118:119], v[118:119], v[120:121], v[118:119]
	v_div_scale_f64 v[120:121], vcc_lo, 1.0, v[0:1], 1.0
	v_mul_f64 v[122:123], v[120:121], v[118:119]
	v_fma_f64 v[109:110], -v[109:110], v[122:123], v[120:121]
	v_div_fmas_f64 v[109:110], v[109:110], v[118:119], v[122:123]
	v_div_fixup_f64 v[0:1], v[109:110], v[0:1], 1.0
.LBB100_427:
	s_or_b32 exec_lo, exec_lo, s0
	s_mov_b32 s0, exec_lo
	v_cmpx_ne_u32_e64 v117, v108
	s_xor_b32 s0, exec_lo, s0
	s_cbranch_execz .LBB100_433
; %bb.428:
	s_mov_b32 s1, exec_lo
	v_cmpx_eq_u32_e32 25, v117
	s_cbranch_execz .LBB100_432
; %bb.429:
	v_cmp_ne_u32_e32 vcc_lo, 25, v108
	s_xor_b32 s2, s6, -1
	s_and_b32 s3, s2, vcc_lo
	s_and_saveexec_b32 s2, s3
	s_cbranch_execz .LBB100_431
; %bb.430:
	v_ashrrev_i32_e32 v109, 31, v108
	v_lshlrev_b64 v[109:110], 2, v[108:109]
	v_add_co_u32 v109, vcc_lo, v4, v109
	v_add_co_ci_u32_e64 v110, null, v5, v110, vcc_lo
	s_clause 0x1
	global_load_dword v116, v[109:110], off
	global_load_dword v117, v[4:5], off offset:100
	s_waitcnt vmcnt(1)
	global_store_dword v[4:5], v116, off offset:100
	s_waitcnt vmcnt(0)
	global_store_dword v[109:110], v117, off
.LBB100_431:
	s_or_b32 exec_lo, exec_lo, s2
	v_mov_b32_e32 v116, v108
	v_mov_b32_e32 v117, v108
.LBB100_432:
	s_or_b32 exec_lo, exec_lo, s1
.LBB100_433:
	s_andn2_saveexec_b32 s0, s0
	s_cbranch_execz .LBB100_435
; %bb.434:
	v_mov_b32_e32 v108, v52
	v_mov_b32_e32 v109, v53
	;; [unrolled: 1-line block ×12, first 2 shown]
	ds_write2_b64 v114, v[108:109], v[117:118] offset0:26 offset1:27
	ds_write2_b64 v114, v[119:120], v[121:122] offset0:28 offset1:29
	;; [unrolled: 1-line block ×3, first 2 shown]
	v_mov_b32_e32 v108, v40
	v_mov_b32_e32 v109, v41
	;; [unrolled: 1-line block ×20, first 2 shown]
	ds_write2_b64 v114, v[108:109], v[117:118] offset0:32 offset1:33
	ds_write2_b64 v114, v[119:120], v[121:122] offset0:34 offset1:35
	;; [unrolled: 1-line block ×5, first 2 shown]
	v_mov_b32_e32 v108, v20
	v_mov_b32_e32 v109, v21
	;; [unrolled: 1-line block ×8, first 2 shown]
	ds_write2_b64 v114, v[108:109], v[117:118] offset0:42 offset1:43
	v_mov_b32_e32 v117, 25
	v_mov_b32_e32 v123, v12
	;; [unrolled: 1-line block ×9, first 2 shown]
	ds_write2_b64 v114, v[119:120], v[121:122] offset0:44 offset1:45
	ds_write2_b64 v114, v[123:124], v[125:126] offset0:46 offset1:47
	;; [unrolled: 1-line block ×3, first 2 shown]
	ds_write_b64 v114, v[106:107] offset:400
.LBB100_435:
	s_or_b32 exec_lo, exec_lo, s0
	s_mov_b32 s0, exec_lo
	s_waitcnt lgkmcnt(0)
	s_waitcnt_vscnt null, 0x0
	s_barrier
	buffer_gl0_inv
	v_cmpx_lt_i32_e32 25, v117
	s_cbranch_execz .LBB100_437
; %bb.436:
	v_mul_f64 v[54:55], v[0:1], v[54:55]
	ds_read2_b64 v[118:121], v114 offset0:26 offset1:27
	ds_read2_b64 v[122:125], v114 offset0:28 offset1:29
	;; [unrolled: 1-line block ×12, first 2 shown]
	ds_read_b64 v[0:1], v114 offset:400
	s_waitcnt lgkmcnt(12)
	v_fma_f64 v[52:53], -v[54:55], v[118:119], v[52:53]
	v_fma_f64 v[48:49], -v[54:55], v[120:121], v[48:49]
	s_waitcnt lgkmcnt(11)
	v_fma_f64 v[50:51], -v[54:55], v[122:123], v[50:51]
	v_fma_f64 v[44:45], -v[54:55], v[124:125], v[44:45]
	;; [unrolled: 3-line block ×12, first 2 shown]
	s_waitcnt lgkmcnt(0)
	v_fma_f64 v[106:107], -v[54:55], v[0:1], v[106:107]
.LBB100_437:
	s_or_b32 exec_lo, exec_lo, s0
	v_lshl_add_u32 v0, v117, 3, v114
	s_barrier
	buffer_gl0_inv
	v_mov_b32_e32 v108, 26
	ds_write_b64 v0, v[52:53]
	s_waitcnt lgkmcnt(0)
	s_barrier
	buffer_gl0_inv
	ds_read_b64 v[0:1], v114 offset:208
	s_cmp_lt_i32 s7, 28
	s_cbranch_scc1 .LBB100_440
; %bb.438:
	v_add3_u32 v109, v115, 0, 0xd8
	v_mov_b32_e32 v108, 26
	s_mov_b32 s0, 27
.LBB100_439:                            ; =>This Inner Loop Header: Depth=1
	ds_read_b64 v[118:119], v109
	v_add_nc_u32_e32 v109, 8, v109
	s_waitcnt lgkmcnt(0)
	v_cmp_lt_f64_e64 vcc_lo, |v[0:1]|, |v[118:119]|
	v_cndmask_b32_e32 v1, v1, v119, vcc_lo
	v_cndmask_b32_e32 v0, v0, v118, vcc_lo
	v_cndmask_b32_e64 v108, v108, s0, vcc_lo
	s_add_i32 s0, s0, 1
	s_cmp_lg_u32 s7, s0
	s_cbranch_scc1 .LBB100_439
.LBB100_440:
	s_mov_b32 s0, exec_lo
	s_waitcnt lgkmcnt(0)
	v_cmpx_eq_f64_e32 0, v[0:1]
	s_xor_b32 s0, exec_lo, s0
; %bb.441:
	v_cmp_ne_u32_e32 vcc_lo, 0, v111
	v_cndmask_b32_e32 v111, 27, v111, vcc_lo
; %bb.442:
	s_andn2_saveexec_b32 s0, s0
	s_cbranch_execz .LBB100_444
; %bb.443:
	v_div_scale_f64 v[109:110], null, v[0:1], v[0:1], 1.0
	v_rcp_f64_e32 v[118:119], v[109:110]
	v_fma_f64 v[120:121], -v[109:110], v[118:119], 1.0
	v_fma_f64 v[118:119], v[118:119], v[120:121], v[118:119]
	v_fma_f64 v[120:121], -v[109:110], v[118:119], 1.0
	v_fma_f64 v[118:119], v[118:119], v[120:121], v[118:119]
	v_div_scale_f64 v[120:121], vcc_lo, 1.0, v[0:1], 1.0
	v_mul_f64 v[122:123], v[120:121], v[118:119]
	v_fma_f64 v[109:110], -v[109:110], v[122:123], v[120:121]
	v_div_fmas_f64 v[109:110], v[109:110], v[118:119], v[122:123]
	v_div_fixup_f64 v[0:1], v[109:110], v[0:1], 1.0
.LBB100_444:
	s_or_b32 exec_lo, exec_lo, s0
	s_mov_b32 s0, exec_lo
	v_cmpx_ne_u32_e64 v117, v108
	s_xor_b32 s0, exec_lo, s0
	s_cbranch_execz .LBB100_450
; %bb.445:
	s_mov_b32 s1, exec_lo
	v_cmpx_eq_u32_e32 26, v117
	s_cbranch_execz .LBB100_449
; %bb.446:
	v_cmp_ne_u32_e32 vcc_lo, 26, v108
	s_xor_b32 s2, s6, -1
	s_and_b32 s3, s2, vcc_lo
	s_and_saveexec_b32 s2, s3
	s_cbranch_execz .LBB100_448
; %bb.447:
	v_ashrrev_i32_e32 v109, 31, v108
	v_lshlrev_b64 v[109:110], 2, v[108:109]
	v_add_co_u32 v109, vcc_lo, v4, v109
	v_add_co_ci_u32_e64 v110, null, v5, v110, vcc_lo
	s_clause 0x1
	global_load_dword v116, v[109:110], off
	global_load_dword v117, v[4:5], off offset:104
	s_waitcnt vmcnt(1)
	global_store_dword v[4:5], v116, off offset:104
	s_waitcnt vmcnt(0)
	global_store_dword v[109:110], v117, off
.LBB100_448:
	s_or_b32 exec_lo, exec_lo, s2
	v_mov_b32_e32 v116, v108
	v_mov_b32_e32 v117, v108
.LBB100_449:
	s_or_b32 exec_lo, exec_lo, s1
.LBB100_450:
	s_andn2_saveexec_b32 s0, s0
	s_cbranch_execz .LBB100_452
; %bb.451:
	v_mov_b32_e32 v117, 26
	ds_write2_b64 v114, v[48:49], v[50:51] offset0:27 offset1:28
	ds_write2_b64 v114, v[44:45], v[46:47] offset0:29 offset1:30
	;; [unrolled: 1-line block ×12, first 2 shown]
.LBB100_452:
	s_or_b32 exec_lo, exec_lo, s0
	s_mov_b32 s0, exec_lo
	s_waitcnt lgkmcnt(0)
	s_waitcnt_vscnt null, 0x0
	s_barrier
	buffer_gl0_inv
	v_cmpx_lt_i32_e32 26, v117
	s_cbranch_execz .LBB100_454
; %bb.453:
	v_mul_f64 v[52:53], v[0:1], v[52:53]
	ds_read2_b64 v[118:121], v114 offset0:27 offset1:28
	ds_read2_b64 v[122:125], v114 offset0:29 offset1:30
	ds_read2_b64 v[126:129], v114 offset0:31 offset1:32
	ds_read2_b64 v[130:133], v114 offset0:33 offset1:34
	ds_read2_b64 v[134:137], v114 offset0:35 offset1:36
	ds_read2_b64 v[138:141], v114 offset0:37 offset1:38
	ds_read2_b64 v[142:145], v114 offset0:39 offset1:40
	ds_read2_b64 v[146:149], v114 offset0:41 offset1:42
	ds_read2_b64 v[150:153], v114 offset0:43 offset1:44
	ds_read2_b64 v[154:157], v114 offset0:45 offset1:46
	ds_read2_b64 v[158:161], v114 offset0:47 offset1:48
	ds_read2_b64 v[162:165], v114 offset0:49 offset1:50
	s_waitcnt lgkmcnt(11)
	v_fma_f64 v[48:49], -v[52:53], v[118:119], v[48:49]
	v_fma_f64 v[50:51], -v[52:53], v[120:121], v[50:51]
	s_waitcnt lgkmcnt(10)
	v_fma_f64 v[44:45], -v[52:53], v[122:123], v[44:45]
	v_fma_f64 v[46:47], -v[52:53], v[124:125], v[46:47]
	;; [unrolled: 3-line block ×12, first 2 shown]
.LBB100_454:
	s_or_b32 exec_lo, exec_lo, s0
	v_lshl_add_u32 v0, v117, 3, v114
	s_barrier
	buffer_gl0_inv
	v_mov_b32_e32 v108, 27
	ds_write_b64 v0, v[48:49]
	s_waitcnt lgkmcnt(0)
	s_barrier
	buffer_gl0_inv
	ds_read_b64 v[0:1], v114 offset:216
	s_cmp_lt_i32 s7, 29
	s_cbranch_scc1 .LBB100_457
; %bb.455:
	v_add3_u32 v109, v115, 0, 0xe0
	v_mov_b32_e32 v108, 27
	s_mov_b32 s0, 28
.LBB100_456:                            ; =>This Inner Loop Header: Depth=1
	ds_read_b64 v[118:119], v109
	v_add_nc_u32_e32 v109, 8, v109
	s_waitcnt lgkmcnt(0)
	v_cmp_lt_f64_e64 vcc_lo, |v[0:1]|, |v[118:119]|
	v_cndmask_b32_e32 v1, v1, v119, vcc_lo
	v_cndmask_b32_e32 v0, v0, v118, vcc_lo
	v_cndmask_b32_e64 v108, v108, s0, vcc_lo
	s_add_i32 s0, s0, 1
	s_cmp_lg_u32 s7, s0
	s_cbranch_scc1 .LBB100_456
.LBB100_457:
	s_mov_b32 s0, exec_lo
	s_waitcnt lgkmcnt(0)
	v_cmpx_eq_f64_e32 0, v[0:1]
	s_xor_b32 s0, exec_lo, s0
; %bb.458:
	v_cmp_ne_u32_e32 vcc_lo, 0, v111
	v_cndmask_b32_e32 v111, 28, v111, vcc_lo
; %bb.459:
	s_andn2_saveexec_b32 s0, s0
	s_cbranch_execz .LBB100_461
; %bb.460:
	v_div_scale_f64 v[109:110], null, v[0:1], v[0:1], 1.0
	v_rcp_f64_e32 v[118:119], v[109:110]
	v_fma_f64 v[120:121], -v[109:110], v[118:119], 1.0
	v_fma_f64 v[118:119], v[118:119], v[120:121], v[118:119]
	v_fma_f64 v[120:121], -v[109:110], v[118:119], 1.0
	v_fma_f64 v[118:119], v[118:119], v[120:121], v[118:119]
	v_div_scale_f64 v[120:121], vcc_lo, 1.0, v[0:1], 1.0
	v_mul_f64 v[122:123], v[120:121], v[118:119]
	v_fma_f64 v[109:110], -v[109:110], v[122:123], v[120:121]
	v_div_fmas_f64 v[109:110], v[109:110], v[118:119], v[122:123]
	v_div_fixup_f64 v[0:1], v[109:110], v[0:1], 1.0
.LBB100_461:
	s_or_b32 exec_lo, exec_lo, s0
	s_mov_b32 s0, exec_lo
	v_cmpx_ne_u32_e64 v117, v108
	s_xor_b32 s0, exec_lo, s0
	s_cbranch_execz .LBB100_467
; %bb.462:
	s_mov_b32 s1, exec_lo
	v_cmpx_eq_u32_e32 27, v117
	s_cbranch_execz .LBB100_466
; %bb.463:
	v_cmp_ne_u32_e32 vcc_lo, 27, v108
	s_xor_b32 s2, s6, -1
	s_and_b32 s3, s2, vcc_lo
	s_and_saveexec_b32 s2, s3
	s_cbranch_execz .LBB100_465
; %bb.464:
	v_ashrrev_i32_e32 v109, 31, v108
	v_lshlrev_b64 v[109:110], 2, v[108:109]
	v_add_co_u32 v109, vcc_lo, v4, v109
	v_add_co_ci_u32_e64 v110, null, v5, v110, vcc_lo
	s_clause 0x1
	global_load_dword v116, v[109:110], off
	global_load_dword v117, v[4:5], off offset:108
	s_waitcnt vmcnt(1)
	global_store_dword v[4:5], v116, off offset:108
	s_waitcnt vmcnt(0)
	global_store_dword v[109:110], v117, off
.LBB100_465:
	s_or_b32 exec_lo, exec_lo, s2
	v_mov_b32_e32 v116, v108
	v_mov_b32_e32 v117, v108
.LBB100_466:
	s_or_b32 exec_lo, exec_lo, s1
.LBB100_467:
	s_andn2_saveexec_b32 s0, s0
	s_cbranch_execz .LBB100_469
; %bb.468:
	v_mov_b32_e32 v108, v50
	v_mov_b32_e32 v109, v51
	;; [unrolled: 1-line block ×8, first 2 shown]
	ds_write2_b64 v114, v[108:109], v[117:118] offset0:28 offset1:29
	ds_write2_b64 v114, v[119:120], v[121:122] offset0:30 offset1:31
	v_mov_b32_e32 v108, v40
	v_mov_b32_e32 v109, v41
	;; [unrolled: 1-line block ×20, first 2 shown]
	ds_write2_b64 v114, v[108:109], v[117:118] offset0:32 offset1:33
	ds_write2_b64 v114, v[119:120], v[121:122] offset0:34 offset1:35
	;; [unrolled: 1-line block ×5, first 2 shown]
	v_mov_b32_e32 v108, v20
	v_mov_b32_e32 v109, v21
	;; [unrolled: 1-line block ×8, first 2 shown]
	ds_write2_b64 v114, v[108:109], v[117:118] offset0:42 offset1:43
	v_mov_b32_e32 v117, 27
	v_mov_b32_e32 v123, v12
	;; [unrolled: 1-line block ×9, first 2 shown]
	ds_write2_b64 v114, v[119:120], v[121:122] offset0:44 offset1:45
	ds_write2_b64 v114, v[123:124], v[125:126] offset0:46 offset1:47
	;; [unrolled: 1-line block ×3, first 2 shown]
	ds_write_b64 v114, v[106:107] offset:400
.LBB100_469:
	s_or_b32 exec_lo, exec_lo, s0
	s_mov_b32 s0, exec_lo
	s_waitcnt lgkmcnt(0)
	s_waitcnt_vscnt null, 0x0
	s_barrier
	buffer_gl0_inv
	v_cmpx_lt_i32_e32 27, v117
	s_cbranch_execz .LBB100_471
; %bb.470:
	v_mul_f64 v[48:49], v[0:1], v[48:49]
	ds_read2_b64 v[118:121], v114 offset0:28 offset1:29
	ds_read2_b64 v[122:125], v114 offset0:30 offset1:31
	;; [unrolled: 1-line block ×11, first 2 shown]
	ds_read_b64 v[0:1], v114 offset:400
	s_waitcnt lgkmcnt(11)
	v_fma_f64 v[50:51], -v[48:49], v[118:119], v[50:51]
	v_fma_f64 v[44:45], -v[48:49], v[120:121], v[44:45]
	s_waitcnt lgkmcnt(10)
	v_fma_f64 v[46:47], -v[48:49], v[122:123], v[46:47]
	v_fma_f64 v[42:43], -v[48:49], v[124:125], v[42:43]
	;; [unrolled: 3-line block ×11, first 2 shown]
	s_waitcnt lgkmcnt(0)
	v_fma_f64 v[106:107], -v[48:49], v[0:1], v[106:107]
.LBB100_471:
	s_or_b32 exec_lo, exec_lo, s0
	v_lshl_add_u32 v0, v117, 3, v114
	s_barrier
	buffer_gl0_inv
	v_mov_b32_e32 v108, 28
	ds_write_b64 v0, v[50:51]
	s_waitcnt lgkmcnt(0)
	s_barrier
	buffer_gl0_inv
	ds_read_b64 v[0:1], v114 offset:224
	s_cmp_lt_i32 s7, 30
	s_cbranch_scc1 .LBB100_474
; %bb.472:
	v_add3_u32 v109, v115, 0, 0xe8
	v_mov_b32_e32 v108, 28
	s_mov_b32 s0, 29
.LBB100_473:                            ; =>This Inner Loop Header: Depth=1
	ds_read_b64 v[118:119], v109
	v_add_nc_u32_e32 v109, 8, v109
	s_waitcnt lgkmcnt(0)
	v_cmp_lt_f64_e64 vcc_lo, |v[0:1]|, |v[118:119]|
	v_cndmask_b32_e32 v1, v1, v119, vcc_lo
	v_cndmask_b32_e32 v0, v0, v118, vcc_lo
	v_cndmask_b32_e64 v108, v108, s0, vcc_lo
	s_add_i32 s0, s0, 1
	s_cmp_lg_u32 s7, s0
	s_cbranch_scc1 .LBB100_473
.LBB100_474:
	s_mov_b32 s0, exec_lo
	s_waitcnt lgkmcnt(0)
	v_cmpx_eq_f64_e32 0, v[0:1]
	s_xor_b32 s0, exec_lo, s0
; %bb.475:
	v_cmp_ne_u32_e32 vcc_lo, 0, v111
	v_cndmask_b32_e32 v111, 29, v111, vcc_lo
; %bb.476:
	s_andn2_saveexec_b32 s0, s0
	s_cbranch_execz .LBB100_478
; %bb.477:
	v_div_scale_f64 v[109:110], null, v[0:1], v[0:1], 1.0
	v_rcp_f64_e32 v[118:119], v[109:110]
	v_fma_f64 v[120:121], -v[109:110], v[118:119], 1.0
	v_fma_f64 v[118:119], v[118:119], v[120:121], v[118:119]
	v_fma_f64 v[120:121], -v[109:110], v[118:119], 1.0
	v_fma_f64 v[118:119], v[118:119], v[120:121], v[118:119]
	v_div_scale_f64 v[120:121], vcc_lo, 1.0, v[0:1], 1.0
	v_mul_f64 v[122:123], v[120:121], v[118:119]
	v_fma_f64 v[109:110], -v[109:110], v[122:123], v[120:121]
	v_div_fmas_f64 v[109:110], v[109:110], v[118:119], v[122:123]
	v_div_fixup_f64 v[0:1], v[109:110], v[0:1], 1.0
.LBB100_478:
	s_or_b32 exec_lo, exec_lo, s0
	s_mov_b32 s0, exec_lo
	v_cmpx_ne_u32_e64 v117, v108
	s_xor_b32 s0, exec_lo, s0
	s_cbranch_execz .LBB100_484
; %bb.479:
	s_mov_b32 s1, exec_lo
	v_cmpx_eq_u32_e32 28, v117
	s_cbranch_execz .LBB100_483
; %bb.480:
	v_cmp_ne_u32_e32 vcc_lo, 28, v108
	s_xor_b32 s2, s6, -1
	s_and_b32 s3, s2, vcc_lo
	s_and_saveexec_b32 s2, s3
	s_cbranch_execz .LBB100_482
; %bb.481:
	v_ashrrev_i32_e32 v109, 31, v108
	v_lshlrev_b64 v[109:110], 2, v[108:109]
	v_add_co_u32 v109, vcc_lo, v4, v109
	v_add_co_ci_u32_e64 v110, null, v5, v110, vcc_lo
	s_clause 0x1
	global_load_dword v116, v[109:110], off
	global_load_dword v117, v[4:5], off offset:112
	s_waitcnt vmcnt(1)
	global_store_dword v[4:5], v116, off offset:112
	s_waitcnt vmcnt(0)
	global_store_dword v[109:110], v117, off
.LBB100_482:
	s_or_b32 exec_lo, exec_lo, s2
	v_mov_b32_e32 v116, v108
	v_mov_b32_e32 v117, v108
.LBB100_483:
	s_or_b32 exec_lo, exec_lo, s1
.LBB100_484:
	s_andn2_saveexec_b32 s0, s0
	s_cbranch_execz .LBB100_486
; %bb.485:
	v_mov_b32_e32 v117, 28
	ds_write2_b64 v114, v[44:45], v[46:47] offset0:29 offset1:30
	ds_write2_b64 v114, v[42:43], v[40:41] offset0:31 offset1:32
	ds_write2_b64 v114, v[38:39], v[36:37] offset0:33 offset1:34
	ds_write2_b64 v114, v[34:35], v[32:33] offset0:35 offset1:36
	ds_write2_b64 v114, v[28:29], v[30:31] offset0:37 offset1:38
	ds_write2_b64 v114, v[24:25], v[26:27] offset0:39 offset1:40
	ds_write2_b64 v114, v[22:23], v[20:21] offset0:41 offset1:42
	ds_write2_b64 v114, v[18:19], v[16:17] offset0:43 offset1:44
	ds_write2_b64 v114, v[14:15], v[12:13] offset0:45 offset1:46
	ds_write2_b64 v114, v[8:9], v[10:11] offset0:47 offset1:48
	ds_write2_b64 v114, v[6:7], v[106:107] offset0:49 offset1:50
.LBB100_486:
	s_or_b32 exec_lo, exec_lo, s0
	s_mov_b32 s0, exec_lo
	s_waitcnt lgkmcnt(0)
	s_waitcnt_vscnt null, 0x0
	s_barrier
	buffer_gl0_inv
	v_cmpx_lt_i32_e32 28, v117
	s_cbranch_execz .LBB100_488
; %bb.487:
	v_mul_f64 v[50:51], v[0:1], v[50:51]
	ds_read2_b64 v[118:121], v114 offset0:29 offset1:30
	ds_read2_b64 v[122:125], v114 offset0:31 offset1:32
	;; [unrolled: 1-line block ×11, first 2 shown]
	s_waitcnt lgkmcnt(10)
	v_fma_f64 v[44:45], -v[50:51], v[118:119], v[44:45]
	v_fma_f64 v[46:47], -v[50:51], v[120:121], v[46:47]
	s_waitcnt lgkmcnt(9)
	v_fma_f64 v[42:43], -v[50:51], v[122:123], v[42:43]
	v_fma_f64 v[40:41], -v[50:51], v[124:125], v[40:41]
	;; [unrolled: 3-line block ×11, first 2 shown]
.LBB100_488:
	s_or_b32 exec_lo, exec_lo, s0
	v_lshl_add_u32 v0, v117, 3, v114
	s_barrier
	buffer_gl0_inv
	v_mov_b32_e32 v108, 29
	ds_write_b64 v0, v[44:45]
	s_waitcnt lgkmcnt(0)
	s_barrier
	buffer_gl0_inv
	ds_read_b64 v[0:1], v114 offset:232
	s_cmp_lt_i32 s7, 31
	s_cbranch_scc1 .LBB100_491
; %bb.489:
	v_add3_u32 v109, v115, 0, 0xf0
	v_mov_b32_e32 v108, 29
	s_mov_b32 s0, 30
.LBB100_490:                            ; =>This Inner Loop Header: Depth=1
	ds_read_b64 v[118:119], v109
	v_add_nc_u32_e32 v109, 8, v109
	s_waitcnt lgkmcnt(0)
	v_cmp_lt_f64_e64 vcc_lo, |v[0:1]|, |v[118:119]|
	v_cndmask_b32_e32 v1, v1, v119, vcc_lo
	v_cndmask_b32_e32 v0, v0, v118, vcc_lo
	v_cndmask_b32_e64 v108, v108, s0, vcc_lo
	s_add_i32 s0, s0, 1
	s_cmp_lg_u32 s7, s0
	s_cbranch_scc1 .LBB100_490
.LBB100_491:
	s_mov_b32 s0, exec_lo
	s_waitcnt lgkmcnt(0)
	v_cmpx_eq_f64_e32 0, v[0:1]
	s_xor_b32 s0, exec_lo, s0
; %bb.492:
	v_cmp_ne_u32_e32 vcc_lo, 0, v111
	v_cndmask_b32_e32 v111, 30, v111, vcc_lo
; %bb.493:
	s_andn2_saveexec_b32 s0, s0
	s_cbranch_execz .LBB100_495
; %bb.494:
	v_div_scale_f64 v[109:110], null, v[0:1], v[0:1], 1.0
	v_rcp_f64_e32 v[118:119], v[109:110]
	v_fma_f64 v[120:121], -v[109:110], v[118:119], 1.0
	v_fma_f64 v[118:119], v[118:119], v[120:121], v[118:119]
	v_fma_f64 v[120:121], -v[109:110], v[118:119], 1.0
	v_fma_f64 v[118:119], v[118:119], v[120:121], v[118:119]
	v_div_scale_f64 v[120:121], vcc_lo, 1.0, v[0:1], 1.0
	v_mul_f64 v[122:123], v[120:121], v[118:119]
	v_fma_f64 v[109:110], -v[109:110], v[122:123], v[120:121]
	v_div_fmas_f64 v[109:110], v[109:110], v[118:119], v[122:123]
	v_div_fixup_f64 v[0:1], v[109:110], v[0:1], 1.0
.LBB100_495:
	s_or_b32 exec_lo, exec_lo, s0
	s_mov_b32 s0, exec_lo
	v_cmpx_ne_u32_e64 v117, v108
	s_xor_b32 s0, exec_lo, s0
	s_cbranch_execz .LBB100_501
; %bb.496:
	s_mov_b32 s1, exec_lo
	v_cmpx_eq_u32_e32 29, v117
	s_cbranch_execz .LBB100_500
; %bb.497:
	v_cmp_ne_u32_e32 vcc_lo, 29, v108
	s_xor_b32 s2, s6, -1
	s_and_b32 s3, s2, vcc_lo
	s_and_saveexec_b32 s2, s3
	s_cbranch_execz .LBB100_499
; %bb.498:
	v_ashrrev_i32_e32 v109, 31, v108
	v_lshlrev_b64 v[109:110], 2, v[108:109]
	v_add_co_u32 v109, vcc_lo, v4, v109
	v_add_co_ci_u32_e64 v110, null, v5, v110, vcc_lo
	s_clause 0x1
	global_load_dword v116, v[109:110], off
	global_load_dword v117, v[4:5], off offset:116
	s_waitcnt vmcnt(1)
	global_store_dword v[4:5], v116, off offset:116
	s_waitcnt vmcnt(0)
	global_store_dword v[109:110], v117, off
.LBB100_499:
	s_or_b32 exec_lo, exec_lo, s2
	v_mov_b32_e32 v116, v108
	v_mov_b32_e32 v117, v108
.LBB100_500:
	s_or_b32 exec_lo, exec_lo, s1
.LBB100_501:
	s_andn2_saveexec_b32 s0, s0
	s_cbranch_execz .LBB100_503
; %bb.502:
	v_mov_b32_e32 v108, v46
	v_mov_b32_e32 v109, v47
	;; [unrolled: 1-line block ×8, first 2 shown]
	ds_write2_b64 v114, v[108:109], v[117:118] offset0:30 offset1:31
	v_mov_b32_e32 v108, v38
	v_mov_b32_e32 v109, v39
	;; [unrolled: 1-line block ×16, first 2 shown]
	ds_write2_b64 v114, v[119:120], v[108:109] offset0:32 offset1:33
	ds_write2_b64 v114, v[117:118], v[121:122] offset0:34 offset1:35
	;; [unrolled: 1-line block ×5, first 2 shown]
	v_mov_b32_e32 v108, v20
	v_mov_b32_e32 v109, v21
	;; [unrolled: 1-line block ×8, first 2 shown]
	ds_write2_b64 v114, v[108:109], v[117:118] offset0:42 offset1:43
	v_mov_b32_e32 v117, 29
	v_mov_b32_e32 v123, v12
	;; [unrolled: 1-line block ×9, first 2 shown]
	ds_write2_b64 v114, v[119:120], v[121:122] offset0:44 offset1:45
	ds_write2_b64 v114, v[123:124], v[125:126] offset0:46 offset1:47
	;; [unrolled: 1-line block ×3, first 2 shown]
	ds_write_b64 v114, v[106:107] offset:400
.LBB100_503:
	s_or_b32 exec_lo, exec_lo, s0
	s_mov_b32 s0, exec_lo
	s_waitcnt lgkmcnt(0)
	s_waitcnt_vscnt null, 0x0
	s_barrier
	buffer_gl0_inv
	v_cmpx_lt_i32_e32 29, v117
	s_cbranch_execz .LBB100_505
; %bb.504:
	v_mul_f64 v[44:45], v[0:1], v[44:45]
	ds_read2_b64 v[118:121], v114 offset0:30 offset1:31
	ds_read2_b64 v[122:125], v114 offset0:32 offset1:33
	;; [unrolled: 1-line block ×10, first 2 shown]
	ds_read_b64 v[0:1], v114 offset:400
	s_waitcnt lgkmcnt(10)
	v_fma_f64 v[46:47], -v[44:45], v[118:119], v[46:47]
	v_fma_f64 v[42:43], -v[44:45], v[120:121], v[42:43]
	s_waitcnt lgkmcnt(9)
	v_fma_f64 v[40:41], -v[44:45], v[122:123], v[40:41]
	v_fma_f64 v[38:39], -v[44:45], v[124:125], v[38:39]
	;; [unrolled: 3-line block ×10, first 2 shown]
	s_waitcnt lgkmcnt(0)
	v_fma_f64 v[106:107], -v[44:45], v[0:1], v[106:107]
.LBB100_505:
	s_or_b32 exec_lo, exec_lo, s0
	v_lshl_add_u32 v0, v117, 3, v114
	s_barrier
	buffer_gl0_inv
	v_mov_b32_e32 v108, 30
	ds_write_b64 v0, v[46:47]
	s_waitcnt lgkmcnt(0)
	s_barrier
	buffer_gl0_inv
	ds_read_b64 v[0:1], v114 offset:240
	s_cmp_lt_i32 s7, 32
	s_cbranch_scc1 .LBB100_508
; %bb.506:
	v_add3_u32 v109, v115, 0, 0xf8
	v_mov_b32_e32 v108, 30
	s_mov_b32 s0, 31
.LBB100_507:                            ; =>This Inner Loop Header: Depth=1
	ds_read_b64 v[118:119], v109
	v_add_nc_u32_e32 v109, 8, v109
	s_waitcnt lgkmcnt(0)
	v_cmp_lt_f64_e64 vcc_lo, |v[0:1]|, |v[118:119]|
	v_cndmask_b32_e32 v1, v1, v119, vcc_lo
	v_cndmask_b32_e32 v0, v0, v118, vcc_lo
	v_cndmask_b32_e64 v108, v108, s0, vcc_lo
	s_add_i32 s0, s0, 1
	s_cmp_lg_u32 s7, s0
	s_cbranch_scc1 .LBB100_507
.LBB100_508:
	s_mov_b32 s0, exec_lo
	s_waitcnt lgkmcnt(0)
	v_cmpx_eq_f64_e32 0, v[0:1]
	s_xor_b32 s0, exec_lo, s0
; %bb.509:
	v_cmp_ne_u32_e32 vcc_lo, 0, v111
	v_cndmask_b32_e32 v111, 31, v111, vcc_lo
; %bb.510:
	s_andn2_saveexec_b32 s0, s0
	s_cbranch_execz .LBB100_512
; %bb.511:
	v_div_scale_f64 v[109:110], null, v[0:1], v[0:1], 1.0
	v_rcp_f64_e32 v[118:119], v[109:110]
	v_fma_f64 v[120:121], -v[109:110], v[118:119], 1.0
	v_fma_f64 v[118:119], v[118:119], v[120:121], v[118:119]
	v_fma_f64 v[120:121], -v[109:110], v[118:119], 1.0
	v_fma_f64 v[118:119], v[118:119], v[120:121], v[118:119]
	v_div_scale_f64 v[120:121], vcc_lo, 1.0, v[0:1], 1.0
	v_mul_f64 v[122:123], v[120:121], v[118:119]
	v_fma_f64 v[109:110], -v[109:110], v[122:123], v[120:121]
	v_div_fmas_f64 v[109:110], v[109:110], v[118:119], v[122:123]
	v_div_fixup_f64 v[0:1], v[109:110], v[0:1], 1.0
.LBB100_512:
	s_or_b32 exec_lo, exec_lo, s0
	s_mov_b32 s0, exec_lo
	v_cmpx_ne_u32_e64 v117, v108
	s_xor_b32 s0, exec_lo, s0
	s_cbranch_execz .LBB100_518
; %bb.513:
	s_mov_b32 s1, exec_lo
	v_cmpx_eq_u32_e32 30, v117
	s_cbranch_execz .LBB100_517
; %bb.514:
	v_cmp_ne_u32_e32 vcc_lo, 30, v108
	s_xor_b32 s2, s6, -1
	s_and_b32 s3, s2, vcc_lo
	s_and_saveexec_b32 s2, s3
	s_cbranch_execz .LBB100_516
; %bb.515:
	v_ashrrev_i32_e32 v109, 31, v108
	v_lshlrev_b64 v[109:110], 2, v[108:109]
	v_add_co_u32 v109, vcc_lo, v4, v109
	v_add_co_ci_u32_e64 v110, null, v5, v110, vcc_lo
	s_clause 0x1
	global_load_dword v116, v[109:110], off
	global_load_dword v117, v[4:5], off offset:120
	s_waitcnt vmcnt(1)
	global_store_dword v[4:5], v116, off offset:120
	s_waitcnt vmcnt(0)
	global_store_dword v[109:110], v117, off
.LBB100_516:
	s_or_b32 exec_lo, exec_lo, s2
	v_mov_b32_e32 v116, v108
	v_mov_b32_e32 v117, v108
.LBB100_517:
	s_or_b32 exec_lo, exec_lo, s1
.LBB100_518:
	s_andn2_saveexec_b32 s0, s0
	s_cbranch_execz .LBB100_520
; %bb.519:
	v_mov_b32_e32 v117, 30
	ds_write2_b64 v114, v[42:43], v[40:41] offset0:31 offset1:32
	ds_write2_b64 v114, v[38:39], v[36:37] offset0:33 offset1:34
	;; [unrolled: 1-line block ×10, first 2 shown]
.LBB100_520:
	s_or_b32 exec_lo, exec_lo, s0
	s_mov_b32 s0, exec_lo
	s_waitcnt lgkmcnt(0)
	s_waitcnt_vscnt null, 0x0
	s_barrier
	buffer_gl0_inv
	v_cmpx_lt_i32_e32 30, v117
	s_cbranch_execz .LBB100_522
; %bb.521:
	v_mul_f64 v[46:47], v[0:1], v[46:47]
	ds_read2_b64 v[118:121], v114 offset0:31 offset1:32
	ds_read2_b64 v[122:125], v114 offset0:33 offset1:34
	;; [unrolled: 1-line block ×10, first 2 shown]
	s_waitcnt lgkmcnt(9)
	v_fma_f64 v[42:43], -v[46:47], v[118:119], v[42:43]
	v_fma_f64 v[40:41], -v[46:47], v[120:121], v[40:41]
	s_waitcnt lgkmcnt(8)
	v_fma_f64 v[38:39], -v[46:47], v[122:123], v[38:39]
	v_fma_f64 v[36:37], -v[46:47], v[124:125], v[36:37]
	;; [unrolled: 3-line block ×10, first 2 shown]
.LBB100_522:
	s_or_b32 exec_lo, exec_lo, s0
	v_lshl_add_u32 v0, v117, 3, v114
	s_barrier
	buffer_gl0_inv
	v_mov_b32_e32 v108, 31
	ds_write_b64 v0, v[42:43]
	s_waitcnt lgkmcnt(0)
	s_barrier
	buffer_gl0_inv
	ds_read_b64 v[0:1], v114 offset:248
	s_cmp_lt_i32 s7, 33
	s_cbranch_scc1 .LBB100_525
; %bb.523:
	v_add3_u32 v109, v115, 0, 0x100
	v_mov_b32_e32 v108, 31
	s_mov_b32 s0, 32
.LBB100_524:                            ; =>This Inner Loop Header: Depth=1
	ds_read_b64 v[118:119], v109
	v_add_nc_u32_e32 v109, 8, v109
	s_waitcnt lgkmcnt(0)
	v_cmp_lt_f64_e64 vcc_lo, |v[0:1]|, |v[118:119]|
	v_cndmask_b32_e32 v1, v1, v119, vcc_lo
	v_cndmask_b32_e32 v0, v0, v118, vcc_lo
	v_cndmask_b32_e64 v108, v108, s0, vcc_lo
	s_add_i32 s0, s0, 1
	s_cmp_lg_u32 s7, s0
	s_cbranch_scc1 .LBB100_524
.LBB100_525:
	s_mov_b32 s0, exec_lo
	s_waitcnt lgkmcnt(0)
	v_cmpx_eq_f64_e32 0, v[0:1]
	s_xor_b32 s0, exec_lo, s0
; %bb.526:
	v_cmp_ne_u32_e32 vcc_lo, 0, v111
	v_cndmask_b32_e32 v111, 32, v111, vcc_lo
; %bb.527:
	s_andn2_saveexec_b32 s0, s0
	s_cbranch_execz .LBB100_529
; %bb.528:
	v_div_scale_f64 v[109:110], null, v[0:1], v[0:1], 1.0
	v_rcp_f64_e32 v[118:119], v[109:110]
	v_fma_f64 v[120:121], -v[109:110], v[118:119], 1.0
	v_fma_f64 v[118:119], v[118:119], v[120:121], v[118:119]
	v_fma_f64 v[120:121], -v[109:110], v[118:119], 1.0
	v_fma_f64 v[118:119], v[118:119], v[120:121], v[118:119]
	v_div_scale_f64 v[120:121], vcc_lo, 1.0, v[0:1], 1.0
	v_mul_f64 v[122:123], v[120:121], v[118:119]
	v_fma_f64 v[109:110], -v[109:110], v[122:123], v[120:121]
	v_div_fmas_f64 v[109:110], v[109:110], v[118:119], v[122:123]
	v_div_fixup_f64 v[0:1], v[109:110], v[0:1], 1.0
.LBB100_529:
	s_or_b32 exec_lo, exec_lo, s0
	s_mov_b32 s0, exec_lo
	v_cmpx_ne_u32_e64 v117, v108
	s_xor_b32 s0, exec_lo, s0
	s_cbranch_execz .LBB100_535
; %bb.530:
	s_mov_b32 s1, exec_lo
	v_cmpx_eq_u32_e32 31, v117
	s_cbranch_execz .LBB100_534
; %bb.531:
	v_cmp_ne_u32_e32 vcc_lo, 31, v108
	s_xor_b32 s2, s6, -1
	s_and_b32 s3, s2, vcc_lo
	s_and_saveexec_b32 s2, s3
	s_cbranch_execz .LBB100_533
; %bb.532:
	v_ashrrev_i32_e32 v109, 31, v108
	v_lshlrev_b64 v[109:110], 2, v[108:109]
	v_add_co_u32 v109, vcc_lo, v4, v109
	v_add_co_ci_u32_e64 v110, null, v5, v110, vcc_lo
	s_clause 0x1
	global_load_dword v116, v[109:110], off
	global_load_dword v117, v[4:5], off offset:124
	s_waitcnt vmcnt(1)
	global_store_dword v[4:5], v116, off offset:124
	s_waitcnt vmcnt(0)
	global_store_dword v[109:110], v117, off
.LBB100_533:
	s_or_b32 exec_lo, exec_lo, s2
	v_mov_b32_e32 v116, v108
	v_mov_b32_e32 v117, v108
.LBB100_534:
	s_or_b32 exec_lo, exec_lo, s1
.LBB100_535:
	s_andn2_saveexec_b32 s0, s0
	s_cbranch_execz .LBB100_537
; %bb.536:
	v_mov_b32_e32 v108, v40
	v_mov_b32_e32 v109, v41
	;; [unrolled: 1-line block ×20, first 2 shown]
	ds_write2_b64 v114, v[108:109], v[117:118] offset0:32 offset1:33
	ds_write2_b64 v114, v[119:120], v[121:122] offset0:34 offset1:35
	;; [unrolled: 1-line block ×5, first 2 shown]
	v_mov_b32_e32 v108, v20
	v_mov_b32_e32 v109, v21
	v_mov_b32_e32 v117, v18
	v_mov_b32_e32 v118, v19
	v_mov_b32_e32 v119, v16
	v_mov_b32_e32 v120, v17
	v_mov_b32_e32 v121, v14
	v_mov_b32_e32 v122, v15
	ds_write2_b64 v114, v[108:109], v[117:118] offset0:42 offset1:43
	v_mov_b32_e32 v117, 31
	v_mov_b32_e32 v123, v12
	;; [unrolled: 1-line block ×9, first 2 shown]
	ds_write2_b64 v114, v[119:120], v[121:122] offset0:44 offset1:45
	ds_write2_b64 v114, v[123:124], v[125:126] offset0:46 offset1:47
	;; [unrolled: 1-line block ×3, first 2 shown]
	ds_write_b64 v114, v[106:107] offset:400
.LBB100_537:
	s_or_b32 exec_lo, exec_lo, s0
	s_mov_b32 s0, exec_lo
	s_waitcnt lgkmcnt(0)
	s_waitcnt_vscnt null, 0x0
	s_barrier
	buffer_gl0_inv
	v_cmpx_lt_i32_e32 31, v117
	s_cbranch_execz .LBB100_539
; %bb.538:
	v_mul_f64 v[42:43], v[0:1], v[42:43]
	ds_read2_b64 v[118:121], v114 offset0:32 offset1:33
	ds_read2_b64 v[122:125], v114 offset0:34 offset1:35
	;; [unrolled: 1-line block ×9, first 2 shown]
	ds_read_b64 v[0:1], v114 offset:400
	s_waitcnt lgkmcnt(9)
	v_fma_f64 v[40:41], -v[42:43], v[118:119], v[40:41]
	v_fma_f64 v[38:39], -v[42:43], v[120:121], v[38:39]
	s_waitcnt lgkmcnt(8)
	v_fma_f64 v[36:37], -v[42:43], v[122:123], v[36:37]
	v_fma_f64 v[34:35], -v[42:43], v[124:125], v[34:35]
	;; [unrolled: 3-line block ×9, first 2 shown]
	s_waitcnt lgkmcnt(0)
	v_fma_f64 v[106:107], -v[42:43], v[0:1], v[106:107]
.LBB100_539:
	s_or_b32 exec_lo, exec_lo, s0
	v_lshl_add_u32 v0, v117, 3, v114
	s_barrier
	buffer_gl0_inv
	v_mov_b32_e32 v108, 32
	ds_write_b64 v0, v[40:41]
	s_waitcnt lgkmcnt(0)
	s_barrier
	buffer_gl0_inv
	ds_read_b64 v[0:1], v114 offset:256
	s_cmp_lt_i32 s7, 34
	s_cbranch_scc1 .LBB100_542
; %bb.540:
	v_add3_u32 v109, v115, 0, 0x108
	v_mov_b32_e32 v108, 32
	s_mov_b32 s0, 33
.LBB100_541:                            ; =>This Inner Loop Header: Depth=1
	ds_read_b64 v[118:119], v109
	v_add_nc_u32_e32 v109, 8, v109
	s_waitcnt lgkmcnt(0)
	v_cmp_lt_f64_e64 vcc_lo, |v[0:1]|, |v[118:119]|
	v_cndmask_b32_e32 v1, v1, v119, vcc_lo
	v_cndmask_b32_e32 v0, v0, v118, vcc_lo
	v_cndmask_b32_e64 v108, v108, s0, vcc_lo
	s_add_i32 s0, s0, 1
	s_cmp_lg_u32 s7, s0
	s_cbranch_scc1 .LBB100_541
.LBB100_542:
	s_mov_b32 s0, exec_lo
	s_waitcnt lgkmcnt(0)
	v_cmpx_eq_f64_e32 0, v[0:1]
	s_xor_b32 s0, exec_lo, s0
; %bb.543:
	v_cmp_ne_u32_e32 vcc_lo, 0, v111
	v_cndmask_b32_e32 v111, 33, v111, vcc_lo
; %bb.544:
	s_andn2_saveexec_b32 s0, s0
	s_cbranch_execz .LBB100_546
; %bb.545:
	v_div_scale_f64 v[109:110], null, v[0:1], v[0:1], 1.0
	v_rcp_f64_e32 v[118:119], v[109:110]
	v_fma_f64 v[120:121], -v[109:110], v[118:119], 1.0
	v_fma_f64 v[118:119], v[118:119], v[120:121], v[118:119]
	v_fma_f64 v[120:121], -v[109:110], v[118:119], 1.0
	v_fma_f64 v[118:119], v[118:119], v[120:121], v[118:119]
	v_div_scale_f64 v[120:121], vcc_lo, 1.0, v[0:1], 1.0
	v_mul_f64 v[122:123], v[120:121], v[118:119]
	v_fma_f64 v[109:110], -v[109:110], v[122:123], v[120:121]
	v_div_fmas_f64 v[109:110], v[109:110], v[118:119], v[122:123]
	v_div_fixup_f64 v[0:1], v[109:110], v[0:1], 1.0
.LBB100_546:
	s_or_b32 exec_lo, exec_lo, s0
	s_mov_b32 s0, exec_lo
	v_cmpx_ne_u32_e64 v117, v108
	s_xor_b32 s0, exec_lo, s0
	s_cbranch_execz .LBB100_552
; %bb.547:
	s_mov_b32 s1, exec_lo
	v_cmpx_eq_u32_e32 32, v117
	s_cbranch_execz .LBB100_551
; %bb.548:
	v_cmp_ne_u32_e32 vcc_lo, 32, v108
	s_xor_b32 s2, s6, -1
	s_and_b32 s3, s2, vcc_lo
	s_and_saveexec_b32 s2, s3
	s_cbranch_execz .LBB100_550
; %bb.549:
	v_ashrrev_i32_e32 v109, 31, v108
	v_lshlrev_b64 v[109:110], 2, v[108:109]
	v_add_co_u32 v109, vcc_lo, v4, v109
	v_add_co_ci_u32_e64 v110, null, v5, v110, vcc_lo
	s_clause 0x1
	global_load_dword v116, v[109:110], off
	global_load_dword v117, v[4:5], off offset:128
	s_waitcnt vmcnt(1)
	global_store_dword v[4:5], v116, off offset:128
	s_waitcnt vmcnt(0)
	global_store_dword v[109:110], v117, off
.LBB100_550:
	s_or_b32 exec_lo, exec_lo, s2
	v_mov_b32_e32 v116, v108
	v_mov_b32_e32 v117, v108
.LBB100_551:
	s_or_b32 exec_lo, exec_lo, s1
.LBB100_552:
	s_andn2_saveexec_b32 s0, s0
	s_cbranch_execz .LBB100_554
; %bb.553:
	v_mov_b32_e32 v117, 32
	ds_write2_b64 v114, v[38:39], v[36:37] offset0:33 offset1:34
	ds_write2_b64 v114, v[34:35], v[32:33] offset0:35 offset1:36
	;; [unrolled: 1-line block ×9, first 2 shown]
.LBB100_554:
	s_or_b32 exec_lo, exec_lo, s0
	s_mov_b32 s0, exec_lo
	s_waitcnt lgkmcnt(0)
	s_waitcnt_vscnt null, 0x0
	s_barrier
	buffer_gl0_inv
	v_cmpx_lt_i32_e32 32, v117
	s_cbranch_execz .LBB100_556
; %bb.555:
	v_mul_f64 v[40:41], v[0:1], v[40:41]
	ds_read2_b64 v[118:121], v114 offset0:33 offset1:34
	ds_read2_b64 v[122:125], v114 offset0:35 offset1:36
	;; [unrolled: 1-line block ×9, first 2 shown]
	s_waitcnt lgkmcnt(8)
	v_fma_f64 v[38:39], -v[40:41], v[118:119], v[38:39]
	v_fma_f64 v[36:37], -v[40:41], v[120:121], v[36:37]
	s_waitcnt lgkmcnt(7)
	v_fma_f64 v[34:35], -v[40:41], v[122:123], v[34:35]
	v_fma_f64 v[32:33], -v[40:41], v[124:125], v[32:33]
	;; [unrolled: 3-line block ×9, first 2 shown]
.LBB100_556:
	s_or_b32 exec_lo, exec_lo, s0
	v_lshl_add_u32 v0, v117, 3, v114
	s_barrier
	buffer_gl0_inv
	v_mov_b32_e32 v108, 33
	ds_write_b64 v0, v[38:39]
	s_waitcnt lgkmcnt(0)
	s_barrier
	buffer_gl0_inv
	ds_read_b64 v[0:1], v114 offset:264
	s_cmp_lt_i32 s7, 35
	s_cbranch_scc1 .LBB100_559
; %bb.557:
	v_add3_u32 v109, v115, 0, 0x110
	v_mov_b32_e32 v108, 33
	s_mov_b32 s0, 34
.LBB100_558:                            ; =>This Inner Loop Header: Depth=1
	ds_read_b64 v[118:119], v109
	v_add_nc_u32_e32 v109, 8, v109
	s_waitcnt lgkmcnt(0)
	v_cmp_lt_f64_e64 vcc_lo, |v[0:1]|, |v[118:119]|
	v_cndmask_b32_e32 v1, v1, v119, vcc_lo
	v_cndmask_b32_e32 v0, v0, v118, vcc_lo
	v_cndmask_b32_e64 v108, v108, s0, vcc_lo
	s_add_i32 s0, s0, 1
	s_cmp_lg_u32 s7, s0
	s_cbranch_scc1 .LBB100_558
.LBB100_559:
	s_mov_b32 s0, exec_lo
	s_waitcnt lgkmcnt(0)
	v_cmpx_eq_f64_e32 0, v[0:1]
	s_xor_b32 s0, exec_lo, s0
; %bb.560:
	v_cmp_ne_u32_e32 vcc_lo, 0, v111
	v_cndmask_b32_e32 v111, 34, v111, vcc_lo
; %bb.561:
	s_andn2_saveexec_b32 s0, s0
	s_cbranch_execz .LBB100_563
; %bb.562:
	v_div_scale_f64 v[109:110], null, v[0:1], v[0:1], 1.0
	v_rcp_f64_e32 v[118:119], v[109:110]
	v_fma_f64 v[120:121], -v[109:110], v[118:119], 1.0
	v_fma_f64 v[118:119], v[118:119], v[120:121], v[118:119]
	v_fma_f64 v[120:121], -v[109:110], v[118:119], 1.0
	v_fma_f64 v[118:119], v[118:119], v[120:121], v[118:119]
	v_div_scale_f64 v[120:121], vcc_lo, 1.0, v[0:1], 1.0
	v_mul_f64 v[122:123], v[120:121], v[118:119]
	v_fma_f64 v[109:110], -v[109:110], v[122:123], v[120:121]
	v_div_fmas_f64 v[109:110], v[109:110], v[118:119], v[122:123]
	v_div_fixup_f64 v[0:1], v[109:110], v[0:1], 1.0
.LBB100_563:
	s_or_b32 exec_lo, exec_lo, s0
	s_mov_b32 s0, exec_lo
	v_cmpx_ne_u32_e64 v117, v108
	s_xor_b32 s0, exec_lo, s0
	s_cbranch_execz .LBB100_569
; %bb.564:
	s_mov_b32 s1, exec_lo
	v_cmpx_eq_u32_e32 33, v117
	s_cbranch_execz .LBB100_568
; %bb.565:
	v_cmp_ne_u32_e32 vcc_lo, 33, v108
	s_xor_b32 s2, s6, -1
	s_and_b32 s3, s2, vcc_lo
	s_and_saveexec_b32 s2, s3
	s_cbranch_execz .LBB100_567
; %bb.566:
	v_ashrrev_i32_e32 v109, 31, v108
	v_lshlrev_b64 v[109:110], 2, v[108:109]
	v_add_co_u32 v109, vcc_lo, v4, v109
	v_add_co_ci_u32_e64 v110, null, v5, v110, vcc_lo
	s_clause 0x1
	global_load_dword v116, v[109:110], off
	global_load_dword v117, v[4:5], off offset:132
	s_waitcnt vmcnt(1)
	global_store_dword v[4:5], v116, off offset:132
	s_waitcnt vmcnt(0)
	global_store_dword v[109:110], v117, off
.LBB100_567:
	s_or_b32 exec_lo, exec_lo, s2
	v_mov_b32_e32 v116, v108
	v_mov_b32_e32 v117, v108
.LBB100_568:
	s_or_b32 exec_lo, exec_lo, s1
.LBB100_569:
	s_andn2_saveexec_b32 s0, s0
	s_cbranch_execz .LBB100_571
; %bb.570:
	v_mov_b32_e32 v108, v36
	v_mov_b32_e32 v109, v37
	v_mov_b32_e32 v117, v34
	v_mov_b32_e32 v118, v35
	v_mov_b32_e32 v119, v32
	v_mov_b32_e32 v120, v33
	v_mov_b32_e32 v121, v28
	v_mov_b32_e32 v122, v29
	v_mov_b32_e32 v123, v30
	v_mov_b32_e32 v124, v31
	v_mov_b32_e32 v125, v24
	v_mov_b32_e32 v126, v25
	v_mov_b32_e32 v127, v26
	v_mov_b32_e32 v128, v27
	v_mov_b32_e32 v129, v22
	v_mov_b32_e32 v130, v23
	ds_write2_b64 v114, v[108:109], v[117:118] offset0:34 offset1:35
	ds_write2_b64 v114, v[119:120], v[121:122] offset0:36 offset1:37
	;; [unrolled: 1-line block ×4, first 2 shown]
	v_mov_b32_e32 v108, v20
	v_mov_b32_e32 v109, v21
	;; [unrolled: 1-line block ×8, first 2 shown]
	ds_write2_b64 v114, v[108:109], v[117:118] offset0:42 offset1:43
	v_mov_b32_e32 v117, 33
	v_mov_b32_e32 v123, v12
	;; [unrolled: 1-line block ×9, first 2 shown]
	ds_write2_b64 v114, v[119:120], v[121:122] offset0:44 offset1:45
	ds_write2_b64 v114, v[123:124], v[125:126] offset0:46 offset1:47
	;; [unrolled: 1-line block ×3, first 2 shown]
	ds_write_b64 v114, v[106:107] offset:400
.LBB100_571:
	s_or_b32 exec_lo, exec_lo, s0
	s_mov_b32 s0, exec_lo
	s_waitcnt lgkmcnt(0)
	s_waitcnt_vscnt null, 0x0
	s_barrier
	buffer_gl0_inv
	v_cmpx_lt_i32_e32 33, v117
	s_cbranch_execz .LBB100_573
; %bb.572:
	v_mul_f64 v[38:39], v[0:1], v[38:39]
	ds_read2_b64 v[118:121], v114 offset0:34 offset1:35
	ds_read2_b64 v[122:125], v114 offset0:36 offset1:37
	;; [unrolled: 1-line block ×8, first 2 shown]
	ds_read_b64 v[0:1], v114 offset:400
	s_waitcnt lgkmcnt(8)
	v_fma_f64 v[36:37], -v[38:39], v[118:119], v[36:37]
	v_fma_f64 v[34:35], -v[38:39], v[120:121], v[34:35]
	s_waitcnt lgkmcnt(7)
	v_fma_f64 v[32:33], -v[38:39], v[122:123], v[32:33]
	v_fma_f64 v[28:29], -v[38:39], v[124:125], v[28:29]
	;; [unrolled: 3-line block ×8, first 2 shown]
	s_waitcnt lgkmcnt(0)
	v_fma_f64 v[106:107], -v[38:39], v[0:1], v[106:107]
.LBB100_573:
	s_or_b32 exec_lo, exec_lo, s0
	v_lshl_add_u32 v0, v117, 3, v114
	s_barrier
	buffer_gl0_inv
	v_mov_b32_e32 v108, 34
	ds_write_b64 v0, v[36:37]
	s_waitcnt lgkmcnt(0)
	s_barrier
	buffer_gl0_inv
	ds_read_b64 v[0:1], v114 offset:272
	s_cmp_lt_i32 s7, 36
	s_cbranch_scc1 .LBB100_576
; %bb.574:
	v_add3_u32 v109, v115, 0, 0x118
	v_mov_b32_e32 v108, 34
	s_mov_b32 s0, 35
.LBB100_575:                            ; =>This Inner Loop Header: Depth=1
	ds_read_b64 v[118:119], v109
	v_add_nc_u32_e32 v109, 8, v109
	s_waitcnt lgkmcnt(0)
	v_cmp_lt_f64_e64 vcc_lo, |v[0:1]|, |v[118:119]|
	v_cndmask_b32_e32 v1, v1, v119, vcc_lo
	v_cndmask_b32_e32 v0, v0, v118, vcc_lo
	v_cndmask_b32_e64 v108, v108, s0, vcc_lo
	s_add_i32 s0, s0, 1
	s_cmp_lg_u32 s7, s0
	s_cbranch_scc1 .LBB100_575
.LBB100_576:
	s_mov_b32 s0, exec_lo
	s_waitcnt lgkmcnt(0)
	v_cmpx_eq_f64_e32 0, v[0:1]
	s_xor_b32 s0, exec_lo, s0
; %bb.577:
	v_cmp_ne_u32_e32 vcc_lo, 0, v111
	v_cndmask_b32_e32 v111, 35, v111, vcc_lo
; %bb.578:
	s_andn2_saveexec_b32 s0, s0
	s_cbranch_execz .LBB100_580
; %bb.579:
	v_div_scale_f64 v[109:110], null, v[0:1], v[0:1], 1.0
	v_rcp_f64_e32 v[118:119], v[109:110]
	v_fma_f64 v[120:121], -v[109:110], v[118:119], 1.0
	v_fma_f64 v[118:119], v[118:119], v[120:121], v[118:119]
	v_fma_f64 v[120:121], -v[109:110], v[118:119], 1.0
	v_fma_f64 v[118:119], v[118:119], v[120:121], v[118:119]
	v_div_scale_f64 v[120:121], vcc_lo, 1.0, v[0:1], 1.0
	v_mul_f64 v[122:123], v[120:121], v[118:119]
	v_fma_f64 v[109:110], -v[109:110], v[122:123], v[120:121]
	v_div_fmas_f64 v[109:110], v[109:110], v[118:119], v[122:123]
	v_div_fixup_f64 v[0:1], v[109:110], v[0:1], 1.0
.LBB100_580:
	s_or_b32 exec_lo, exec_lo, s0
	s_mov_b32 s0, exec_lo
	v_cmpx_ne_u32_e64 v117, v108
	s_xor_b32 s0, exec_lo, s0
	s_cbranch_execz .LBB100_586
; %bb.581:
	s_mov_b32 s1, exec_lo
	v_cmpx_eq_u32_e32 34, v117
	s_cbranch_execz .LBB100_585
; %bb.582:
	v_cmp_ne_u32_e32 vcc_lo, 34, v108
	s_xor_b32 s2, s6, -1
	s_and_b32 s3, s2, vcc_lo
	s_and_saveexec_b32 s2, s3
	s_cbranch_execz .LBB100_584
; %bb.583:
	v_ashrrev_i32_e32 v109, 31, v108
	v_lshlrev_b64 v[109:110], 2, v[108:109]
	v_add_co_u32 v109, vcc_lo, v4, v109
	v_add_co_ci_u32_e64 v110, null, v5, v110, vcc_lo
	s_clause 0x1
	global_load_dword v116, v[109:110], off
	global_load_dword v117, v[4:5], off offset:136
	s_waitcnt vmcnt(1)
	global_store_dword v[4:5], v116, off offset:136
	s_waitcnt vmcnt(0)
	global_store_dword v[109:110], v117, off
.LBB100_584:
	s_or_b32 exec_lo, exec_lo, s2
	v_mov_b32_e32 v116, v108
	v_mov_b32_e32 v117, v108
.LBB100_585:
	s_or_b32 exec_lo, exec_lo, s1
.LBB100_586:
	s_andn2_saveexec_b32 s0, s0
	s_cbranch_execz .LBB100_588
; %bb.587:
	v_mov_b32_e32 v117, 34
	ds_write2_b64 v114, v[34:35], v[32:33] offset0:35 offset1:36
	ds_write2_b64 v114, v[28:29], v[30:31] offset0:37 offset1:38
	;; [unrolled: 1-line block ×8, first 2 shown]
.LBB100_588:
	s_or_b32 exec_lo, exec_lo, s0
	s_mov_b32 s0, exec_lo
	s_waitcnt lgkmcnt(0)
	s_waitcnt_vscnt null, 0x0
	s_barrier
	buffer_gl0_inv
	v_cmpx_lt_i32_e32 34, v117
	s_cbranch_execz .LBB100_590
; %bb.589:
	v_mul_f64 v[36:37], v[0:1], v[36:37]
	ds_read2_b64 v[118:121], v114 offset0:35 offset1:36
	ds_read2_b64 v[122:125], v114 offset0:37 offset1:38
	;; [unrolled: 1-line block ×8, first 2 shown]
	s_waitcnt lgkmcnt(7)
	v_fma_f64 v[34:35], -v[36:37], v[118:119], v[34:35]
	v_fma_f64 v[32:33], -v[36:37], v[120:121], v[32:33]
	s_waitcnt lgkmcnt(6)
	v_fma_f64 v[28:29], -v[36:37], v[122:123], v[28:29]
	v_fma_f64 v[30:31], -v[36:37], v[124:125], v[30:31]
	s_waitcnt lgkmcnt(5)
	v_fma_f64 v[24:25], -v[36:37], v[126:127], v[24:25]
	v_fma_f64 v[26:27], -v[36:37], v[128:129], v[26:27]
	s_waitcnt lgkmcnt(4)
	v_fma_f64 v[22:23], -v[36:37], v[130:131], v[22:23]
	v_fma_f64 v[20:21], -v[36:37], v[132:133], v[20:21]
	s_waitcnt lgkmcnt(3)
	v_fma_f64 v[18:19], -v[36:37], v[134:135], v[18:19]
	v_fma_f64 v[16:17], -v[36:37], v[136:137], v[16:17]
	s_waitcnt lgkmcnt(2)
	v_fma_f64 v[14:15], -v[36:37], v[138:139], v[14:15]
	v_fma_f64 v[12:13], -v[36:37], v[140:141], v[12:13]
	s_waitcnt lgkmcnt(1)
	v_fma_f64 v[8:9], -v[36:37], v[142:143], v[8:9]
	v_fma_f64 v[10:11], -v[36:37], v[144:145], v[10:11]
	s_waitcnt lgkmcnt(0)
	v_fma_f64 v[6:7], -v[36:37], v[146:147], v[6:7]
	v_fma_f64 v[106:107], -v[36:37], v[148:149], v[106:107]
.LBB100_590:
	s_or_b32 exec_lo, exec_lo, s0
	v_lshl_add_u32 v0, v117, 3, v114
	s_barrier
	buffer_gl0_inv
	v_mov_b32_e32 v108, 35
	ds_write_b64 v0, v[34:35]
	s_waitcnt lgkmcnt(0)
	s_barrier
	buffer_gl0_inv
	ds_read_b64 v[0:1], v114 offset:280
	s_cmp_lt_i32 s7, 37
	s_cbranch_scc1 .LBB100_593
; %bb.591:
	v_add3_u32 v109, v115, 0, 0x120
	v_mov_b32_e32 v108, 35
	s_mov_b32 s0, 36
.LBB100_592:                            ; =>This Inner Loop Header: Depth=1
	ds_read_b64 v[118:119], v109
	v_add_nc_u32_e32 v109, 8, v109
	s_waitcnt lgkmcnt(0)
	v_cmp_lt_f64_e64 vcc_lo, |v[0:1]|, |v[118:119]|
	v_cndmask_b32_e32 v1, v1, v119, vcc_lo
	v_cndmask_b32_e32 v0, v0, v118, vcc_lo
	v_cndmask_b32_e64 v108, v108, s0, vcc_lo
	s_add_i32 s0, s0, 1
	s_cmp_lg_u32 s7, s0
	s_cbranch_scc1 .LBB100_592
.LBB100_593:
	s_mov_b32 s0, exec_lo
	s_waitcnt lgkmcnt(0)
	v_cmpx_eq_f64_e32 0, v[0:1]
	s_xor_b32 s0, exec_lo, s0
; %bb.594:
	v_cmp_ne_u32_e32 vcc_lo, 0, v111
	v_cndmask_b32_e32 v111, 36, v111, vcc_lo
; %bb.595:
	s_andn2_saveexec_b32 s0, s0
	s_cbranch_execz .LBB100_597
; %bb.596:
	v_div_scale_f64 v[109:110], null, v[0:1], v[0:1], 1.0
	v_rcp_f64_e32 v[118:119], v[109:110]
	v_fma_f64 v[120:121], -v[109:110], v[118:119], 1.0
	v_fma_f64 v[118:119], v[118:119], v[120:121], v[118:119]
	v_fma_f64 v[120:121], -v[109:110], v[118:119], 1.0
	v_fma_f64 v[118:119], v[118:119], v[120:121], v[118:119]
	v_div_scale_f64 v[120:121], vcc_lo, 1.0, v[0:1], 1.0
	v_mul_f64 v[122:123], v[120:121], v[118:119]
	v_fma_f64 v[109:110], -v[109:110], v[122:123], v[120:121]
	v_div_fmas_f64 v[109:110], v[109:110], v[118:119], v[122:123]
	v_div_fixup_f64 v[0:1], v[109:110], v[0:1], 1.0
.LBB100_597:
	s_or_b32 exec_lo, exec_lo, s0
	s_mov_b32 s0, exec_lo
	v_cmpx_ne_u32_e64 v117, v108
	s_xor_b32 s0, exec_lo, s0
	s_cbranch_execz .LBB100_603
; %bb.598:
	s_mov_b32 s1, exec_lo
	v_cmpx_eq_u32_e32 35, v117
	s_cbranch_execz .LBB100_602
; %bb.599:
	v_cmp_ne_u32_e32 vcc_lo, 35, v108
	s_xor_b32 s2, s6, -1
	s_and_b32 s3, s2, vcc_lo
	s_and_saveexec_b32 s2, s3
	s_cbranch_execz .LBB100_601
; %bb.600:
	v_ashrrev_i32_e32 v109, 31, v108
	v_lshlrev_b64 v[109:110], 2, v[108:109]
	v_add_co_u32 v109, vcc_lo, v4, v109
	v_add_co_ci_u32_e64 v110, null, v5, v110, vcc_lo
	s_clause 0x1
	global_load_dword v116, v[109:110], off
	global_load_dword v117, v[4:5], off offset:140
	s_waitcnt vmcnt(1)
	global_store_dword v[4:5], v116, off offset:140
	s_waitcnt vmcnt(0)
	global_store_dword v[109:110], v117, off
.LBB100_601:
	s_or_b32 exec_lo, exec_lo, s2
	v_mov_b32_e32 v116, v108
	v_mov_b32_e32 v117, v108
.LBB100_602:
	s_or_b32 exec_lo, exec_lo, s1
.LBB100_603:
	s_andn2_saveexec_b32 s0, s0
	s_cbranch_execz .LBB100_605
; %bb.604:
	v_mov_b32_e32 v108, v32
	v_mov_b32_e32 v109, v33
	;; [unrolled: 1-line block ×12, first 2 shown]
	ds_write2_b64 v114, v[108:109], v[117:118] offset0:36 offset1:37
	ds_write2_b64 v114, v[119:120], v[121:122] offset0:38 offset1:39
	;; [unrolled: 1-line block ×3, first 2 shown]
	v_mov_b32_e32 v108, v20
	v_mov_b32_e32 v109, v21
	;; [unrolled: 1-line block ×8, first 2 shown]
	ds_write2_b64 v114, v[108:109], v[117:118] offset0:42 offset1:43
	v_mov_b32_e32 v117, 35
	v_mov_b32_e32 v123, v12
	;; [unrolled: 1-line block ×9, first 2 shown]
	ds_write2_b64 v114, v[119:120], v[121:122] offset0:44 offset1:45
	ds_write2_b64 v114, v[123:124], v[125:126] offset0:46 offset1:47
	;; [unrolled: 1-line block ×3, first 2 shown]
	ds_write_b64 v114, v[106:107] offset:400
.LBB100_605:
	s_or_b32 exec_lo, exec_lo, s0
	s_mov_b32 s0, exec_lo
	s_waitcnt lgkmcnt(0)
	s_waitcnt_vscnt null, 0x0
	s_barrier
	buffer_gl0_inv
	v_cmpx_lt_i32_e32 35, v117
	s_cbranch_execz .LBB100_607
; %bb.606:
	v_mul_f64 v[34:35], v[0:1], v[34:35]
	ds_read2_b64 v[118:121], v114 offset0:36 offset1:37
	ds_read2_b64 v[122:125], v114 offset0:38 offset1:39
	ds_read2_b64 v[126:129], v114 offset0:40 offset1:41
	ds_read2_b64 v[130:133], v114 offset0:42 offset1:43
	ds_read2_b64 v[134:137], v114 offset0:44 offset1:45
	ds_read2_b64 v[138:141], v114 offset0:46 offset1:47
	ds_read2_b64 v[142:145], v114 offset0:48 offset1:49
	ds_read_b64 v[0:1], v114 offset:400
	s_waitcnt lgkmcnt(7)
	v_fma_f64 v[32:33], -v[34:35], v[118:119], v[32:33]
	v_fma_f64 v[28:29], -v[34:35], v[120:121], v[28:29]
	s_waitcnt lgkmcnt(6)
	v_fma_f64 v[30:31], -v[34:35], v[122:123], v[30:31]
	v_fma_f64 v[24:25], -v[34:35], v[124:125], v[24:25]
	;; [unrolled: 3-line block ×7, first 2 shown]
	s_waitcnt lgkmcnt(0)
	v_fma_f64 v[106:107], -v[34:35], v[0:1], v[106:107]
.LBB100_607:
	s_or_b32 exec_lo, exec_lo, s0
	v_lshl_add_u32 v0, v117, 3, v114
	s_barrier
	buffer_gl0_inv
	v_mov_b32_e32 v108, 36
	ds_write_b64 v0, v[32:33]
	s_waitcnt lgkmcnt(0)
	s_barrier
	buffer_gl0_inv
	ds_read_b64 v[0:1], v114 offset:288
	s_cmp_lt_i32 s7, 38
	s_cbranch_scc1 .LBB100_610
; %bb.608:
	v_add3_u32 v109, v115, 0, 0x128
	v_mov_b32_e32 v108, 36
	s_mov_b32 s0, 37
.LBB100_609:                            ; =>This Inner Loop Header: Depth=1
	ds_read_b64 v[118:119], v109
	v_add_nc_u32_e32 v109, 8, v109
	s_waitcnt lgkmcnt(0)
	v_cmp_lt_f64_e64 vcc_lo, |v[0:1]|, |v[118:119]|
	v_cndmask_b32_e32 v1, v1, v119, vcc_lo
	v_cndmask_b32_e32 v0, v0, v118, vcc_lo
	v_cndmask_b32_e64 v108, v108, s0, vcc_lo
	s_add_i32 s0, s0, 1
	s_cmp_lg_u32 s7, s0
	s_cbranch_scc1 .LBB100_609
.LBB100_610:
	s_mov_b32 s0, exec_lo
	s_waitcnt lgkmcnt(0)
	v_cmpx_eq_f64_e32 0, v[0:1]
	s_xor_b32 s0, exec_lo, s0
; %bb.611:
	v_cmp_ne_u32_e32 vcc_lo, 0, v111
	v_cndmask_b32_e32 v111, 37, v111, vcc_lo
; %bb.612:
	s_andn2_saveexec_b32 s0, s0
	s_cbranch_execz .LBB100_614
; %bb.613:
	v_div_scale_f64 v[109:110], null, v[0:1], v[0:1], 1.0
	v_rcp_f64_e32 v[118:119], v[109:110]
	v_fma_f64 v[120:121], -v[109:110], v[118:119], 1.0
	v_fma_f64 v[118:119], v[118:119], v[120:121], v[118:119]
	v_fma_f64 v[120:121], -v[109:110], v[118:119], 1.0
	v_fma_f64 v[118:119], v[118:119], v[120:121], v[118:119]
	v_div_scale_f64 v[120:121], vcc_lo, 1.0, v[0:1], 1.0
	v_mul_f64 v[122:123], v[120:121], v[118:119]
	v_fma_f64 v[109:110], -v[109:110], v[122:123], v[120:121]
	v_div_fmas_f64 v[109:110], v[109:110], v[118:119], v[122:123]
	v_div_fixup_f64 v[0:1], v[109:110], v[0:1], 1.0
.LBB100_614:
	s_or_b32 exec_lo, exec_lo, s0
	s_mov_b32 s0, exec_lo
	v_cmpx_ne_u32_e64 v117, v108
	s_xor_b32 s0, exec_lo, s0
	s_cbranch_execz .LBB100_620
; %bb.615:
	s_mov_b32 s1, exec_lo
	v_cmpx_eq_u32_e32 36, v117
	s_cbranch_execz .LBB100_619
; %bb.616:
	v_cmp_ne_u32_e32 vcc_lo, 36, v108
	s_xor_b32 s2, s6, -1
	s_and_b32 s3, s2, vcc_lo
	s_and_saveexec_b32 s2, s3
	s_cbranch_execz .LBB100_618
; %bb.617:
	v_ashrrev_i32_e32 v109, 31, v108
	v_lshlrev_b64 v[109:110], 2, v[108:109]
	v_add_co_u32 v109, vcc_lo, v4, v109
	v_add_co_ci_u32_e64 v110, null, v5, v110, vcc_lo
	s_clause 0x1
	global_load_dword v116, v[109:110], off
	global_load_dword v117, v[4:5], off offset:144
	s_waitcnt vmcnt(1)
	global_store_dword v[4:5], v116, off offset:144
	s_waitcnt vmcnt(0)
	global_store_dword v[109:110], v117, off
.LBB100_618:
	s_or_b32 exec_lo, exec_lo, s2
	v_mov_b32_e32 v116, v108
	v_mov_b32_e32 v117, v108
.LBB100_619:
	s_or_b32 exec_lo, exec_lo, s1
.LBB100_620:
	s_andn2_saveexec_b32 s0, s0
	s_cbranch_execz .LBB100_622
; %bb.621:
	v_mov_b32_e32 v117, 36
	ds_write2_b64 v114, v[28:29], v[30:31] offset0:37 offset1:38
	ds_write2_b64 v114, v[24:25], v[26:27] offset0:39 offset1:40
	;; [unrolled: 1-line block ×7, first 2 shown]
.LBB100_622:
	s_or_b32 exec_lo, exec_lo, s0
	s_mov_b32 s0, exec_lo
	s_waitcnt lgkmcnt(0)
	s_waitcnt_vscnt null, 0x0
	s_barrier
	buffer_gl0_inv
	v_cmpx_lt_i32_e32 36, v117
	s_cbranch_execz .LBB100_624
; %bb.623:
	v_mul_f64 v[32:33], v[0:1], v[32:33]
	ds_read2_b64 v[118:121], v114 offset0:37 offset1:38
	ds_read2_b64 v[122:125], v114 offset0:39 offset1:40
	;; [unrolled: 1-line block ×7, first 2 shown]
	s_waitcnt lgkmcnt(6)
	v_fma_f64 v[28:29], -v[32:33], v[118:119], v[28:29]
	v_fma_f64 v[30:31], -v[32:33], v[120:121], v[30:31]
	s_waitcnt lgkmcnt(5)
	v_fma_f64 v[24:25], -v[32:33], v[122:123], v[24:25]
	v_fma_f64 v[26:27], -v[32:33], v[124:125], v[26:27]
	;; [unrolled: 3-line block ×7, first 2 shown]
.LBB100_624:
	s_or_b32 exec_lo, exec_lo, s0
	v_lshl_add_u32 v0, v117, 3, v114
	s_barrier
	buffer_gl0_inv
	v_mov_b32_e32 v108, 37
	ds_write_b64 v0, v[28:29]
	s_waitcnt lgkmcnt(0)
	s_barrier
	buffer_gl0_inv
	ds_read_b64 v[0:1], v114 offset:296
	s_cmp_lt_i32 s7, 39
	s_cbranch_scc1 .LBB100_627
; %bb.625:
	v_add3_u32 v109, v115, 0, 0x130
	v_mov_b32_e32 v108, 37
	s_mov_b32 s0, 38
.LBB100_626:                            ; =>This Inner Loop Header: Depth=1
	ds_read_b64 v[118:119], v109
	v_add_nc_u32_e32 v109, 8, v109
	s_waitcnt lgkmcnt(0)
	v_cmp_lt_f64_e64 vcc_lo, |v[0:1]|, |v[118:119]|
	v_cndmask_b32_e32 v1, v1, v119, vcc_lo
	v_cndmask_b32_e32 v0, v0, v118, vcc_lo
	v_cndmask_b32_e64 v108, v108, s0, vcc_lo
	s_add_i32 s0, s0, 1
	s_cmp_lg_u32 s7, s0
	s_cbranch_scc1 .LBB100_626
.LBB100_627:
	s_mov_b32 s0, exec_lo
	s_waitcnt lgkmcnt(0)
	v_cmpx_eq_f64_e32 0, v[0:1]
	s_xor_b32 s0, exec_lo, s0
; %bb.628:
	v_cmp_ne_u32_e32 vcc_lo, 0, v111
	v_cndmask_b32_e32 v111, 38, v111, vcc_lo
; %bb.629:
	s_andn2_saveexec_b32 s0, s0
	s_cbranch_execz .LBB100_631
; %bb.630:
	v_div_scale_f64 v[109:110], null, v[0:1], v[0:1], 1.0
	v_rcp_f64_e32 v[118:119], v[109:110]
	v_fma_f64 v[120:121], -v[109:110], v[118:119], 1.0
	v_fma_f64 v[118:119], v[118:119], v[120:121], v[118:119]
	v_fma_f64 v[120:121], -v[109:110], v[118:119], 1.0
	v_fma_f64 v[118:119], v[118:119], v[120:121], v[118:119]
	v_div_scale_f64 v[120:121], vcc_lo, 1.0, v[0:1], 1.0
	v_mul_f64 v[122:123], v[120:121], v[118:119]
	v_fma_f64 v[109:110], -v[109:110], v[122:123], v[120:121]
	v_div_fmas_f64 v[109:110], v[109:110], v[118:119], v[122:123]
	v_div_fixup_f64 v[0:1], v[109:110], v[0:1], 1.0
.LBB100_631:
	s_or_b32 exec_lo, exec_lo, s0
	s_mov_b32 s0, exec_lo
	v_cmpx_ne_u32_e64 v117, v108
	s_xor_b32 s0, exec_lo, s0
	s_cbranch_execz .LBB100_637
; %bb.632:
	s_mov_b32 s1, exec_lo
	v_cmpx_eq_u32_e32 37, v117
	s_cbranch_execz .LBB100_636
; %bb.633:
	v_cmp_ne_u32_e32 vcc_lo, 37, v108
	s_xor_b32 s2, s6, -1
	s_and_b32 s3, s2, vcc_lo
	s_and_saveexec_b32 s2, s3
	s_cbranch_execz .LBB100_635
; %bb.634:
	v_ashrrev_i32_e32 v109, 31, v108
	v_lshlrev_b64 v[109:110], 2, v[108:109]
	v_add_co_u32 v109, vcc_lo, v4, v109
	v_add_co_ci_u32_e64 v110, null, v5, v110, vcc_lo
	s_clause 0x1
	global_load_dword v116, v[109:110], off
	global_load_dword v117, v[4:5], off offset:148
	s_waitcnt vmcnt(1)
	global_store_dword v[4:5], v116, off offset:148
	s_waitcnt vmcnt(0)
	global_store_dword v[109:110], v117, off
.LBB100_635:
	s_or_b32 exec_lo, exec_lo, s2
	v_mov_b32_e32 v116, v108
	v_mov_b32_e32 v117, v108
.LBB100_636:
	s_or_b32 exec_lo, exec_lo, s1
.LBB100_637:
	s_andn2_saveexec_b32 s0, s0
	s_cbranch_execz .LBB100_639
; %bb.638:
	v_mov_b32_e32 v108, v30
	v_mov_b32_e32 v109, v31
	;; [unrolled: 1-line block ×8, first 2 shown]
	ds_write2_b64 v114, v[108:109], v[117:118] offset0:38 offset1:39
	ds_write2_b64 v114, v[119:120], v[121:122] offset0:40 offset1:41
	v_mov_b32_e32 v108, v20
	v_mov_b32_e32 v109, v21
	;; [unrolled: 1-line block ×8, first 2 shown]
	ds_write2_b64 v114, v[108:109], v[117:118] offset0:42 offset1:43
	v_mov_b32_e32 v117, 37
	v_mov_b32_e32 v123, v12
	;; [unrolled: 1-line block ×9, first 2 shown]
	ds_write2_b64 v114, v[119:120], v[121:122] offset0:44 offset1:45
	ds_write2_b64 v114, v[123:124], v[125:126] offset0:46 offset1:47
	;; [unrolled: 1-line block ×3, first 2 shown]
	ds_write_b64 v114, v[106:107] offset:400
.LBB100_639:
	s_or_b32 exec_lo, exec_lo, s0
	s_mov_b32 s0, exec_lo
	s_waitcnt lgkmcnt(0)
	s_waitcnt_vscnt null, 0x0
	s_barrier
	buffer_gl0_inv
	v_cmpx_lt_i32_e32 37, v117
	s_cbranch_execz .LBB100_641
; %bb.640:
	v_mul_f64 v[28:29], v[0:1], v[28:29]
	ds_read2_b64 v[118:121], v114 offset0:38 offset1:39
	ds_read2_b64 v[122:125], v114 offset0:40 offset1:41
	;; [unrolled: 1-line block ×6, first 2 shown]
	ds_read_b64 v[0:1], v114 offset:400
	s_waitcnt lgkmcnt(6)
	v_fma_f64 v[30:31], -v[28:29], v[118:119], v[30:31]
	v_fma_f64 v[24:25], -v[28:29], v[120:121], v[24:25]
	s_waitcnt lgkmcnt(5)
	v_fma_f64 v[26:27], -v[28:29], v[122:123], v[26:27]
	v_fma_f64 v[22:23], -v[28:29], v[124:125], v[22:23]
	;; [unrolled: 3-line block ×6, first 2 shown]
	s_waitcnt lgkmcnt(0)
	v_fma_f64 v[106:107], -v[28:29], v[0:1], v[106:107]
.LBB100_641:
	s_or_b32 exec_lo, exec_lo, s0
	v_lshl_add_u32 v0, v117, 3, v114
	s_barrier
	buffer_gl0_inv
	v_mov_b32_e32 v108, 38
	ds_write_b64 v0, v[30:31]
	s_waitcnt lgkmcnt(0)
	s_barrier
	buffer_gl0_inv
	ds_read_b64 v[0:1], v114 offset:304
	s_cmp_lt_i32 s7, 40
	s_cbranch_scc1 .LBB100_644
; %bb.642:
	v_add3_u32 v109, v115, 0, 0x138
	v_mov_b32_e32 v108, 38
	s_mov_b32 s0, 39
.LBB100_643:                            ; =>This Inner Loop Header: Depth=1
	ds_read_b64 v[118:119], v109
	v_add_nc_u32_e32 v109, 8, v109
	s_waitcnt lgkmcnt(0)
	v_cmp_lt_f64_e64 vcc_lo, |v[0:1]|, |v[118:119]|
	v_cndmask_b32_e32 v1, v1, v119, vcc_lo
	v_cndmask_b32_e32 v0, v0, v118, vcc_lo
	v_cndmask_b32_e64 v108, v108, s0, vcc_lo
	s_add_i32 s0, s0, 1
	s_cmp_lg_u32 s7, s0
	s_cbranch_scc1 .LBB100_643
.LBB100_644:
	s_mov_b32 s0, exec_lo
	s_waitcnt lgkmcnt(0)
	v_cmpx_eq_f64_e32 0, v[0:1]
	s_xor_b32 s0, exec_lo, s0
; %bb.645:
	v_cmp_ne_u32_e32 vcc_lo, 0, v111
	v_cndmask_b32_e32 v111, 39, v111, vcc_lo
; %bb.646:
	s_andn2_saveexec_b32 s0, s0
	s_cbranch_execz .LBB100_648
; %bb.647:
	v_div_scale_f64 v[109:110], null, v[0:1], v[0:1], 1.0
	v_rcp_f64_e32 v[118:119], v[109:110]
	v_fma_f64 v[120:121], -v[109:110], v[118:119], 1.0
	v_fma_f64 v[118:119], v[118:119], v[120:121], v[118:119]
	v_fma_f64 v[120:121], -v[109:110], v[118:119], 1.0
	v_fma_f64 v[118:119], v[118:119], v[120:121], v[118:119]
	v_div_scale_f64 v[120:121], vcc_lo, 1.0, v[0:1], 1.0
	v_mul_f64 v[122:123], v[120:121], v[118:119]
	v_fma_f64 v[109:110], -v[109:110], v[122:123], v[120:121]
	v_div_fmas_f64 v[109:110], v[109:110], v[118:119], v[122:123]
	v_div_fixup_f64 v[0:1], v[109:110], v[0:1], 1.0
.LBB100_648:
	s_or_b32 exec_lo, exec_lo, s0
	s_mov_b32 s0, exec_lo
	v_cmpx_ne_u32_e64 v117, v108
	s_xor_b32 s0, exec_lo, s0
	s_cbranch_execz .LBB100_654
; %bb.649:
	s_mov_b32 s1, exec_lo
	v_cmpx_eq_u32_e32 38, v117
	s_cbranch_execz .LBB100_653
; %bb.650:
	v_cmp_ne_u32_e32 vcc_lo, 38, v108
	s_xor_b32 s2, s6, -1
	s_and_b32 s3, s2, vcc_lo
	s_and_saveexec_b32 s2, s3
	s_cbranch_execz .LBB100_652
; %bb.651:
	v_ashrrev_i32_e32 v109, 31, v108
	v_lshlrev_b64 v[109:110], 2, v[108:109]
	v_add_co_u32 v109, vcc_lo, v4, v109
	v_add_co_ci_u32_e64 v110, null, v5, v110, vcc_lo
	s_clause 0x1
	global_load_dword v116, v[109:110], off
	global_load_dword v117, v[4:5], off offset:152
	s_waitcnt vmcnt(1)
	global_store_dword v[4:5], v116, off offset:152
	s_waitcnt vmcnt(0)
	global_store_dword v[109:110], v117, off
.LBB100_652:
	s_or_b32 exec_lo, exec_lo, s2
	v_mov_b32_e32 v116, v108
	v_mov_b32_e32 v117, v108
.LBB100_653:
	s_or_b32 exec_lo, exec_lo, s1
.LBB100_654:
	s_andn2_saveexec_b32 s0, s0
	s_cbranch_execz .LBB100_656
; %bb.655:
	v_mov_b32_e32 v117, 38
	ds_write2_b64 v114, v[24:25], v[26:27] offset0:39 offset1:40
	ds_write2_b64 v114, v[22:23], v[20:21] offset0:41 offset1:42
	;; [unrolled: 1-line block ×6, first 2 shown]
.LBB100_656:
	s_or_b32 exec_lo, exec_lo, s0
	s_mov_b32 s0, exec_lo
	s_waitcnt lgkmcnt(0)
	s_waitcnt_vscnt null, 0x0
	s_barrier
	buffer_gl0_inv
	v_cmpx_lt_i32_e32 38, v117
	s_cbranch_execz .LBB100_658
; %bb.657:
	v_mul_f64 v[30:31], v[0:1], v[30:31]
	ds_read2_b64 v[118:121], v114 offset0:39 offset1:40
	ds_read2_b64 v[122:125], v114 offset0:41 offset1:42
	;; [unrolled: 1-line block ×6, first 2 shown]
	s_waitcnt lgkmcnt(5)
	v_fma_f64 v[24:25], -v[30:31], v[118:119], v[24:25]
	v_fma_f64 v[26:27], -v[30:31], v[120:121], v[26:27]
	s_waitcnt lgkmcnt(4)
	v_fma_f64 v[22:23], -v[30:31], v[122:123], v[22:23]
	v_fma_f64 v[20:21], -v[30:31], v[124:125], v[20:21]
	s_waitcnt lgkmcnt(3)
	v_fma_f64 v[18:19], -v[30:31], v[126:127], v[18:19]
	v_fma_f64 v[16:17], -v[30:31], v[128:129], v[16:17]
	s_waitcnt lgkmcnt(2)
	v_fma_f64 v[14:15], -v[30:31], v[130:131], v[14:15]
	v_fma_f64 v[12:13], -v[30:31], v[132:133], v[12:13]
	s_waitcnt lgkmcnt(1)
	v_fma_f64 v[8:9], -v[30:31], v[134:135], v[8:9]
	v_fma_f64 v[10:11], -v[30:31], v[136:137], v[10:11]
	s_waitcnt lgkmcnt(0)
	v_fma_f64 v[6:7], -v[30:31], v[138:139], v[6:7]
	v_fma_f64 v[106:107], -v[30:31], v[140:141], v[106:107]
.LBB100_658:
	s_or_b32 exec_lo, exec_lo, s0
	v_lshl_add_u32 v0, v117, 3, v114
	s_barrier
	buffer_gl0_inv
	v_mov_b32_e32 v108, 39
	ds_write_b64 v0, v[24:25]
	s_waitcnt lgkmcnt(0)
	s_barrier
	buffer_gl0_inv
	ds_read_b64 v[0:1], v114 offset:312
	s_cmp_lt_i32 s7, 41
	s_cbranch_scc1 .LBB100_661
; %bb.659:
	v_add3_u32 v109, v115, 0, 0x140
	v_mov_b32_e32 v108, 39
	s_mov_b32 s0, 40
.LBB100_660:                            ; =>This Inner Loop Header: Depth=1
	ds_read_b64 v[118:119], v109
	v_add_nc_u32_e32 v109, 8, v109
	s_waitcnt lgkmcnt(0)
	v_cmp_lt_f64_e64 vcc_lo, |v[0:1]|, |v[118:119]|
	v_cndmask_b32_e32 v1, v1, v119, vcc_lo
	v_cndmask_b32_e32 v0, v0, v118, vcc_lo
	v_cndmask_b32_e64 v108, v108, s0, vcc_lo
	s_add_i32 s0, s0, 1
	s_cmp_lg_u32 s7, s0
	s_cbranch_scc1 .LBB100_660
.LBB100_661:
	s_mov_b32 s0, exec_lo
	s_waitcnt lgkmcnt(0)
	v_cmpx_eq_f64_e32 0, v[0:1]
	s_xor_b32 s0, exec_lo, s0
; %bb.662:
	v_cmp_ne_u32_e32 vcc_lo, 0, v111
	v_cndmask_b32_e32 v111, 40, v111, vcc_lo
; %bb.663:
	s_andn2_saveexec_b32 s0, s0
	s_cbranch_execz .LBB100_665
; %bb.664:
	v_div_scale_f64 v[109:110], null, v[0:1], v[0:1], 1.0
	v_rcp_f64_e32 v[118:119], v[109:110]
	v_fma_f64 v[120:121], -v[109:110], v[118:119], 1.0
	v_fma_f64 v[118:119], v[118:119], v[120:121], v[118:119]
	v_fma_f64 v[120:121], -v[109:110], v[118:119], 1.0
	v_fma_f64 v[118:119], v[118:119], v[120:121], v[118:119]
	v_div_scale_f64 v[120:121], vcc_lo, 1.0, v[0:1], 1.0
	v_mul_f64 v[122:123], v[120:121], v[118:119]
	v_fma_f64 v[109:110], -v[109:110], v[122:123], v[120:121]
	v_div_fmas_f64 v[109:110], v[109:110], v[118:119], v[122:123]
	v_div_fixup_f64 v[0:1], v[109:110], v[0:1], 1.0
.LBB100_665:
	s_or_b32 exec_lo, exec_lo, s0
	s_mov_b32 s0, exec_lo
	v_cmpx_ne_u32_e64 v117, v108
	s_xor_b32 s0, exec_lo, s0
	s_cbranch_execz .LBB100_671
; %bb.666:
	s_mov_b32 s1, exec_lo
	v_cmpx_eq_u32_e32 39, v117
	s_cbranch_execz .LBB100_670
; %bb.667:
	v_cmp_ne_u32_e32 vcc_lo, 39, v108
	s_xor_b32 s2, s6, -1
	s_and_b32 s3, s2, vcc_lo
	s_and_saveexec_b32 s2, s3
	s_cbranch_execz .LBB100_669
; %bb.668:
	v_ashrrev_i32_e32 v109, 31, v108
	v_lshlrev_b64 v[109:110], 2, v[108:109]
	v_add_co_u32 v109, vcc_lo, v4, v109
	v_add_co_ci_u32_e64 v110, null, v5, v110, vcc_lo
	s_clause 0x1
	global_load_dword v116, v[109:110], off
	global_load_dword v117, v[4:5], off offset:156
	s_waitcnt vmcnt(1)
	global_store_dword v[4:5], v116, off offset:156
	s_waitcnt vmcnt(0)
	global_store_dword v[109:110], v117, off
.LBB100_669:
	s_or_b32 exec_lo, exec_lo, s2
	v_mov_b32_e32 v116, v108
	v_mov_b32_e32 v117, v108
.LBB100_670:
	s_or_b32 exec_lo, exec_lo, s1
.LBB100_671:
	s_andn2_saveexec_b32 s0, s0
	s_cbranch_execz .LBB100_673
; %bb.672:
	v_mov_b32_e32 v108, v26
	v_mov_b32_e32 v109, v27
	;; [unrolled: 1-line block ×8, first 2 shown]
	ds_write2_b64 v114, v[108:109], v[117:118] offset0:40 offset1:41
	v_mov_b32_e32 v108, v18
	v_mov_b32_e32 v109, v19
	;; [unrolled: 1-line block ×13, first 2 shown]
	ds_write2_b64 v114, v[119:120], v[108:109] offset0:42 offset1:43
	ds_write2_b64 v114, v[121:122], v[123:124] offset0:44 offset1:45
	;; [unrolled: 1-line block ×4, first 2 shown]
	ds_write_b64 v114, v[106:107] offset:400
.LBB100_673:
	s_or_b32 exec_lo, exec_lo, s0
	s_mov_b32 s0, exec_lo
	s_waitcnt lgkmcnt(0)
	s_waitcnt_vscnt null, 0x0
	s_barrier
	buffer_gl0_inv
	v_cmpx_lt_i32_e32 39, v117
	s_cbranch_execz .LBB100_675
; %bb.674:
	v_mul_f64 v[24:25], v[0:1], v[24:25]
	ds_read2_b64 v[118:121], v114 offset0:40 offset1:41
	ds_read2_b64 v[122:125], v114 offset0:42 offset1:43
	;; [unrolled: 1-line block ×5, first 2 shown]
	ds_read_b64 v[0:1], v114 offset:400
	s_waitcnt lgkmcnt(5)
	v_fma_f64 v[26:27], -v[24:25], v[118:119], v[26:27]
	v_fma_f64 v[22:23], -v[24:25], v[120:121], v[22:23]
	s_waitcnt lgkmcnt(4)
	v_fma_f64 v[20:21], -v[24:25], v[122:123], v[20:21]
	v_fma_f64 v[18:19], -v[24:25], v[124:125], v[18:19]
	;; [unrolled: 3-line block ×5, first 2 shown]
	s_waitcnt lgkmcnt(0)
	v_fma_f64 v[106:107], -v[24:25], v[0:1], v[106:107]
.LBB100_675:
	s_or_b32 exec_lo, exec_lo, s0
	v_lshl_add_u32 v0, v117, 3, v114
	s_barrier
	buffer_gl0_inv
	v_mov_b32_e32 v108, 40
	ds_write_b64 v0, v[26:27]
	s_waitcnt lgkmcnt(0)
	s_barrier
	buffer_gl0_inv
	ds_read_b64 v[0:1], v114 offset:320
	s_cmp_lt_i32 s7, 42
	s_cbranch_scc1 .LBB100_678
; %bb.676:
	v_add3_u32 v109, v115, 0, 0x148
	v_mov_b32_e32 v108, 40
	s_mov_b32 s0, 41
.LBB100_677:                            ; =>This Inner Loop Header: Depth=1
	ds_read_b64 v[118:119], v109
	v_add_nc_u32_e32 v109, 8, v109
	s_waitcnt lgkmcnt(0)
	v_cmp_lt_f64_e64 vcc_lo, |v[0:1]|, |v[118:119]|
	v_cndmask_b32_e32 v1, v1, v119, vcc_lo
	v_cndmask_b32_e32 v0, v0, v118, vcc_lo
	v_cndmask_b32_e64 v108, v108, s0, vcc_lo
	s_add_i32 s0, s0, 1
	s_cmp_lg_u32 s7, s0
	s_cbranch_scc1 .LBB100_677
.LBB100_678:
	s_mov_b32 s0, exec_lo
	s_waitcnt lgkmcnt(0)
	v_cmpx_eq_f64_e32 0, v[0:1]
	s_xor_b32 s0, exec_lo, s0
; %bb.679:
	v_cmp_ne_u32_e32 vcc_lo, 0, v111
	v_cndmask_b32_e32 v111, 41, v111, vcc_lo
; %bb.680:
	s_andn2_saveexec_b32 s0, s0
	s_cbranch_execz .LBB100_682
; %bb.681:
	v_div_scale_f64 v[109:110], null, v[0:1], v[0:1], 1.0
	v_rcp_f64_e32 v[118:119], v[109:110]
	v_fma_f64 v[120:121], -v[109:110], v[118:119], 1.0
	v_fma_f64 v[118:119], v[118:119], v[120:121], v[118:119]
	v_fma_f64 v[120:121], -v[109:110], v[118:119], 1.0
	v_fma_f64 v[118:119], v[118:119], v[120:121], v[118:119]
	v_div_scale_f64 v[120:121], vcc_lo, 1.0, v[0:1], 1.0
	v_mul_f64 v[122:123], v[120:121], v[118:119]
	v_fma_f64 v[109:110], -v[109:110], v[122:123], v[120:121]
	v_div_fmas_f64 v[109:110], v[109:110], v[118:119], v[122:123]
	v_div_fixup_f64 v[0:1], v[109:110], v[0:1], 1.0
.LBB100_682:
	s_or_b32 exec_lo, exec_lo, s0
	s_mov_b32 s0, exec_lo
	v_cmpx_ne_u32_e64 v117, v108
	s_xor_b32 s0, exec_lo, s0
	s_cbranch_execz .LBB100_688
; %bb.683:
	s_mov_b32 s1, exec_lo
	v_cmpx_eq_u32_e32 40, v117
	s_cbranch_execz .LBB100_687
; %bb.684:
	v_cmp_ne_u32_e32 vcc_lo, 40, v108
	s_xor_b32 s2, s6, -1
	s_and_b32 s3, s2, vcc_lo
	s_and_saveexec_b32 s2, s3
	s_cbranch_execz .LBB100_686
; %bb.685:
	v_ashrrev_i32_e32 v109, 31, v108
	v_lshlrev_b64 v[109:110], 2, v[108:109]
	v_add_co_u32 v109, vcc_lo, v4, v109
	v_add_co_ci_u32_e64 v110, null, v5, v110, vcc_lo
	s_clause 0x1
	global_load_dword v116, v[109:110], off
	global_load_dword v117, v[4:5], off offset:160
	s_waitcnt vmcnt(1)
	global_store_dword v[4:5], v116, off offset:160
	s_waitcnt vmcnt(0)
	global_store_dword v[109:110], v117, off
.LBB100_686:
	s_or_b32 exec_lo, exec_lo, s2
	v_mov_b32_e32 v116, v108
	v_mov_b32_e32 v117, v108
.LBB100_687:
	s_or_b32 exec_lo, exec_lo, s1
.LBB100_688:
	s_andn2_saveexec_b32 s0, s0
	s_cbranch_execz .LBB100_690
; %bb.689:
	v_mov_b32_e32 v117, 40
	ds_write2_b64 v114, v[22:23], v[20:21] offset0:41 offset1:42
	ds_write2_b64 v114, v[18:19], v[16:17] offset0:43 offset1:44
	;; [unrolled: 1-line block ×5, first 2 shown]
.LBB100_690:
	s_or_b32 exec_lo, exec_lo, s0
	s_mov_b32 s0, exec_lo
	s_waitcnt lgkmcnt(0)
	s_waitcnt_vscnt null, 0x0
	s_barrier
	buffer_gl0_inv
	v_cmpx_lt_i32_e32 40, v117
	s_cbranch_execz .LBB100_692
; %bb.691:
	v_mul_f64 v[26:27], v[0:1], v[26:27]
	ds_read2_b64 v[118:121], v114 offset0:41 offset1:42
	ds_read2_b64 v[122:125], v114 offset0:43 offset1:44
	;; [unrolled: 1-line block ×5, first 2 shown]
	s_waitcnt lgkmcnt(4)
	v_fma_f64 v[22:23], -v[26:27], v[118:119], v[22:23]
	v_fma_f64 v[20:21], -v[26:27], v[120:121], v[20:21]
	s_waitcnt lgkmcnt(3)
	v_fma_f64 v[18:19], -v[26:27], v[122:123], v[18:19]
	v_fma_f64 v[16:17], -v[26:27], v[124:125], v[16:17]
	;; [unrolled: 3-line block ×5, first 2 shown]
.LBB100_692:
	s_or_b32 exec_lo, exec_lo, s0
	v_lshl_add_u32 v0, v117, 3, v114
	s_barrier
	buffer_gl0_inv
	v_mov_b32_e32 v108, 41
	ds_write_b64 v0, v[22:23]
	s_waitcnt lgkmcnt(0)
	s_barrier
	buffer_gl0_inv
	ds_read_b64 v[0:1], v114 offset:328
	s_cmp_lt_i32 s7, 43
	s_cbranch_scc1 .LBB100_695
; %bb.693:
	v_add3_u32 v109, v115, 0, 0x150
	v_mov_b32_e32 v108, 41
	s_mov_b32 s0, 42
.LBB100_694:                            ; =>This Inner Loop Header: Depth=1
	ds_read_b64 v[118:119], v109
	v_add_nc_u32_e32 v109, 8, v109
	s_waitcnt lgkmcnt(0)
	v_cmp_lt_f64_e64 vcc_lo, |v[0:1]|, |v[118:119]|
	v_cndmask_b32_e32 v1, v1, v119, vcc_lo
	v_cndmask_b32_e32 v0, v0, v118, vcc_lo
	v_cndmask_b32_e64 v108, v108, s0, vcc_lo
	s_add_i32 s0, s0, 1
	s_cmp_lg_u32 s7, s0
	s_cbranch_scc1 .LBB100_694
.LBB100_695:
	s_mov_b32 s0, exec_lo
	s_waitcnt lgkmcnt(0)
	v_cmpx_eq_f64_e32 0, v[0:1]
	s_xor_b32 s0, exec_lo, s0
; %bb.696:
	v_cmp_ne_u32_e32 vcc_lo, 0, v111
	v_cndmask_b32_e32 v111, 42, v111, vcc_lo
; %bb.697:
	s_andn2_saveexec_b32 s0, s0
	s_cbranch_execz .LBB100_699
; %bb.698:
	v_div_scale_f64 v[109:110], null, v[0:1], v[0:1], 1.0
	v_rcp_f64_e32 v[118:119], v[109:110]
	v_fma_f64 v[120:121], -v[109:110], v[118:119], 1.0
	v_fma_f64 v[118:119], v[118:119], v[120:121], v[118:119]
	v_fma_f64 v[120:121], -v[109:110], v[118:119], 1.0
	v_fma_f64 v[118:119], v[118:119], v[120:121], v[118:119]
	v_div_scale_f64 v[120:121], vcc_lo, 1.0, v[0:1], 1.0
	v_mul_f64 v[122:123], v[120:121], v[118:119]
	v_fma_f64 v[109:110], -v[109:110], v[122:123], v[120:121]
	v_div_fmas_f64 v[109:110], v[109:110], v[118:119], v[122:123]
	v_div_fixup_f64 v[0:1], v[109:110], v[0:1], 1.0
.LBB100_699:
	s_or_b32 exec_lo, exec_lo, s0
	s_mov_b32 s0, exec_lo
	v_cmpx_ne_u32_e64 v117, v108
	s_xor_b32 s0, exec_lo, s0
	s_cbranch_execz .LBB100_705
; %bb.700:
	s_mov_b32 s1, exec_lo
	v_cmpx_eq_u32_e32 41, v117
	s_cbranch_execz .LBB100_704
; %bb.701:
	v_cmp_ne_u32_e32 vcc_lo, 41, v108
	s_xor_b32 s2, s6, -1
	s_and_b32 s3, s2, vcc_lo
	s_and_saveexec_b32 s2, s3
	s_cbranch_execz .LBB100_703
; %bb.702:
	v_ashrrev_i32_e32 v109, 31, v108
	v_lshlrev_b64 v[109:110], 2, v[108:109]
	v_add_co_u32 v109, vcc_lo, v4, v109
	v_add_co_ci_u32_e64 v110, null, v5, v110, vcc_lo
	s_clause 0x1
	global_load_dword v116, v[109:110], off
	global_load_dword v117, v[4:5], off offset:164
	s_waitcnt vmcnt(1)
	global_store_dword v[4:5], v116, off offset:164
	s_waitcnt vmcnt(0)
	global_store_dword v[109:110], v117, off
.LBB100_703:
	s_or_b32 exec_lo, exec_lo, s2
	v_mov_b32_e32 v116, v108
	v_mov_b32_e32 v117, v108
.LBB100_704:
	s_or_b32 exec_lo, exec_lo, s1
.LBB100_705:
	s_andn2_saveexec_b32 s0, s0
	s_cbranch_execz .LBB100_707
; %bb.706:
	v_mov_b32_e32 v108, v20
	v_mov_b32_e32 v109, v21
	;; [unrolled: 1-line block ×8, first 2 shown]
	ds_write2_b64 v114, v[108:109], v[117:118] offset0:42 offset1:43
	v_mov_b32_e32 v117, 41
	v_mov_b32_e32 v123, v12
	v_mov_b32_e32 v124, v13
	v_mov_b32_e32 v125, v8
	v_mov_b32_e32 v126, v9
	v_mov_b32_e32 v127, v10
	v_mov_b32_e32 v128, v11
	v_mov_b32_e32 v129, v6
	v_mov_b32_e32 v130, v7
	ds_write2_b64 v114, v[119:120], v[121:122] offset0:44 offset1:45
	ds_write2_b64 v114, v[123:124], v[125:126] offset0:46 offset1:47
	;; [unrolled: 1-line block ×3, first 2 shown]
	ds_write_b64 v114, v[106:107] offset:400
.LBB100_707:
	s_or_b32 exec_lo, exec_lo, s0
	s_mov_b32 s0, exec_lo
	s_waitcnt lgkmcnt(0)
	s_waitcnt_vscnt null, 0x0
	s_barrier
	buffer_gl0_inv
	v_cmpx_lt_i32_e32 41, v117
	s_cbranch_execz .LBB100_709
; %bb.708:
	v_mul_f64 v[22:23], v[0:1], v[22:23]
	ds_read2_b64 v[118:121], v114 offset0:42 offset1:43
	ds_read2_b64 v[122:125], v114 offset0:44 offset1:45
	;; [unrolled: 1-line block ×4, first 2 shown]
	ds_read_b64 v[0:1], v114 offset:400
	s_waitcnt lgkmcnt(4)
	v_fma_f64 v[20:21], -v[22:23], v[118:119], v[20:21]
	v_fma_f64 v[18:19], -v[22:23], v[120:121], v[18:19]
	s_waitcnt lgkmcnt(3)
	v_fma_f64 v[16:17], -v[22:23], v[122:123], v[16:17]
	v_fma_f64 v[14:15], -v[22:23], v[124:125], v[14:15]
	;; [unrolled: 3-line block ×4, first 2 shown]
	s_waitcnt lgkmcnt(0)
	v_fma_f64 v[106:107], -v[22:23], v[0:1], v[106:107]
.LBB100_709:
	s_or_b32 exec_lo, exec_lo, s0
	v_lshl_add_u32 v0, v117, 3, v114
	s_barrier
	buffer_gl0_inv
	v_mov_b32_e32 v108, 42
	ds_write_b64 v0, v[20:21]
	s_waitcnt lgkmcnt(0)
	s_barrier
	buffer_gl0_inv
	ds_read_b64 v[0:1], v114 offset:336
	s_cmp_lt_i32 s7, 44
	s_cbranch_scc1 .LBB100_712
; %bb.710:
	v_add3_u32 v109, v115, 0, 0x158
	v_mov_b32_e32 v108, 42
	s_mov_b32 s0, 43
.LBB100_711:                            ; =>This Inner Loop Header: Depth=1
	ds_read_b64 v[118:119], v109
	v_add_nc_u32_e32 v109, 8, v109
	s_waitcnt lgkmcnt(0)
	v_cmp_lt_f64_e64 vcc_lo, |v[0:1]|, |v[118:119]|
	v_cndmask_b32_e32 v1, v1, v119, vcc_lo
	v_cndmask_b32_e32 v0, v0, v118, vcc_lo
	v_cndmask_b32_e64 v108, v108, s0, vcc_lo
	s_add_i32 s0, s0, 1
	s_cmp_lg_u32 s7, s0
	s_cbranch_scc1 .LBB100_711
.LBB100_712:
	s_mov_b32 s0, exec_lo
	s_waitcnt lgkmcnt(0)
	v_cmpx_eq_f64_e32 0, v[0:1]
	s_xor_b32 s0, exec_lo, s0
; %bb.713:
	v_cmp_ne_u32_e32 vcc_lo, 0, v111
	v_cndmask_b32_e32 v111, 43, v111, vcc_lo
; %bb.714:
	s_andn2_saveexec_b32 s0, s0
	s_cbranch_execz .LBB100_716
; %bb.715:
	v_div_scale_f64 v[109:110], null, v[0:1], v[0:1], 1.0
	v_rcp_f64_e32 v[118:119], v[109:110]
	v_fma_f64 v[120:121], -v[109:110], v[118:119], 1.0
	v_fma_f64 v[118:119], v[118:119], v[120:121], v[118:119]
	v_fma_f64 v[120:121], -v[109:110], v[118:119], 1.0
	v_fma_f64 v[118:119], v[118:119], v[120:121], v[118:119]
	v_div_scale_f64 v[120:121], vcc_lo, 1.0, v[0:1], 1.0
	v_mul_f64 v[122:123], v[120:121], v[118:119]
	v_fma_f64 v[109:110], -v[109:110], v[122:123], v[120:121]
	v_div_fmas_f64 v[109:110], v[109:110], v[118:119], v[122:123]
	v_div_fixup_f64 v[0:1], v[109:110], v[0:1], 1.0
.LBB100_716:
	s_or_b32 exec_lo, exec_lo, s0
	s_mov_b32 s0, exec_lo
	v_cmpx_ne_u32_e64 v117, v108
	s_xor_b32 s0, exec_lo, s0
	s_cbranch_execz .LBB100_722
; %bb.717:
	s_mov_b32 s1, exec_lo
	v_cmpx_eq_u32_e32 42, v117
	s_cbranch_execz .LBB100_721
; %bb.718:
	v_cmp_ne_u32_e32 vcc_lo, 42, v108
	s_xor_b32 s2, s6, -1
	s_and_b32 s3, s2, vcc_lo
	s_and_saveexec_b32 s2, s3
	s_cbranch_execz .LBB100_720
; %bb.719:
	v_ashrrev_i32_e32 v109, 31, v108
	v_lshlrev_b64 v[109:110], 2, v[108:109]
	v_add_co_u32 v109, vcc_lo, v4, v109
	v_add_co_ci_u32_e64 v110, null, v5, v110, vcc_lo
	s_clause 0x1
	global_load_dword v116, v[109:110], off
	global_load_dword v117, v[4:5], off offset:168
	s_waitcnt vmcnt(1)
	global_store_dword v[4:5], v116, off offset:168
	s_waitcnt vmcnt(0)
	global_store_dword v[109:110], v117, off
.LBB100_720:
	s_or_b32 exec_lo, exec_lo, s2
	v_mov_b32_e32 v116, v108
	v_mov_b32_e32 v117, v108
.LBB100_721:
	s_or_b32 exec_lo, exec_lo, s1
.LBB100_722:
	s_andn2_saveexec_b32 s0, s0
	s_cbranch_execz .LBB100_724
; %bb.723:
	v_mov_b32_e32 v117, 42
	ds_write2_b64 v114, v[18:19], v[16:17] offset0:43 offset1:44
	ds_write2_b64 v114, v[14:15], v[12:13] offset0:45 offset1:46
	;; [unrolled: 1-line block ×4, first 2 shown]
.LBB100_724:
	s_or_b32 exec_lo, exec_lo, s0
	s_mov_b32 s0, exec_lo
	s_waitcnt lgkmcnt(0)
	s_waitcnt_vscnt null, 0x0
	s_barrier
	buffer_gl0_inv
	v_cmpx_lt_i32_e32 42, v117
	s_cbranch_execz .LBB100_726
; %bb.725:
	v_mul_f64 v[20:21], v[0:1], v[20:21]
	ds_read2_b64 v[118:121], v114 offset0:43 offset1:44
	ds_read2_b64 v[122:125], v114 offset0:45 offset1:46
	;; [unrolled: 1-line block ×4, first 2 shown]
	s_waitcnt lgkmcnt(3)
	v_fma_f64 v[18:19], -v[20:21], v[118:119], v[18:19]
	v_fma_f64 v[16:17], -v[20:21], v[120:121], v[16:17]
	s_waitcnt lgkmcnt(2)
	v_fma_f64 v[14:15], -v[20:21], v[122:123], v[14:15]
	v_fma_f64 v[12:13], -v[20:21], v[124:125], v[12:13]
	;; [unrolled: 3-line block ×4, first 2 shown]
.LBB100_726:
	s_or_b32 exec_lo, exec_lo, s0
	v_lshl_add_u32 v0, v117, 3, v114
	s_barrier
	buffer_gl0_inv
	v_mov_b32_e32 v108, 43
	ds_write_b64 v0, v[18:19]
	s_waitcnt lgkmcnt(0)
	s_barrier
	buffer_gl0_inv
	ds_read_b64 v[0:1], v114 offset:344
	s_cmp_lt_i32 s7, 45
	s_cbranch_scc1 .LBB100_729
; %bb.727:
	v_add3_u32 v109, v115, 0, 0x160
	v_mov_b32_e32 v108, 43
	s_mov_b32 s0, 44
.LBB100_728:                            ; =>This Inner Loop Header: Depth=1
	ds_read_b64 v[118:119], v109
	v_add_nc_u32_e32 v109, 8, v109
	s_waitcnt lgkmcnt(0)
	v_cmp_lt_f64_e64 vcc_lo, |v[0:1]|, |v[118:119]|
	v_cndmask_b32_e32 v1, v1, v119, vcc_lo
	v_cndmask_b32_e32 v0, v0, v118, vcc_lo
	v_cndmask_b32_e64 v108, v108, s0, vcc_lo
	s_add_i32 s0, s0, 1
	s_cmp_lg_u32 s7, s0
	s_cbranch_scc1 .LBB100_728
.LBB100_729:
	s_mov_b32 s0, exec_lo
	s_waitcnt lgkmcnt(0)
	v_cmpx_eq_f64_e32 0, v[0:1]
	s_xor_b32 s0, exec_lo, s0
; %bb.730:
	v_cmp_ne_u32_e32 vcc_lo, 0, v111
	v_cndmask_b32_e32 v111, 44, v111, vcc_lo
; %bb.731:
	s_andn2_saveexec_b32 s0, s0
	s_cbranch_execz .LBB100_733
; %bb.732:
	v_div_scale_f64 v[109:110], null, v[0:1], v[0:1], 1.0
	v_rcp_f64_e32 v[118:119], v[109:110]
	v_fma_f64 v[120:121], -v[109:110], v[118:119], 1.0
	v_fma_f64 v[118:119], v[118:119], v[120:121], v[118:119]
	v_fma_f64 v[120:121], -v[109:110], v[118:119], 1.0
	v_fma_f64 v[118:119], v[118:119], v[120:121], v[118:119]
	v_div_scale_f64 v[120:121], vcc_lo, 1.0, v[0:1], 1.0
	v_mul_f64 v[122:123], v[120:121], v[118:119]
	v_fma_f64 v[109:110], -v[109:110], v[122:123], v[120:121]
	v_div_fmas_f64 v[109:110], v[109:110], v[118:119], v[122:123]
	v_div_fixup_f64 v[0:1], v[109:110], v[0:1], 1.0
.LBB100_733:
	s_or_b32 exec_lo, exec_lo, s0
	s_mov_b32 s0, exec_lo
	v_cmpx_ne_u32_e64 v117, v108
	s_xor_b32 s0, exec_lo, s0
	s_cbranch_execz .LBB100_739
; %bb.734:
	s_mov_b32 s1, exec_lo
	v_cmpx_eq_u32_e32 43, v117
	s_cbranch_execz .LBB100_738
; %bb.735:
	v_cmp_ne_u32_e32 vcc_lo, 43, v108
	s_xor_b32 s2, s6, -1
	s_and_b32 s3, s2, vcc_lo
	s_and_saveexec_b32 s2, s3
	s_cbranch_execz .LBB100_737
; %bb.736:
	v_ashrrev_i32_e32 v109, 31, v108
	v_lshlrev_b64 v[109:110], 2, v[108:109]
	v_add_co_u32 v109, vcc_lo, v4, v109
	v_add_co_ci_u32_e64 v110, null, v5, v110, vcc_lo
	s_clause 0x1
	global_load_dword v116, v[109:110], off
	global_load_dword v117, v[4:5], off offset:172
	s_waitcnt vmcnt(1)
	global_store_dword v[4:5], v116, off offset:172
	s_waitcnt vmcnt(0)
	global_store_dword v[109:110], v117, off
.LBB100_737:
	s_or_b32 exec_lo, exec_lo, s2
	v_mov_b32_e32 v116, v108
	v_mov_b32_e32 v117, v108
.LBB100_738:
	s_or_b32 exec_lo, exec_lo, s1
.LBB100_739:
	s_andn2_saveexec_b32 s0, s0
	s_cbranch_execz .LBB100_741
; %bb.740:
	v_mov_b32_e32 v108, v16
	v_mov_b32_e32 v109, v17
	;; [unrolled: 1-line block ×13, first 2 shown]
	ds_write2_b64 v114, v[108:109], v[118:119] offset0:44 offset1:45
	ds_write2_b64 v114, v[120:121], v[122:123] offset0:46 offset1:47
	;; [unrolled: 1-line block ×3, first 2 shown]
	ds_write_b64 v114, v[106:107] offset:400
.LBB100_741:
	s_or_b32 exec_lo, exec_lo, s0
	s_mov_b32 s0, exec_lo
	s_waitcnt lgkmcnt(0)
	s_waitcnt_vscnt null, 0x0
	s_barrier
	buffer_gl0_inv
	v_cmpx_lt_i32_e32 43, v117
	s_cbranch_execz .LBB100_743
; %bb.742:
	v_mul_f64 v[18:19], v[0:1], v[18:19]
	ds_read2_b64 v[118:121], v114 offset0:44 offset1:45
	ds_read2_b64 v[122:125], v114 offset0:46 offset1:47
	;; [unrolled: 1-line block ×3, first 2 shown]
	ds_read_b64 v[0:1], v114 offset:400
	s_waitcnt lgkmcnt(3)
	v_fma_f64 v[16:17], -v[18:19], v[118:119], v[16:17]
	v_fma_f64 v[14:15], -v[18:19], v[120:121], v[14:15]
	s_waitcnt lgkmcnt(2)
	v_fma_f64 v[12:13], -v[18:19], v[122:123], v[12:13]
	v_fma_f64 v[8:9], -v[18:19], v[124:125], v[8:9]
	;; [unrolled: 3-line block ×3, first 2 shown]
	s_waitcnt lgkmcnt(0)
	v_fma_f64 v[106:107], -v[18:19], v[0:1], v[106:107]
.LBB100_743:
	s_or_b32 exec_lo, exec_lo, s0
	v_lshl_add_u32 v0, v117, 3, v114
	s_barrier
	buffer_gl0_inv
	v_mov_b32_e32 v108, 44
	ds_write_b64 v0, v[16:17]
	s_waitcnt lgkmcnt(0)
	s_barrier
	buffer_gl0_inv
	ds_read_b64 v[0:1], v114 offset:352
	s_cmp_lt_i32 s7, 46
	s_cbranch_scc1 .LBB100_746
; %bb.744:
	v_add3_u32 v109, v115, 0, 0x168
	v_mov_b32_e32 v108, 44
	s_mov_b32 s0, 45
.LBB100_745:                            ; =>This Inner Loop Header: Depth=1
	ds_read_b64 v[118:119], v109
	v_add_nc_u32_e32 v109, 8, v109
	s_waitcnt lgkmcnt(0)
	v_cmp_lt_f64_e64 vcc_lo, |v[0:1]|, |v[118:119]|
	v_cndmask_b32_e32 v1, v1, v119, vcc_lo
	v_cndmask_b32_e32 v0, v0, v118, vcc_lo
	v_cndmask_b32_e64 v108, v108, s0, vcc_lo
	s_add_i32 s0, s0, 1
	s_cmp_lg_u32 s7, s0
	s_cbranch_scc1 .LBB100_745
.LBB100_746:
	s_mov_b32 s0, exec_lo
	s_waitcnt lgkmcnt(0)
	v_cmpx_eq_f64_e32 0, v[0:1]
	s_xor_b32 s0, exec_lo, s0
; %bb.747:
	v_cmp_ne_u32_e32 vcc_lo, 0, v111
	v_cndmask_b32_e32 v111, 45, v111, vcc_lo
; %bb.748:
	s_andn2_saveexec_b32 s0, s0
	s_cbranch_execz .LBB100_750
; %bb.749:
	v_div_scale_f64 v[109:110], null, v[0:1], v[0:1], 1.0
	v_rcp_f64_e32 v[118:119], v[109:110]
	v_fma_f64 v[120:121], -v[109:110], v[118:119], 1.0
	v_fma_f64 v[118:119], v[118:119], v[120:121], v[118:119]
	v_fma_f64 v[120:121], -v[109:110], v[118:119], 1.0
	v_fma_f64 v[118:119], v[118:119], v[120:121], v[118:119]
	v_div_scale_f64 v[120:121], vcc_lo, 1.0, v[0:1], 1.0
	v_mul_f64 v[122:123], v[120:121], v[118:119]
	v_fma_f64 v[109:110], -v[109:110], v[122:123], v[120:121]
	v_div_fmas_f64 v[109:110], v[109:110], v[118:119], v[122:123]
	v_div_fixup_f64 v[0:1], v[109:110], v[0:1], 1.0
.LBB100_750:
	s_or_b32 exec_lo, exec_lo, s0
	s_mov_b32 s0, exec_lo
	v_cmpx_ne_u32_e64 v117, v108
	s_xor_b32 s0, exec_lo, s0
	s_cbranch_execz .LBB100_756
; %bb.751:
	s_mov_b32 s1, exec_lo
	v_cmpx_eq_u32_e32 44, v117
	s_cbranch_execz .LBB100_755
; %bb.752:
	v_cmp_ne_u32_e32 vcc_lo, 44, v108
	s_xor_b32 s2, s6, -1
	s_and_b32 s3, s2, vcc_lo
	s_and_saveexec_b32 s2, s3
	s_cbranch_execz .LBB100_754
; %bb.753:
	v_ashrrev_i32_e32 v109, 31, v108
	v_lshlrev_b64 v[109:110], 2, v[108:109]
	v_add_co_u32 v109, vcc_lo, v4, v109
	v_add_co_ci_u32_e64 v110, null, v5, v110, vcc_lo
	s_clause 0x1
	global_load_dword v116, v[109:110], off
	global_load_dword v117, v[4:5], off offset:176
	s_waitcnt vmcnt(1)
	global_store_dword v[4:5], v116, off offset:176
	s_waitcnt vmcnt(0)
	global_store_dword v[109:110], v117, off
.LBB100_754:
	s_or_b32 exec_lo, exec_lo, s2
	v_mov_b32_e32 v116, v108
	v_mov_b32_e32 v117, v108
.LBB100_755:
	s_or_b32 exec_lo, exec_lo, s1
.LBB100_756:
	s_andn2_saveexec_b32 s0, s0
	s_cbranch_execz .LBB100_758
; %bb.757:
	v_mov_b32_e32 v117, 44
	ds_write2_b64 v114, v[14:15], v[12:13] offset0:45 offset1:46
	ds_write2_b64 v114, v[8:9], v[10:11] offset0:47 offset1:48
	;; [unrolled: 1-line block ×3, first 2 shown]
.LBB100_758:
	s_or_b32 exec_lo, exec_lo, s0
	s_mov_b32 s0, exec_lo
	s_waitcnt lgkmcnt(0)
	s_waitcnt_vscnt null, 0x0
	s_barrier
	buffer_gl0_inv
	v_cmpx_lt_i32_e32 44, v117
	s_cbranch_execz .LBB100_760
; %bb.759:
	v_mul_f64 v[16:17], v[0:1], v[16:17]
	ds_read2_b64 v[118:121], v114 offset0:45 offset1:46
	ds_read2_b64 v[122:125], v114 offset0:47 offset1:48
	;; [unrolled: 1-line block ×3, first 2 shown]
	s_waitcnt lgkmcnt(2)
	v_fma_f64 v[14:15], -v[16:17], v[118:119], v[14:15]
	v_fma_f64 v[12:13], -v[16:17], v[120:121], v[12:13]
	s_waitcnt lgkmcnt(1)
	v_fma_f64 v[8:9], -v[16:17], v[122:123], v[8:9]
	v_fma_f64 v[10:11], -v[16:17], v[124:125], v[10:11]
	s_waitcnt lgkmcnt(0)
	v_fma_f64 v[6:7], -v[16:17], v[126:127], v[6:7]
	v_fma_f64 v[106:107], -v[16:17], v[128:129], v[106:107]
.LBB100_760:
	s_or_b32 exec_lo, exec_lo, s0
	v_lshl_add_u32 v0, v117, 3, v114
	s_barrier
	buffer_gl0_inv
	v_mov_b32_e32 v108, 45
	ds_write_b64 v0, v[14:15]
	s_waitcnt lgkmcnt(0)
	s_barrier
	buffer_gl0_inv
	ds_read_b64 v[0:1], v114 offset:360
	s_cmp_lt_i32 s7, 47
	s_cbranch_scc1 .LBB100_763
; %bb.761:
	v_add3_u32 v109, v115, 0, 0x170
	v_mov_b32_e32 v108, 45
	s_mov_b32 s0, 46
.LBB100_762:                            ; =>This Inner Loop Header: Depth=1
	ds_read_b64 v[118:119], v109
	v_add_nc_u32_e32 v109, 8, v109
	s_waitcnt lgkmcnt(0)
	v_cmp_lt_f64_e64 vcc_lo, |v[0:1]|, |v[118:119]|
	v_cndmask_b32_e32 v1, v1, v119, vcc_lo
	v_cndmask_b32_e32 v0, v0, v118, vcc_lo
	v_cndmask_b32_e64 v108, v108, s0, vcc_lo
	s_add_i32 s0, s0, 1
	s_cmp_lg_u32 s7, s0
	s_cbranch_scc1 .LBB100_762
.LBB100_763:
	s_mov_b32 s0, exec_lo
	s_waitcnt lgkmcnt(0)
	v_cmpx_eq_f64_e32 0, v[0:1]
	s_xor_b32 s0, exec_lo, s0
; %bb.764:
	v_cmp_ne_u32_e32 vcc_lo, 0, v111
	v_cndmask_b32_e32 v111, 46, v111, vcc_lo
; %bb.765:
	s_andn2_saveexec_b32 s0, s0
	s_cbranch_execz .LBB100_767
; %bb.766:
	v_div_scale_f64 v[109:110], null, v[0:1], v[0:1], 1.0
	v_rcp_f64_e32 v[118:119], v[109:110]
	v_fma_f64 v[120:121], -v[109:110], v[118:119], 1.0
	v_fma_f64 v[118:119], v[118:119], v[120:121], v[118:119]
	v_fma_f64 v[120:121], -v[109:110], v[118:119], 1.0
	v_fma_f64 v[118:119], v[118:119], v[120:121], v[118:119]
	v_div_scale_f64 v[120:121], vcc_lo, 1.0, v[0:1], 1.0
	v_mul_f64 v[122:123], v[120:121], v[118:119]
	v_fma_f64 v[109:110], -v[109:110], v[122:123], v[120:121]
	v_div_fmas_f64 v[109:110], v[109:110], v[118:119], v[122:123]
	v_div_fixup_f64 v[0:1], v[109:110], v[0:1], 1.0
.LBB100_767:
	s_or_b32 exec_lo, exec_lo, s0
	s_mov_b32 s0, exec_lo
	v_cmpx_ne_u32_e64 v117, v108
	s_xor_b32 s0, exec_lo, s0
	s_cbranch_execz .LBB100_773
; %bb.768:
	s_mov_b32 s1, exec_lo
	v_cmpx_eq_u32_e32 45, v117
	s_cbranch_execz .LBB100_772
; %bb.769:
	v_cmp_ne_u32_e32 vcc_lo, 45, v108
	s_xor_b32 s2, s6, -1
	s_and_b32 s3, s2, vcc_lo
	s_and_saveexec_b32 s2, s3
	s_cbranch_execz .LBB100_771
; %bb.770:
	v_ashrrev_i32_e32 v109, 31, v108
	v_lshlrev_b64 v[109:110], 2, v[108:109]
	v_add_co_u32 v109, vcc_lo, v4, v109
	v_add_co_ci_u32_e64 v110, null, v5, v110, vcc_lo
	s_clause 0x1
	global_load_dword v116, v[109:110], off
	global_load_dword v117, v[4:5], off offset:180
	s_waitcnt vmcnt(1)
	global_store_dword v[4:5], v116, off offset:180
	s_waitcnt vmcnt(0)
	global_store_dword v[109:110], v117, off
.LBB100_771:
	s_or_b32 exec_lo, exec_lo, s2
	v_mov_b32_e32 v116, v108
	v_mov_b32_e32 v117, v108
.LBB100_772:
	s_or_b32 exec_lo, exec_lo, s1
.LBB100_773:
	s_andn2_saveexec_b32 s0, s0
	s_cbranch_execz .LBB100_775
; %bb.774:
	v_mov_b32_e32 v108, v12
	v_mov_b32_e32 v109, v13
	;; [unrolled: 1-line block ×9, first 2 shown]
	ds_write2_b64 v114, v[108:109], v[118:119] offset0:46 offset1:47
	ds_write2_b64 v114, v[120:121], v[122:123] offset0:48 offset1:49
	ds_write_b64 v114, v[106:107] offset:400
.LBB100_775:
	s_or_b32 exec_lo, exec_lo, s0
	s_mov_b32 s0, exec_lo
	s_waitcnt lgkmcnt(0)
	s_waitcnt_vscnt null, 0x0
	s_barrier
	buffer_gl0_inv
	v_cmpx_lt_i32_e32 45, v117
	s_cbranch_execz .LBB100_777
; %bb.776:
	v_mul_f64 v[14:15], v[0:1], v[14:15]
	ds_read2_b64 v[118:121], v114 offset0:46 offset1:47
	ds_read2_b64 v[122:125], v114 offset0:48 offset1:49
	ds_read_b64 v[0:1], v114 offset:400
	s_waitcnt lgkmcnt(2)
	v_fma_f64 v[12:13], -v[14:15], v[118:119], v[12:13]
	v_fma_f64 v[8:9], -v[14:15], v[120:121], v[8:9]
	s_waitcnt lgkmcnt(1)
	v_fma_f64 v[10:11], -v[14:15], v[122:123], v[10:11]
	v_fma_f64 v[6:7], -v[14:15], v[124:125], v[6:7]
	s_waitcnt lgkmcnt(0)
	v_fma_f64 v[106:107], -v[14:15], v[0:1], v[106:107]
.LBB100_777:
	s_or_b32 exec_lo, exec_lo, s0
	v_lshl_add_u32 v0, v117, 3, v114
	s_barrier
	buffer_gl0_inv
	v_mov_b32_e32 v108, 46
	ds_write_b64 v0, v[12:13]
	s_waitcnt lgkmcnt(0)
	s_barrier
	buffer_gl0_inv
	ds_read_b64 v[0:1], v114 offset:368
	s_cmp_lt_i32 s7, 48
	s_cbranch_scc1 .LBB100_780
; %bb.778:
	v_add3_u32 v109, v115, 0, 0x178
	v_mov_b32_e32 v108, 46
	s_mov_b32 s0, 47
.LBB100_779:                            ; =>This Inner Loop Header: Depth=1
	ds_read_b64 v[118:119], v109
	v_add_nc_u32_e32 v109, 8, v109
	s_waitcnt lgkmcnt(0)
	v_cmp_lt_f64_e64 vcc_lo, |v[0:1]|, |v[118:119]|
	v_cndmask_b32_e32 v1, v1, v119, vcc_lo
	v_cndmask_b32_e32 v0, v0, v118, vcc_lo
	v_cndmask_b32_e64 v108, v108, s0, vcc_lo
	s_add_i32 s0, s0, 1
	s_cmp_lg_u32 s7, s0
	s_cbranch_scc1 .LBB100_779
.LBB100_780:
	s_mov_b32 s0, exec_lo
	s_waitcnt lgkmcnt(0)
	v_cmpx_eq_f64_e32 0, v[0:1]
	s_xor_b32 s0, exec_lo, s0
; %bb.781:
	v_cmp_ne_u32_e32 vcc_lo, 0, v111
	v_cndmask_b32_e32 v111, 47, v111, vcc_lo
; %bb.782:
	s_andn2_saveexec_b32 s0, s0
	s_cbranch_execz .LBB100_784
; %bb.783:
	v_div_scale_f64 v[109:110], null, v[0:1], v[0:1], 1.0
	v_rcp_f64_e32 v[118:119], v[109:110]
	v_fma_f64 v[120:121], -v[109:110], v[118:119], 1.0
	v_fma_f64 v[118:119], v[118:119], v[120:121], v[118:119]
	v_fma_f64 v[120:121], -v[109:110], v[118:119], 1.0
	v_fma_f64 v[118:119], v[118:119], v[120:121], v[118:119]
	v_div_scale_f64 v[120:121], vcc_lo, 1.0, v[0:1], 1.0
	v_mul_f64 v[122:123], v[120:121], v[118:119]
	v_fma_f64 v[109:110], -v[109:110], v[122:123], v[120:121]
	v_div_fmas_f64 v[109:110], v[109:110], v[118:119], v[122:123]
	v_div_fixup_f64 v[0:1], v[109:110], v[0:1], 1.0
.LBB100_784:
	s_or_b32 exec_lo, exec_lo, s0
	s_mov_b32 s0, exec_lo
	v_cmpx_ne_u32_e64 v117, v108
	s_xor_b32 s0, exec_lo, s0
	s_cbranch_execz .LBB100_790
; %bb.785:
	s_mov_b32 s1, exec_lo
	v_cmpx_eq_u32_e32 46, v117
	s_cbranch_execz .LBB100_789
; %bb.786:
	v_cmp_ne_u32_e32 vcc_lo, 46, v108
	s_xor_b32 s2, s6, -1
	s_and_b32 s3, s2, vcc_lo
	s_and_saveexec_b32 s2, s3
	s_cbranch_execz .LBB100_788
; %bb.787:
	v_ashrrev_i32_e32 v109, 31, v108
	v_lshlrev_b64 v[109:110], 2, v[108:109]
	v_add_co_u32 v109, vcc_lo, v4, v109
	v_add_co_ci_u32_e64 v110, null, v5, v110, vcc_lo
	s_clause 0x1
	global_load_dword v116, v[109:110], off
	global_load_dword v117, v[4:5], off offset:184
	s_waitcnt vmcnt(1)
	global_store_dword v[4:5], v116, off offset:184
	s_waitcnt vmcnt(0)
	global_store_dword v[109:110], v117, off
.LBB100_788:
	s_or_b32 exec_lo, exec_lo, s2
	v_mov_b32_e32 v116, v108
	v_mov_b32_e32 v117, v108
.LBB100_789:
	s_or_b32 exec_lo, exec_lo, s1
.LBB100_790:
	s_andn2_saveexec_b32 s0, s0
	s_cbranch_execz .LBB100_792
; %bb.791:
	v_mov_b32_e32 v117, 46
	ds_write2_b64 v114, v[8:9], v[10:11] offset0:47 offset1:48
	ds_write2_b64 v114, v[6:7], v[106:107] offset0:49 offset1:50
.LBB100_792:
	s_or_b32 exec_lo, exec_lo, s0
	s_mov_b32 s0, exec_lo
	s_waitcnt lgkmcnt(0)
	s_waitcnt_vscnt null, 0x0
	s_barrier
	buffer_gl0_inv
	v_cmpx_lt_i32_e32 46, v117
	s_cbranch_execz .LBB100_794
; %bb.793:
	v_mul_f64 v[12:13], v[0:1], v[12:13]
	ds_read2_b64 v[118:121], v114 offset0:47 offset1:48
	ds_read2_b64 v[122:125], v114 offset0:49 offset1:50
	s_waitcnt lgkmcnt(1)
	v_fma_f64 v[8:9], -v[12:13], v[118:119], v[8:9]
	v_fma_f64 v[10:11], -v[12:13], v[120:121], v[10:11]
	s_waitcnt lgkmcnt(0)
	v_fma_f64 v[6:7], -v[12:13], v[122:123], v[6:7]
	v_fma_f64 v[106:107], -v[12:13], v[124:125], v[106:107]
.LBB100_794:
	s_or_b32 exec_lo, exec_lo, s0
	v_lshl_add_u32 v0, v117, 3, v114
	s_barrier
	buffer_gl0_inv
	v_mov_b32_e32 v108, 47
	ds_write_b64 v0, v[8:9]
	s_waitcnt lgkmcnt(0)
	s_barrier
	buffer_gl0_inv
	ds_read_b64 v[0:1], v114 offset:376
	s_cmp_lt_i32 s7, 49
	s_cbranch_scc1 .LBB100_797
; %bb.795:
	v_add3_u32 v109, v115, 0, 0x180
	v_mov_b32_e32 v108, 47
	s_mov_b32 s0, 48
.LBB100_796:                            ; =>This Inner Loop Header: Depth=1
	ds_read_b64 v[118:119], v109
	v_add_nc_u32_e32 v109, 8, v109
	s_waitcnt lgkmcnt(0)
	v_cmp_lt_f64_e64 vcc_lo, |v[0:1]|, |v[118:119]|
	v_cndmask_b32_e32 v1, v1, v119, vcc_lo
	v_cndmask_b32_e32 v0, v0, v118, vcc_lo
	v_cndmask_b32_e64 v108, v108, s0, vcc_lo
	s_add_i32 s0, s0, 1
	s_cmp_lg_u32 s7, s0
	s_cbranch_scc1 .LBB100_796
.LBB100_797:
	s_mov_b32 s0, exec_lo
	s_waitcnt lgkmcnt(0)
	v_cmpx_eq_f64_e32 0, v[0:1]
	s_xor_b32 s0, exec_lo, s0
; %bb.798:
	v_cmp_ne_u32_e32 vcc_lo, 0, v111
	v_cndmask_b32_e32 v111, 48, v111, vcc_lo
; %bb.799:
	s_andn2_saveexec_b32 s0, s0
	s_cbranch_execz .LBB100_801
; %bb.800:
	v_div_scale_f64 v[109:110], null, v[0:1], v[0:1], 1.0
	v_rcp_f64_e32 v[118:119], v[109:110]
	v_fma_f64 v[120:121], -v[109:110], v[118:119], 1.0
	v_fma_f64 v[118:119], v[118:119], v[120:121], v[118:119]
	v_fma_f64 v[120:121], -v[109:110], v[118:119], 1.0
	v_fma_f64 v[118:119], v[118:119], v[120:121], v[118:119]
	v_div_scale_f64 v[120:121], vcc_lo, 1.0, v[0:1], 1.0
	v_mul_f64 v[122:123], v[120:121], v[118:119]
	v_fma_f64 v[109:110], -v[109:110], v[122:123], v[120:121]
	v_div_fmas_f64 v[109:110], v[109:110], v[118:119], v[122:123]
	v_div_fixup_f64 v[0:1], v[109:110], v[0:1], 1.0
.LBB100_801:
	s_or_b32 exec_lo, exec_lo, s0
	s_mov_b32 s0, exec_lo
	v_cmpx_ne_u32_e64 v117, v108
	s_xor_b32 s0, exec_lo, s0
	s_cbranch_execz .LBB100_807
; %bb.802:
	s_mov_b32 s1, exec_lo
	v_cmpx_eq_u32_e32 47, v117
	s_cbranch_execz .LBB100_806
; %bb.803:
	v_cmp_ne_u32_e32 vcc_lo, 47, v108
	s_xor_b32 s2, s6, -1
	s_and_b32 s3, s2, vcc_lo
	s_and_saveexec_b32 s2, s3
	s_cbranch_execz .LBB100_805
; %bb.804:
	v_ashrrev_i32_e32 v109, 31, v108
	v_lshlrev_b64 v[109:110], 2, v[108:109]
	v_add_co_u32 v109, vcc_lo, v4, v109
	v_add_co_ci_u32_e64 v110, null, v5, v110, vcc_lo
	s_clause 0x1
	global_load_dword v116, v[109:110], off
	global_load_dword v117, v[4:5], off offset:188
	s_waitcnt vmcnt(1)
	global_store_dword v[4:5], v116, off offset:188
	s_waitcnt vmcnt(0)
	global_store_dword v[109:110], v117, off
.LBB100_805:
	s_or_b32 exec_lo, exec_lo, s2
	v_mov_b32_e32 v116, v108
	v_mov_b32_e32 v117, v108
.LBB100_806:
	s_or_b32 exec_lo, exec_lo, s1
.LBB100_807:
	s_andn2_saveexec_b32 s0, s0
	s_cbranch_execz .LBB100_809
; %bb.808:
	v_mov_b32_e32 v108, v10
	v_mov_b32_e32 v109, v11
	;; [unrolled: 1-line block ×5, first 2 shown]
	ds_write2_b64 v114, v[108:109], v[118:119] offset0:48 offset1:49
	ds_write_b64 v114, v[106:107] offset:400
.LBB100_809:
	s_or_b32 exec_lo, exec_lo, s0
	s_mov_b32 s0, exec_lo
	s_waitcnt lgkmcnt(0)
	s_waitcnt_vscnt null, 0x0
	s_barrier
	buffer_gl0_inv
	v_cmpx_lt_i32_e32 47, v117
	s_cbranch_execz .LBB100_811
; %bb.810:
	v_mul_f64 v[8:9], v[0:1], v[8:9]
	ds_read2_b64 v[118:121], v114 offset0:48 offset1:49
	ds_read_b64 v[0:1], v114 offset:400
	s_waitcnt lgkmcnt(1)
	v_fma_f64 v[10:11], -v[8:9], v[118:119], v[10:11]
	v_fma_f64 v[6:7], -v[8:9], v[120:121], v[6:7]
	s_waitcnt lgkmcnt(0)
	v_fma_f64 v[106:107], -v[8:9], v[0:1], v[106:107]
.LBB100_811:
	s_or_b32 exec_lo, exec_lo, s0
	v_lshl_add_u32 v0, v117, 3, v114
	s_barrier
	buffer_gl0_inv
	v_mov_b32_e32 v108, 48
	ds_write_b64 v0, v[10:11]
	s_waitcnt lgkmcnt(0)
	s_barrier
	buffer_gl0_inv
	ds_read_b64 v[0:1], v114 offset:384
	s_cmp_lt_i32 s7, 50
	s_cbranch_scc1 .LBB100_814
; %bb.812:
	v_add3_u32 v109, v115, 0, 0x188
	v_mov_b32_e32 v108, 48
	s_mov_b32 s0, 49
.LBB100_813:                            ; =>This Inner Loop Header: Depth=1
	ds_read_b64 v[118:119], v109
	v_add_nc_u32_e32 v109, 8, v109
	s_waitcnt lgkmcnt(0)
	v_cmp_lt_f64_e64 vcc_lo, |v[0:1]|, |v[118:119]|
	v_cndmask_b32_e32 v1, v1, v119, vcc_lo
	v_cndmask_b32_e32 v0, v0, v118, vcc_lo
	v_cndmask_b32_e64 v108, v108, s0, vcc_lo
	s_add_i32 s0, s0, 1
	s_cmp_lg_u32 s7, s0
	s_cbranch_scc1 .LBB100_813
.LBB100_814:
	s_mov_b32 s0, exec_lo
	s_waitcnt lgkmcnt(0)
	v_cmpx_eq_f64_e32 0, v[0:1]
	s_xor_b32 s0, exec_lo, s0
; %bb.815:
	v_cmp_ne_u32_e32 vcc_lo, 0, v111
	v_cndmask_b32_e32 v111, 49, v111, vcc_lo
; %bb.816:
	s_andn2_saveexec_b32 s0, s0
	s_cbranch_execz .LBB100_818
; %bb.817:
	v_div_scale_f64 v[109:110], null, v[0:1], v[0:1], 1.0
	v_rcp_f64_e32 v[118:119], v[109:110]
	v_fma_f64 v[120:121], -v[109:110], v[118:119], 1.0
	v_fma_f64 v[118:119], v[118:119], v[120:121], v[118:119]
	v_fma_f64 v[120:121], -v[109:110], v[118:119], 1.0
	v_fma_f64 v[118:119], v[118:119], v[120:121], v[118:119]
	v_div_scale_f64 v[120:121], vcc_lo, 1.0, v[0:1], 1.0
	v_mul_f64 v[122:123], v[120:121], v[118:119]
	v_fma_f64 v[109:110], -v[109:110], v[122:123], v[120:121]
	v_div_fmas_f64 v[109:110], v[109:110], v[118:119], v[122:123]
	v_div_fixup_f64 v[0:1], v[109:110], v[0:1], 1.0
.LBB100_818:
	s_or_b32 exec_lo, exec_lo, s0
	s_mov_b32 s0, exec_lo
	v_cmpx_ne_u32_e64 v117, v108
	s_xor_b32 s0, exec_lo, s0
	s_cbranch_execz .LBB100_824
; %bb.819:
	s_mov_b32 s1, exec_lo
	v_cmpx_eq_u32_e32 48, v117
	s_cbranch_execz .LBB100_823
; %bb.820:
	v_cmp_ne_u32_e32 vcc_lo, 48, v108
	s_xor_b32 s2, s6, -1
	s_and_b32 s3, s2, vcc_lo
	s_and_saveexec_b32 s2, s3
	s_cbranch_execz .LBB100_822
; %bb.821:
	v_ashrrev_i32_e32 v109, 31, v108
	v_lshlrev_b64 v[109:110], 2, v[108:109]
	v_add_co_u32 v109, vcc_lo, v4, v109
	v_add_co_ci_u32_e64 v110, null, v5, v110, vcc_lo
	s_clause 0x1
	global_load_dword v116, v[109:110], off
	global_load_dword v117, v[4:5], off offset:192
	s_waitcnt vmcnt(1)
	global_store_dword v[4:5], v116, off offset:192
	s_waitcnt vmcnt(0)
	global_store_dword v[109:110], v117, off
.LBB100_822:
	s_or_b32 exec_lo, exec_lo, s2
	v_mov_b32_e32 v116, v108
	v_mov_b32_e32 v117, v108
.LBB100_823:
	s_or_b32 exec_lo, exec_lo, s1
.LBB100_824:
	s_andn2_saveexec_b32 s0, s0
; %bb.825:
	v_mov_b32_e32 v117, 48
	ds_write2_b64 v114, v[6:7], v[106:107] offset0:49 offset1:50
; %bb.826:
	s_or_b32 exec_lo, exec_lo, s0
	s_mov_b32 s0, exec_lo
	s_waitcnt lgkmcnt(0)
	s_waitcnt_vscnt null, 0x0
	s_barrier
	buffer_gl0_inv
	v_cmpx_lt_i32_e32 48, v117
	s_cbranch_execz .LBB100_828
; %bb.827:
	v_mul_f64 v[10:11], v[0:1], v[10:11]
	ds_read2_b64 v[118:121], v114 offset0:49 offset1:50
	s_waitcnt lgkmcnt(0)
	v_fma_f64 v[6:7], -v[10:11], v[118:119], v[6:7]
	v_fma_f64 v[106:107], -v[10:11], v[120:121], v[106:107]
.LBB100_828:
	s_or_b32 exec_lo, exec_lo, s0
	v_lshl_add_u32 v0, v117, 3, v114
	s_barrier
	buffer_gl0_inv
	v_mov_b32_e32 v108, 49
	ds_write_b64 v0, v[6:7]
	s_waitcnt lgkmcnt(0)
	s_barrier
	buffer_gl0_inv
	ds_read_b64 v[0:1], v114 offset:392
	s_cmp_lt_i32 s7, 51
	s_cbranch_scc1 .LBB100_831
; %bb.829:
	v_add3_u32 v109, v115, 0, 0x190
	v_mov_b32_e32 v108, 49
	s_mov_b32 s0, 50
.LBB100_830:                            ; =>This Inner Loop Header: Depth=1
	ds_read_b64 v[118:119], v109
	v_add_nc_u32_e32 v109, 8, v109
	s_waitcnt lgkmcnt(0)
	v_cmp_lt_f64_e64 vcc_lo, |v[0:1]|, |v[118:119]|
	v_cndmask_b32_e32 v1, v1, v119, vcc_lo
	v_cndmask_b32_e32 v0, v0, v118, vcc_lo
	v_cndmask_b32_e64 v108, v108, s0, vcc_lo
	s_add_i32 s0, s0, 1
	s_cmp_lg_u32 s7, s0
	s_cbranch_scc1 .LBB100_830
.LBB100_831:
	s_mov_b32 s0, exec_lo
	s_waitcnt lgkmcnt(0)
	v_cmpx_eq_f64_e32 0, v[0:1]
	s_xor_b32 s0, exec_lo, s0
; %bb.832:
	v_cmp_ne_u32_e32 vcc_lo, 0, v111
	v_cndmask_b32_e32 v111, 50, v111, vcc_lo
; %bb.833:
	s_andn2_saveexec_b32 s0, s0
	s_cbranch_execz .LBB100_835
; %bb.834:
	v_div_scale_f64 v[109:110], null, v[0:1], v[0:1], 1.0
	v_rcp_f64_e32 v[118:119], v[109:110]
	v_fma_f64 v[120:121], -v[109:110], v[118:119], 1.0
	v_fma_f64 v[118:119], v[118:119], v[120:121], v[118:119]
	v_fma_f64 v[120:121], -v[109:110], v[118:119], 1.0
	v_fma_f64 v[118:119], v[118:119], v[120:121], v[118:119]
	v_div_scale_f64 v[120:121], vcc_lo, 1.0, v[0:1], 1.0
	v_mul_f64 v[122:123], v[120:121], v[118:119]
	v_fma_f64 v[109:110], -v[109:110], v[122:123], v[120:121]
	v_div_fmas_f64 v[109:110], v[109:110], v[118:119], v[122:123]
	v_div_fixup_f64 v[0:1], v[109:110], v[0:1], 1.0
.LBB100_835:
	s_or_b32 exec_lo, exec_lo, s0
	s_mov_b32 s0, exec_lo
	v_cmpx_ne_u32_e64 v117, v108
	s_xor_b32 s0, exec_lo, s0
	s_cbranch_execz .LBB100_841
; %bb.836:
	s_mov_b32 s1, exec_lo
	v_cmpx_eq_u32_e32 49, v117
	s_cbranch_execz .LBB100_840
; %bb.837:
	v_cmp_ne_u32_e32 vcc_lo, 49, v108
	s_xor_b32 s2, s6, -1
	s_and_b32 s3, s2, vcc_lo
	s_and_saveexec_b32 s2, s3
	s_cbranch_execz .LBB100_839
; %bb.838:
	v_ashrrev_i32_e32 v109, 31, v108
	v_lshlrev_b64 v[109:110], 2, v[108:109]
	v_add_co_u32 v109, vcc_lo, v4, v109
	v_add_co_ci_u32_e64 v110, null, v5, v110, vcc_lo
	s_clause 0x1
	global_load_dword v116, v[109:110], off
	global_load_dword v117, v[4:5], off offset:196
	s_waitcnt vmcnt(1)
	global_store_dword v[4:5], v116, off offset:196
	s_waitcnt vmcnt(0)
	global_store_dword v[109:110], v117, off
.LBB100_839:
	s_or_b32 exec_lo, exec_lo, s2
	v_mov_b32_e32 v116, v108
	v_mov_b32_e32 v117, v108
.LBB100_840:
	s_or_b32 exec_lo, exec_lo, s1
.LBB100_841:
	s_andn2_saveexec_b32 s0, s0
; %bb.842:
	v_mov_b32_e32 v117, 49
	ds_write_b64 v114, v[106:107] offset:400
; %bb.843:
	s_or_b32 exec_lo, exec_lo, s0
	s_mov_b32 s0, exec_lo
	s_waitcnt lgkmcnt(0)
	s_waitcnt_vscnt null, 0x0
	s_barrier
	buffer_gl0_inv
	v_cmpx_lt_i32_e32 49, v117
	s_cbranch_execz .LBB100_845
; %bb.844:
	v_mul_f64 v[6:7], v[0:1], v[6:7]
	ds_read_b64 v[0:1], v114 offset:400
	s_waitcnt lgkmcnt(0)
	v_fma_f64 v[106:107], -v[6:7], v[0:1], v[106:107]
.LBB100_845:
	s_or_b32 exec_lo, exec_lo, s0
	v_lshl_add_u32 v0, v117, 3, v114
	s_barrier
	buffer_gl0_inv
	v_mov_b32_e32 v108, 50
	ds_write_b64 v0, v[106:107]
	s_waitcnt lgkmcnt(0)
	s_barrier
	buffer_gl0_inv
	ds_read_b64 v[0:1], v114 offset:400
	s_cmp_lt_i32 s7, 52
	s_cbranch_scc1 .LBB100_848
; %bb.846:
	v_add3_u32 v109, v115, 0, 0x198
	v_mov_b32_e32 v108, 50
	s_mov_b32 s0, 51
.LBB100_847:                            ; =>This Inner Loop Header: Depth=1
	ds_read_b64 v[114:115], v109
	v_add_nc_u32_e32 v109, 8, v109
	s_waitcnt lgkmcnt(0)
	v_cmp_lt_f64_e64 vcc_lo, |v[0:1]|, |v[114:115]|
	v_cndmask_b32_e32 v1, v1, v115, vcc_lo
	v_cndmask_b32_e32 v0, v0, v114, vcc_lo
	v_cndmask_b32_e64 v108, v108, s0, vcc_lo
	s_add_i32 s0, s0, 1
	s_cmp_lg_u32 s7, s0
	s_cbranch_scc1 .LBB100_847
.LBB100_848:
	s_mov_b32 s0, exec_lo
	s_waitcnt lgkmcnt(0)
	v_cmpx_eq_f64_e32 0, v[0:1]
	s_xor_b32 s0, exec_lo, s0
; %bb.849:
	v_cmp_ne_u32_e32 vcc_lo, 0, v111
	v_cndmask_b32_e32 v111, 51, v111, vcc_lo
; %bb.850:
	s_andn2_saveexec_b32 s0, s0
	s_cbranch_execz .LBB100_852
; %bb.851:
	v_div_scale_f64 v[109:110], null, v[0:1], v[0:1], 1.0
	v_rcp_f64_e32 v[114:115], v[109:110]
	v_fma_f64 v[118:119], -v[109:110], v[114:115], 1.0
	v_fma_f64 v[114:115], v[114:115], v[118:119], v[114:115]
	v_fma_f64 v[118:119], -v[109:110], v[114:115], 1.0
	v_fma_f64 v[114:115], v[114:115], v[118:119], v[114:115]
	v_div_scale_f64 v[118:119], vcc_lo, 1.0, v[0:1], 1.0
	v_mul_f64 v[120:121], v[118:119], v[114:115]
	v_fma_f64 v[109:110], -v[109:110], v[120:121], v[118:119]
	v_div_fmas_f64 v[109:110], v[109:110], v[114:115], v[120:121]
	v_div_fixup_f64 v[0:1], v[109:110], v[0:1], 1.0
.LBB100_852:
	s_or_b32 exec_lo, exec_lo, s0
	v_mov_b32_e32 v109, 50
	s_mov_b32 s0, exec_lo
	v_cmpx_ne_u32_e64 v117, v108
	s_cbranch_execz .LBB100_858
; %bb.853:
	s_mov_b32 s1, exec_lo
	v_cmpx_eq_u32_e32 50, v117
	s_cbranch_execz .LBB100_857
; %bb.854:
	v_cmp_ne_u32_e32 vcc_lo, 50, v108
	s_xor_b32 s2, s6, -1
	s_and_b32 s3, s2, vcc_lo
	s_and_saveexec_b32 s2, s3
	s_cbranch_execz .LBB100_856
; %bb.855:
	v_ashrrev_i32_e32 v109, 31, v108
	v_lshlrev_b64 v[109:110], 2, v[108:109]
	v_add_co_u32 v109, vcc_lo, v4, v109
	v_add_co_ci_u32_e64 v110, null, v5, v110, vcc_lo
	s_clause 0x1
	global_load_dword v114, v[109:110], off
	global_load_dword v115, v[4:5], off offset:200
	s_waitcnt vmcnt(1)
	global_store_dword v[4:5], v114, off offset:200
	s_waitcnt vmcnt(0)
	global_store_dword v[109:110], v115, off
.LBB100_856:
	s_or_b32 exec_lo, exec_lo, s2
	v_mov_b32_e32 v116, v108
	v_mov_b32_e32 v117, v108
.LBB100_857:
	s_or_b32 exec_lo, exec_lo, s1
	v_mov_b32_e32 v109, v117
.LBB100_858:
	s_or_b32 exec_lo, exec_lo, s0
	s_load_dwordx8 s[0:7], s[4:5], 0x28
	v_ashrrev_i32_e32 v110, 31, v109
	s_mov_b32 s9, exec_lo
	s_waitcnt lgkmcnt(0)
	s_waitcnt_vscnt null, 0x0
	s_barrier
	buffer_gl0_inv
	s_barrier
	buffer_gl0_inv
	v_cmpx_gt_i32_e32 51, v109
	s_cbranch_execz .LBB100_860
; %bb.859:
	v_mul_lo_u32 v108, s5, v2
	v_mul_lo_u32 v114, s4, v3
	v_mad_u64_u32 v[4:5], null, s4, v2, 0
	s_lshl_b64 s[2:3], s[2:3], 2
	v_add3_u32 v5, v5, v114, v108
	v_lshlrev_b64 v[4:5], 2, v[4:5]
	v_add_co_u32 v108, vcc_lo, s0, v4
	v_add_co_ci_u32_e64 v114, null, s1, v5, vcc_lo
	v_lshlrev_b64 v[4:5], 2, v[109:110]
	v_add_co_u32 v108, vcc_lo, v108, s2
	v_add_co_ci_u32_e64 v114, null, s3, v114, vcc_lo
	v_add_co_u32 v4, vcc_lo, v108, v4
	v_add_co_ci_u32_e64 v5, null, v114, v5, vcc_lo
	v_add3_u32 v108, v116, s13, 1
	global_store_dword v[4:5], v108, off
.LBB100_860:
	s_or_b32 exec_lo, exec_lo, s9
	s_mov_b32 s1, exec_lo
	v_cmpx_eq_u32_e32 0, v109
	s_cbranch_execz .LBB100_863
; %bb.861:
	v_lshlrev_b64 v[2:3], 2, v[2:3]
	v_cmp_ne_u32_e64 s0, 0, v111
	v_add_co_u32 v2, vcc_lo, s6, v2
	v_add_co_ci_u32_e64 v3, null, s7, v3, vcc_lo
	global_load_dword v4, v[2:3], off
	s_waitcnt vmcnt(0)
	v_cmp_eq_u32_e32 vcc_lo, 0, v4
	s_and_b32 s0, vcc_lo, s0
	s_and_b32 exec_lo, exec_lo, s0
	s_cbranch_execz .LBB100_863
; %bb.862:
	v_add_nc_u32_e32 v4, s13, v111
	global_store_dword v[2:3], v4, off
.LBB100_863:
	s_or_b32 exec_lo, exec_lo, s1
	v_mul_f64 v[0:1], v[0:1], v[106:107]
	v_add3_u32 v2, s8, s8, v109
	v_lshlrev_b64 v[4:5], 3, v[109:110]
	v_add_nc_u32_e32 v108, s8, v2
	v_ashrrev_i32_e32 v3, 31, v2
	v_add_co_u32 v4, vcc_lo, v112, v4
	v_add_co_ci_u32_e64 v5, null, v113, v5, vcc_lo
	v_cmp_lt_i32_e32 vcc_lo, 50, v109
	v_ashrrev_i32_e32 v109, 31, v108
	v_lshlrev_b64 v[2:3], 3, v[2:3]
	flat_store_dwordx2 v[4:5], v[104:105]
	v_add_nc_u32_e32 v110, s8, v108
	v_add_co_u32 v4, s0, v4, s10
	v_lshlrev_b64 v[104:105], 3, v[108:109]
	v_add_co_ci_u32_e64 v5, null, s11, v5, s0
	v_cndmask_b32_e32 v1, v107, v1, vcc_lo
	v_cndmask_b32_e32 v0, v106, v0, vcc_lo
	v_add_co_u32 v2, vcc_lo, v112, v2
	v_add_co_ci_u32_e64 v3, null, v113, v3, vcc_lo
	v_add_co_u32 v104, vcc_lo, v112, v104
	v_add_nc_u32_e32 v106, s8, v110
	v_add_co_ci_u32_e64 v105, null, v113, v105, vcc_lo
	v_ashrrev_i32_e32 v111, 31, v110
	flat_store_dwordx2 v[4:5], v[102:103]
	flat_store_dwordx2 v[2:3], v[100:101]
	flat_store_dwordx2 v[104:105], v[98:99]
	v_add_nc_u32_e32 v98, s8, v106
	v_ashrrev_i32_e32 v107, 31, v106
	v_lshlrev_b64 v[4:5], 3, v[110:111]
	v_add_nc_u32_e32 v100, s8, v98
	v_lshlrev_b64 v[2:3], 3, v[106:107]
	v_ashrrev_i32_e32 v99, 31, v98
	v_add_co_u32 v4, vcc_lo, v112, v4
	v_add_nc_u32_e32 v102, s8, v100
	v_add_co_ci_u32_e64 v5, null, v113, v5, vcc_lo
	v_add_co_u32 v2, vcc_lo, v112, v2
	v_ashrrev_i32_e32 v101, 31, v100
	v_add_co_ci_u32_e64 v3, null, v113, v3, vcc_lo
	v_ashrrev_i32_e32 v103, 31, v102
	v_lshlrev_b64 v[98:99], 3, v[98:99]
	flat_store_dwordx2 v[4:5], v[96:97]
	flat_store_dwordx2 v[2:3], v[94:95]
	v_lshlrev_b64 v[2:3], 3, v[100:101]
	v_add_nc_u32_e32 v96, s8, v102
	v_lshlrev_b64 v[94:95], 3, v[102:103]
	v_add_co_u32 v4, vcc_lo, v112, v98
	v_add_co_ci_u32_e64 v5, null, v113, v99, vcc_lo
	v_add_co_u32 v2, vcc_lo, v112, v2
	v_add_co_ci_u32_e64 v3, null, v113, v3, vcc_lo
	v_add_co_u32 v94, vcc_lo, v112, v94
	v_add_nc_u32_e32 v98, s8, v96
	v_add_co_ci_u32_e64 v95, null, v113, v95, vcc_lo
	v_ashrrev_i32_e32 v97, 31, v96
	flat_store_dwordx2 v[4:5], v[92:93]
	flat_store_dwordx2 v[2:3], v[88:89]
	flat_store_dwordx2 v[94:95], v[90:91]
	v_add_nc_u32_e32 v88, s8, v98
	v_ashrrev_i32_e32 v99, 31, v98
	v_lshlrev_b64 v[4:5], 3, v[96:97]
	v_add_nc_u32_e32 v90, s8, v88
	v_lshlrev_b64 v[2:3], 3, v[98:99]
	v_ashrrev_i32_e32 v89, 31, v88
	v_add_co_u32 v4, vcc_lo, v112, v4
	v_add_nc_u32_e32 v92, s8, v90
	v_add_co_ci_u32_e64 v5, null, v113, v5, vcc_lo
	v_add_co_u32 v2, vcc_lo, v112, v2
	v_ashrrev_i32_e32 v91, 31, v90
	v_add_co_ci_u32_e64 v3, null, v113, v3, vcc_lo
	v_ashrrev_i32_e32 v93, 31, v92
	v_lshlrev_b64 v[88:89], 3, v[88:89]
	flat_store_dwordx2 v[4:5], v[84:85]
	flat_store_dwordx2 v[2:3], v[86:87]
	v_lshlrev_b64 v[2:3], 3, v[90:91]
	v_add_nc_u32_e32 v86, s8, v92
	v_lshlrev_b64 v[84:85], 3, v[92:93]
	v_add_co_u32 v4, vcc_lo, v112, v88
	v_add_co_ci_u32_e64 v5, null, v113, v89, vcc_lo
	;; [unrolled: 30-line block ×8, first 2 shown]
	v_add_co_u32 v2, vcc_lo, v112, v2
	v_add_nc_u32_e32 v28, s8, v26
	v_add_co_ci_u32_e64 v3, null, v113, v3, vcc_lo
	v_add_co_u32 v24, vcc_lo, v112, v24
	v_ashrrev_i32_e32 v27, 31, v26
	v_add_co_ci_u32_e64 v25, null, v113, v25, vcc_lo
	v_ashrrev_i32_e32 v29, 31, v28
	flat_store_dwordx2 v[4:5], v[22:23]
	v_lshlrev_b64 v[4:5], 3, v[26:27]
	flat_store_dwordx2 v[2:3], v[20:21]
	flat_store_dwordx2 v[24:25], v[18:19]
	v_add_nc_u32_e32 v18, s8, v28
	v_lshlrev_b64 v[2:3], 3, v[28:29]
	v_add_co_u32 v4, vcc_lo, v112, v4
	v_add_nc_u32_e32 v20, s8, v18
	v_add_co_ci_u32_e64 v5, null, v113, v5, vcc_lo
	v_add_co_u32 v2, vcc_lo, v112, v2
	v_add_co_ci_u32_e64 v3, null, v113, v3, vcc_lo
	v_add_nc_u32_e32 v22, s8, v20
	v_ashrrev_i32_e32 v19, 31, v18
	flat_store_dwordx2 v[4:5], v[16:17]
	flat_store_dwordx2 v[2:3], v[14:15]
	v_ashrrev_i32_e32 v21, 31, v20
	v_add_nc_u32_e32 v14, s8, v22
	v_lshlrev_b64 v[4:5], 3, v[18:19]
	v_ashrrev_i32_e32 v23, 31, v22
	v_lshlrev_b64 v[2:3], 3, v[20:21]
	v_add_nc_u32_e32 v18, s8, v14
	v_ashrrev_i32_e32 v15, 31, v14
	v_lshlrev_b64 v[16:17], 3, v[22:23]
	v_add_co_u32 v4, vcc_lo, v112, v4
	v_ashrrev_i32_e32 v19, 31, v18
	v_lshlrev_b64 v[14:15], 3, v[14:15]
	v_add_co_ci_u32_e64 v5, null, v113, v5, vcc_lo
	v_add_co_u32 v2, vcc_lo, v112, v2
	v_lshlrev_b64 v[18:19], 3, v[18:19]
	v_add_co_ci_u32_e64 v3, null, v113, v3, vcc_lo
	v_add_co_u32 v16, vcc_lo, v112, v16
	v_add_co_ci_u32_e64 v17, null, v113, v17, vcc_lo
	v_add_co_u32 v14, vcc_lo, v112, v14
	;; [unrolled: 2-line block ×3, first 2 shown]
	v_add_co_ci_u32_e64 v19, null, v113, v19, vcc_lo
	flat_store_dwordx2 v[4:5], v[12:13]
	flat_store_dwordx2 v[2:3], v[8:9]
	;; [unrolled: 1-line block ×5, first 2 shown]
.LBB100_864:
	s_endpgm
	.section	.rodata,"a",@progbits
	.p2align	6, 0x0
	.amdhsa_kernel _ZN9rocsolver6v33100L18getf2_small_kernelILi51EdiiPKPdEEvT1_T3_lS5_lPS5_llPT2_S5_S5_S7_l
		.amdhsa_group_segment_fixed_size 0
		.amdhsa_private_segment_fixed_size 0
		.amdhsa_kernarg_size 352
		.amdhsa_user_sgpr_count 6
		.amdhsa_user_sgpr_private_segment_buffer 1
		.amdhsa_user_sgpr_dispatch_ptr 0
		.amdhsa_user_sgpr_queue_ptr 0
		.amdhsa_user_sgpr_kernarg_segment_ptr 1
		.amdhsa_user_sgpr_dispatch_id 0
		.amdhsa_user_sgpr_flat_scratch_init 0
		.amdhsa_user_sgpr_private_segment_size 0
		.amdhsa_wavefront_size32 1
		.amdhsa_uses_dynamic_stack 0
		.amdhsa_system_sgpr_private_segment_wavefront_offset 0
		.amdhsa_system_sgpr_workgroup_id_x 1
		.amdhsa_system_sgpr_workgroup_id_y 1
		.amdhsa_system_sgpr_workgroup_id_z 0
		.amdhsa_system_sgpr_workgroup_info 0
		.amdhsa_system_vgpr_workitem_id 1
		.amdhsa_next_free_vgpr 210
		.amdhsa_next_free_sgpr 14
		.amdhsa_reserve_vcc 1
		.amdhsa_reserve_flat_scratch 1
		.amdhsa_float_round_mode_32 0
		.amdhsa_float_round_mode_16_64 0
		.amdhsa_float_denorm_mode_32 3
		.amdhsa_float_denorm_mode_16_64 3
		.amdhsa_dx10_clamp 1
		.amdhsa_ieee_mode 1
		.amdhsa_fp16_overflow 0
		.amdhsa_workgroup_processor_mode 1
		.amdhsa_memory_ordered 1
		.amdhsa_forward_progress 1
		.amdhsa_shared_vgpr_count 0
		.amdhsa_exception_fp_ieee_invalid_op 0
		.amdhsa_exception_fp_denorm_src 0
		.amdhsa_exception_fp_ieee_div_zero 0
		.amdhsa_exception_fp_ieee_overflow 0
		.amdhsa_exception_fp_ieee_underflow 0
		.amdhsa_exception_fp_ieee_inexact 0
		.amdhsa_exception_int_div_zero 0
	.end_amdhsa_kernel
	.section	.text._ZN9rocsolver6v33100L18getf2_small_kernelILi51EdiiPKPdEEvT1_T3_lS5_lPS5_llPT2_S5_S5_S7_l,"axG",@progbits,_ZN9rocsolver6v33100L18getf2_small_kernelILi51EdiiPKPdEEvT1_T3_lS5_lPS5_llPT2_S5_S5_S7_l,comdat
.Lfunc_end100:
	.size	_ZN9rocsolver6v33100L18getf2_small_kernelILi51EdiiPKPdEEvT1_T3_lS5_lPS5_llPT2_S5_S5_S7_l, .Lfunc_end100-_ZN9rocsolver6v33100L18getf2_small_kernelILi51EdiiPKPdEEvT1_T3_lS5_lPS5_llPT2_S5_S5_S7_l
                                        ; -- End function
	.set _ZN9rocsolver6v33100L18getf2_small_kernelILi51EdiiPKPdEEvT1_T3_lS5_lPS5_llPT2_S5_S5_S7_l.num_vgpr, 210
	.set _ZN9rocsolver6v33100L18getf2_small_kernelILi51EdiiPKPdEEvT1_T3_lS5_lPS5_llPT2_S5_S5_S7_l.num_agpr, 0
	.set _ZN9rocsolver6v33100L18getf2_small_kernelILi51EdiiPKPdEEvT1_T3_lS5_lPS5_llPT2_S5_S5_S7_l.numbered_sgpr, 14
	.set _ZN9rocsolver6v33100L18getf2_small_kernelILi51EdiiPKPdEEvT1_T3_lS5_lPS5_llPT2_S5_S5_S7_l.num_named_barrier, 0
	.set _ZN9rocsolver6v33100L18getf2_small_kernelILi51EdiiPKPdEEvT1_T3_lS5_lPS5_llPT2_S5_S5_S7_l.private_seg_size, 0
	.set _ZN9rocsolver6v33100L18getf2_small_kernelILi51EdiiPKPdEEvT1_T3_lS5_lPS5_llPT2_S5_S5_S7_l.uses_vcc, 1
	.set _ZN9rocsolver6v33100L18getf2_small_kernelILi51EdiiPKPdEEvT1_T3_lS5_lPS5_llPT2_S5_S5_S7_l.uses_flat_scratch, 1
	.set _ZN9rocsolver6v33100L18getf2_small_kernelILi51EdiiPKPdEEvT1_T3_lS5_lPS5_llPT2_S5_S5_S7_l.has_dyn_sized_stack, 0
	.set _ZN9rocsolver6v33100L18getf2_small_kernelILi51EdiiPKPdEEvT1_T3_lS5_lPS5_llPT2_S5_S5_S7_l.has_recursion, 0
	.set _ZN9rocsolver6v33100L18getf2_small_kernelILi51EdiiPKPdEEvT1_T3_lS5_lPS5_llPT2_S5_S5_S7_l.has_indirect_call, 0
	.section	.AMDGPU.csdata,"",@progbits
; Kernel info:
; codeLenInByte = 55728
; TotalNumSgprs: 16
; NumVgprs: 210
; ScratchSize: 0
; MemoryBound: 0
; FloatMode: 240
; IeeeMode: 1
; LDSByteSize: 0 bytes/workgroup (compile time only)
; SGPRBlocks: 0
; VGPRBlocks: 26
; NumSGPRsForWavesPerEU: 16
; NumVGPRsForWavesPerEU: 210
; Occupancy: 4
; WaveLimiterHint : 1
; COMPUTE_PGM_RSRC2:SCRATCH_EN: 0
; COMPUTE_PGM_RSRC2:USER_SGPR: 6
; COMPUTE_PGM_RSRC2:TRAP_HANDLER: 0
; COMPUTE_PGM_RSRC2:TGID_X_EN: 1
; COMPUTE_PGM_RSRC2:TGID_Y_EN: 1
; COMPUTE_PGM_RSRC2:TGID_Z_EN: 0
; COMPUTE_PGM_RSRC2:TIDIG_COMP_CNT: 1
	.section	.text._ZN9rocsolver6v33100L23getf2_npvt_small_kernelILi51EdiiPKPdEEvT1_T3_lS5_lPT2_S5_S5_,"axG",@progbits,_ZN9rocsolver6v33100L23getf2_npvt_small_kernelILi51EdiiPKPdEEvT1_T3_lS5_lPT2_S5_S5_,comdat
	.globl	_ZN9rocsolver6v33100L23getf2_npvt_small_kernelILi51EdiiPKPdEEvT1_T3_lS5_lPT2_S5_S5_ ; -- Begin function _ZN9rocsolver6v33100L23getf2_npvt_small_kernelILi51EdiiPKPdEEvT1_T3_lS5_lPT2_S5_S5_
	.p2align	8
	.type	_ZN9rocsolver6v33100L23getf2_npvt_small_kernelILi51EdiiPKPdEEvT1_T3_lS5_lPT2_S5_S5_,@function
_ZN9rocsolver6v33100L23getf2_npvt_small_kernelILi51EdiiPKPdEEvT1_T3_lS5_lPT2_S5_S5_: ; @_ZN9rocsolver6v33100L23getf2_npvt_small_kernelILi51EdiiPKPdEEvT1_T3_lS5_lPT2_S5_S5_
; %bb.0:
	s_mov_b64 s[14:15], s[2:3]
	s_mov_b64 s[12:13], s[0:1]
	s_add_u32 s12, s12, s8
	s_clause 0x1
	s_load_dword s0, s[4:5], 0x44
	s_load_dwordx2 s[8:9], s[4:5], 0x30
	s_addc_u32 s13, s13, 0
	s_waitcnt lgkmcnt(0)
	s_lshr_b32 s10, s0, 16
	s_mov_b32 s0, exec_lo
	v_mad_u64_u32 v[3:4], null, s7, s10, v[1:2]
	v_mov_b32_e32 v2, v3
	v_cmpx_gt_i32_e64 s8, v3
	s_cbranch_execz .LBB101_258
; %bb.1:
	v_ashrrev_i32_e32 v3, 31, v2
	s_clause 0x1
	s_load_dwordx4 s[0:3], s[4:5], 0x8
	s_load_dword s6, s[4:5], 0x18
	v_lshlrev_b32_e32 v104, 3, v0
	s_mulk_i32 s10, 0x198
	buffer_store_dword v2, off, s[12:15], 0 offset:248 ; 4-byte Folded Spill
	buffer_store_dword v3, off, s[12:15], 0 offset:252 ; 4-byte Folded Spill
	v_mad_u32_u24 v246, 0x198, v1, 0
	s_waitcnt lgkmcnt(0)
	v_add3_u32 v6, s6, s6, v0
	s_ashr_i32 s7, s6, 31
	v_add_nc_u32_e32 v8, s6, v6
	v_ashrrev_i32_e32 v7, 31, v6
	v_add_nc_u32_e32 v10, s6, v8
	v_ashrrev_i32_e32 v9, 31, v8
	v_lshlrev_b64 v[6:7], 3, v[6:7]
	v_add_nc_u32_e32 v12, s6, v10
	v_ashrrev_i32_e32 v11, 31, v10
	v_lshlrev_b64 v[8:9], 3, v[8:9]
	;; [unrolled: 3-line block ×46, first 2 shown]
	v_ashrrev_i32_e32 v101, 31, v100
	v_lshlrev_b64 v[98:99], 3, v[98:99]
	v_add_nc_u32_e32 v102, s6, v100
	v_lshlrev_b64 v[100:101], 3, v[100:101]
	v_ashrrev_i32_e32 v103, 31, v102
	v_lshlrev_b64 v[4:5], 3, v[2:3]
	v_add_co_u32 v4, vcc_lo, s0, v4
	v_add_co_ci_u32_e64 v5, null, s1, v5, vcc_lo
	s_lshl_b64 s[0:1], s[2:3], 3
	global_load_dwordx2 v[4:5], v[4:5], off
	s_waitcnt vmcnt(0)
	v_add_co_u32 v106, vcc_lo, v4, s0
	v_add_co_ci_u32_e64 v107, null, s1, v5, vcc_lo
	s_lshl_b64 s[0:1], s[6:7], 3
	v_add_co_u32 v6, vcc_lo, v106, v6
	v_add_co_ci_u32_e64 v7, null, v107, v7, vcc_lo
	v_add_co_u32 v8, vcc_lo, v106, v8
	v_add_co_ci_u32_e64 v9, null, v107, v9, vcc_lo
	;; [unrolled: 2-line block ×49, first 2 shown]
	v_lshlrev_b64 v[4:5], 3, v[102:103]
	v_add_co_u32 v104, vcc_lo, v2, s0
	v_add_co_ci_u32_e64 v105, null, s1, v3, vcc_lo
	buffer_store_dword v2, off, s[12:15], 0 offset:200 ; 4-byte Folded Spill
	buffer_store_dword v3, off, s[12:15], 0 offset:204 ; 4-byte Folded Spill
	v_add_co_u32 v100, vcc_lo, v106, v4
	v_add_co_ci_u32_e64 v101, null, v107, v5, vcc_lo
	v_lshlrev_b32_e32 v4, 3, v1
	v_cmp_ne_u32_e64 s1, 0, v0
	v_cmp_eq_u32_e64 s0, 0, v0
	s_clause 0x1
	flat_load_dwordx2 v[168:169], v[2:3]
	flat_load_dwordx2 v[186:187], v[104:105]
	buffer_store_dword v6, off, s[12:15], 0 ; 4-byte Folded Spill
	buffer_store_dword v7, off, s[12:15], 0 offset:4 ; 4-byte Folded Spill
	v_add3_u32 v1, 0, s10, v4
	flat_load_dwordx2 v[204:205], v[6:7]
	buffer_store_dword v8, off, s[12:15], 0 offset:8 ; 4-byte Folded Spill
	buffer_store_dword v9, off, s[12:15], 0 offset:12 ; 4-byte Folded Spill
	flat_load_dwordx2 v[184:185], v[8:9]
	buffer_store_dword v10, off, s[12:15], 0 offset:16 ; 4-byte Folded Spill
	buffer_store_dword v11, off, s[12:15], 0 offset:20 ; 4-byte Folded Spill
	;; [unrolled: 3-line block ×8, first 2 shown]
	s_clause 0x7
	flat_load_dwordx2 v[196:197], v[108:109]
	flat_load_dwordx2 v[176:177], v[22:23]
	;; [unrolled: 1-line block ×8, first 2 shown]
	buffer_store_dword v38, off, s[12:15], 0 offset:72 ; 4-byte Folded Spill
	buffer_store_dword v39, off, s[12:15], 0 offset:76 ; 4-byte Folded Spill
	s_clause 0x20
	flat_load_dwordx2 v[188:189], v[38:39]
	flat_load_dwordx2 v[136:137], v[36:37]
	;; [unrolled: 1-line block ×33, first 2 shown]
	s_and_saveexec_b32 s2, s0
	s_cbranch_execz .LBB101_4
; %bb.2:
	s_waitcnt vmcnt(50) lgkmcnt(50)
	ds_write_b64 v1, v[168:169]
	s_waitcnt vmcnt(48) lgkmcnt(49)
	ds_write2_b64 v246, v[186:187], v[204:205] offset0:1 offset1:2
	s_waitcnt vmcnt(46) lgkmcnt(48)
	ds_write2_b64 v246, v[184:185], v[202:203] offset0:3 offset1:4
	;; [unrolled: 2-line block ×25, first 2 shown]
	ds_read_b64 v[4:5], v1
	s_waitcnt lgkmcnt(0)
	v_cmp_neq_f64_e32 vcc_lo, 0, v[4:5]
	s_and_b32 exec_lo, exec_lo, vcc_lo
	s_cbranch_execz .LBB101_4
; %bb.3:
	v_div_scale_f64 v[6:7], null, v[4:5], v[4:5], 1.0
	v_rcp_f64_e32 v[8:9], v[6:7]
	v_fma_f64 v[10:11], -v[6:7], v[8:9], 1.0
	v_fma_f64 v[8:9], v[8:9], v[10:11], v[8:9]
	v_fma_f64 v[10:11], -v[6:7], v[8:9], 1.0
	v_fma_f64 v[8:9], v[8:9], v[10:11], v[8:9]
	v_div_scale_f64 v[10:11], vcc_lo, 1.0, v[4:5], 1.0
	v_mul_f64 v[12:13], v[10:11], v[8:9]
	v_fma_f64 v[6:7], -v[6:7], v[12:13], v[10:11]
	v_div_fmas_f64 v[6:7], v[6:7], v[8:9], v[12:13]
	v_div_fixup_f64 v[4:5], v[6:7], v[4:5], 1.0
	ds_write_b64 v1, v[4:5]
.LBB101_4:
	s_or_b32 exec_lo, exec_lo, s2
	s_waitcnt vmcnt(0) lgkmcnt(0)
	s_waitcnt_vscnt null, 0x0
	s_barrier
	buffer_gl0_inv
	ds_read_b64 v[20:21], v1
	s_and_saveexec_b32 s2, s1
	s_cbranch_execz .LBB101_6
; %bb.5:
	s_waitcnt lgkmcnt(0)
	v_mul_f64 v[168:169], v[20:21], v[168:169]
	ds_read2_b64 v[4:7], v246 offset0:1 offset1:2
	s_waitcnt lgkmcnt(0)
	v_fma_f64 v[186:187], -v[168:169], v[4:5], v[186:187]
	v_fma_f64 v[204:205], -v[168:169], v[6:7], v[204:205]
	ds_read2_b64 v[4:7], v246 offset0:3 offset1:4
	s_waitcnt lgkmcnt(0)
	v_fma_f64 v[184:185], -v[168:169], v[4:5], v[184:185]
	v_fma_f64 v[202:203], -v[168:169], v[6:7], v[202:203]
	;; [unrolled: 4-line block ×25, first 2 shown]
.LBB101_6:
	s_or_b32 exec_lo, exec_lo, s2
	s_mov_b32 s1, exec_lo
	s_waitcnt lgkmcnt(0)
	s_barrier
	buffer_gl0_inv
	v_cmpx_eq_u32_e32 1, v0
	s_cbranch_execz .LBB101_9
; %bb.7:
	v_mov_b32_e32 v4, v204
	v_mov_b32_e32 v5, v205
	;; [unrolled: 1-line block ×16, first 2 shown]
	ds_write_b64 v1, v[186:187]
	ds_write2_b64 v246, v[4:5], v[6:7] offset0:2 offset1:3
	ds_write2_b64 v246, v[8:9], v[10:11] offset0:4 offset1:5
	ds_write2_b64 v246, v[12:13], v[14:15] offset0:6 offset1:7
	ds_write2_b64 v246, v[208:209], v[210:211] offset0:8 offset1:9
	v_mov_b32_e32 v4, v196
	v_mov_b32_e32 v5, v197
	v_mov_b32_e32 v6, v176
	v_mov_b32_e32 v7, v177
	v_mov_b32_e32 v8, v194
	v_mov_b32_e32 v9, v195
	v_mov_b32_e32 v10, v174
	v_mov_b32_e32 v11, v175
	v_mov_b32_e32 v12, v192
	v_mov_b32_e32 v13, v193
	v_mov_b32_e32 v14, v172
	v_mov_b32_e32 v15, v173
	v_mov_b32_e32 v208, v190
	v_mov_b32_e32 v209, v191
	v_mov_b32_e32 v210, v170
	v_mov_b32_e32 v211, v171
	v_mov_b32_e32 v212, v188
	v_mov_b32_e32 v213, v189
	v_mov_b32_e32 v214, v136
	v_mov_b32_e32 v215, v137
	ds_write2_b64 v246, v[4:5], v[6:7] offset0:10 offset1:11
	ds_write2_b64 v246, v[8:9], v[10:11] offset0:12 offset1:13
	ds_write2_b64 v246, v[12:13], v[14:15] offset0:14 offset1:15
	ds_write2_b64 v246, v[208:209], v[210:211] offset0:16 offset1:17
	ds_write2_b64 v246, v[212:213], v[214:215] offset0:18 offset1:19
	v_mov_b32_e32 v4, v166
	v_mov_b32_e32 v5, v167
	v_mov_b32_e32 v6, v134
	v_mov_b32_e32 v7, v135
	v_mov_b32_e32 v8, v164
	v_mov_b32_e32 v9, v165
	v_mov_b32_e32 v10, v132
	v_mov_b32_e32 v11, v133
	v_mov_b32_e32 v12, v162
	v_mov_b32_e32 v13, v163
	v_mov_b32_e32 v14, v130
	v_mov_b32_e32 v15, v131
	v_mov_b32_e32 v208, v160
	v_mov_b32_e32 v209, v161
	v_mov_b32_e32 v210, v128
	v_mov_b32_e32 v211, v129
	v_mov_b32_e32 v212, v158
	v_mov_b32_e32 v213, v159
	v_mov_b32_e32 v214, v126
	v_mov_b32_e32 v215, v127
	ds_write2_b64 v246, v[4:5], v[6:7] offset0:20 offset1:21
	ds_write2_b64 v246, v[8:9], v[10:11] offset0:22 offset1:23
	ds_write2_b64 v246, v[12:13], v[14:15] offset0:24 offset1:25
	ds_write2_b64 v246, v[208:209], v[210:211] offset0:26 offset1:27
	ds_write2_b64 v246, v[212:213], v[214:215] offset0:28 offset1:29
	v_mov_b32_e32 v4, v156
	v_mov_b32_e32 v5, v157
	v_mov_b32_e32 v6, v124
	v_mov_b32_e32 v7, v125
	v_mov_b32_e32 v8, v154
	v_mov_b32_e32 v9, v155
	v_mov_b32_e32 v10, v122
	v_mov_b32_e32 v11, v123
	v_mov_b32_e32 v12, v152
	v_mov_b32_e32 v13, v153
	v_mov_b32_e32 v14, v120
	v_mov_b32_e32 v15, v121
	v_mov_b32_e32 v208, v150
	v_mov_b32_e32 v209, v151
	v_mov_b32_e32 v210, v118
	v_mov_b32_e32 v211, v119
	v_mov_b32_e32 v212, v148
	v_mov_b32_e32 v213, v149
	v_mov_b32_e32 v214, v116
	v_mov_b32_e32 v215, v117
	ds_write2_b64 v246, v[4:5], v[6:7] offset0:30 offset1:31
	ds_write2_b64 v246, v[8:9], v[10:11] offset0:32 offset1:33
	ds_write2_b64 v246, v[12:13], v[14:15] offset0:34 offset1:35
	ds_write2_b64 v246, v[208:209], v[210:211] offset0:36 offset1:37
	ds_write2_b64 v246, v[212:213], v[214:215] offset0:38 offset1:39
	v_mov_b32_e32 v4, v146
	v_mov_b32_e32 v5, v147
	v_mov_b32_e32 v6, v114
	v_mov_b32_e32 v7, v115
	v_mov_b32_e32 v8, v144
	v_mov_b32_e32 v9, v145
	v_mov_b32_e32 v10, v112
	v_mov_b32_e32 v11, v113
	v_mov_b32_e32 v12, v142
	v_mov_b32_e32 v13, v143
	v_mov_b32_e32 v14, v110
	v_mov_b32_e32 v15, v111
	v_mov_b32_e32 v208, v140
	v_mov_b32_e32 v209, v141
	v_mov_b32_e32 v210, v108
	v_mov_b32_e32 v211, v109
	v_mov_b32_e32 v212, v138
	v_mov_b32_e32 v213, v139
	v_mov_b32_e32 v214, v106
	v_mov_b32_e32 v215, v107
	ds_write2_b64 v246, v[4:5], v[6:7] offset0:40 offset1:41
	ds_write2_b64 v246, v[8:9], v[10:11] offset0:42 offset1:43
	ds_write2_b64 v246, v[12:13], v[14:15] offset0:44 offset1:45
	ds_write2_b64 v246, v[208:209], v[210:211] offset0:46 offset1:47
	ds_write2_b64 v246, v[212:213], v[214:215] offset0:48 offset1:49
	ds_write_b64 v246, v[206:207] offset:400
	ds_read_b64 v[4:5], v1
	s_waitcnt lgkmcnt(0)
	v_cmp_neq_f64_e32 vcc_lo, 0, v[4:5]
	s_and_b32 exec_lo, exec_lo, vcc_lo
	s_cbranch_execz .LBB101_9
; %bb.8:
	v_div_scale_f64 v[6:7], null, v[4:5], v[4:5], 1.0
	v_rcp_f64_e32 v[8:9], v[6:7]
	v_fma_f64 v[10:11], -v[6:7], v[8:9], 1.0
	v_fma_f64 v[8:9], v[8:9], v[10:11], v[8:9]
	v_fma_f64 v[10:11], -v[6:7], v[8:9], 1.0
	v_fma_f64 v[8:9], v[8:9], v[10:11], v[8:9]
	v_div_scale_f64 v[10:11], vcc_lo, 1.0, v[4:5], 1.0
	v_mul_f64 v[12:13], v[10:11], v[8:9]
	v_fma_f64 v[6:7], -v[6:7], v[12:13], v[10:11]
	v_div_fmas_f64 v[6:7], v[6:7], v[8:9], v[12:13]
	v_div_fixup_f64 v[4:5], v[6:7], v[4:5], 1.0
	ds_write_b64 v1, v[4:5]
.LBB101_9:
	s_or_b32 exec_lo, exec_lo, s1
	s_waitcnt lgkmcnt(0)
	s_barrier
	buffer_gl0_inv
	ds_read_b64 v[38:39], v1
	s_mov_b32 s1, exec_lo
	v_cmpx_lt_u32_e32 1, v0
	s_cbranch_execz .LBB101_11
; %bb.10:
	s_waitcnt lgkmcnt(0)
	v_mul_f64 v[186:187], v[38:39], v[186:187]
	ds_read2_b64 v[4:7], v246 offset0:2 offset1:3
	s_waitcnt lgkmcnt(0)
	v_fma_f64 v[204:205], -v[186:187], v[4:5], v[204:205]
	v_fma_f64 v[184:185], -v[186:187], v[6:7], v[184:185]
	ds_read2_b64 v[4:7], v246 offset0:4 offset1:5
	s_waitcnt lgkmcnt(0)
	v_fma_f64 v[202:203], -v[186:187], v[4:5], v[202:203]
	v_fma_f64 v[182:183], -v[186:187], v[6:7], v[182:183]
	;; [unrolled: 4-line block ×23, first 2 shown]
	ds_read2_b64 v[4:7], v246 offset0:48 offset1:49
	s_waitcnt lgkmcnt(0)
	v_fma_f64 v[138:139], -v[186:187], v[4:5], v[138:139]
	ds_read_b64 v[4:5], v246 offset:400
	v_fma_f64 v[106:107], -v[186:187], v[6:7], v[106:107]
	s_waitcnt lgkmcnt(0)
	v_fma_f64 v[206:207], -v[186:187], v[4:5], v[206:207]
.LBB101_11:
	s_or_b32 exec_lo, exec_lo, s1
	s_mov_b32 s1, exec_lo
	s_waitcnt lgkmcnt(0)
	s_barrier
	buffer_gl0_inv
	v_cmpx_eq_u32_e32 2, v0
	s_cbranch_execz .LBB101_14
; %bb.12:
	ds_write_b64 v1, v[204:205]
	ds_write2_b64 v246, v[184:185], v[202:203] offset0:3 offset1:4
	ds_write2_b64 v246, v[182:183], v[200:201] offset0:5 offset1:6
	ds_write2_b64 v246, v[180:181], v[198:199] offset0:7 offset1:8
	ds_write2_b64 v246, v[178:179], v[196:197] offset0:9 offset1:10
	ds_write2_b64 v246, v[176:177], v[194:195] offset0:11 offset1:12
	ds_write2_b64 v246, v[174:175], v[192:193] offset0:13 offset1:14
	ds_write2_b64 v246, v[172:173], v[190:191] offset0:15 offset1:16
	ds_write2_b64 v246, v[170:171], v[188:189] offset0:17 offset1:18
	ds_write2_b64 v246, v[136:137], v[166:167] offset0:19 offset1:20
	ds_write2_b64 v246, v[134:135], v[164:165] offset0:21 offset1:22
	ds_write2_b64 v246, v[132:133], v[162:163] offset0:23 offset1:24
	ds_write2_b64 v246, v[130:131], v[160:161] offset0:25 offset1:26
	ds_write2_b64 v246, v[128:129], v[158:159] offset0:27 offset1:28
	ds_write2_b64 v246, v[126:127], v[156:157] offset0:29 offset1:30
	ds_write2_b64 v246, v[124:125], v[154:155] offset0:31 offset1:32
	ds_write2_b64 v246, v[122:123], v[152:153] offset0:33 offset1:34
	ds_write2_b64 v246, v[120:121], v[150:151] offset0:35 offset1:36
	ds_write2_b64 v246, v[118:119], v[148:149] offset0:37 offset1:38
	ds_write2_b64 v246, v[116:117], v[146:147] offset0:39 offset1:40
	ds_write2_b64 v246, v[114:115], v[144:145] offset0:41 offset1:42
	ds_write2_b64 v246, v[112:113], v[142:143] offset0:43 offset1:44
	ds_write2_b64 v246, v[110:111], v[140:141] offset0:45 offset1:46
	ds_write2_b64 v246, v[108:109], v[138:139] offset0:47 offset1:48
	ds_write2_b64 v246, v[106:107], v[206:207] offset0:49 offset1:50
	ds_read_b64 v[4:5], v1
	s_waitcnt lgkmcnt(0)
	v_cmp_neq_f64_e32 vcc_lo, 0, v[4:5]
	s_and_b32 exec_lo, exec_lo, vcc_lo
	s_cbranch_execz .LBB101_14
; %bb.13:
	v_div_scale_f64 v[6:7], null, v[4:5], v[4:5], 1.0
	v_rcp_f64_e32 v[8:9], v[6:7]
	v_fma_f64 v[10:11], -v[6:7], v[8:9], 1.0
	v_fma_f64 v[8:9], v[8:9], v[10:11], v[8:9]
	v_fma_f64 v[10:11], -v[6:7], v[8:9], 1.0
	v_fma_f64 v[8:9], v[8:9], v[10:11], v[8:9]
	v_div_scale_f64 v[10:11], vcc_lo, 1.0, v[4:5], 1.0
	v_mul_f64 v[12:13], v[10:11], v[8:9]
	v_fma_f64 v[6:7], -v[6:7], v[12:13], v[10:11]
	v_div_fmas_f64 v[6:7], v[6:7], v[8:9], v[12:13]
	v_div_fixup_f64 v[4:5], v[6:7], v[4:5], 1.0
	ds_write_b64 v1, v[4:5]
.LBB101_14:
	s_or_b32 exec_lo, exec_lo, s1
	s_waitcnt lgkmcnt(0)
	s_barrier
	buffer_gl0_inv
	ds_read_b64 v[252:253], v1
	s_mov_b32 s1, exec_lo
	v_cmpx_lt_u32_e32 2, v0
	s_cbranch_execz .LBB101_16
; %bb.15:
	s_waitcnt lgkmcnt(0)
	v_mul_f64 v[204:205], v[252:253], v[204:205]
	ds_read2_b64 v[4:7], v246 offset0:3 offset1:4
	s_waitcnt lgkmcnt(0)
	v_fma_f64 v[184:185], -v[204:205], v[4:5], v[184:185]
	v_fma_f64 v[202:203], -v[204:205], v[6:7], v[202:203]
	ds_read2_b64 v[4:7], v246 offset0:5 offset1:6
	s_waitcnt lgkmcnt(0)
	v_fma_f64 v[182:183], -v[204:205], v[4:5], v[182:183]
	v_fma_f64 v[200:201], -v[204:205], v[6:7], v[200:201]
	ds_read2_b64 v[4:7], v246 offset0:7 offset1:8
	s_waitcnt lgkmcnt(0)
	v_fma_f64 v[180:181], -v[204:205], v[4:5], v[180:181]
	v_fma_f64 v[198:199], -v[204:205], v[6:7], v[198:199]
	ds_read2_b64 v[4:7], v246 offset0:9 offset1:10
	s_waitcnt lgkmcnt(0)
	v_fma_f64 v[178:179], -v[204:205], v[4:5], v[178:179]
	v_fma_f64 v[196:197], -v[204:205], v[6:7], v[196:197]
	ds_read2_b64 v[4:7], v246 offset0:11 offset1:12
	s_waitcnt lgkmcnt(0)
	v_fma_f64 v[176:177], -v[204:205], v[4:5], v[176:177]
	v_fma_f64 v[194:195], -v[204:205], v[6:7], v[194:195]
	ds_read2_b64 v[4:7], v246 offset0:13 offset1:14
	s_waitcnt lgkmcnt(0)
	v_fma_f64 v[174:175], -v[204:205], v[4:5], v[174:175]
	v_fma_f64 v[192:193], -v[204:205], v[6:7], v[192:193]
	ds_read2_b64 v[4:7], v246 offset0:15 offset1:16
	s_waitcnt lgkmcnt(0)
	v_fma_f64 v[172:173], -v[204:205], v[4:5], v[172:173]
	v_fma_f64 v[190:191], -v[204:205], v[6:7], v[190:191]
	ds_read2_b64 v[4:7], v246 offset0:17 offset1:18
	s_waitcnt lgkmcnt(0)
	v_fma_f64 v[170:171], -v[204:205], v[4:5], v[170:171]
	v_fma_f64 v[188:189], -v[204:205], v[6:7], v[188:189]
	ds_read2_b64 v[4:7], v246 offset0:19 offset1:20
	s_waitcnt lgkmcnt(0)
	v_fma_f64 v[136:137], -v[204:205], v[4:5], v[136:137]
	v_fma_f64 v[166:167], -v[204:205], v[6:7], v[166:167]
	ds_read2_b64 v[4:7], v246 offset0:21 offset1:22
	s_waitcnt lgkmcnt(0)
	v_fma_f64 v[134:135], -v[204:205], v[4:5], v[134:135]
	v_fma_f64 v[164:165], -v[204:205], v[6:7], v[164:165]
	ds_read2_b64 v[4:7], v246 offset0:23 offset1:24
	s_waitcnt lgkmcnt(0)
	v_fma_f64 v[132:133], -v[204:205], v[4:5], v[132:133]
	v_fma_f64 v[162:163], -v[204:205], v[6:7], v[162:163]
	ds_read2_b64 v[4:7], v246 offset0:25 offset1:26
	s_waitcnt lgkmcnt(0)
	v_fma_f64 v[130:131], -v[204:205], v[4:5], v[130:131]
	v_fma_f64 v[160:161], -v[204:205], v[6:7], v[160:161]
	ds_read2_b64 v[4:7], v246 offset0:27 offset1:28
	s_waitcnt lgkmcnt(0)
	v_fma_f64 v[128:129], -v[204:205], v[4:5], v[128:129]
	v_fma_f64 v[158:159], -v[204:205], v[6:7], v[158:159]
	ds_read2_b64 v[4:7], v246 offset0:29 offset1:30
	s_waitcnt lgkmcnt(0)
	v_fma_f64 v[126:127], -v[204:205], v[4:5], v[126:127]
	v_fma_f64 v[156:157], -v[204:205], v[6:7], v[156:157]
	ds_read2_b64 v[4:7], v246 offset0:31 offset1:32
	s_waitcnt lgkmcnt(0)
	v_fma_f64 v[124:125], -v[204:205], v[4:5], v[124:125]
	v_fma_f64 v[154:155], -v[204:205], v[6:7], v[154:155]
	ds_read2_b64 v[4:7], v246 offset0:33 offset1:34
	s_waitcnt lgkmcnt(0)
	v_fma_f64 v[122:123], -v[204:205], v[4:5], v[122:123]
	v_fma_f64 v[152:153], -v[204:205], v[6:7], v[152:153]
	ds_read2_b64 v[4:7], v246 offset0:35 offset1:36
	s_waitcnt lgkmcnt(0)
	v_fma_f64 v[120:121], -v[204:205], v[4:5], v[120:121]
	v_fma_f64 v[150:151], -v[204:205], v[6:7], v[150:151]
	ds_read2_b64 v[4:7], v246 offset0:37 offset1:38
	s_waitcnt lgkmcnt(0)
	v_fma_f64 v[118:119], -v[204:205], v[4:5], v[118:119]
	v_fma_f64 v[148:149], -v[204:205], v[6:7], v[148:149]
	ds_read2_b64 v[4:7], v246 offset0:39 offset1:40
	s_waitcnt lgkmcnt(0)
	v_fma_f64 v[116:117], -v[204:205], v[4:5], v[116:117]
	v_fma_f64 v[146:147], -v[204:205], v[6:7], v[146:147]
	ds_read2_b64 v[4:7], v246 offset0:41 offset1:42
	s_waitcnt lgkmcnt(0)
	v_fma_f64 v[114:115], -v[204:205], v[4:5], v[114:115]
	v_fma_f64 v[144:145], -v[204:205], v[6:7], v[144:145]
	ds_read2_b64 v[4:7], v246 offset0:43 offset1:44
	s_waitcnt lgkmcnt(0)
	v_fma_f64 v[112:113], -v[204:205], v[4:5], v[112:113]
	v_fma_f64 v[142:143], -v[204:205], v[6:7], v[142:143]
	ds_read2_b64 v[4:7], v246 offset0:45 offset1:46
	s_waitcnt lgkmcnt(0)
	v_fma_f64 v[110:111], -v[204:205], v[4:5], v[110:111]
	v_fma_f64 v[140:141], -v[204:205], v[6:7], v[140:141]
	ds_read2_b64 v[4:7], v246 offset0:47 offset1:48
	s_waitcnt lgkmcnt(0)
	v_fma_f64 v[108:109], -v[204:205], v[4:5], v[108:109]
	v_fma_f64 v[138:139], -v[204:205], v[6:7], v[138:139]
	ds_read2_b64 v[4:7], v246 offset0:49 offset1:50
	s_waitcnt lgkmcnt(0)
	v_fma_f64 v[106:107], -v[204:205], v[4:5], v[106:107]
	v_fma_f64 v[206:207], -v[204:205], v[6:7], v[206:207]
.LBB101_16:
	s_or_b32 exec_lo, exec_lo, s1
	s_mov_b32 s1, exec_lo
	s_waitcnt lgkmcnt(0)
	s_barrier
	buffer_gl0_inv
	v_cmpx_eq_u32_e32 3, v0
	s_cbranch_execz .LBB101_19
; %bb.17:
	v_mov_b32_e32 v4, v202
	v_mov_b32_e32 v5, v203
	;; [unrolled: 1-line block ×12, first 2 shown]
	ds_write_b64 v1, v[184:185]
	ds_write2_b64 v246, v[4:5], v[6:7] offset0:4 offset1:5
	ds_write2_b64 v246, v[8:9], v[10:11] offset0:6 offset1:7
	ds_write2_b64 v246, v[12:13], v[14:15] offset0:8 offset1:9
	v_mov_b32_e32 v4, v196
	v_mov_b32_e32 v5, v197
	v_mov_b32_e32 v6, v176
	v_mov_b32_e32 v7, v177
	v_mov_b32_e32 v8, v194
	v_mov_b32_e32 v9, v195
	v_mov_b32_e32 v10, v174
	v_mov_b32_e32 v11, v175
	v_mov_b32_e32 v12, v192
	v_mov_b32_e32 v13, v193
	v_mov_b32_e32 v14, v172
	v_mov_b32_e32 v15, v173
	v_mov_b32_e32 v208, v190
	v_mov_b32_e32 v209, v191
	v_mov_b32_e32 v210, v170
	v_mov_b32_e32 v211, v171
	v_mov_b32_e32 v212, v188
	v_mov_b32_e32 v213, v189
	v_mov_b32_e32 v214, v136
	v_mov_b32_e32 v215, v137
	ds_write2_b64 v246, v[4:5], v[6:7] offset0:10 offset1:11
	ds_write2_b64 v246, v[8:9], v[10:11] offset0:12 offset1:13
	ds_write2_b64 v246, v[12:13], v[14:15] offset0:14 offset1:15
	ds_write2_b64 v246, v[208:209], v[210:211] offset0:16 offset1:17
	ds_write2_b64 v246, v[212:213], v[214:215] offset0:18 offset1:19
	v_mov_b32_e32 v4, v166
	v_mov_b32_e32 v5, v167
	v_mov_b32_e32 v6, v134
	v_mov_b32_e32 v7, v135
	v_mov_b32_e32 v8, v164
	v_mov_b32_e32 v9, v165
	v_mov_b32_e32 v10, v132
	v_mov_b32_e32 v11, v133
	v_mov_b32_e32 v12, v162
	v_mov_b32_e32 v13, v163
	v_mov_b32_e32 v14, v130
	v_mov_b32_e32 v15, v131
	v_mov_b32_e32 v208, v160
	v_mov_b32_e32 v209, v161
	v_mov_b32_e32 v210, v128
	v_mov_b32_e32 v211, v129
	v_mov_b32_e32 v212, v158
	v_mov_b32_e32 v213, v159
	v_mov_b32_e32 v214, v126
	v_mov_b32_e32 v215, v127
	ds_write2_b64 v246, v[4:5], v[6:7] offset0:20 offset1:21
	ds_write2_b64 v246, v[8:9], v[10:11] offset0:22 offset1:23
	;; [unrolled: 25-line block ×4, first 2 shown]
	ds_write2_b64 v246, v[12:13], v[14:15] offset0:44 offset1:45
	ds_write2_b64 v246, v[208:209], v[210:211] offset0:46 offset1:47
	;; [unrolled: 1-line block ×3, first 2 shown]
	ds_write_b64 v246, v[206:207] offset:400
	ds_read_b64 v[4:5], v1
	s_waitcnt lgkmcnt(0)
	v_cmp_neq_f64_e32 vcc_lo, 0, v[4:5]
	s_and_b32 exec_lo, exec_lo, vcc_lo
	s_cbranch_execz .LBB101_19
; %bb.18:
	v_div_scale_f64 v[6:7], null, v[4:5], v[4:5], 1.0
	v_rcp_f64_e32 v[8:9], v[6:7]
	v_fma_f64 v[10:11], -v[6:7], v[8:9], 1.0
	v_fma_f64 v[8:9], v[8:9], v[10:11], v[8:9]
	v_fma_f64 v[10:11], -v[6:7], v[8:9], 1.0
	v_fma_f64 v[8:9], v[8:9], v[10:11], v[8:9]
	v_div_scale_f64 v[10:11], vcc_lo, 1.0, v[4:5], 1.0
	v_mul_f64 v[12:13], v[10:11], v[8:9]
	v_fma_f64 v[6:7], -v[6:7], v[12:13], v[10:11]
	v_div_fmas_f64 v[6:7], v[6:7], v[8:9], v[12:13]
	v_div_fixup_f64 v[4:5], v[6:7], v[4:5], 1.0
	ds_write_b64 v1, v[4:5]
.LBB101_19:
	s_or_b32 exec_lo, exec_lo, s1
	s_waitcnt lgkmcnt(0)
	s_barrier
	buffer_gl0_inv
	ds_read_b64 v[254:255], v1
	s_mov_b32 s1, exec_lo
	v_cmpx_lt_u32_e32 3, v0
	s_cbranch_execz .LBB101_21
; %bb.20:
	s_waitcnt lgkmcnt(0)
	v_mul_f64 v[184:185], v[254:255], v[184:185]
	ds_read2_b64 v[4:7], v246 offset0:4 offset1:5
	s_waitcnt lgkmcnt(0)
	v_fma_f64 v[202:203], -v[184:185], v[4:5], v[202:203]
	v_fma_f64 v[182:183], -v[184:185], v[6:7], v[182:183]
	ds_read2_b64 v[4:7], v246 offset0:6 offset1:7
	s_waitcnt lgkmcnt(0)
	v_fma_f64 v[200:201], -v[184:185], v[4:5], v[200:201]
	v_fma_f64 v[180:181], -v[184:185], v[6:7], v[180:181]
	;; [unrolled: 4-line block ×22, first 2 shown]
	ds_read2_b64 v[4:7], v246 offset0:48 offset1:49
	s_waitcnt lgkmcnt(0)
	v_fma_f64 v[138:139], -v[184:185], v[4:5], v[138:139]
	ds_read_b64 v[4:5], v246 offset:400
	v_fma_f64 v[106:107], -v[184:185], v[6:7], v[106:107]
	s_waitcnt lgkmcnt(0)
	v_fma_f64 v[206:207], -v[184:185], v[4:5], v[206:207]
.LBB101_21:
	s_or_b32 exec_lo, exec_lo, s1
	s_mov_b32 s1, exec_lo
	s_waitcnt lgkmcnt(0)
	s_barrier
	buffer_gl0_inv
	v_cmpx_eq_u32_e32 4, v0
	s_cbranch_execz .LBB101_24
; %bb.22:
	ds_write_b64 v1, v[202:203]
	ds_write2_b64 v246, v[182:183], v[200:201] offset0:5 offset1:6
	ds_write2_b64 v246, v[180:181], v[198:199] offset0:7 offset1:8
	;; [unrolled: 1-line block ×23, first 2 shown]
	ds_read_b64 v[4:5], v1
	s_waitcnt lgkmcnt(0)
	v_cmp_neq_f64_e32 vcc_lo, 0, v[4:5]
	s_and_b32 exec_lo, exec_lo, vcc_lo
	s_cbranch_execz .LBB101_24
; %bb.23:
	v_div_scale_f64 v[6:7], null, v[4:5], v[4:5], 1.0
	v_rcp_f64_e32 v[8:9], v[6:7]
	v_fma_f64 v[10:11], -v[6:7], v[8:9], 1.0
	v_fma_f64 v[8:9], v[8:9], v[10:11], v[8:9]
	v_fma_f64 v[10:11], -v[6:7], v[8:9], 1.0
	v_fma_f64 v[8:9], v[8:9], v[10:11], v[8:9]
	v_div_scale_f64 v[10:11], vcc_lo, 1.0, v[4:5], 1.0
	v_mul_f64 v[12:13], v[10:11], v[8:9]
	v_fma_f64 v[6:7], -v[6:7], v[12:13], v[10:11]
	v_div_fmas_f64 v[6:7], v[6:7], v[8:9], v[12:13]
	v_div_fixup_f64 v[4:5], v[6:7], v[4:5], 1.0
	ds_write_b64 v1, v[4:5]
.LBB101_24:
	s_or_b32 exec_lo, exec_lo, s1
	s_waitcnt lgkmcnt(0)
	s_barrier
	buffer_gl0_inv
	ds_read_b64 v[18:19], v1
	s_mov_b32 s1, exec_lo
	v_cmpx_lt_u32_e32 4, v0
	s_cbranch_execz .LBB101_26
; %bb.25:
	s_waitcnt lgkmcnt(0)
	v_mul_f64 v[202:203], v[18:19], v[202:203]
	ds_read2_b64 v[4:7], v246 offset0:5 offset1:6
	s_waitcnt lgkmcnt(0)
	v_fma_f64 v[182:183], -v[202:203], v[4:5], v[182:183]
	v_fma_f64 v[200:201], -v[202:203], v[6:7], v[200:201]
	ds_read2_b64 v[4:7], v246 offset0:7 offset1:8
	s_waitcnt lgkmcnt(0)
	v_fma_f64 v[180:181], -v[202:203], v[4:5], v[180:181]
	v_fma_f64 v[198:199], -v[202:203], v[6:7], v[198:199]
	;; [unrolled: 4-line block ×23, first 2 shown]
.LBB101_26:
	s_or_b32 exec_lo, exec_lo, s1
	s_mov_b32 s1, exec_lo
	s_waitcnt lgkmcnt(0)
	s_barrier
	buffer_gl0_inv
	v_cmpx_eq_u32_e32 5, v0
	s_cbranch_execz .LBB101_29
; %bb.27:
	v_mov_b32_e32 v4, v200
	v_mov_b32_e32 v5, v201
	;; [unrolled: 1-line block ×8, first 2 shown]
	ds_write_b64 v1, v[182:183]
	ds_write2_b64 v246, v[4:5], v[6:7] offset0:6 offset1:7
	ds_write2_b64 v246, v[8:9], v[10:11] offset0:8 offset1:9
	v_mov_b32_e32 v4, v196
	v_mov_b32_e32 v5, v197
	v_mov_b32_e32 v6, v176
	v_mov_b32_e32 v7, v177
	v_mov_b32_e32 v8, v194
	v_mov_b32_e32 v9, v195
	v_mov_b32_e32 v10, v174
	v_mov_b32_e32 v11, v175
	v_mov_b32_e32 v12, v192
	v_mov_b32_e32 v13, v193
	v_mov_b32_e32 v14, v172
	v_mov_b32_e32 v15, v173
	v_mov_b32_e32 v208, v190
	v_mov_b32_e32 v209, v191
	v_mov_b32_e32 v210, v170
	v_mov_b32_e32 v211, v171
	v_mov_b32_e32 v212, v188
	v_mov_b32_e32 v213, v189
	v_mov_b32_e32 v214, v136
	v_mov_b32_e32 v215, v137
	ds_write2_b64 v246, v[4:5], v[6:7] offset0:10 offset1:11
	ds_write2_b64 v246, v[8:9], v[10:11] offset0:12 offset1:13
	ds_write2_b64 v246, v[12:13], v[14:15] offset0:14 offset1:15
	ds_write2_b64 v246, v[208:209], v[210:211] offset0:16 offset1:17
	ds_write2_b64 v246, v[212:213], v[214:215] offset0:18 offset1:19
	v_mov_b32_e32 v4, v166
	v_mov_b32_e32 v5, v167
	v_mov_b32_e32 v6, v134
	v_mov_b32_e32 v7, v135
	v_mov_b32_e32 v8, v164
	v_mov_b32_e32 v9, v165
	v_mov_b32_e32 v10, v132
	v_mov_b32_e32 v11, v133
	v_mov_b32_e32 v12, v162
	v_mov_b32_e32 v13, v163
	v_mov_b32_e32 v14, v130
	v_mov_b32_e32 v15, v131
	v_mov_b32_e32 v208, v160
	v_mov_b32_e32 v209, v161
	v_mov_b32_e32 v210, v128
	v_mov_b32_e32 v211, v129
	v_mov_b32_e32 v212, v158
	v_mov_b32_e32 v213, v159
	v_mov_b32_e32 v214, v126
	v_mov_b32_e32 v215, v127
	ds_write2_b64 v246, v[4:5], v[6:7] offset0:20 offset1:21
	ds_write2_b64 v246, v[8:9], v[10:11] offset0:22 offset1:23
	ds_write2_b64 v246, v[12:13], v[14:15] offset0:24 offset1:25
	;; [unrolled: 25-line block ×4, first 2 shown]
	ds_write2_b64 v246, v[208:209], v[210:211] offset0:46 offset1:47
	ds_write2_b64 v246, v[212:213], v[214:215] offset0:48 offset1:49
	ds_write_b64 v246, v[206:207] offset:400
	ds_read_b64 v[4:5], v1
	s_waitcnt lgkmcnt(0)
	v_cmp_neq_f64_e32 vcc_lo, 0, v[4:5]
	s_and_b32 exec_lo, exec_lo, vcc_lo
	s_cbranch_execz .LBB101_29
; %bb.28:
	v_div_scale_f64 v[6:7], null, v[4:5], v[4:5], 1.0
	v_rcp_f64_e32 v[8:9], v[6:7]
	v_fma_f64 v[10:11], -v[6:7], v[8:9], 1.0
	v_fma_f64 v[8:9], v[8:9], v[10:11], v[8:9]
	v_fma_f64 v[10:11], -v[6:7], v[8:9], 1.0
	v_fma_f64 v[8:9], v[8:9], v[10:11], v[8:9]
	v_div_scale_f64 v[10:11], vcc_lo, 1.0, v[4:5], 1.0
	v_mul_f64 v[12:13], v[10:11], v[8:9]
	v_fma_f64 v[6:7], -v[6:7], v[12:13], v[10:11]
	v_div_fmas_f64 v[6:7], v[6:7], v[8:9], v[12:13]
	v_div_fixup_f64 v[4:5], v[6:7], v[4:5], 1.0
	ds_write_b64 v1, v[4:5]
.LBB101_29:
	s_or_b32 exec_lo, exec_lo, s1
	s_waitcnt lgkmcnt(0)
	s_barrier
	buffer_gl0_inv
	ds_read_b64 v[4:5], v1
	s_mov_b32 s1, exec_lo
	s_waitcnt lgkmcnt(0)
	buffer_store_dword v4, off, s[12:15], 0 offset:80 ; 4-byte Folded Spill
	buffer_store_dword v5, off, s[12:15], 0 offset:84 ; 4-byte Folded Spill
	v_cmpx_lt_u32_e32 5, v0
	s_cbranch_execz .LBB101_31
; %bb.30:
	s_clause 0x1
	buffer_load_dword v4, off, s[12:15], 0 offset:80
	buffer_load_dword v5, off, s[12:15], 0 offset:84
	s_waitcnt vmcnt(0)
	v_mul_f64 v[182:183], v[4:5], v[182:183]
	ds_read2_b64 v[4:7], v246 offset0:6 offset1:7
	s_waitcnt lgkmcnt(0)
	v_fma_f64 v[200:201], -v[182:183], v[4:5], v[200:201]
	v_fma_f64 v[180:181], -v[182:183], v[6:7], v[180:181]
	ds_read2_b64 v[4:7], v246 offset0:8 offset1:9
	s_waitcnt lgkmcnt(0)
	v_fma_f64 v[198:199], -v[182:183], v[4:5], v[198:199]
	v_fma_f64 v[178:179], -v[182:183], v[6:7], v[178:179]
	;; [unrolled: 4-line block ×21, first 2 shown]
	ds_read2_b64 v[4:7], v246 offset0:48 offset1:49
	s_waitcnt lgkmcnt(0)
	v_fma_f64 v[138:139], -v[182:183], v[4:5], v[138:139]
	ds_read_b64 v[4:5], v246 offset:400
	v_fma_f64 v[106:107], -v[182:183], v[6:7], v[106:107]
	s_waitcnt lgkmcnt(0)
	v_fma_f64 v[206:207], -v[182:183], v[4:5], v[206:207]
.LBB101_31:
	s_or_b32 exec_lo, exec_lo, s1
	s_mov_b32 s1, exec_lo
	s_waitcnt_vscnt null, 0x0
	s_barrier
	buffer_gl0_inv
	v_cmpx_eq_u32_e32 6, v0
	s_cbranch_execz .LBB101_34
; %bb.32:
	ds_write_b64 v1, v[200:201]
	ds_write2_b64 v246, v[180:181], v[198:199] offset0:7 offset1:8
	ds_write2_b64 v246, v[178:179], v[196:197] offset0:9 offset1:10
	;; [unrolled: 1-line block ×22, first 2 shown]
	ds_read_b64 v[4:5], v1
	s_waitcnt lgkmcnt(0)
	v_cmp_neq_f64_e32 vcc_lo, 0, v[4:5]
	s_and_b32 exec_lo, exec_lo, vcc_lo
	s_cbranch_execz .LBB101_34
; %bb.33:
	v_div_scale_f64 v[6:7], null, v[4:5], v[4:5], 1.0
	v_rcp_f64_e32 v[8:9], v[6:7]
	v_fma_f64 v[10:11], -v[6:7], v[8:9], 1.0
	v_fma_f64 v[8:9], v[8:9], v[10:11], v[8:9]
	v_fma_f64 v[10:11], -v[6:7], v[8:9], 1.0
	v_fma_f64 v[8:9], v[8:9], v[10:11], v[8:9]
	v_div_scale_f64 v[10:11], vcc_lo, 1.0, v[4:5], 1.0
	v_mul_f64 v[12:13], v[10:11], v[8:9]
	v_fma_f64 v[6:7], -v[6:7], v[12:13], v[10:11]
	v_div_fmas_f64 v[6:7], v[6:7], v[8:9], v[12:13]
	v_div_fixup_f64 v[4:5], v[6:7], v[4:5], 1.0
	ds_write_b64 v1, v[4:5]
.LBB101_34:
	s_or_b32 exec_lo, exec_lo, s1
	s_waitcnt lgkmcnt(0)
	s_barrier
	buffer_gl0_inv
	ds_read_b64 v[4:5], v1
	s_mov_b32 s1, exec_lo
	s_waitcnt lgkmcnt(0)
	buffer_store_dword v4, off, s[12:15], 0 offset:88 ; 4-byte Folded Spill
	buffer_store_dword v5, off, s[12:15], 0 offset:92 ; 4-byte Folded Spill
	v_cmpx_lt_u32_e32 6, v0
	s_cbranch_execz .LBB101_36
; %bb.35:
	s_clause 0x1
	buffer_load_dword v4, off, s[12:15], 0 offset:88
	buffer_load_dword v5, off, s[12:15], 0 offset:92
	s_waitcnt vmcnt(0)
	v_mul_f64 v[200:201], v[4:5], v[200:201]
	ds_read2_b64 v[4:7], v246 offset0:7 offset1:8
	s_waitcnt lgkmcnt(0)
	v_fma_f64 v[180:181], -v[200:201], v[4:5], v[180:181]
	v_fma_f64 v[198:199], -v[200:201], v[6:7], v[198:199]
	ds_read2_b64 v[4:7], v246 offset0:9 offset1:10
	s_waitcnt lgkmcnt(0)
	v_fma_f64 v[178:179], -v[200:201], v[4:5], v[178:179]
	v_fma_f64 v[196:197], -v[200:201], v[6:7], v[196:197]
	;; [unrolled: 4-line block ×22, first 2 shown]
.LBB101_36:
	s_or_b32 exec_lo, exec_lo, s1
	s_mov_b32 s1, exec_lo
	s_waitcnt_vscnt null, 0x0
	s_barrier
	buffer_gl0_inv
	v_cmpx_eq_u32_e32 7, v0
	s_cbranch_execz .LBB101_39
; %bb.37:
	v_mov_b32_e32 v4, v198
	v_mov_b32_e32 v5, v199
	;; [unrolled: 1-line block ×4, first 2 shown]
	ds_write_b64 v1, v[180:181]
	ds_write2_b64 v246, v[4:5], v[6:7] offset0:8 offset1:9
	v_mov_b32_e32 v4, v196
	v_mov_b32_e32 v5, v197
	v_mov_b32_e32 v6, v176
	v_mov_b32_e32 v7, v177
	v_mov_b32_e32 v8, v194
	v_mov_b32_e32 v9, v195
	v_mov_b32_e32 v10, v174
	v_mov_b32_e32 v11, v175
	v_mov_b32_e32 v12, v192
	v_mov_b32_e32 v13, v193
	v_mov_b32_e32 v14, v172
	v_mov_b32_e32 v15, v173
	v_mov_b32_e32 v208, v190
	v_mov_b32_e32 v209, v191
	v_mov_b32_e32 v210, v170
	v_mov_b32_e32 v211, v171
	v_mov_b32_e32 v212, v188
	v_mov_b32_e32 v213, v189
	v_mov_b32_e32 v214, v136
	v_mov_b32_e32 v215, v137
	ds_write2_b64 v246, v[4:5], v[6:7] offset0:10 offset1:11
	ds_write2_b64 v246, v[8:9], v[10:11] offset0:12 offset1:13
	ds_write2_b64 v246, v[12:13], v[14:15] offset0:14 offset1:15
	ds_write2_b64 v246, v[208:209], v[210:211] offset0:16 offset1:17
	ds_write2_b64 v246, v[212:213], v[214:215] offset0:18 offset1:19
	v_mov_b32_e32 v4, v166
	v_mov_b32_e32 v5, v167
	v_mov_b32_e32 v6, v134
	v_mov_b32_e32 v7, v135
	v_mov_b32_e32 v8, v164
	v_mov_b32_e32 v9, v165
	v_mov_b32_e32 v10, v132
	v_mov_b32_e32 v11, v133
	v_mov_b32_e32 v12, v162
	v_mov_b32_e32 v13, v163
	v_mov_b32_e32 v14, v130
	v_mov_b32_e32 v15, v131
	v_mov_b32_e32 v208, v160
	v_mov_b32_e32 v209, v161
	v_mov_b32_e32 v210, v128
	v_mov_b32_e32 v211, v129
	v_mov_b32_e32 v212, v158
	v_mov_b32_e32 v213, v159
	v_mov_b32_e32 v214, v126
	v_mov_b32_e32 v215, v127
	ds_write2_b64 v246, v[4:5], v[6:7] offset0:20 offset1:21
	ds_write2_b64 v246, v[8:9], v[10:11] offset0:22 offset1:23
	ds_write2_b64 v246, v[12:13], v[14:15] offset0:24 offset1:25
	ds_write2_b64 v246, v[208:209], v[210:211] offset0:26 offset1:27
	;; [unrolled: 25-line block ×4, first 2 shown]
	ds_write2_b64 v246, v[212:213], v[214:215] offset0:48 offset1:49
	ds_write_b64 v246, v[206:207] offset:400
	ds_read_b64 v[4:5], v1
	s_waitcnt lgkmcnt(0)
	v_cmp_neq_f64_e32 vcc_lo, 0, v[4:5]
	s_and_b32 exec_lo, exec_lo, vcc_lo
	s_cbranch_execz .LBB101_39
; %bb.38:
	v_div_scale_f64 v[6:7], null, v[4:5], v[4:5], 1.0
	v_rcp_f64_e32 v[8:9], v[6:7]
	v_fma_f64 v[10:11], -v[6:7], v[8:9], 1.0
	v_fma_f64 v[8:9], v[8:9], v[10:11], v[8:9]
	v_fma_f64 v[10:11], -v[6:7], v[8:9], 1.0
	v_fma_f64 v[8:9], v[8:9], v[10:11], v[8:9]
	v_div_scale_f64 v[10:11], vcc_lo, 1.0, v[4:5], 1.0
	v_mul_f64 v[12:13], v[10:11], v[8:9]
	v_fma_f64 v[6:7], -v[6:7], v[12:13], v[10:11]
	v_div_fmas_f64 v[6:7], v[6:7], v[8:9], v[12:13]
	v_div_fixup_f64 v[4:5], v[6:7], v[4:5], 1.0
	ds_write_b64 v1, v[4:5]
.LBB101_39:
	s_or_b32 exec_lo, exec_lo, s1
	s_waitcnt lgkmcnt(0)
	s_barrier
	buffer_gl0_inv
	ds_read_b64 v[4:5], v1
	s_mov_b32 s1, exec_lo
	s_waitcnt lgkmcnt(0)
	buffer_store_dword v4, off, s[12:15], 0 offset:96 ; 4-byte Folded Spill
	buffer_store_dword v5, off, s[12:15], 0 offset:100 ; 4-byte Folded Spill
	v_cmpx_lt_u32_e32 7, v0
	s_cbranch_execz .LBB101_41
; %bb.40:
	s_clause 0x1
	buffer_load_dword v4, off, s[12:15], 0 offset:96
	buffer_load_dword v5, off, s[12:15], 0 offset:100
	s_waitcnt vmcnt(0)
	v_mul_f64 v[180:181], v[4:5], v[180:181]
	ds_read2_b64 v[4:7], v246 offset0:8 offset1:9
	s_waitcnt lgkmcnt(0)
	v_fma_f64 v[198:199], -v[180:181], v[4:5], v[198:199]
	v_fma_f64 v[178:179], -v[180:181], v[6:7], v[178:179]
	ds_read2_b64 v[4:7], v246 offset0:10 offset1:11
	s_waitcnt lgkmcnt(0)
	v_fma_f64 v[196:197], -v[180:181], v[4:5], v[196:197]
	v_fma_f64 v[176:177], -v[180:181], v[6:7], v[176:177]
	;; [unrolled: 4-line block ×20, first 2 shown]
	ds_read2_b64 v[4:7], v246 offset0:48 offset1:49
	s_waitcnt lgkmcnt(0)
	v_fma_f64 v[138:139], -v[180:181], v[4:5], v[138:139]
	ds_read_b64 v[4:5], v246 offset:400
	v_fma_f64 v[106:107], -v[180:181], v[6:7], v[106:107]
	s_waitcnt lgkmcnt(0)
	v_fma_f64 v[206:207], -v[180:181], v[4:5], v[206:207]
.LBB101_41:
	s_or_b32 exec_lo, exec_lo, s1
	s_mov_b32 s1, exec_lo
	s_waitcnt_vscnt null, 0x0
	s_barrier
	buffer_gl0_inv
	v_cmpx_eq_u32_e32 8, v0
	s_cbranch_execz .LBB101_44
; %bb.42:
	ds_write_b64 v1, v[198:199]
	ds_write2_b64 v246, v[178:179], v[196:197] offset0:9 offset1:10
	ds_write2_b64 v246, v[176:177], v[194:195] offset0:11 offset1:12
	;; [unrolled: 1-line block ×21, first 2 shown]
	ds_read_b64 v[4:5], v1
	s_waitcnt lgkmcnt(0)
	v_cmp_neq_f64_e32 vcc_lo, 0, v[4:5]
	s_and_b32 exec_lo, exec_lo, vcc_lo
	s_cbranch_execz .LBB101_44
; %bb.43:
	v_div_scale_f64 v[6:7], null, v[4:5], v[4:5], 1.0
	v_rcp_f64_e32 v[8:9], v[6:7]
	v_fma_f64 v[10:11], -v[6:7], v[8:9], 1.0
	v_fma_f64 v[8:9], v[8:9], v[10:11], v[8:9]
	v_fma_f64 v[10:11], -v[6:7], v[8:9], 1.0
	v_fma_f64 v[8:9], v[8:9], v[10:11], v[8:9]
	v_div_scale_f64 v[10:11], vcc_lo, 1.0, v[4:5], 1.0
	v_mul_f64 v[12:13], v[10:11], v[8:9]
	v_fma_f64 v[6:7], -v[6:7], v[12:13], v[10:11]
	v_div_fmas_f64 v[6:7], v[6:7], v[8:9], v[12:13]
	v_div_fixup_f64 v[4:5], v[6:7], v[4:5], 1.0
	ds_write_b64 v1, v[4:5]
.LBB101_44:
	s_or_b32 exec_lo, exec_lo, s1
	s_waitcnt lgkmcnt(0)
	s_barrier
	buffer_gl0_inv
	ds_read_b64 v[4:5], v1
	s_mov_b32 s1, exec_lo
	s_waitcnt lgkmcnt(0)
	buffer_store_dword v4, off, s[12:15], 0 offset:104 ; 4-byte Folded Spill
	buffer_store_dword v5, off, s[12:15], 0 offset:108 ; 4-byte Folded Spill
	v_cmpx_lt_u32_e32 8, v0
	s_cbranch_execz .LBB101_46
; %bb.45:
	s_clause 0x1
	buffer_load_dword v4, off, s[12:15], 0 offset:104
	buffer_load_dword v5, off, s[12:15], 0 offset:108
	s_waitcnt vmcnt(0)
	v_mul_f64 v[198:199], v[4:5], v[198:199]
	ds_read2_b64 v[4:7], v246 offset0:9 offset1:10
	s_waitcnt lgkmcnt(0)
	v_fma_f64 v[178:179], -v[198:199], v[4:5], v[178:179]
	v_fma_f64 v[196:197], -v[198:199], v[6:7], v[196:197]
	ds_read2_b64 v[4:7], v246 offset0:11 offset1:12
	s_waitcnt lgkmcnt(0)
	v_fma_f64 v[176:177], -v[198:199], v[4:5], v[176:177]
	v_fma_f64 v[194:195], -v[198:199], v[6:7], v[194:195]
	;; [unrolled: 4-line block ×21, first 2 shown]
.LBB101_46:
	s_or_b32 exec_lo, exec_lo, s1
	s_mov_b32 s1, exec_lo
	s_waitcnt_vscnt null, 0x0
	s_barrier
	buffer_gl0_inv
	v_cmpx_eq_u32_e32 9, v0
	s_cbranch_execz .LBB101_49
; %bb.47:
	v_mov_b32_e32 v4, v196
	v_mov_b32_e32 v5, v197
	v_mov_b32_e32 v6, v176
	v_mov_b32_e32 v7, v177
	v_mov_b32_e32 v8, v194
	v_mov_b32_e32 v9, v195
	v_mov_b32_e32 v10, v174
	v_mov_b32_e32 v11, v175
	v_mov_b32_e32 v12, v192
	v_mov_b32_e32 v13, v193
	v_mov_b32_e32 v14, v172
	v_mov_b32_e32 v15, v173
	v_mov_b32_e32 v208, v190
	v_mov_b32_e32 v209, v191
	v_mov_b32_e32 v210, v170
	v_mov_b32_e32 v211, v171
	v_mov_b32_e32 v212, v188
	v_mov_b32_e32 v213, v189
	v_mov_b32_e32 v214, v136
	v_mov_b32_e32 v215, v137
	ds_write_b64 v1, v[178:179]
	ds_write2_b64 v246, v[4:5], v[6:7] offset0:10 offset1:11
	ds_write2_b64 v246, v[8:9], v[10:11] offset0:12 offset1:13
	ds_write2_b64 v246, v[12:13], v[14:15] offset0:14 offset1:15
	ds_write2_b64 v246, v[208:209], v[210:211] offset0:16 offset1:17
	ds_write2_b64 v246, v[212:213], v[214:215] offset0:18 offset1:19
	v_mov_b32_e32 v4, v166
	v_mov_b32_e32 v5, v167
	v_mov_b32_e32 v6, v134
	v_mov_b32_e32 v7, v135
	v_mov_b32_e32 v8, v164
	v_mov_b32_e32 v9, v165
	v_mov_b32_e32 v10, v132
	v_mov_b32_e32 v11, v133
	v_mov_b32_e32 v12, v162
	v_mov_b32_e32 v13, v163
	v_mov_b32_e32 v14, v130
	v_mov_b32_e32 v15, v131
	v_mov_b32_e32 v208, v160
	v_mov_b32_e32 v209, v161
	v_mov_b32_e32 v210, v128
	v_mov_b32_e32 v211, v129
	v_mov_b32_e32 v212, v158
	v_mov_b32_e32 v213, v159
	v_mov_b32_e32 v214, v126
	v_mov_b32_e32 v215, v127
	ds_write2_b64 v246, v[4:5], v[6:7] offset0:20 offset1:21
	ds_write2_b64 v246, v[8:9], v[10:11] offset0:22 offset1:23
	ds_write2_b64 v246, v[12:13], v[14:15] offset0:24 offset1:25
	ds_write2_b64 v246, v[208:209], v[210:211] offset0:26 offset1:27
	ds_write2_b64 v246, v[212:213], v[214:215] offset0:28 offset1:29
	v_mov_b32_e32 v4, v156
	v_mov_b32_e32 v5, v157
	v_mov_b32_e32 v6, v124
	v_mov_b32_e32 v7, v125
	v_mov_b32_e32 v8, v154
	v_mov_b32_e32 v9, v155
	v_mov_b32_e32 v10, v122
	v_mov_b32_e32 v11, v123
	v_mov_b32_e32 v12, v152
	v_mov_b32_e32 v13, v153
	v_mov_b32_e32 v14, v120
	v_mov_b32_e32 v15, v121
	v_mov_b32_e32 v208, v150
	v_mov_b32_e32 v209, v151
	v_mov_b32_e32 v210, v118
	v_mov_b32_e32 v211, v119
	v_mov_b32_e32 v212, v148
	v_mov_b32_e32 v213, v149
	v_mov_b32_e32 v214, v116
	v_mov_b32_e32 v215, v117
	;; [unrolled: 25-line block ×3, first 2 shown]
	ds_write2_b64 v246, v[4:5], v[6:7] offset0:40 offset1:41
	ds_write2_b64 v246, v[8:9], v[10:11] offset0:42 offset1:43
	;; [unrolled: 1-line block ×5, first 2 shown]
	ds_write_b64 v246, v[206:207] offset:400
	ds_read_b64 v[4:5], v1
	s_waitcnt lgkmcnt(0)
	v_cmp_neq_f64_e32 vcc_lo, 0, v[4:5]
	s_and_b32 exec_lo, exec_lo, vcc_lo
	s_cbranch_execz .LBB101_49
; %bb.48:
	v_div_scale_f64 v[6:7], null, v[4:5], v[4:5], 1.0
	v_rcp_f64_e32 v[8:9], v[6:7]
	v_fma_f64 v[10:11], -v[6:7], v[8:9], 1.0
	v_fma_f64 v[8:9], v[8:9], v[10:11], v[8:9]
	v_fma_f64 v[10:11], -v[6:7], v[8:9], 1.0
	v_fma_f64 v[8:9], v[8:9], v[10:11], v[8:9]
	v_div_scale_f64 v[10:11], vcc_lo, 1.0, v[4:5], 1.0
	v_mul_f64 v[12:13], v[10:11], v[8:9]
	v_fma_f64 v[6:7], -v[6:7], v[12:13], v[10:11]
	v_div_fmas_f64 v[6:7], v[6:7], v[8:9], v[12:13]
	v_div_fixup_f64 v[4:5], v[6:7], v[4:5], 1.0
	ds_write_b64 v1, v[4:5]
.LBB101_49:
	s_or_b32 exec_lo, exec_lo, s1
	s_waitcnt lgkmcnt(0)
	s_barrier
	buffer_gl0_inv
	ds_read_b64 v[4:5], v1
	s_mov_b32 s1, exec_lo
	s_waitcnt lgkmcnt(0)
	buffer_store_dword v4, off, s[12:15], 0 offset:112 ; 4-byte Folded Spill
	buffer_store_dword v5, off, s[12:15], 0 offset:116 ; 4-byte Folded Spill
	v_cmpx_lt_u32_e32 9, v0
	s_cbranch_execz .LBB101_51
; %bb.50:
	s_clause 0x1
	buffer_load_dword v4, off, s[12:15], 0 offset:112
	buffer_load_dword v5, off, s[12:15], 0 offset:116
	s_waitcnt vmcnt(0)
	v_mul_f64 v[178:179], v[4:5], v[178:179]
	ds_read2_b64 v[4:7], v246 offset0:10 offset1:11
	s_waitcnt lgkmcnt(0)
	v_fma_f64 v[196:197], -v[178:179], v[4:5], v[196:197]
	v_fma_f64 v[176:177], -v[178:179], v[6:7], v[176:177]
	ds_read2_b64 v[4:7], v246 offset0:12 offset1:13
	s_waitcnt lgkmcnt(0)
	v_fma_f64 v[194:195], -v[178:179], v[4:5], v[194:195]
	v_fma_f64 v[174:175], -v[178:179], v[6:7], v[174:175]
	;; [unrolled: 4-line block ×19, first 2 shown]
	ds_read2_b64 v[4:7], v246 offset0:48 offset1:49
	s_waitcnt lgkmcnt(0)
	v_fma_f64 v[138:139], -v[178:179], v[4:5], v[138:139]
	ds_read_b64 v[4:5], v246 offset:400
	v_fma_f64 v[106:107], -v[178:179], v[6:7], v[106:107]
	s_waitcnt lgkmcnt(0)
	v_fma_f64 v[206:207], -v[178:179], v[4:5], v[206:207]
.LBB101_51:
	s_or_b32 exec_lo, exec_lo, s1
	s_mov_b32 s1, exec_lo
	s_waitcnt_vscnt null, 0x0
	s_barrier
	buffer_gl0_inv
	v_cmpx_eq_u32_e32 10, v0
	s_cbranch_execz .LBB101_54
; %bb.52:
	ds_write_b64 v1, v[196:197]
	ds_write2_b64 v246, v[176:177], v[194:195] offset0:11 offset1:12
	ds_write2_b64 v246, v[174:175], v[192:193] offset0:13 offset1:14
	;; [unrolled: 1-line block ×20, first 2 shown]
	ds_read_b64 v[4:5], v1
	s_waitcnt lgkmcnt(0)
	v_cmp_neq_f64_e32 vcc_lo, 0, v[4:5]
	s_and_b32 exec_lo, exec_lo, vcc_lo
	s_cbranch_execz .LBB101_54
; %bb.53:
	v_div_scale_f64 v[6:7], null, v[4:5], v[4:5], 1.0
	v_rcp_f64_e32 v[8:9], v[6:7]
	v_fma_f64 v[10:11], -v[6:7], v[8:9], 1.0
	v_fma_f64 v[8:9], v[8:9], v[10:11], v[8:9]
	v_fma_f64 v[10:11], -v[6:7], v[8:9], 1.0
	v_fma_f64 v[8:9], v[8:9], v[10:11], v[8:9]
	v_div_scale_f64 v[10:11], vcc_lo, 1.0, v[4:5], 1.0
	v_mul_f64 v[12:13], v[10:11], v[8:9]
	v_fma_f64 v[6:7], -v[6:7], v[12:13], v[10:11]
	v_div_fmas_f64 v[6:7], v[6:7], v[8:9], v[12:13]
	v_div_fixup_f64 v[4:5], v[6:7], v[4:5], 1.0
	ds_write_b64 v1, v[4:5]
.LBB101_54:
	s_or_b32 exec_lo, exec_lo, s1
	s_waitcnt lgkmcnt(0)
	s_barrier
	buffer_gl0_inv
	ds_read_b64 v[4:5], v1
	s_mov_b32 s1, exec_lo
	s_waitcnt lgkmcnt(0)
	buffer_store_dword v4, off, s[12:15], 0 offset:120 ; 4-byte Folded Spill
	buffer_store_dword v5, off, s[12:15], 0 offset:124 ; 4-byte Folded Spill
	v_cmpx_lt_u32_e32 10, v0
	s_cbranch_execz .LBB101_56
; %bb.55:
	s_clause 0x1
	buffer_load_dword v4, off, s[12:15], 0 offset:120
	buffer_load_dword v5, off, s[12:15], 0 offset:124
	s_waitcnt vmcnt(0)
	v_mul_f64 v[196:197], v[4:5], v[196:197]
	ds_read2_b64 v[4:7], v246 offset0:11 offset1:12
	s_waitcnt lgkmcnt(0)
	v_fma_f64 v[176:177], -v[196:197], v[4:5], v[176:177]
	v_fma_f64 v[194:195], -v[196:197], v[6:7], v[194:195]
	ds_read2_b64 v[4:7], v246 offset0:13 offset1:14
	s_waitcnt lgkmcnt(0)
	v_fma_f64 v[174:175], -v[196:197], v[4:5], v[174:175]
	v_fma_f64 v[192:193], -v[196:197], v[6:7], v[192:193]
	;; [unrolled: 4-line block ×20, first 2 shown]
.LBB101_56:
	s_or_b32 exec_lo, exec_lo, s1
	s_mov_b32 s1, exec_lo
	s_waitcnt_vscnt null, 0x0
	s_barrier
	buffer_gl0_inv
	v_cmpx_eq_u32_e32 11, v0
	s_cbranch_execz .LBB101_59
; %bb.57:
	v_mov_b32_e32 v4, v194
	v_mov_b32_e32 v5, v195
	;; [unrolled: 1-line block ×16, first 2 shown]
	ds_write_b64 v1, v[176:177]
	ds_write2_b64 v246, v[4:5], v[6:7] offset0:12 offset1:13
	ds_write2_b64 v246, v[8:9], v[10:11] offset0:14 offset1:15
	ds_write2_b64 v246, v[12:13], v[14:15] offset0:16 offset1:17
	ds_write2_b64 v246, v[208:209], v[210:211] offset0:18 offset1:19
	v_mov_b32_e32 v4, v166
	v_mov_b32_e32 v5, v167
	v_mov_b32_e32 v6, v134
	v_mov_b32_e32 v7, v135
	v_mov_b32_e32 v8, v164
	v_mov_b32_e32 v9, v165
	v_mov_b32_e32 v10, v132
	v_mov_b32_e32 v11, v133
	v_mov_b32_e32 v12, v162
	v_mov_b32_e32 v13, v163
	v_mov_b32_e32 v14, v130
	v_mov_b32_e32 v15, v131
	v_mov_b32_e32 v208, v160
	v_mov_b32_e32 v209, v161
	v_mov_b32_e32 v210, v128
	v_mov_b32_e32 v211, v129
	v_mov_b32_e32 v212, v158
	v_mov_b32_e32 v213, v159
	v_mov_b32_e32 v214, v126
	v_mov_b32_e32 v215, v127
	ds_write2_b64 v246, v[4:5], v[6:7] offset0:20 offset1:21
	ds_write2_b64 v246, v[8:9], v[10:11] offset0:22 offset1:23
	ds_write2_b64 v246, v[12:13], v[14:15] offset0:24 offset1:25
	ds_write2_b64 v246, v[208:209], v[210:211] offset0:26 offset1:27
	ds_write2_b64 v246, v[212:213], v[214:215] offset0:28 offset1:29
	v_mov_b32_e32 v4, v156
	v_mov_b32_e32 v5, v157
	v_mov_b32_e32 v6, v124
	v_mov_b32_e32 v7, v125
	v_mov_b32_e32 v8, v154
	v_mov_b32_e32 v9, v155
	v_mov_b32_e32 v10, v122
	v_mov_b32_e32 v11, v123
	v_mov_b32_e32 v12, v152
	v_mov_b32_e32 v13, v153
	v_mov_b32_e32 v14, v120
	v_mov_b32_e32 v15, v121
	v_mov_b32_e32 v208, v150
	v_mov_b32_e32 v209, v151
	v_mov_b32_e32 v210, v118
	v_mov_b32_e32 v211, v119
	v_mov_b32_e32 v212, v148
	v_mov_b32_e32 v213, v149
	v_mov_b32_e32 v214, v116
	v_mov_b32_e32 v215, v117
	ds_write2_b64 v246, v[4:5], v[6:7] offset0:30 offset1:31
	ds_write2_b64 v246, v[8:9], v[10:11] offset0:32 offset1:33
	ds_write2_b64 v246, v[12:13], v[14:15] offset0:34 offset1:35
	ds_write2_b64 v246, v[208:209], v[210:211] offset0:36 offset1:37
	ds_write2_b64 v246, v[212:213], v[214:215] offset0:38 offset1:39
	v_mov_b32_e32 v4, v146
	v_mov_b32_e32 v5, v147
	v_mov_b32_e32 v6, v114
	v_mov_b32_e32 v7, v115
	v_mov_b32_e32 v8, v144
	v_mov_b32_e32 v9, v145
	v_mov_b32_e32 v10, v112
	v_mov_b32_e32 v11, v113
	v_mov_b32_e32 v12, v142
	v_mov_b32_e32 v13, v143
	v_mov_b32_e32 v14, v110
	v_mov_b32_e32 v15, v111
	v_mov_b32_e32 v208, v140
	v_mov_b32_e32 v209, v141
	v_mov_b32_e32 v210, v108
	v_mov_b32_e32 v211, v109
	v_mov_b32_e32 v212, v138
	v_mov_b32_e32 v213, v139
	v_mov_b32_e32 v214, v106
	v_mov_b32_e32 v215, v107
	ds_write2_b64 v246, v[4:5], v[6:7] offset0:40 offset1:41
	ds_write2_b64 v246, v[8:9], v[10:11] offset0:42 offset1:43
	ds_write2_b64 v246, v[12:13], v[14:15] offset0:44 offset1:45
	;; [unrolled: 1-line block ×4, first 2 shown]
	ds_write_b64 v246, v[206:207] offset:400
	ds_read_b64 v[4:5], v1
	s_waitcnt lgkmcnt(0)
	v_cmp_neq_f64_e32 vcc_lo, 0, v[4:5]
	s_and_b32 exec_lo, exec_lo, vcc_lo
	s_cbranch_execz .LBB101_59
; %bb.58:
	v_div_scale_f64 v[6:7], null, v[4:5], v[4:5], 1.0
	v_rcp_f64_e32 v[8:9], v[6:7]
	v_fma_f64 v[10:11], -v[6:7], v[8:9], 1.0
	v_fma_f64 v[8:9], v[8:9], v[10:11], v[8:9]
	v_fma_f64 v[10:11], -v[6:7], v[8:9], 1.0
	v_fma_f64 v[8:9], v[8:9], v[10:11], v[8:9]
	v_div_scale_f64 v[10:11], vcc_lo, 1.0, v[4:5], 1.0
	v_mul_f64 v[12:13], v[10:11], v[8:9]
	v_fma_f64 v[6:7], -v[6:7], v[12:13], v[10:11]
	v_div_fmas_f64 v[6:7], v[6:7], v[8:9], v[12:13]
	v_div_fixup_f64 v[4:5], v[6:7], v[4:5], 1.0
	ds_write_b64 v1, v[4:5]
.LBB101_59:
	s_or_b32 exec_lo, exec_lo, s1
	s_waitcnt lgkmcnt(0)
	s_barrier
	buffer_gl0_inv
	ds_read_b64 v[2:3], v1
	s_mov_b32 s1, exec_lo
	s_waitcnt lgkmcnt(0)
	buffer_store_dword v2, off, s[12:15], 0 offset:184 ; 4-byte Folded Spill
	buffer_store_dword v3, off, s[12:15], 0 offset:188 ; 4-byte Folded Spill
	v_cmpx_lt_u32_e32 11, v0
	s_cbranch_execz .LBB101_61
; %bb.60:
	s_clause 0x1
	buffer_load_dword v2, off, s[12:15], 0 offset:184
	buffer_load_dword v3, off, s[12:15], 0 offset:188
	ds_read2_b64 v[4:7], v246 offset0:12 offset1:13
	s_waitcnt vmcnt(0)
	v_mul_f64 v[176:177], v[2:3], v[176:177]
	s_waitcnt lgkmcnt(0)
	v_fma_f64 v[194:195], -v[176:177], v[4:5], v[194:195]
	v_fma_f64 v[174:175], -v[176:177], v[6:7], v[174:175]
	ds_read2_b64 v[4:7], v246 offset0:14 offset1:15
	s_waitcnt lgkmcnt(0)
	v_fma_f64 v[192:193], -v[176:177], v[4:5], v[192:193]
	v_fma_f64 v[172:173], -v[176:177], v[6:7], v[172:173]
	ds_read2_b64 v[4:7], v246 offset0:16 offset1:17
	;; [unrolled: 4-line block ×18, first 2 shown]
	s_waitcnt lgkmcnt(0)
	v_fma_f64 v[138:139], -v[176:177], v[4:5], v[138:139]
	ds_read_b64 v[4:5], v246 offset:400
	v_fma_f64 v[106:107], -v[176:177], v[6:7], v[106:107]
	s_waitcnt lgkmcnt(0)
	v_fma_f64 v[206:207], -v[176:177], v[4:5], v[206:207]
.LBB101_61:
	s_or_b32 exec_lo, exec_lo, s1
	s_mov_b32 s1, exec_lo
	s_waitcnt_vscnt null, 0x0
	s_barrier
	buffer_gl0_inv
	v_cmpx_eq_u32_e32 12, v0
	s_cbranch_execz .LBB101_64
; %bb.62:
	ds_write_b64 v1, v[194:195]
	ds_write2_b64 v246, v[174:175], v[192:193] offset0:13 offset1:14
	ds_write2_b64 v246, v[172:173], v[190:191] offset0:15 offset1:16
	;; [unrolled: 1-line block ×19, first 2 shown]
	ds_read_b64 v[4:5], v1
	s_waitcnt lgkmcnt(0)
	v_cmp_neq_f64_e32 vcc_lo, 0, v[4:5]
	s_and_b32 exec_lo, exec_lo, vcc_lo
	s_cbranch_execz .LBB101_64
; %bb.63:
	v_div_scale_f64 v[6:7], null, v[4:5], v[4:5], 1.0
	v_rcp_f64_e32 v[8:9], v[6:7]
	v_fma_f64 v[10:11], -v[6:7], v[8:9], 1.0
	v_fma_f64 v[8:9], v[8:9], v[10:11], v[8:9]
	v_fma_f64 v[10:11], -v[6:7], v[8:9], 1.0
	v_fma_f64 v[8:9], v[8:9], v[10:11], v[8:9]
	v_div_scale_f64 v[10:11], vcc_lo, 1.0, v[4:5], 1.0
	v_mul_f64 v[12:13], v[10:11], v[8:9]
	v_fma_f64 v[6:7], -v[6:7], v[12:13], v[10:11]
	v_div_fmas_f64 v[6:7], v[6:7], v[8:9], v[12:13]
	v_div_fixup_f64 v[4:5], v[6:7], v[4:5], 1.0
	ds_write_b64 v1, v[4:5]
.LBB101_64:
	s_or_b32 exec_lo, exec_lo, s1
	s_waitcnt lgkmcnt(0)
	s_barrier
	buffer_gl0_inv
	ds_read_b64 v[2:3], v1
	s_mov_b32 s1, exec_lo
	s_waitcnt lgkmcnt(0)
	buffer_store_dword v2, off, s[12:15], 0 offset:192 ; 4-byte Folded Spill
	buffer_store_dword v3, off, s[12:15], 0 offset:196 ; 4-byte Folded Spill
	v_cmpx_lt_u32_e32 12, v0
	s_cbranch_execz .LBB101_66
; %bb.65:
	s_clause 0x1
	buffer_load_dword v2, off, s[12:15], 0 offset:192
	buffer_load_dword v3, off, s[12:15], 0 offset:196
	ds_read2_b64 v[4:7], v246 offset0:13 offset1:14
	s_waitcnt vmcnt(0)
	v_mul_f64 v[194:195], v[2:3], v[194:195]
	s_waitcnt lgkmcnt(0)
	v_fma_f64 v[174:175], -v[194:195], v[4:5], v[174:175]
	v_fma_f64 v[192:193], -v[194:195], v[6:7], v[192:193]
	ds_read2_b64 v[4:7], v246 offset0:15 offset1:16
	s_waitcnt lgkmcnt(0)
	v_fma_f64 v[172:173], -v[194:195], v[4:5], v[172:173]
	v_fma_f64 v[190:191], -v[194:195], v[6:7], v[190:191]
	ds_read2_b64 v[4:7], v246 offset0:17 offset1:18
	;; [unrolled: 4-line block ×18, first 2 shown]
	s_waitcnt lgkmcnt(0)
	v_fma_f64 v[106:107], -v[194:195], v[4:5], v[106:107]
	v_fma_f64 v[206:207], -v[194:195], v[6:7], v[206:207]
.LBB101_66:
	s_or_b32 exec_lo, exec_lo, s1
	s_mov_b32 s1, exec_lo
	s_waitcnt_vscnt null, 0x0
	s_barrier
	buffer_gl0_inv
	v_cmpx_eq_u32_e32 13, v0
	s_cbranch_execz .LBB101_69
; %bb.67:
	v_mov_b32_e32 v4, v192
	v_mov_b32_e32 v5, v193
	;; [unrolled: 1-line block ×12, first 2 shown]
	ds_write_b64 v1, v[174:175]
	ds_write2_b64 v246, v[4:5], v[6:7] offset0:14 offset1:15
	ds_write2_b64 v246, v[8:9], v[10:11] offset0:16 offset1:17
	ds_write2_b64 v246, v[12:13], v[14:15] offset0:18 offset1:19
	v_mov_b32_e32 v4, v166
	v_mov_b32_e32 v5, v167
	v_mov_b32_e32 v6, v134
	v_mov_b32_e32 v7, v135
	v_mov_b32_e32 v8, v164
	v_mov_b32_e32 v9, v165
	v_mov_b32_e32 v10, v132
	v_mov_b32_e32 v11, v133
	v_mov_b32_e32 v12, v162
	v_mov_b32_e32 v13, v163
	v_mov_b32_e32 v14, v130
	v_mov_b32_e32 v15, v131
	v_mov_b32_e32 v208, v160
	v_mov_b32_e32 v209, v161
	v_mov_b32_e32 v210, v128
	v_mov_b32_e32 v211, v129
	v_mov_b32_e32 v212, v158
	v_mov_b32_e32 v213, v159
	v_mov_b32_e32 v214, v126
	v_mov_b32_e32 v215, v127
	ds_write2_b64 v246, v[4:5], v[6:7] offset0:20 offset1:21
	ds_write2_b64 v246, v[8:9], v[10:11] offset0:22 offset1:23
	ds_write2_b64 v246, v[12:13], v[14:15] offset0:24 offset1:25
	ds_write2_b64 v246, v[208:209], v[210:211] offset0:26 offset1:27
	ds_write2_b64 v246, v[212:213], v[214:215] offset0:28 offset1:29
	v_mov_b32_e32 v4, v156
	v_mov_b32_e32 v5, v157
	v_mov_b32_e32 v6, v124
	v_mov_b32_e32 v7, v125
	v_mov_b32_e32 v8, v154
	v_mov_b32_e32 v9, v155
	v_mov_b32_e32 v10, v122
	v_mov_b32_e32 v11, v123
	v_mov_b32_e32 v12, v152
	v_mov_b32_e32 v13, v153
	v_mov_b32_e32 v14, v120
	v_mov_b32_e32 v15, v121
	v_mov_b32_e32 v208, v150
	v_mov_b32_e32 v209, v151
	v_mov_b32_e32 v210, v118
	v_mov_b32_e32 v211, v119
	v_mov_b32_e32 v212, v148
	v_mov_b32_e32 v213, v149
	v_mov_b32_e32 v214, v116
	v_mov_b32_e32 v215, v117
	ds_write2_b64 v246, v[4:5], v[6:7] offset0:30 offset1:31
	ds_write2_b64 v246, v[8:9], v[10:11] offset0:32 offset1:33
	;; [unrolled: 25-line block ×3, first 2 shown]
	ds_write2_b64 v246, v[12:13], v[14:15] offset0:44 offset1:45
	ds_write2_b64 v246, v[208:209], v[210:211] offset0:46 offset1:47
	;; [unrolled: 1-line block ×3, first 2 shown]
	ds_write_b64 v246, v[206:207] offset:400
	ds_read_b64 v[4:5], v1
	s_waitcnt lgkmcnt(0)
	v_cmp_neq_f64_e32 vcc_lo, 0, v[4:5]
	s_and_b32 exec_lo, exec_lo, vcc_lo
	s_cbranch_execz .LBB101_69
; %bb.68:
	v_div_scale_f64 v[6:7], null, v[4:5], v[4:5], 1.0
	v_rcp_f64_e32 v[8:9], v[6:7]
	v_fma_f64 v[10:11], -v[6:7], v[8:9], 1.0
	v_fma_f64 v[8:9], v[8:9], v[10:11], v[8:9]
	v_fma_f64 v[10:11], -v[6:7], v[8:9], 1.0
	v_fma_f64 v[8:9], v[8:9], v[10:11], v[8:9]
	v_div_scale_f64 v[10:11], vcc_lo, 1.0, v[4:5], 1.0
	v_mul_f64 v[12:13], v[10:11], v[8:9]
	v_fma_f64 v[6:7], -v[6:7], v[12:13], v[10:11]
	v_div_fmas_f64 v[6:7], v[6:7], v[8:9], v[12:13]
	v_div_fixup_f64 v[4:5], v[6:7], v[4:5], 1.0
	ds_write_b64 v1, v[4:5]
.LBB101_69:
	s_or_b32 exec_lo, exec_lo, s1
	s_waitcnt lgkmcnt(0)
	s_barrier
	buffer_gl0_inv
	ds_read_b64 v[2:3], v1
	s_mov_b32 s1, exec_lo
	s_waitcnt lgkmcnt(0)
	buffer_store_dword v2, off, s[12:15], 0 offset:128 ; 4-byte Folded Spill
	buffer_store_dword v3, off, s[12:15], 0 offset:132 ; 4-byte Folded Spill
	v_cmpx_lt_u32_e32 13, v0
	s_cbranch_execz .LBB101_71
; %bb.70:
	s_clause 0x1
	buffer_load_dword v2, off, s[12:15], 0 offset:128
	buffer_load_dword v3, off, s[12:15], 0 offset:132
	ds_read2_b64 v[4:7], v246 offset0:14 offset1:15
	s_waitcnt vmcnt(0)
	v_mul_f64 v[174:175], v[2:3], v[174:175]
	s_waitcnt lgkmcnt(0)
	v_fma_f64 v[192:193], -v[174:175], v[4:5], v[192:193]
	v_fma_f64 v[172:173], -v[174:175], v[6:7], v[172:173]
	ds_read2_b64 v[4:7], v246 offset0:16 offset1:17
	s_waitcnt lgkmcnt(0)
	v_fma_f64 v[190:191], -v[174:175], v[4:5], v[190:191]
	v_fma_f64 v[170:171], -v[174:175], v[6:7], v[170:171]
	ds_read2_b64 v[4:7], v246 offset0:18 offset1:19
	;; [unrolled: 4-line block ×17, first 2 shown]
	s_waitcnt lgkmcnt(0)
	v_fma_f64 v[138:139], -v[174:175], v[4:5], v[138:139]
	ds_read_b64 v[4:5], v246 offset:400
	v_fma_f64 v[106:107], -v[174:175], v[6:7], v[106:107]
	s_waitcnt lgkmcnt(0)
	v_fma_f64 v[206:207], -v[174:175], v[4:5], v[206:207]
.LBB101_71:
	s_or_b32 exec_lo, exec_lo, s1
	s_mov_b32 s1, exec_lo
	s_waitcnt_vscnt null, 0x0
	s_barrier
	buffer_gl0_inv
	v_cmpx_eq_u32_e32 14, v0
	s_cbranch_execz .LBB101_74
; %bb.72:
	ds_write_b64 v1, v[192:193]
	ds_write2_b64 v246, v[172:173], v[190:191] offset0:15 offset1:16
	ds_write2_b64 v246, v[170:171], v[188:189] offset0:17 offset1:18
	;; [unrolled: 1-line block ×18, first 2 shown]
	ds_read_b64 v[4:5], v1
	s_waitcnt lgkmcnt(0)
	v_cmp_neq_f64_e32 vcc_lo, 0, v[4:5]
	s_and_b32 exec_lo, exec_lo, vcc_lo
	s_cbranch_execz .LBB101_74
; %bb.73:
	v_div_scale_f64 v[6:7], null, v[4:5], v[4:5], 1.0
	v_rcp_f64_e32 v[8:9], v[6:7]
	v_fma_f64 v[10:11], -v[6:7], v[8:9], 1.0
	v_fma_f64 v[8:9], v[8:9], v[10:11], v[8:9]
	v_fma_f64 v[10:11], -v[6:7], v[8:9], 1.0
	v_fma_f64 v[8:9], v[8:9], v[10:11], v[8:9]
	v_div_scale_f64 v[10:11], vcc_lo, 1.0, v[4:5], 1.0
	v_mul_f64 v[12:13], v[10:11], v[8:9]
	v_fma_f64 v[6:7], -v[6:7], v[12:13], v[10:11]
	v_div_fmas_f64 v[6:7], v[6:7], v[8:9], v[12:13]
	v_div_fixup_f64 v[4:5], v[6:7], v[4:5], 1.0
	ds_write_b64 v1, v[4:5]
.LBB101_74:
	s_or_b32 exec_lo, exec_lo, s1
	s_waitcnt lgkmcnt(0)
	s_barrier
	buffer_gl0_inv
	ds_read_b64 v[2:3], v1
	s_mov_b32 s1, exec_lo
	s_waitcnt lgkmcnt(0)
	buffer_store_dword v2, off, s[12:15], 0 offset:136 ; 4-byte Folded Spill
	buffer_store_dword v3, off, s[12:15], 0 offset:140 ; 4-byte Folded Spill
	v_cmpx_lt_u32_e32 14, v0
	s_cbranch_execz .LBB101_76
; %bb.75:
	s_clause 0x1
	buffer_load_dword v2, off, s[12:15], 0 offset:136
	buffer_load_dword v3, off, s[12:15], 0 offset:140
	ds_read2_b64 v[4:7], v246 offset0:15 offset1:16
	s_waitcnt vmcnt(0)
	v_mul_f64 v[192:193], v[2:3], v[192:193]
	s_waitcnt lgkmcnt(0)
	v_fma_f64 v[172:173], -v[192:193], v[4:5], v[172:173]
	v_fma_f64 v[190:191], -v[192:193], v[6:7], v[190:191]
	ds_read2_b64 v[4:7], v246 offset0:17 offset1:18
	s_waitcnt lgkmcnt(0)
	v_fma_f64 v[170:171], -v[192:193], v[4:5], v[170:171]
	v_fma_f64 v[188:189], -v[192:193], v[6:7], v[188:189]
	ds_read2_b64 v[4:7], v246 offset0:19 offset1:20
	;; [unrolled: 4-line block ×17, first 2 shown]
	s_waitcnt lgkmcnt(0)
	v_fma_f64 v[106:107], -v[192:193], v[4:5], v[106:107]
	v_fma_f64 v[206:207], -v[192:193], v[6:7], v[206:207]
.LBB101_76:
	s_or_b32 exec_lo, exec_lo, s1
	s_mov_b32 s1, exec_lo
	s_waitcnt_vscnt null, 0x0
	s_barrier
	buffer_gl0_inv
	v_cmpx_eq_u32_e32 15, v0
	s_cbranch_execz .LBB101_79
; %bb.77:
	v_mov_b32_e32 v4, v190
	v_mov_b32_e32 v5, v191
	;; [unrolled: 1-line block ×4, first 2 shown]
	ds_write_b64 v1, v[172:173]
	ds_write2_b64 v246, v[4:5], v[6:7] offset0:16 offset1:17
	v_mov_b32_e32 v4, v188
	v_mov_b32_e32 v5, v189
	v_mov_b32_e32 v6, v136
	v_mov_b32_e32 v7, v137
	ds_write2_b64 v246, v[4:5], v[6:7] offset0:18 offset1:19
	v_mov_b32_e32 v4, v166
	v_mov_b32_e32 v5, v167
	v_mov_b32_e32 v6, v134
	v_mov_b32_e32 v7, v135
	;; [unrolled: 5-line block ×16, first 2 shown]
	ds_write2_b64 v246, v[4:5], v[6:7] offset0:48 offset1:49
	ds_write_b64 v246, v[206:207] offset:400
	ds_read_b64 v[4:5], v1
	s_waitcnt lgkmcnt(0)
	v_cmp_neq_f64_e32 vcc_lo, 0, v[4:5]
	s_and_b32 exec_lo, exec_lo, vcc_lo
	s_cbranch_execz .LBB101_79
; %bb.78:
	v_div_scale_f64 v[6:7], null, v[4:5], v[4:5], 1.0
	v_rcp_f64_e32 v[8:9], v[6:7]
	v_fma_f64 v[10:11], -v[6:7], v[8:9], 1.0
	v_fma_f64 v[8:9], v[8:9], v[10:11], v[8:9]
	v_fma_f64 v[10:11], -v[6:7], v[8:9], 1.0
	v_fma_f64 v[8:9], v[8:9], v[10:11], v[8:9]
	v_div_scale_f64 v[10:11], vcc_lo, 1.0, v[4:5], 1.0
	v_mul_f64 v[12:13], v[10:11], v[8:9]
	v_fma_f64 v[6:7], -v[6:7], v[12:13], v[10:11]
	v_div_fmas_f64 v[6:7], v[6:7], v[8:9], v[12:13]
	v_div_fixup_f64 v[4:5], v[6:7], v[4:5], 1.0
	ds_write_b64 v1, v[4:5]
.LBB101_79:
	s_or_b32 exec_lo, exec_lo, s1
	s_waitcnt lgkmcnt(0)
	s_barrier
	buffer_gl0_inv
	ds_read_b64 v[2:3], v1
	s_mov_b32 s1, exec_lo
	s_waitcnt lgkmcnt(0)
	buffer_store_dword v2, off, s[12:15], 0 offset:144 ; 4-byte Folded Spill
	buffer_store_dword v3, off, s[12:15], 0 offset:148 ; 4-byte Folded Spill
	v_cmpx_lt_u32_e32 15, v0
	s_cbranch_execz .LBB101_81
; %bb.80:
	s_clause 0x1
	buffer_load_dword v2, off, s[12:15], 0 offset:144
	buffer_load_dword v3, off, s[12:15], 0 offset:148
	ds_read2_b64 v[4:7], v246 offset0:16 offset1:17
	s_waitcnt vmcnt(0)
	v_mul_f64 v[172:173], v[2:3], v[172:173]
	s_waitcnt lgkmcnt(0)
	v_fma_f64 v[190:191], -v[172:173], v[4:5], v[190:191]
	v_fma_f64 v[170:171], -v[172:173], v[6:7], v[170:171]
	ds_read2_b64 v[4:7], v246 offset0:18 offset1:19
	s_waitcnt lgkmcnt(0)
	v_fma_f64 v[188:189], -v[172:173], v[4:5], v[188:189]
	v_fma_f64 v[136:137], -v[172:173], v[6:7], v[136:137]
	ds_read2_b64 v[4:7], v246 offset0:20 offset1:21
	s_waitcnt lgkmcnt(0)
	v_fma_f64 v[166:167], -v[172:173], v[4:5], v[166:167]
	v_fma_f64 v[134:135], -v[172:173], v[6:7], v[134:135]
	ds_read2_b64 v[4:7], v246 offset0:22 offset1:23
	s_waitcnt lgkmcnt(0)
	v_fma_f64 v[164:165], -v[172:173], v[4:5], v[164:165]
	v_fma_f64 v[132:133], -v[172:173], v[6:7], v[132:133]
	ds_read2_b64 v[4:7], v246 offset0:24 offset1:25
	s_waitcnt lgkmcnt(0)
	v_fma_f64 v[162:163], -v[172:173], v[4:5], v[162:163]
	v_fma_f64 v[130:131], -v[172:173], v[6:7], v[130:131]
	ds_read2_b64 v[4:7], v246 offset0:26 offset1:27
	s_waitcnt lgkmcnt(0)
	v_fma_f64 v[160:161], -v[172:173], v[4:5], v[160:161]
	v_fma_f64 v[128:129], -v[172:173], v[6:7], v[128:129]
	ds_read2_b64 v[4:7], v246 offset0:28 offset1:29
	s_waitcnt lgkmcnt(0)
	v_fma_f64 v[158:159], -v[172:173], v[4:5], v[158:159]
	v_fma_f64 v[126:127], -v[172:173], v[6:7], v[126:127]
	ds_read2_b64 v[4:7], v246 offset0:30 offset1:31
	s_waitcnt lgkmcnt(0)
	v_fma_f64 v[156:157], -v[172:173], v[4:5], v[156:157]
	v_fma_f64 v[124:125], -v[172:173], v[6:7], v[124:125]
	ds_read2_b64 v[4:7], v246 offset0:32 offset1:33
	s_waitcnt lgkmcnt(0)
	v_fma_f64 v[154:155], -v[172:173], v[4:5], v[154:155]
	v_fma_f64 v[122:123], -v[172:173], v[6:7], v[122:123]
	ds_read2_b64 v[4:7], v246 offset0:34 offset1:35
	s_waitcnt lgkmcnt(0)
	v_fma_f64 v[152:153], -v[172:173], v[4:5], v[152:153]
	v_fma_f64 v[120:121], -v[172:173], v[6:7], v[120:121]
	ds_read2_b64 v[4:7], v246 offset0:36 offset1:37
	s_waitcnt lgkmcnt(0)
	v_fma_f64 v[150:151], -v[172:173], v[4:5], v[150:151]
	v_fma_f64 v[118:119], -v[172:173], v[6:7], v[118:119]
	ds_read2_b64 v[4:7], v246 offset0:38 offset1:39
	s_waitcnt lgkmcnt(0)
	v_fma_f64 v[148:149], -v[172:173], v[4:5], v[148:149]
	v_fma_f64 v[116:117], -v[172:173], v[6:7], v[116:117]
	ds_read2_b64 v[4:7], v246 offset0:40 offset1:41
	s_waitcnt lgkmcnt(0)
	v_fma_f64 v[146:147], -v[172:173], v[4:5], v[146:147]
	v_fma_f64 v[114:115], -v[172:173], v[6:7], v[114:115]
	ds_read2_b64 v[4:7], v246 offset0:42 offset1:43
	s_waitcnt lgkmcnt(0)
	v_fma_f64 v[144:145], -v[172:173], v[4:5], v[144:145]
	v_fma_f64 v[112:113], -v[172:173], v[6:7], v[112:113]
	ds_read2_b64 v[4:7], v246 offset0:44 offset1:45
	s_waitcnt lgkmcnt(0)
	v_fma_f64 v[142:143], -v[172:173], v[4:5], v[142:143]
	v_fma_f64 v[110:111], -v[172:173], v[6:7], v[110:111]
	ds_read2_b64 v[4:7], v246 offset0:46 offset1:47
	s_waitcnt lgkmcnt(0)
	v_fma_f64 v[140:141], -v[172:173], v[4:5], v[140:141]
	v_fma_f64 v[108:109], -v[172:173], v[6:7], v[108:109]
	ds_read2_b64 v[4:7], v246 offset0:48 offset1:49
	s_waitcnt lgkmcnt(0)
	v_fma_f64 v[138:139], -v[172:173], v[4:5], v[138:139]
	ds_read_b64 v[4:5], v246 offset:400
	v_fma_f64 v[106:107], -v[172:173], v[6:7], v[106:107]
	s_waitcnt lgkmcnt(0)
	v_fma_f64 v[206:207], -v[172:173], v[4:5], v[206:207]
.LBB101_81:
	s_or_b32 exec_lo, exec_lo, s1
	s_mov_b32 s1, exec_lo
	s_waitcnt_vscnt null, 0x0
	s_barrier
	buffer_gl0_inv
	v_cmpx_eq_u32_e32 16, v0
	s_cbranch_execz .LBB101_84
; %bb.82:
	ds_write_b64 v1, v[190:191]
	ds_write2_b64 v246, v[170:171], v[188:189] offset0:17 offset1:18
	ds_write2_b64 v246, v[136:137], v[166:167] offset0:19 offset1:20
	;; [unrolled: 1-line block ×17, first 2 shown]
	ds_read_b64 v[4:5], v1
	s_waitcnt lgkmcnt(0)
	v_cmp_neq_f64_e32 vcc_lo, 0, v[4:5]
	s_and_b32 exec_lo, exec_lo, vcc_lo
	s_cbranch_execz .LBB101_84
; %bb.83:
	v_div_scale_f64 v[6:7], null, v[4:5], v[4:5], 1.0
	v_rcp_f64_e32 v[8:9], v[6:7]
	v_fma_f64 v[10:11], -v[6:7], v[8:9], 1.0
	v_fma_f64 v[8:9], v[8:9], v[10:11], v[8:9]
	v_fma_f64 v[10:11], -v[6:7], v[8:9], 1.0
	v_fma_f64 v[8:9], v[8:9], v[10:11], v[8:9]
	v_div_scale_f64 v[10:11], vcc_lo, 1.0, v[4:5], 1.0
	v_mul_f64 v[12:13], v[10:11], v[8:9]
	v_fma_f64 v[6:7], -v[6:7], v[12:13], v[10:11]
	v_div_fmas_f64 v[6:7], v[6:7], v[8:9], v[12:13]
	v_div_fixup_f64 v[4:5], v[6:7], v[4:5], 1.0
	ds_write_b64 v1, v[4:5]
.LBB101_84:
	s_or_b32 exec_lo, exec_lo, s1
	s_waitcnt lgkmcnt(0)
	s_barrier
	buffer_gl0_inv
	ds_read_b64 v[2:3], v1
	s_mov_b32 s1, exec_lo
	s_waitcnt lgkmcnt(0)
	buffer_store_dword v2, off, s[12:15], 0 offset:152 ; 4-byte Folded Spill
	buffer_store_dword v3, off, s[12:15], 0 offset:156 ; 4-byte Folded Spill
	v_cmpx_lt_u32_e32 16, v0
	s_cbranch_execz .LBB101_86
; %bb.85:
	s_clause 0x1
	buffer_load_dword v2, off, s[12:15], 0 offset:152
	buffer_load_dword v3, off, s[12:15], 0 offset:156
	ds_read2_b64 v[4:7], v246 offset0:17 offset1:18
	s_waitcnt vmcnt(0)
	v_mul_f64 v[190:191], v[2:3], v[190:191]
	s_waitcnt lgkmcnt(0)
	v_fma_f64 v[170:171], -v[190:191], v[4:5], v[170:171]
	v_fma_f64 v[188:189], -v[190:191], v[6:7], v[188:189]
	ds_read2_b64 v[4:7], v246 offset0:19 offset1:20
	s_waitcnt lgkmcnt(0)
	v_fma_f64 v[136:137], -v[190:191], v[4:5], v[136:137]
	v_fma_f64 v[166:167], -v[190:191], v[6:7], v[166:167]
	ds_read2_b64 v[4:7], v246 offset0:21 offset1:22
	;; [unrolled: 4-line block ×16, first 2 shown]
	s_waitcnt lgkmcnt(0)
	v_fma_f64 v[106:107], -v[190:191], v[4:5], v[106:107]
	v_fma_f64 v[206:207], -v[190:191], v[6:7], v[206:207]
.LBB101_86:
	s_or_b32 exec_lo, exec_lo, s1
	s_mov_b32 s1, exec_lo
	s_waitcnt_vscnt null, 0x0
	s_barrier
	buffer_gl0_inv
	v_cmpx_eq_u32_e32 17, v0
	s_cbranch_execz .LBB101_89
; %bb.87:
	v_mov_b32_e32 v4, v188
	v_mov_b32_e32 v5, v189
	;; [unrolled: 1-line block ×4, first 2 shown]
	ds_write_b64 v1, v[170:171]
	ds_write2_b64 v246, v[4:5], v[6:7] offset0:18 offset1:19
	v_mov_b32_e32 v4, v166
	v_mov_b32_e32 v5, v167
	v_mov_b32_e32 v6, v134
	v_mov_b32_e32 v7, v135
	ds_write2_b64 v246, v[4:5], v[6:7] offset0:20 offset1:21
	v_mov_b32_e32 v4, v164
	v_mov_b32_e32 v5, v165
	v_mov_b32_e32 v6, v132
	v_mov_b32_e32 v7, v133
	;; [unrolled: 5-line block ×15, first 2 shown]
	ds_write2_b64 v246, v[4:5], v[6:7] offset0:48 offset1:49
	ds_write_b64 v246, v[206:207] offset:400
	ds_read_b64 v[4:5], v1
	s_waitcnt lgkmcnt(0)
	v_cmp_neq_f64_e32 vcc_lo, 0, v[4:5]
	s_and_b32 exec_lo, exec_lo, vcc_lo
	s_cbranch_execz .LBB101_89
; %bb.88:
	v_div_scale_f64 v[6:7], null, v[4:5], v[4:5], 1.0
	v_rcp_f64_e32 v[8:9], v[6:7]
	v_fma_f64 v[10:11], -v[6:7], v[8:9], 1.0
	v_fma_f64 v[8:9], v[8:9], v[10:11], v[8:9]
	v_fma_f64 v[10:11], -v[6:7], v[8:9], 1.0
	v_fma_f64 v[8:9], v[8:9], v[10:11], v[8:9]
	v_div_scale_f64 v[10:11], vcc_lo, 1.0, v[4:5], 1.0
	v_mul_f64 v[12:13], v[10:11], v[8:9]
	v_fma_f64 v[6:7], -v[6:7], v[12:13], v[10:11]
	v_div_fmas_f64 v[6:7], v[6:7], v[8:9], v[12:13]
	v_div_fixup_f64 v[4:5], v[6:7], v[4:5], 1.0
	ds_write_b64 v1, v[4:5]
.LBB101_89:
	s_or_b32 exec_lo, exec_lo, s1
	s_waitcnt lgkmcnt(0)
	s_barrier
	buffer_gl0_inv
	ds_read_b64 v[2:3], v1
	s_mov_b32 s1, exec_lo
	s_waitcnt lgkmcnt(0)
	buffer_store_dword v2, off, s[12:15], 0 offset:160 ; 4-byte Folded Spill
	buffer_store_dword v3, off, s[12:15], 0 offset:164 ; 4-byte Folded Spill
	v_cmpx_lt_u32_e32 17, v0
	s_cbranch_execz .LBB101_91
; %bb.90:
	s_clause 0x1
	buffer_load_dword v2, off, s[12:15], 0 offset:160
	buffer_load_dword v3, off, s[12:15], 0 offset:164
	ds_read2_b64 v[4:7], v246 offset0:18 offset1:19
	s_waitcnt vmcnt(0)
	v_mul_f64 v[170:171], v[2:3], v[170:171]
	s_waitcnt lgkmcnt(0)
	v_fma_f64 v[188:189], -v[170:171], v[4:5], v[188:189]
	v_fma_f64 v[136:137], -v[170:171], v[6:7], v[136:137]
	ds_read2_b64 v[4:7], v246 offset0:20 offset1:21
	s_waitcnt lgkmcnt(0)
	v_fma_f64 v[166:167], -v[170:171], v[4:5], v[166:167]
	v_fma_f64 v[134:135], -v[170:171], v[6:7], v[134:135]
	ds_read2_b64 v[4:7], v246 offset0:22 offset1:23
	;; [unrolled: 4-line block ×15, first 2 shown]
	s_waitcnt lgkmcnt(0)
	v_fma_f64 v[138:139], -v[170:171], v[4:5], v[138:139]
	ds_read_b64 v[4:5], v246 offset:400
	v_fma_f64 v[106:107], -v[170:171], v[6:7], v[106:107]
	s_waitcnt lgkmcnt(0)
	v_fma_f64 v[206:207], -v[170:171], v[4:5], v[206:207]
.LBB101_91:
	s_or_b32 exec_lo, exec_lo, s1
	s_mov_b32 s1, exec_lo
	s_waitcnt_vscnt null, 0x0
	s_barrier
	buffer_gl0_inv
	v_cmpx_eq_u32_e32 18, v0
	s_cbranch_execz .LBB101_94
; %bb.92:
	ds_write_b64 v1, v[188:189]
	ds_write2_b64 v246, v[136:137], v[166:167] offset0:19 offset1:20
	ds_write2_b64 v246, v[134:135], v[164:165] offset0:21 offset1:22
	;; [unrolled: 1-line block ×16, first 2 shown]
	ds_read_b64 v[4:5], v1
	s_waitcnt lgkmcnt(0)
	v_cmp_neq_f64_e32 vcc_lo, 0, v[4:5]
	s_and_b32 exec_lo, exec_lo, vcc_lo
	s_cbranch_execz .LBB101_94
; %bb.93:
	v_div_scale_f64 v[6:7], null, v[4:5], v[4:5], 1.0
	v_rcp_f64_e32 v[8:9], v[6:7]
	v_fma_f64 v[10:11], -v[6:7], v[8:9], 1.0
	v_fma_f64 v[8:9], v[8:9], v[10:11], v[8:9]
	v_fma_f64 v[10:11], -v[6:7], v[8:9], 1.0
	v_fma_f64 v[8:9], v[8:9], v[10:11], v[8:9]
	v_div_scale_f64 v[10:11], vcc_lo, 1.0, v[4:5], 1.0
	v_mul_f64 v[12:13], v[10:11], v[8:9]
	v_fma_f64 v[6:7], -v[6:7], v[12:13], v[10:11]
	v_div_fmas_f64 v[6:7], v[6:7], v[8:9], v[12:13]
	v_div_fixup_f64 v[4:5], v[6:7], v[4:5], 1.0
	ds_write_b64 v1, v[4:5]
.LBB101_94:
	s_or_b32 exec_lo, exec_lo, s1
	s_waitcnt lgkmcnt(0)
	s_barrier
	buffer_gl0_inv
	ds_read_b64 v[2:3], v1
	s_mov_b32 s1, exec_lo
	s_waitcnt lgkmcnt(0)
	buffer_store_dword v2, off, s[12:15], 0 offset:168 ; 4-byte Folded Spill
	buffer_store_dword v3, off, s[12:15], 0 offset:172 ; 4-byte Folded Spill
	v_cmpx_lt_u32_e32 18, v0
	s_cbranch_execz .LBB101_96
; %bb.95:
	s_clause 0x1
	buffer_load_dword v2, off, s[12:15], 0 offset:168
	buffer_load_dword v3, off, s[12:15], 0 offset:172
	ds_read2_b64 v[4:7], v246 offset0:19 offset1:20
	s_waitcnt vmcnt(0)
	v_mul_f64 v[188:189], v[2:3], v[188:189]
	s_waitcnt lgkmcnt(0)
	v_fma_f64 v[136:137], -v[188:189], v[4:5], v[136:137]
	v_fma_f64 v[166:167], -v[188:189], v[6:7], v[166:167]
	ds_read2_b64 v[4:7], v246 offset0:21 offset1:22
	s_waitcnt lgkmcnt(0)
	v_fma_f64 v[134:135], -v[188:189], v[4:5], v[134:135]
	v_fma_f64 v[164:165], -v[188:189], v[6:7], v[164:165]
	ds_read2_b64 v[4:7], v246 offset0:23 offset1:24
	;; [unrolled: 4-line block ×15, first 2 shown]
	s_waitcnt lgkmcnt(0)
	v_fma_f64 v[106:107], -v[188:189], v[4:5], v[106:107]
	v_fma_f64 v[206:207], -v[188:189], v[6:7], v[206:207]
.LBB101_96:
	s_or_b32 exec_lo, exec_lo, s1
	s_mov_b32 s1, exec_lo
	s_waitcnt_vscnt null, 0x0
	s_barrier
	buffer_gl0_inv
	v_cmpx_eq_u32_e32 19, v0
	s_cbranch_execz .LBB101_99
; %bb.97:
	v_mov_b32_e32 v4, v166
	v_mov_b32_e32 v5, v167
	;; [unrolled: 1-line block ×4, first 2 shown]
	ds_write_b64 v1, v[136:137]
	ds_write2_b64 v246, v[4:5], v[6:7] offset0:20 offset1:21
	v_mov_b32_e32 v4, v164
	v_mov_b32_e32 v5, v165
	v_mov_b32_e32 v6, v132
	v_mov_b32_e32 v7, v133
	ds_write2_b64 v246, v[4:5], v[6:7] offset0:22 offset1:23
	v_mov_b32_e32 v4, v162
	v_mov_b32_e32 v5, v163
	v_mov_b32_e32 v6, v130
	v_mov_b32_e32 v7, v131
	;; [unrolled: 5-line block ×14, first 2 shown]
	ds_write2_b64 v246, v[4:5], v[6:7] offset0:48 offset1:49
	ds_write_b64 v246, v[206:207] offset:400
	ds_read_b64 v[4:5], v1
	s_waitcnt lgkmcnt(0)
	v_cmp_neq_f64_e32 vcc_lo, 0, v[4:5]
	s_and_b32 exec_lo, exec_lo, vcc_lo
	s_cbranch_execz .LBB101_99
; %bb.98:
	v_div_scale_f64 v[6:7], null, v[4:5], v[4:5], 1.0
	v_rcp_f64_e32 v[8:9], v[6:7]
	v_fma_f64 v[10:11], -v[6:7], v[8:9], 1.0
	v_fma_f64 v[8:9], v[8:9], v[10:11], v[8:9]
	v_fma_f64 v[10:11], -v[6:7], v[8:9], 1.0
	v_fma_f64 v[8:9], v[8:9], v[10:11], v[8:9]
	v_div_scale_f64 v[10:11], vcc_lo, 1.0, v[4:5], 1.0
	v_mul_f64 v[12:13], v[10:11], v[8:9]
	v_fma_f64 v[6:7], -v[6:7], v[12:13], v[10:11]
	v_div_fmas_f64 v[6:7], v[6:7], v[8:9], v[12:13]
	v_div_fixup_f64 v[4:5], v[6:7], v[4:5], 1.0
	ds_write_b64 v1, v[4:5]
.LBB101_99:
	s_or_b32 exec_lo, exec_lo, s1
	s_waitcnt lgkmcnt(0)
	s_barrier
	buffer_gl0_inv
	ds_read_b64 v[2:3], v1
	s_mov_b32 s1, exec_lo
	s_waitcnt lgkmcnt(0)
	buffer_store_dword v2, off, s[12:15], 0 offset:176 ; 4-byte Folded Spill
	buffer_store_dword v3, off, s[12:15], 0 offset:180 ; 4-byte Folded Spill
	v_cmpx_lt_u32_e32 19, v0
	s_cbranch_execz .LBB101_101
; %bb.100:
	s_clause 0x1
	buffer_load_dword v2, off, s[12:15], 0 offset:176
	buffer_load_dword v3, off, s[12:15], 0 offset:180
	ds_read2_b64 v[4:7], v246 offset0:20 offset1:21
	s_waitcnt vmcnt(0)
	v_mul_f64 v[136:137], v[2:3], v[136:137]
	s_waitcnt lgkmcnt(0)
	v_fma_f64 v[166:167], -v[136:137], v[4:5], v[166:167]
	v_fma_f64 v[134:135], -v[136:137], v[6:7], v[134:135]
	ds_read2_b64 v[4:7], v246 offset0:22 offset1:23
	s_waitcnt lgkmcnt(0)
	v_fma_f64 v[164:165], -v[136:137], v[4:5], v[164:165]
	v_fma_f64 v[132:133], -v[136:137], v[6:7], v[132:133]
	ds_read2_b64 v[4:7], v246 offset0:24 offset1:25
	;; [unrolled: 4-line block ×14, first 2 shown]
	s_waitcnt lgkmcnt(0)
	v_fma_f64 v[138:139], -v[136:137], v[4:5], v[138:139]
	ds_read_b64 v[4:5], v246 offset:400
	v_fma_f64 v[106:107], -v[136:137], v[6:7], v[106:107]
	s_waitcnt lgkmcnt(0)
	v_fma_f64 v[206:207], -v[136:137], v[4:5], v[206:207]
.LBB101_101:
	s_or_b32 exec_lo, exec_lo, s1
	s_mov_b32 s1, exec_lo
	s_waitcnt_vscnt null, 0x0
	s_barrier
	buffer_gl0_inv
	v_cmpx_eq_u32_e32 20, v0
	s_cbranch_execz .LBB101_104
; %bb.102:
	ds_write_b64 v1, v[166:167]
	ds_write2_b64 v246, v[134:135], v[164:165] offset0:21 offset1:22
	ds_write2_b64 v246, v[132:133], v[162:163] offset0:23 offset1:24
	;; [unrolled: 1-line block ×15, first 2 shown]
	ds_read_b64 v[4:5], v1
	s_waitcnt lgkmcnt(0)
	v_cmp_neq_f64_e32 vcc_lo, 0, v[4:5]
	s_and_b32 exec_lo, exec_lo, vcc_lo
	s_cbranch_execz .LBB101_104
; %bb.103:
	v_div_scale_f64 v[6:7], null, v[4:5], v[4:5], 1.0
	v_rcp_f64_e32 v[8:9], v[6:7]
	v_fma_f64 v[10:11], -v[6:7], v[8:9], 1.0
	v_fma_f64 v[8:9], v[8:9], v[10:11], v[8:9]
	v_fma_f64 v[10:11], -v[6:7], v[8:9], 1.0
	v_fma_f64 v[8:9], v[8:9], v[10:11], v[8:9]
	v_div_scale_f64 v[10:11], vcc_lo, 1.0, v[4:5], 1.0
	v_mul_f64 v[12:13], v[10:11], v[8:9]
	v_fma_f64 v[6:7], -v[6:7], v[12:13], v[10:11]
	v_div_fmas_f64 v[6:7], v[6:7], v[8:9], v[12:13]
	v_div_fixup_f64 v[4:5], v[6:7], v[4:5], 1.0
	ds_write_b64 v1, v[4:5]
.LBB101_104:
	s_or_b32 exec_lo, exec_lo, s1
	s_waitcnt lgkmcnt(0)
	s_barrier
	buffer_gl0_inv
	ds_read_b64 v[2:3], v1
	s_mov_b32 s1, exec_lo
	s_waitcnt lgkmcnt(0)
	buffer_store_dword v2, off, s[12:15], 0 offset:208 ; 4-byte Folded Spill
	buffer_store_dword v3, off, s[12:15], 0 offset:212 ; 4-byte Folded Spill
	v_cmpx_lt_u32_e32 20, v0
	s_cbranch_execz .LBB101_106
; %bb.105:
	s_clause 0x1
	buffer_load_dword v2, off, s[12:15], 0 offset:208
	buffer_load_dword v3, off, s[12:15], 0 offset:212
	ds_read2_b64 v[4:7], v246 offset0:21 offset1:22
	s_waitcnt vmcnt(0)
	v_mul_f64 v[166:167], v[2:3], v[166:167]
	s_waitcnt lgkmcnt(0)
	v_fma_f64 v[134:135], -v[166:167], v[4:5], v[134:135]
	v_fma_f64 v[164:165], -v[166:167], v[6:7], v[164:165]
	ds_read2_b64 v[4:7], v246 offset0:23 offset1:24
	s_waitcnt lgkmcnt(0)
	v_fma_f64 v[132:133], -v[166:167], v[4:5], v[132:133]
	v_fma_f64 v[162:163], -v[166:167], v[6:7], v[162:163]
	ds_read2_b64 v[4:7], v246 offset0:25 offset1:26
	;; [unrolled: 4-line block ×14, first 2 shown]
	s_waitcnt lgkmcnt(0)
	v_fma_f64 v[106:107], -v[166:167], v[4:5], v[106:107]
	v_fma_f64 v[206:207], -v[166:167], v[6:7], v[206:207]
.LBB101_106:
	s_or_b32 exec_lo, exec_lo, s1
	s_mov_b32 s1, exec_lo
	s_waitcnt_vscnt null, 0x0
	s_barrier
	buffer_gl0_inv
	v_cmpx_eq_u32_e32 21, v0
	s_cbranch_execz .LBB101_109
; %bb.107:
	v_mov_b32_e32 v4, v164
	v_mov_b32_e32 v5, v165
	;; [unrolled: 1-line block ×4, first 2 shown]
	ds_write_b64 v1, v[134:135]
	ds_write2_b64 v246, v[4:5], v[6:7] offset0:22 offset1:23
	v_mov_b32_e32 v4, v162
	v_mov_b32_e32 v5, v163
	v_mov_b32_e32 v6, v130
	v_mov_b32_e32 v7, v131
	ds_write2_b64 v246, v[4:5], v[6:7] offset0:24 offset1:25
	v_mov_b32_e32 v4, v160
	v_mov_b32_e32 v5, v161
	v_mov_b32_e32 v6, v128
	v_mov_b32_e32 v7, v129
	;; [unrolled: 5-line block ×13, first 2 shown]
	ds_write2_b64 v246, v[4:5], v[6:7] offset0:48 offset1:49
	ds_write_b64 v246, v[206:207] offset:400
	ds_read_b64 v[4:5], v1
	s_waitcnt lgkmcnt(0)
	v_cmp_neq_f64_e32 vcc_lo, 0, v[4:5]
	s_and_b32 exec_lo, exec_lo, vcc_lo
	s_cbranch_execz .LBB101_109
; %bb.108:
	v_div_scale_f64 v[6:7], null, v[4:5], v[4:5], 1.0
	v_rcp_f64_e32 v[8:9], v[6:7]
	v_fma_f64 v[10:11], -v[6:7], v[8:9], 1.0
	v_fma_f64 v[8:9], v[8:9], v[10:11], v[8:9]
	v_fma_f64 v[10:11], -v[6:7], v[8:9], 1.0
	v_fma_f64 v[8:9], v[8:9], v[10:11], v[8:9]
	v_div_scale_f64 v[10:11], vcc_lo, 1.0, v[4:5], 1.0
	v_mul_f64 v[12:13], v[10:11], v[8:9]
	v_fma_f64 v[6:7], -v[6:7], v[12:13], v[10:11]
	v_div_fmas_f64 v[6:7], v[6:7], v[8:9], v[12:13]
	v_div_fixup_f64 v[4:5], v[6:7], v[4:5], 1.0
	ds_write_b64 v1, v[4:5]
.LBB101_109:
	s_or_b32 exec_lo, exec_lo, s1
	s_waitcnt lgkmcnt(0)
	s_barrier
	buffer_gl0_inv
	ds_read_b64 v[2:3], v1
	s_mov_b32 s1, exec_lo
	s_waitcnt lgkmcnt(0)
	buffer_store_dword v2, off, s[12:15], 0 offset:216 ; 4-byte Folded Spill
	buffer_store_dword v3, off, s[12:15], 0 offset:220 ; 4-byte Folded Spill
	v_cmpx_lt_u32_e32 21, v0
	s_cbranch_execz .LBB101_111
; %bb.110:
	s_clause 0x1
	buffer_load_dword v2, off, s[12:15], 0 offset:216
	buffer_load_dword v3, off, s[12:15], 0 offset:220
	ds_read2_b64 v[4:7], v246 offset0:22 offset1:23
	s_waitcnt vmcnt(0)
	v_mul_f64 v[134:135], v[2:3], v[134:135]
	s_waitcnt lgkmcnt(0)
	v_fma_f64 v[164:165], -v[134:135], v[4:5], v[164:165]
	v_fma_f64 v[132:133], -v[134:135], v[6:7], v[132:133]
	ds_read2_b64 v[4:7], v246 offset0:24 offset1:25
	s_waitcnt lgkmcnt(0)
	v_fma_f64 v[162:163], -v[134:135], v[4:5], v[162:163]
	v_fma_f64 v[130:131], -v[134:135], v[6:7], v[130:131]
	ds_read2_b64 v[4:7], v246 offset0:26 offset1:27
	;; [unrolled: 4-line block ×13, first 2 shown]
	s_waitcnt lgkmcnt(0)
	v_fma_f64 v[138:139], -v[134:135], v[4:5], v[138:139]
	ds_read_b64 v[4:5], v246 offset:400
	v_fma_f64 v[106:107], -v[134:135], v[6:7], v[106:107]
	s_waitcnt lgkmcnt(0)
	v_fma_f64 v[206:207], -v[134:135], v[4:5], v[206:207]
.LBB101_111:
	s_or_b32 exec_lo, exec_lo, s1
	s_mov_b32 s1, exec_lo
	s_waitcnt_vscnt null, 0x0
	s_barrier
	buffer_gl0_inv
	v_cmpx_eq_u32_e32 22, v0
	s_cbranch_execz .LBB101_114
; %bb.112:
	ds_write_b64 v1, v[164:165]
	ds_write2_b64 v246, v[132:133], v[162:163] offset0:23 offset1:24
	ds_write2_b64 v246, v[130:131], v[160:161] offset0:25 offset1:26
	;; [unrolled: 1-line block ×14, first 2 shown]
	ds_read_b64 v[4:5], v1
	s_waitcnt lgkmcnt(0)
	v_cmp_neq_f64_e32 vcc_lo, 0, v[4:5]
	s_and_b32 exec_lo, exec_lo, vcc_lo
	s_cbranch_execz .LBB101_114
; %bb.113:
	v_div_scale_f64 v[6:7], null, v[4:5], v[4:5], 1.0
	v_rcp_f64_e32 v[8:9], v[6:7]
	v_fma_f64 v[10:11], -v[6:7], v[8:9], 1.0
	v_fma_f64 v[8:9], v[8:9], v[10:11], v[8:9]
	v_fma_f64 v[10:11], -v[6:7], v[8:9], 1.0
	v_fma_f64 v[8:9], v[8:9], v[10:11], v[8:9]
	v_div_scale_f64 v[10:11], vcc_lo, 1.0, v[4:5], 1.0
	v_mul_f64 v[12:13], v[10:11], v[8:9]
	v_fma_f64 v[6:7], -v[6:7], v[12:13], v[10:11]
	v_div_fmas_f64 v[6:7], v[6:7], v[8:9], v[12:13]
	v_div_fixup_f64 v[4:5], v[6:7], v[4:5], 1.0
	ds_write_b64 v1, v[4:5]
.LBB101_114:
	s_or_b32 exec_lo, exec_lo, s1
	s_waitcnt lgkmcnt(0)
	s_barrier
	buffer_gl0_inv
	ds_read_b64 v[2:3], v1
	s_mov_b32 s1, exec_lo
	s_waitcnt lgkmcnt(0)
	buffer_store_dword v2, off, s[12:15], 0 offset:224 ; 4-byte Folded Spill
	buffer_store_dword v3, off, s[12:15], 0 offset:228 ; 4-byte Folded Spill
	v_cmpx_lt_u32_e32 22, v0
	s_cbranch_execz .LBB101_116
; %bb.115:
	s_clause 0x1
	buffer_load_dword v2, off, s[12:15], 0 offset:224
	buffer_load_dword v3, off, s[12:15], 0 offset:228
	ds_read2_b64 v[4:7], v246 offset0:23 offset1:24
	s_waitcnt vmcnt(0)
	v_mul_f64 v[164:165], v[2:3], v[164:165]
	s_waitcnt lgkmcnt(0)
	v_fma_f64 v[132:133], -v[164:165], v[4:5], v[132:133]
	v_fma_f64 v[162:163], -v[164:165], v[6:7], v[162:163]
	ds_read2_b64 v[4:7], v246 offset0:25 offset1:26
	s_waitcnt lgkmcnt(0)
	v_fma_f64 v[130:131], -v[164:165], v[4:5], v[130:131]
	v_fma_f64 v[160:161], -v[164:165], v[6:7], v[160:161]
	ds_read2_b64 v[4:7], v246 offset0:27 offset1:28
	;; [unrolled: 4-line block ×13, first 2 shown]
	s_waitcnt lgkmcnt(0)
	v_fma_f64 v[106:107], -v[164:165], v[4:5], v[106:107]
	v_fma_f64 v[206:207], -v[164:165], v[6:7], v[206:207]
.LBB101_116:
	s_or_b32 exec_lo, exec_lo, s1
	s_mov_b32 s1, exec_lo
	s_waitcnt_vscnt null, 0x0
	s_barrier
	buffer_gl0_inv
	v_cmpx_eq_u32_e32 23, v0
	s_cbranch_execz .LBB101_119
; %bb.117:
	v_mov_b32_e32 v4, v162
	v_mov_b32_e32 v5, v163
	;; [unrolled: 1-line block ×4, first 2 shown]
	ds_write_b64 v1, v[132:133]
	ds_write2_b64 v246, v[4:5], v[6:7] offset0:24 offset1:25
	v_mov_b32_e32 v4, v160
	v_mov_b32_e32 v5, v161
	v_mov_b32_e32 v6, v128
	v_mov_b32_e32 v7, v129
	ds_write2_b64 v246, v[4:5], v[6:7] offset0:26 offset1:27
	v_mov_b32_e32 v4, v158
	v_mov_b32_e32 v5, v159
	v_mov_b32_e32 v6, v126
	v_mov_b32_e32 v7, v127
	;; [unrolled: 5-line block ×12, first 2 shown]
	ds_write2_b64 v246, v[4:5], v[6:7] offset0:48 offset1:49
	ds_write_b64 v246, v[206:207] offset:400
	ds_read_b64 v[4:5], v1
	s_waitcnt lgkmcnt(0)
	v_cmp_neq_f64_e32 vcc_lo, 0, v[4:5]
	s_and_b32 exec_lo, exec_lo, vcc_lo
	s_cbranch_execz .LBB101_119
; %bb.118:
	v_div_scale_f64 v[6:7], null, v[4:5], v[4:5], 1.0
	v_rcp_f64_e32 v[8:9], v[6:7]
	v_fma_f64 v[10:11], -v[6:7], v[8:9], 1.0
	v_fma_f64 v[8:9], v[8:9], v[10:11], v[8:9]
	v_fma_f64 v[10:11], -v[6:7], v[8:9], 1.0
	v_fma_f64 v[8:9], v[8:9], v[10:11], v[8:9]
	v_div_scale_f64 v[10:11], vcc_lo, 1.0, v[4:5], 1.0
	v_mul_f64 v[12:13], v[10:11], v[8:9]
	v_fma_f64 v[6:7], -v[6:7], v[12:13], v[10:11]
	v_div_fmas_f64 v[6:7], v[6:7], v[8:9], v[12:13]
	v_div_fixup_f64 v[4:5], v[6:7], v[4:5], 1.0
	ds_write_b64 v1, v[4:5]
.LBB101_119:
	s_or_b32 exec_lo, exec_lo, s1
	s_waitcnt lgkmcnt(0)
	s_barrier
	buffer_gl0_inv
	ds_read_b64 v[2:3], v1
	s_mov_b32 s1, exec_lo
	s_waitcnt lgkmcnt(0)
	buffer_store_dword v2, off, s[12:15], 0 offset:232 ; 4-byte Folded Spill
	buffer_store_dword v3, off, s[12:15], 0 offset:236 ; 4-byte Folded Spill
	v_cmpx_lt_u32_e32 23, v0
	s_cbranch_execz .LBB101_121
; %bb.120:
	s_clause 0x1
	buffer_load_dword v2, off, s[12:15], 0 offset:232
	buffer_load_dword v3, off, s[12:15], 0 offset:236
	ds_read2_b64 v[4:7], v246 offset0:24 offset1:25
	s_waitcnt vmcnt(0)
	v_mul_f64 v[132:133], v[2:3], v[132:133]
	s_waitcnt lgkmcnt(0)
	v_fma_f64 v[162:163], -v[132:133], v[4:5], v[162:163]
	v_fma_f64 v[130:131], -v[132:133], v[6:7], v[130:131]
	ds_read2_b64 v[4:7], v246 offset0:26 offset1:27
	s_waitcnt lgkmcnt(0)
	v_fma_f64 v[160:161], -v[132:133], v[4:5], v[160:161]
	v_fma_f64 v[128:129], -v[132:133], v[6:7], v[128:129]
	ds_read2_b64 v[4:7], v246 offset0:28 offset1:29
	;; [unrolled: 4-line block ×12, first 2 shown]
	s_waitcnt lgkmcnt(0)
	v_fma_f64 v[138:139], -v[132:133], v[4:5], v[138:139]
	ds_read_b64 v[4:5], v246 offset:400
	v_fma_f64 v[106:107], -v[132:133], v[6:7], v[106:107]
	s_waitcnt lgkmcnt(0)
	v_fma_f64 v[206:207], -v[132:133], v[4:5], v[206:207]
.LBB101_121:
	s_or_b32 exec_lo, exec_lo, s1
	s_mov_b32 s1, exec_lo
	s_waitcnt_vscnt null, 0x0
	s_barrier
	buffer_gl0_inv
	v_cmpx_eq_u32_e32 24, v0
	s_cbranch_execz .LBB101_124
; %bb.122:
	ds_write_b64 v1, v[162:163]
	ds_write2_b64 v246, v[130:131], v[160:161] offset0:25 offset1:26
	ds_write2_b64 v246, v[128:129], v[158:159] offset0:27 offset1:28
	;; [unrolled: 1-line block ×13, first 2 shown]
	ds_read_b64 v[4:5], v1
	s_waitcnt lgkmcnt(0)
	v_cmp_neq_f64_e32 vcc_lo, 0, v[4:5]
	s_and_b32 exec_lo, exec_lo, vcc_lo
	s_cbranch_execz .LBB101_124
; %bb.123:
	v_div_scale_f64 v[6:7], null, v[4:5], v[4:5], 1.0
	v_rcp_f64_e32 v[8:9], v[6:7]
	v_fma_f64 v[10:11], -v[6:7], v[8:9], 1.0
	v_fma_f64 v[8:9], v[8:9], v[10:11], v[8:9]
	v_fma_f64 v[10:11], -v[6:7], v[8:9], 1.0
	v_fma_f64 v[8:9], v[8:9], v[10:11], v[8:9]
	v_div_scale_f64 v[10:11], vcc_lo, 1.0, v[4:5], 1.0
	v_mul_f64 v[12:13], v[10:11], v[8:9]
	v_fma_f64 v[6:7], -v[6:7], v[12:13], v[10:11]
	v_div_fmas_f64 v[6:7], v[6:7], v[8:9], v[12:13]
	v_div_fixup_f64 v[4:5], v[6:7], v[4:5], 1.0
	ds_write_b64 v1, v[4:5]
.LBB101_124:
	s_or_b32 exec_lo, exec_lo, s1
	s_waitcnt lgkmcnt(0)
	s_barrier
	buffer_gl0_inv
	ds_read_b64 v[2:3], v1
	s_mov_b32 s1, exec_lo
	s_waitcnt lgkmcnt(0)
	buffer_store_dword v2, off, s[12:15], 0 offset:240 ; 4-byte Folded Spill
	buffer_store_dword v3, off, s[12:15], 0 offset:244 ; 4-byte Folded Spill
	v_cmpx_lt_u32_e32 24, v0
	s_cbranch_execz .LBB101_126
; %bb.125:
	s_clause 0x1
	buffer_load_dword v2, off, s[12:15], 0 offset:240
	buffer_load_dword v3, off, s[12:15], 0 offset:244
	ds_read2_b64 v[4:7], v246 offset0:25 offset1:26
	s_waitcnt vmcnt(0)
	v_mul_f64 v[162:163], v[2:3], v[162:163]
	s_waitcnt lgkmcnt(0)
	v_fma_f64 v[130:131], -v[162:163], v[4:5], v[130:131]
	v_fma_f64 v[160:161], -v[162:163], v[6:7], v[160:161]
	ds_read2_b64 v[4:7], v246 offset0:27 offset1:28
	s_waitcnt lgkmcnt(0)
	v_fma_f64 v[128:129], -v[162:163], v[4:5], v[128:129]
	v_fma_f64 v[158:159], -v[162:163], v[6:7], v[158:159]
	ds_read2_b64 v[4:7], v246 offset0:29 offset1:30
	;; [unrolled: 4-line block ×12, first 2 shown]
	s_waitcnt lgkmcnt(0)
	v_fma_f64 v[106:107], -v[162:163], v[4:5], v[106:107]
	v_fma_f64 v[206:207], -v[162:163], v[6:7], v[206:207]
.LBB101_126:
	s_or_b32 exec_lo, exec_lo, s1
	s_mov_b32 s1, exec_lo
	s_waitcnt_vscnt null, 0x0
	s_barrier
	buffer_gl0_inv
	v_cmpx_eq_u32_e32 25, v0
	s_cbranch_execz .LBB101_129
; %bb.127:
	v_mov_b32_e32 v4, v160
	v_mov_b32_e32 v5, v161
	;; [unrolled: 1-line block ×4, first 2 shown]
	ds_write_b64 v1, v[130:131]
	ds_write2_b64 v246, v[4:5], v[6:7] offset0:26 offset1:27
	v_mov_b32_e32 v4, v158
	v_mov_b32_e32 v5, v159
	v_mov_b32_e32 v6, v126
	v_mov_b32_e32 v7, v127
	ds_write2_b64 v246, v[4:5], v[6:7] offset0:28 offset1:29
	v_mov_b32_e32 v4, v156
	v_mov_b32_e32 v5, v157
	v_mov_b32_e32 v6, v124
	v_mov_b32_e32 v7, v125
	;; [unrolled: 5-line block ×11, first 2 shown]
	ds_write2_b64 v246, v[4:5], v[6:7] offset0:48 offset1:49
	ds_write_b64 v246, v[206:207] offset:400
	ds_read_b64 v[4:5], v1
	s_waitcnt lgkmcnt(0)
	v_cmp_neq_f64_e32 vcc_lo, 0, v[4:5]
	s_and_b32 exec_lo, exec_lo, vcc_lo
	s_cbranch_execz .LBB101_129
; %bb.128:
	v_div_scale_f64 v[6:7], null, v[4:5], v[4:5], 1.0
	v_rcp_f64_e32 v[8:9], v[6:7]
	v_fma_f64 v[10:11], -v[6:7], v[8:9], 1.0
	v_fma_f64 v[8:9], v[8:9], v[10:11], v[8:9]
	v_fma_f64 v[10:11], -v[6:7], v[8:9], 1.0
	v_fma_f64 v[8:9], v[8:9], v[10:11], v[8:9]
	v_div_scale_f64 v[10:11], vcc_lo, 1.0, v[4:5], 1.0
	v_mul_f64 v[12:13], v[10:11], v[8:9]
	v_fma_f64 v[6:7], -v[6:7], v[12:13], v[10:11]
	v_div_fmas_f64 v[6:7], v[6:7], v[8:9], v[12:13]
	v_div_fixup_f64 v[4:5], v[6:7], v[4:5], 1.0
	ds_write_b64 v1, v[4:5]
.LBB101_129:
	s_or_b32 exec_lo, exec_lo, s1
	s_waitcnt lgkmcnt(0)
	s_barrier
	buffer_gl0_inv
	ds_read_b64 v[238:239], v1
	s_mov_b32 s1, exec_lo
	v_cmpx_lt_u32_e32 25, v0
	s_cbranch_execz .LBB101_131
; %bb.130:
	s_waitcnt lgkmcnt(0)
	v_mul_f64 v[130:131], v[238:239], v[130:131]
	ds_read2_b64 v[4:7], v246 offset0:26 offset1:27
	s_waitcnt lgkmcnt(0)
	v_fma_f64 v[160:161], -v[130:131], v[4:5], v[160:161]
	v_fma_f64 v[128:129], -v[130:131], v[6:7], v[128:129]
	ds_read2_b64 v[4:7], v246 offset0:28 offset1:29
	s_waitcnt lgkmcnt(0)
	v_fma_f64 v[158:159], -v[130:131], v[4:5], v[158:159]
	v_fma_f64 v[126:127], -v[130:131], v[6:7], v[126:127]
	;; [unrolled: 4-line block ×11, first 2 shown]
	ds_read2_b64 v[4:7], v246 offset0:48 offset1:49
	s_waitcnt lgkmcnt(0)
	v_fma_f64 v[138:139], -v[130:131], v[4:5], v[138:139]
	ds_read_b64 v[4:5], v246 offset:400
	v_fma_f64 v[106:107], -v[130:131], v[6:7], v[106:107]
	s_waitcnt lgkmcnt(0)
	v_fma_f64 v[206:207], -v[130:131], v[4:5], v[206:207]
.LBB101_131:
	s_or_b32 exec_lo, exec_lo, s1
	s_mov_b32 s1, exec_lo
	s_waitcnt lgkmcnt(0)
	s_barrier
	buffer_gl0_inv
	v_cmpx_eq_u32_e32 26, v0
	s_cbranch_execz .LBB101_134
; %bb.132:
	ds_write_b64 v1, v[160:161]
	ds_write2_b64 v246, v[128:129], v[158:159] offset0:27 offset1:28
	ds_write2_b64 v246, v[126:127], v[156:157] offset0:29 offset1:30
	;; [unrolled: 1-line block ×12, first 2 shown]
	ds_read_b64 v[4:5], v1
	s_waitcnt lgkmcnt(0)
	v_cmp_neq_f64_e32 vcc_lo, 0, v[4:5]
	s_and_b32 exec_lo, exec_lo, vcc_lo
	s_cbranch_execz .LBB101_134
; %bb.133:
	v_div_scale_f64 v[6:7], null, v[4:5], v[4:5], 1.0
	v_rcp_f64_e32 v[8:9], v[6:7]
	v_fma_f64 v[10:11], -v[6:7], v[8:9], 1.0
	v_fma_f64 v[8:9], v[8:9], v[10:11], v[8:9]
	v_fma_f64 v[10:11], -v[6:7], v[8:9], 1.0
	v_fma_f64 v[8:9], v[8:9], v[10:11], v[8:9]
	v_div_scale_f64 v[10:11], vcc_lo, 1.0, v[4:5], 1.0
	v_mul_f64 v[12:13], v[10:11], v[8:9]
	v_fma_f64 v[6:7], -v[6:7], v[12:13], v[10:11]
	v_div_fmas_f64 v[6:7], v[6:7], v[8:9], v[12:13]
	v_div_fixup_f64 v[4:5], v[6:7], v[4:5], 1.0
	ds_write_b64 v1, v[4:5]
.LBB101_134:
	s_or_b32 exec_lo, exec_lo, s1
	s_waitcnt lgkmcnt(0)
	s_barrier
	buffer_gl0_inv
	ds_read_b64 v[240:241], v1
	s_mov_b32 s1, exec_lo
	v_cmpx_lt_u32_e32 26, v0
	s_cbranch_execz .LBB101_136
; %bb.135:
	s_waitcnt lgkmcnt(0)
	v_mul_f64 v[160:161], v[240:241], v[160:161]
	ds_read2_b64 v[4:7], v246 offset0:27 offset1:28
	s_waitcnt lgkmcnt(0)
	v_fma_f64 v[128:129], -v[160:161], v[4:5], v[128:129]
	v_fma_f64 v[158:159], -v[160:161], v[6:7], v[158:159]
	ds_read2_b64 v[4:7], v246 offset0:29 offset1:30
	s_waitcnt lgkmcnt(0)
	v_fma_f64 v[126:127], -v[160:161], v[4:5], v[126:127]
	v_fma_f64 v[156:157], -v[160:161], v[6:7], v[156:157]
	;; [unrolled: 4-line block ×12, first 2 shown]
.LBB101_136:
	s_or_b32 exec_lo, exec_lo, s1
	s_mov_b32 s1, exec_lo
	s_waitcnt lgkmcnt(0)
	s_barrier
	buffer_gl0_inv
	v_cmpx_eq_u32_e32 27, v0
	s_cbranch_execz .LBB101_139
; %bb.137:
	v_mov_b32_e32 v4, v158
	v_mov_b32_e32 v5, v159
	;; [unrolled: 1-line block ×4, first 2 shown]
	ds_write_b64 v1, v[128:129]
	ds_write2_b64 v246, v[4:5], v[6:7] offset0:28 offset1:29
	v_mov_b32_e32 v4, v156
	v_mov_b32_e32 v5, v157
	v_mov_b32_e32 v6, v124
	v_mov_b32_e32 v7, v125
	ds_write2_b64 v246, v[4:5], v[6:7] offset0:30 offset1:31
	v_mov_b32_e32 v4, v154
	v_mov_b32_e32 v5, v155
	v_mov_b32_e32 v6, v122
	v_mov_b32_e32 v7, v123
	ds_write2_b64 v246, v[4:5], v[6:7] offset0:32 offset1:33
	v_mov_b32_e32 v4, v152
	v_mov_b32_e32 v5, v153
	v_mov_b32_e32 v6, v120
	v_mov_b32_e32 v7, v121
	ds_write2_b64 v246, v[4:5], v[6:7] offset0:34 offset1:35
	v_mov_b32_e32 v4, v150
	v_mov_b32_e32 v5, v151
	v_mov_b32_e32 v6, v118
	v_mov_b32_e32 v7, v119
	ds_write2_b64 v246, v[4:5], v[6:7] offset0:36 offset1:37
	v_mov_b32_e32 v4, v148
	v_mov_b32_e32 v5, v149
	v_mov_b32_e32 v6, v116
	v_mov_b32_e32 v7, v117
	ds_write2_b64 v246, v[4:5], v[6:7] offset0:38 offset1:39
	v_mov_b32_e32 v4, v146
	v_mov_b32_e32 v5, v147
	v_mov_b32_e32 v6, v114
	v_mov_b32_e32 v7, v115
	ds_write2_b64 v246, v[4:5], v[6:7] offset0:40 offset1:41
	v_mov_b32_e32 v4, v144
	v_mov_b32_e32 v5, v145
	v_mov_b32_e32 v6, v112
	v_mov_b32_e32 v7, v113
	ds_write2_b64 v246, v[4:5], v[6:7] offset0:42 offset1:43
	v_mov_b32_e32 v4, v142
	v_mov_b32_e32 v5, v143
	v_mov_b32_e32 v6, v110
	v_mov_b32_e32 v7, v111
	ds_write2_b64 v246, v[4:5], v[6:7] offset0:44 offset1:45
	v_mov_b32_e32 v4, v140
	v_mov_b32_e32 v5, v141
	v_mov_b32_e32 v6, v108
	v_mov_b32_e32 v7, v109
	ds_write2_b64 v246, v[4:5], v[6:7] offset0:46 offset1:47
	v_mov_b32_e32 v4, v138
	v_mov_b32_e32 v5, v139
	v_mov_b32_e32 v6, v106
	v_mov_b32_e32 v7, v107
	ds_write2_b64 v246, v[4:5], v[6:7] offset0:48 offset1:49
	ds_write_b64 v246, v[206:207] offset:400
	ds_read_b64 v[4:5], v1
	s_waitcnt lgkmcnt(0)
	v_cmp_neq_f64_e32 vcc_lo, 0, v[4:5]
	s_and_b32 exec_lo, exec_lo, vcc_lo
	s_cbranch_execz .LBB101_139
; %bb.138:
	v_div_scale_f64 v[6:7], null, v[4:5], v[4:5], 1.0
	v_rcp_f64_e32 v[8:9], v[6:7]
	v_fma_f64 v[10:11], -v[6:7], v[8:9], 1.0
	v_fma_f64 v[8:9], v[8:9], v[10:11], v[8:9]
	v_fma_f64 v[10:11], -v[6:7], v[8:9], 1.0
	v_fma_f64 v[8:9], v[8:9], v[10:11], v[8:9]
	v_div_scale_f64 v[10:11], vcc_lo, 1.0, v[4:5], 1.0
	v_mul_f64 v[12:13], v[10:11], v[8:9]
	v_fma_f64 v[6:7], -v[6:7], v[12:13], v[10:11]
	v_div_fmas_f64 v[6:7], v[6:7], v[8:9], v[12:13]
	v_div_fixup_f64 v[4:5], v[6:7], v[4:5], 1.0
	ds_write_b64 v1, v[4:5]
.LBB101_139:
	s_or_b32 exec_lo, exec_lo, s1
	s_waitcnt lgkmcnt(0)
	s_barrier
	buffer_gl0_inv
	ds_read_b64 v[242:243], v1
	s_mov_b32 s1, exec_lo
	v_cmpx_lt_u32_e32 27, v0
	s_cbranch_execz .LBB101_141
; %bb.140:
	s_waitcnt lgkmcnt(0)
	v_mul_f64 v[128:129], v[242:243], v[128:129]
	ds_read2_b64 v[4:7], v246 offset0:28 offset1:29
	s_waitcnt lgkmcnt(0)
	v_fma_f64 v[158:159], -v[128:129], v[4:5], v[158:159]
	v_fma_f64 v[126:127], -v[128:129], v[6:7], v[126:127]
	ds_read2_b64 v[4:7], v246 offset0:30 offset1:31
	s_waitcnt lgkmcnt(0)
	v_fma_f64 v[156:157], -v[128:129], v[4:5], v[156:157]
	v_fma_f64 v[124:125], -v[128:129], v[6:7], v[124:125]
	;; [unrolled: 4-line block ×10, first 2 shown]
	ds_read2_b64 v[4:7], v246 offset0:48 offset1:49
	s_waitcnt lgkmcnt(0)
	v_fma_f64 v[138:139], -v[128:129], v[4:5], v[138:139]
	ds_read_b64 v[4:5], v246 offset:400
	v_fma_f64 v[106:107], -v[128:129], v[6:7], v[106:107]
	s_waitcnt lgkmcnt(0)
	v_fma_f64 v[206:207], -v[128:129], v[4:5], v[206:207]
.LBB101_141:
	s_or_b32 exec_lo, exec_lo, s1
	s_mov_b32 s1, exec_lo
	s_waitcnt lgkmcnt(0)
	s_barrier
	buffer_gl0_inv
	v_cmpx_eq_u32_e32 28, v0
	s_cbranch_execz .LBB101_144
; %bb.142:
	ds_write_b64 v1, v[158:159]
	ds_write2_b64 v246, v[126:127], v[156:157] offset0:29 offset1:30
	ds_write2_b64 v246, v[124:125], v[154:155] offset0:31 offset1:32
	;; [unrolled: 1-line block ×11, first 2 shown]
	ds_read_b64 v[4:5], v1
	s_waitcnt lgkmcnt(0)
	v_cmp_neq_f64_e32 vcc_lo, 0, v[4:5]
	s_and_b32 exec_lo, exec_lo, vcc_lo
	s_cbranch_execz .LBB101_144
; %bb.143:
	v_div_scale_f64 v[6:7], null, v[4:5], v[4:5], 1.0
	v_rcp_f64_e32 v[8:9], v[6:7]
	v_fma_f64 v[10:11], -v[6:7], v[8:9], 1.0
	v_fma_f64 v[8:9], v[8:9], v[10:11], v[8:9]
	v_fma_f64 v[10:11], -v[6:7], v[8:9], 1.0
	v_fma_f64 v[8:9], v[8:9], v[10:11], v[8:9]
	v_div_scale_f64 v[10:11], vcc_lo, 1.0, v[4:5], 1.0
	v_mul_f64 v[12:13], v[10:11], v[8:9]
	v_fma_f64 v[6:7], -v[6:7], v[12:13], v[10:11]
	v_div_fmas_f64 v[6:7], v[6:7], v[8:9], v[12:13]
	v_div_fixup_f64 v[4:5], v[6:7], v[4:5], 1.0
	ds_write_b64 v1, v[4:5]
.LBB101_144:
	s_or_b32 exec_lo, exec_lo, s1
	s_waitcnt lgkmcnt(0)
	s_barrier
	buffer_gl0_inv
	ds_read_b64 v[244:245], v1
	s_mov_b32 s1, exec_lo
	v_cmpx_lt_u32_e32 28, v0
	s_cbranch_execz .LBB101_146
; %bb.145:
	s_waitcnt lgkmcnt(0)
	v_mul_f64 v[158:159], v[244:245], v[158:159]
	ds_read2_b64 v[4:7], v246 offset0:29 offset1:30
	s_waitcnt lgkmcnt(0)
	v_fma_f64 v[126:127], -v[158:159], v[4:5], v[126:127]
	v_fma_f64 v[156:157], -v[158:159], v[6:7], v[156:157]
	ds_read2_b64 v[4:7], v246 offset0:31 offset1:32
	s_waitcnt lgkmcnt(0)
	v_fma_f64 v[124:125], -v[158:159], v[4:5], v[124:125]
	v_fma_f64 v[154:155], -v[158:159], v[6:7], v[154:155]
	ds_read2_b64 v[4:7], v246 offset0:33 offset1:34
	s_waitcnt lgkmcnt(0)
	v_fma_f64 v[122:123], -v[158:159], v[4:5], v[122:123]
	v_fma_f64 v[152:153], -v[158:159], v[6:7], v[152:153]
	ds_read2_b64 v[4:7], v246 offset0:35 offset1:36
	s_waitcnt lgkmcnt(0)
	v_fma_f64 v[120:121], -v[158:159], v[4:5], v[120:121]
	v_fma_f64 v[150:151], -v[158:159], v[6:7], v[150:151]
	ds_read2_b64 v[4:7], v246 offset0:37 offset1:38
	s_waitcnt lgkmcnt(0)
	v_fma_f64 v[118:119], -v[158:159], v[4:5], v[118:119]
	v_fma_f64 v[148:149], -v[158:159], v[6:7], v[148:149]
	ds_read2_b64 v[4:7], v246 offset0:39 offset1:40
	s_waitcnt lgkmcnt(0)
	v_fma_f64 v[116:117], -v[158:159], v[4:5], v[116:117]
	v_fma_f64 v[146:147], -v[158:159], v[6:7], v[146:147]
	ds_read2_b64 v[4:7], v246 offset0:41 offset1:42
	s_waitcnt lgkmcnt(0)
	v_fma_f64 v[114:115], -v[158:159], v[4:5], v[114:115]
	v_fma_f64 v[144:145], -v[158:159], v[6:7], v[144:145]
	ds_read2_b64 v[4:7], v246 offset0:43 offset1:44
	s_waitcnt lgkmcnt(0)
	v_fma_f64 v[112:113], -v[158:159], v[4:5], v[112:113]
	v_fma_f64 v[142:143], -v[158:159], v[6:7], v[142:143]
	ds_read2_b64 v[4:7], v246 offset0:45 offset1:46
	s_waitcnt lgkmcnt(0)
	v_fma_f64 v[110:111], -v[158:159], v[4:5], v[110:111]
	v_fma_f64 v[140:141], -v[158:159], v[6:7], v[140:141]
	ds_read2_b64 v[4:7], v246 offset0:47 offset1:48
	s_waitcnt lgkmcnt(0)
	v_fma_f64 v[108:109], -v[158:159], v[4:5], v[108:109]
	v_fma_f64 v[138:139], -v[158:159], v[6:7], v[138:139]
	ds_read2_b64 v[4:7], v246 offset0:49 offset1:50
	s_waitcnt lgkmcnt(0)
	v_fma_f64 v[106:107], -v[158:159], v[4:5], v[106:107]
	v_fma_f64 v[206:207], -v[158:159], v[6:7], v[206:207]
.LBB101_146:
	s_or_b32 exec_lo, exec_lo, s1
	s_mov_b32 s1, exec_lo
	s_waitcnt lgkmcnt(0)
	s_barrier
	buffer_gl0_inv
	v_cmpx_eq_u32_e32 29, v0
	s_cbranch_execz .LBB101_149
; %bb.147:
	v_mov_b32_e32 v4, v156
	v_mov_b32_e32 v5, v157
	;; [unrolled: 1-line block ×4, first 2 shown]
	ds_write_b64 v1, v[126:127]
	ds_write2_b64 v246, v[4:5], v[6:7] offset0:30 offset1:31
	v_mov_b32_e32 v4, v154
	v_mov_b32_e32 v5, v155
	v_mov_b32_e32 v6, v122
	v_mov_b32_e32 v7, v123
	ds_write2_b64 v246, v[4:5], v[6:7] offset0:32 offset1:33
	v_mov_b32_e32 v4, v152
	v_mov_b32_e32 v5, v153
	v_mov_b32_e32 v6, v120
	v_mov_b32_e32 v7, v121
	;; [unrolled: 5-line block ×9, first 2 shown]
	ds_write2_b64 v246, v[4:5], v[6:7] offset0:48 offset1:49
	ds_write_b64 v246, v[206:207] offset:400
	ds_read_b64 v[4:5], v1
	s_waitcnt lgkmcnt(0)
	v_cmp_neq_f64_e32 vcc_lo, 0, v[4:5]
	s_and_b32 exec_lo, exec_lo, vcc_lo
	s_cbranch_execz .LBB101_149
; %bb.148:
	v_div_scale_f64 v[6:7], null, v[4:5], v[4:5], 1.0
	v_rcp_f64_e32 v[8:9], v[6:7]
	v_fma_f64 v[10:11], -v[6:7], v[8:9], 1.0
	v_fma_f64 v[8:9], v[8:9], v[10:11], v[8:9]
	v_fma_f64 v[10:11], -v[6:7], v[8:9], 1.0
	v_fma_f64 v[8:9], v[8:9], v[10:11], v[8:9]
	v_div_scale_f64 v[10:11], vcc_lo, 1.0, v[4:5], 1.0
	v_mul_f64 v[12:13], v[10:11], v[8:9]
	v_fma_f64 v[6:7], -v[6:7], v[12:13], v[10:11]
	v_div_fmas_f64 v[6:7], v[6:7], v[8:9], v[12:13]
	v_div_fixup_f64 v[4:5], v[6:7], v[4:5], 1.0
	ds_write_b64 v1, v[4:5]
.LBB101_149:
	s_or_b32 exec_lo, exec_lo, s1
	s_waitcnt lgkmcnt(0)
	s_barrier
	buffer_gl0_inv
	ds_read_b64 v[210:211], v1
	s_mov_b32 s1, exec_lo
	v_cmpx_lt_u32_e32 29, v0
	s_cbranch_execz .LBB101_151
; %bb.150:
	s_waitcnt lgkmcnt(0)
	v_mul_f64 v[126:127], v[210:211], v[126:127]
	ds_read2_b64 v[4:7], v246 offset0:30 offset1:31
	s_waitcnt lgkmcnt(0)
	v_fma_f64 v[156:157], -v[126:127], v[4:5], v[156:157]
	v_fma_f64 v[124:125], -v[126:127], v[6:7], v[124:125]
	ds_read2_b64 v[4:7], v246 offset0:32 offset1:33
	s_waitcnt lgkmcnt(0)
	v_fma_f64 v[154:155], -v[126:127], v[4:5], v[154:155]
	v_fma_f64 v[122:123], -v[126:127], v[6:7], v[122:123]
	;; [unrolled: 4-line block ×9, first 2 shown]
	ds_read2_b64 v[4:7], v246 offset0:48 offset1:49
	s_waitcnt lgkmcnt(0)
	v_fma_f64 v[138:139], -v[126:127], v[4:5], v[138:139]
	ds_read_b64 v[4:5], v246 offset:400
	v_fma_f64 v[106:107], -v[126:127], v[6:7], v[106:107]
	s_waitcnt lgkmcnt(0)
	v_fma_f64 v[206:207], -v[126:127], v[4:5], v[206:207]
.LBB101_151:
	s_or_b32 exec_lo, exec_lo, s1
	s_mov_b32 s1, exec_lo
	s_waitcnt lgkmcnt(0)
	s_barrier
	buffer_gl0_inv
	v_cmpx_eq_u32_e32 30, v0
	s_cbranch_execz .LBB101_154
; %bb.152:
	ds_write_b64 v1, v[156:157]
	ds_write2_b64 v246, v[124:125], v[154:155] offset0:31 offset1:32
	ds_write2_b64 v246, v[122:123], v[152:153] offset0:33 offset1:34
	;; [unrolled: 1-line block ×10, first 2 shown]
	ds_read_b64 v[4:5], v1
	s_waitcnt lgkmcnt(0)
	v_cmp_neq_f64_e32 vcc_lo, 0, v[4:5]
	s_and_b32 exec_lo, exec_lo, vcc_lo
	s_cbranch_execz .LBB101_154
; %bb.153:
	v_div_scale_f64 v[6:7], null, v[4:5], v[4:5], 1.0
	v_rcp_f64_e32 v[8:9], v[6:7]
	v_fma_f64 v[10:11], -v[6:7], v[8:9], 1.0
	v_fma_f64 v[8:9], v[8:9], v[10:11], v[8:9]
	v_fma_f64 v[10:11], -v[6:7], v[8:9], 1.0
	v_fma_f64 v[8:9], v[8:9], v[10:11], v[8:9]
	v_div_scale_f64 v[10:11], vcc_lo, 1.0, v[4:5], 1.0
	v_mul_f64 v[12:13], v[10:11], v[8:9]
	v_fma_f64 v[6:7], -v[6:7], v[12:13], v[10:11]
	v_div_fmas_f64 v[6:7], v[6:7], v[8:9], v[12:13]
	v_div_fixup_f64 v[4:5], v[6:7], v[4:5], 1.0
	ds_write_b64 v1, v[4:5]
.LBB101_154:
	s_or_b32 exec_lo, exec_lo, s1
	s_waitcnt lgkmcnt(0)
	s_barrier
	buffer_gl0_inv
	ds_read_b64 v[248:249], v1
	s_mov_b32 s1, exec_lo
	v_cmpx_lt_u32_e32 30, v0
	s_cbranch_execz .LBB101_156
; %bb.155:
	s_waitcnt lgkmcnt(0)
	v_mul_f64 v[156:157], v[248:249], v[156:157]
	ds_read2_b64 v[4:7], v246 offset0:31 offset1:32
	s_waitcnt lgkmcnt(0)
	v_fma_f64 v[124:125], -v[156:157], v[4:5], v[124:125]
	v_fma_f64 v[154:155], -v[156:157], v[6:7], v[154:155]
	ds_read2_b64 v[4:7], v246 offset0:33 offset1:34
	s_waitcnt lgkmcnt(0)
	v_fma_f64 v[122:123], -v[156:157], v[4:5], v[122:123]
	v_fma_f64 v[152:153], -v[156:157], v[6:7], v[152:153]
	;; [unrolled: 4-line block ×10, first 2 shown]
.LBB101_156:
	s_or_b32 exec_lo, exec_lo, s1
	s_mov_b32 s1, exec_lo
	s_waitcnt lgkmcnt(0)
	s_barrier
	buffer_gl0_inv
	v_cmpx_eq_u32_e32 31, v0
	s_cbranch_execz .LBB101_159
; %bb.157:
	v_mov_b32_e32 v4, v154
	v_mov_b32_e32 v5, v155
	;; [unrolled: 1-line block ×4, first 2 shown]
	ds_write_b64 v1, v[124:125]
	ds_write2_b64 v246, v[4:5], v[6:7] offset0:32 offset1:33
	v_mov_b32_e32 v4, v152
	v_mov_b32_e32 v5, v153
	v_mov_b32_e32 v6, v120
	v_mov_b32_e32 v7, v121
	ds_write2_b64 v246, v[4:5], v[6:7] offset0:34 offset1:35
	v_mov_b32_e32 v4, v150
	v_mov_b32_e32 v5, v151
	v_mov_b32_e32 v6, v118
	v_mov_b32_e32 v7, v119
	;; [unrolled: 5-line block ×8, first 2 shown]
	ds_write2_b64 v246, v[4:5], v[6:7] offset0:48 offset1:49
	ds_write_b64 v246, v[206:207] offset:400
	ds_read_b64 v[4:5], v1
	s_waitcnt lgkmcnt(0)
	v_cmp_neq_f64_e32 vcc_lo, 0, v[4:5]
	s_and_b32 exec_lo, exec_lo, vcc_lo
	s_cbranch_execz .LBB101_159
; %bb.158:
	v_div_scale_f64 v[6:7], null, v[4:5], v[4:5], 1.0
	v_rcp_f64_e32 v[8:9], v[6:7]
	v_fma_f64 v[10:11], -v[6:7], v[8:9], 1.0
	v_fma_f64 v[8:9], v[8:9], v[10:11], v[8:9]
	v_fma_f64 v[10:11], -v[6:7], v[8:9], 1.0
	v_fma_f64 v[8:9], v[8:9], v[10:11], v[8:9]
	v_div_scale_f64 v[10:11], vcc_lo, 1.0, v[4:5], 1.0
	v_mul_f64 v[12:13], v[10:11], v[8:9]
	v_fma_f64 v[6:7], -v[6:7], v[12:13], v[10:11]
	v_div_fmas_f64 v[6:7], v[6:7], v[8:9], v[12:13]
	v_div_fixup_f64 v[4:5], v[6:7], v[4:5], 1.0
	ds_write_b64 v1, v[4:5]
.LBB101_159:
	s_or_b32 exec_lo, exec_lo, s1
	s_waitcnt lgkmcnt(0)
	s_barrier
	buffer_gl0_inv
	ds_read_b64 v[216:217], v1
	s_mov_b32 s1, exec_lo
	v_cmpx_lt_u32_e32 31, v0
	s_cbranch_execz .LBB101_161
; %bb.160:
	s_waitcnt lgkmcnt(0)
	v_mul_f64 v[124:125], v[216:217], v[124:125]
	ds_read2_b64 v[4:7], v246 offset0:32 offset1:33
	s_waitcnt lgkmcnt(0)
	v_fma_f64 v[154:155], -v[124:125], v[4:5], v[154:155]
	v_fma_f64 v[122:123], -v[124:125], v[6:7], v[122:123]
	ds_read2_b64 v[4:7], v246 offset0:34 offset1:35
	s_waitcnt lgkmcnt(0)
	v_fma_f64 v[152:153], -v[124:125], v[4:5], v[152:153]
	v_fma_f64 v[120:121], -v[124:125], v[6:7], v[120:121]
	;; [unrolled: 4-line block ×8, first 2 shown]
	ds_read2_b64 v[4:7], v246 offset0:48 offset1:49
	s_waitcnt lgkmcnt(0)
	v_fma_f64 v[138:139], -v[124:125], v[4:5], v[138:139]
	ds_read_b64 v[4:5], v246 offset:400
	v_fma_f64 v[106:107], -v[124:125], v[6:7], v[106:107]
	s_waitcnt lgkmcnt(0)
	v_fma_f64 v[206:207], -v[124:125], v[4:5], v[206:207]
.LBB101_161:
	s_or_b32 exec_lo, exec_lo, s1
	s_mov_b32 s1, exec_lo
	s_waitcnt lgkmcnt(0)
	s_barrier
	buffer_gl0_inv
	v_cmpx_eq_u32_e32 32, v0
	s_cbranch_execz .LBB101_164
; %bb.162:
	ds_write_b64 v1, v[154:155]
	ds_write2_b64 v246, v[122:123], v[152:153] offset0:33 offset1:34
	ds_write2_b64 v246, v[120:121], v[150:151] offset0:35 offset1:36
	;; [unrolled: 1-line block ×9, first 2 shown]
	ds_read_b64 v[4:5], v1
	s_waitcnt lgkmcnt(0)
	v_cmp_neq_f64_e32 vcc_lo, 0, v[4:5]
	s_and_b32 exec_lo, exec_lo, vcc_lo
	s_cbranch_execz .LBB101_164
; %bb.163:
	v_div_scale_f64 v[6:7], null, v[4:5], v[4:5], 1.0
	v_rcp_f64_e32 v[8:9], v[6:7]
	v_fma_f64 v[10:11], -v[6:7], v[8:9], 1.0
	v_fma_f64 v[8:9], v[8:9], v[10:11], v[8:9]
	v_fma_f64 v[10:11], -v[6:7], v[8:9], 1.0
	v_fma_f64 v[8:9], v[8:9], v[10:11], v[8:9]
	v_div_scale_f64 v[10:11], vcc_lo, 1.0, v[4:5], 1.0
	v_mul_f64 v[12:13], v[10:11], v[8:9]
	v_fma_f64 v[6:7], -v[6:7], v[12:13], v[10:11]
	v_div_fmas_f64 v[6:7], v[6:7], v[8:9], v[12:13]
	v_div_fixup_f64 v[4:5], v[6:7], v[4:5], 1.0
	ds_write_b64 v1, v[4:5]
.LBB101_164:
	s_or_b32 exec_lo, exec_lo, s1
	s_waitcnt lgkmcnt(0)
	s_barrier
	buffer_gl0_inv
	ds_read_b64 v[218:219], v1
	s_mov_b32 s1, exec_lo
	v_cmpx_lt_u32_e32 32, v0
	s_cbranch_execz .LBB101_166
; %bb.165:
	s_waitcnt lgkmcnt(0)
	v_mul_f64 v[154:155], v[218:219], v[154:155]
	ds_read2_b64 v[4:7], v246 offset0:33 offset1:34
	s_waitcnt lgkmcnt(0)
	v_fma_f64 v[122:123], -v[154:155], v[4:5], v[122:123]
	v_fma_f64 v[152:153], -v[154:155], v[6:7], v[152:153]
	ds_read2_b64 v[4:7], v246 offset0:35 offset1:36
	s_waitcnt lgkmcnt(0)
	v_fma_f64 v[120:121], -v[154:155], v[4:5], v[120:121]
	v_fma_f64 v[150:151], -v[154:155], v[6:7], v[150:151]
	;; [unrolled: 4-line block ×9, first 2 shown]
.LBB101_166:
	s_or_b32 exec_lo, exec_lo, s1
	s_mov_b32 s1, exec_lo
	s_waitcnt lgkmcnt(0)
	s_barrier
	buffer_gl0_inv
	v_cmpx_eq_u32_e32 33, v0
	s_cbranch_execz .LBB101_169
; %bb.167:
	v_mov_b32_e32 v4, v152
	v_mov_b32_e32 v5, v153
	;; [unrolled: 1-line block ×4, first 2 shown]
	ds_write_b64 v1, v[122:123]
	ds_write2_b64 v246, v[4:5], v[6:7] offset0:34 offset1:35
	v_mov_b32_e32 v4, v150
	v_mov_b32_e32 v5, v151
	v_mov_b32_e32 v6, v118
	v_mov_b32_e32 v7, v119
	ds_write2_b64 v246, v[4:5], v[6:7] offset0:36 offset1:37
	v_mov_b32_e32 v4, v148
	v_mov_b32_e32 v5, v149
	v_mov_b32_e32 v6, v116
	v_mov_b32_e32 v7, v117
	ds_write2_b64 v246, v[4:5], v[6:7] offset0:38 offset1:39
	v_mov_b32_e32 v4, v146
	v_mov_b32_e32 v5, v147
	v_mov_b32_e32 v6, v114
	v_mov_b32_e32 v7, v115
	ds_write2_b64 v246, v[4:5], v[6:7] offset0:40 offset1:41
	v_mov_b32_e32 v4, v144
	v_mov_b32_e32 v5, v145
	v_mov_b32_e32 v6, v112
	v_mov_b32_e32 v7, v113
	ds_write2_b64 v246, v[4:5], v[6:7] offset0:42 offset1:43
	v_mov_b32_e32 v4, v142
	v_mov_b32_e32 v5, v143
	v_mov_b32_e32 v6, v110
	v_mov_b32_e32 v7, v111
	ds_write2_b64 v246, v[4:5], v[6:7] offset0:44 offset1:45
	v_mov_b32_e32 v4, v140
	v_mov_b32_e32 v5, v141
	v_mov_b32_e32 v6, v108
	v_mov_b32_e32 v7, v109
	ds_write2_b64 v246, v[4:5], v[6:7] offset0:46 offset1:47
	v_mov_b32_e32 v4, v138
	v_mov_b32_e32 v5, v139
	v_mov_b32_e32 v6, v106
	v_mov_b32_e32 v7, v107
	ds_write2_b64 v246, v[4:5], v[6:7] offset0:48 offset1:49
	ds_write_b64 v246, v[206:207] offset:400
	ds_read_b64 v[4:5], v1
	s_waitcnt lgkmcnt(0)
	v_cmp_neq_f64_e32 vcc_lo, 0, v[4:5]
	s_and_b32 exec_lo, exec_lo, vcc_lo
	s_cbranch_execz .LBB101_169
; %bb.168:
	v_div_scale_f64 v[6:7], null, v[4:5], v[4:5], 1.0
	v_rcp_f64_e32 v[8:9], v[6:7]
	v_fma_f64 v[10:11], -v[6:7], v[8:9], 1.0
	v_fma_f64 v[8:9], v[8:9], v[10:11], v[8:9]
	v_fma_f64 v[10:11], -v[6:7], v[8:9], 1.0
	v_fma_f64 v[8:9], v[8:9], v[10:11], v[8:9]
	v_div_scale_f64 v[10:11], vcc_lo, 1.0, v[4:5], 1.0
	v_mul_f64 v[12:13], v[10:11], v[8:9]
	v_fma_f64 v[6:7], -v[6:7], v[12:13], v[10:11]
	v_div_fmas_f64 v[6:7], v[6:7], v[8:9], v[12:13]
	v_div_fixup_f64 v[4:5], v[6:7], v[4:5], 1.0
	ds_write_b64 v1, v[4:5]
.LBB101_169:
	s_or_b32 exec_lo, exec_lo, s1
	s_waitcnt lgkmcnt(0)
	s_barrier
	buffer_gl0_inv
	ds_read_b64 v[220:221], v1
	s_mov_b32 s1, exec_lo
	v_cmpx_lt_u32_e32 33, v0
	s_cbranch_execz .LBB101_171
; %bb.170:
	s_waitcnt lgkmcnt(0)
	v_mul_f64 v[122:123], v[220:221], v[122:123]
	ds_read2_b64 v[4:7], v246 offset0:34 offset1:35
	s_waitcnt lgkmcnt(0)
	v_fma_f64 v[152:153], -v[122:123], v[4:5], v[152:153]
	v_fma_f64 v[120:121], -v[122:123], v[6:7], v[120:121]
	ds_read2_b64 v[4:7], v246 offset0:36 offset1:37
	s_waitcnt lgkmcnt(0)
	v_fma_f64 v[150:151], -v[122:123], v[4:5], v[150:151]
	v_fma_f64 v[118:119], -v[122:123], v[6:7], v[118:119]
	;; [unrolled: 4-line block ×7, first 2 shown]
	ds_read2_b64 v[4:7], v246 offset0:48 offset1:49
	s_waitcnt lgkmcnt(0)
	v_fma_f64 v[138:139], -v[122:123], v[4:5], v[138:139]
	ds_read_b64 v[4:5], v246 offset:400
	v_fma_f64 v[106:107], -v[122:123], v[6:7], v[106:107]
	s_waitcnt lgkmcnt(0)
	v_fma_f64 v[206:207], -v[122:123], v[4:5], v[206:207]
.LBB101_171:
	s_or_b32 exec_lo, exec_lo, s1
	s_mov_b32 s1, exec_lo
	s_waitcnt lgkmcnt(0)
	s_barrier
	buffer_gl0_inv
	v_cmpx_eq_u32_e32 34, v0
	s_cbranch_execz .LBB101_174
; %bb.172:
	ds_write_b64 v1, v[152:153]
	ds_write2_b64 v246, v[120:121], v[150:151] offset0:35 offset1:36
	ds_write2_b64 v246, v[118:119], v[148:149] offset0:37 offset1:38
	ds_write2_b64 v246, v[116:117], v[146:147] offset0:39 offset1:40
	ds_write2_b64 v246, v[114:115], v[144:145] offset0:41 offset1:42
	ds_write2_b64 v246, v[112:113], v[142:143] offset0:43 offset1:44
	ds_write2_b64 v246, v[110:111], v[140:141] offset0:45 offset1:46
	ds_write2_b64 v246, v[108:109], v[138:139] offset0:47 offset1:48
	ds_write2_b64 v246, v[106:107], v[206:207] offset0:49 offset1:50
	ds_read_b64 v[4:5], v1
	s_waitcnt lgkmcnt(0)
	v_cmp_neq_f64_e32 vcc_lo, 0, v[4:5]
	s_and_b32 exec_lo, exec_lo, vcc_lo
	s_cbranch_execz .LBB101_174
; %bb.173:
	v_div_scale_f64 v[6:7], null, v[4:5], v[4:5], 1.0
	v_rcp_f64_e32 v[8:9], v[6:7]
	v_fma_f64 v[10:11], -v[6:7], v[8:9], 1.0
	v_fma_f64 v[8:9], v[8:9], v[10:11], v[8:9]
	v_fma_f64 v[10:11], -v[6:7], v[8:9], 1.0
	v_fma_f64 v[8:9], v[8:9], v[10:11], v[8:9]
	v_div_scale_f64 v[10:11], vcc_lo, 1.0, v[4:5], 1.0
	v_mul_f64 v[12:13], v[10:11], v[8:9]
	v_fma_f64 v[6:7], -v[6:7], v[12:13], v[10:11]
	v_div_fmas_f64 v[6:7], v[6:7], v[8:9], v[12:13]
	v_div_fixup_f64 v[4:5], v[6:7], v[4:5], 1.0
	ds_write_b64 v1, v[4:5]
.LBB101_174:
	s_or_b32 exec_lo, exec_lo, s1
	s_waitcnt lgkmcnt(0)
	s_barrier
	buffer_gl0_inv
	ds_read_b64 v[222:223], v1
	s_mov_b32 s1, exec_lo
	v_cmpx_lt_u32_e32 34, v0
	s_cbranch_execz .LBB101_176
; %bb.175:
	s_waitcnt lgkmcnt(0)
	v_mul_f64 v[152:153], v[222:223], v[152:153]
	ds_read2_b64 v[4:7], v246 offset0:35 offset1:36
	s_waitcnt lgkmcnt(0)
	v_fma_f64 v[120:121], -v[152:153], v[4:5], v[120:121]
	v_fma_f64 v[150:151], -v[152:153], v[6:7], v[150:151]
	ds_read2_b64 v[4:7], v246 offset0:37 offset1:38
	s_waitcnt lgkmcnt(0)
	v_fma_f64 v[118:119], -v[152:153], v[4:5], v[118:119]
	v_fma_f64 v[148:149], -v[152:153], v[6:7], v[148:149]
	;; [unrolled: 4-line block ×8, first 2 shown]
.LBB101_176:
	s_or_b32 exec_lo, exec_lo, s1
	s_mov_b32 s1, exec_lo
	s_waitcnt lgkmcnt(0)
	s_barrier
	buffer_gl0_inv
	v_cmpx_eq_u32_e32 35, v0
	s_cbranch_execz .LBB101_179
; %bb.177:
	v_mov_b32_e32 v4, v150
	v_mov_b32_e32 v5, v151
	;; [unrolled: 1-line block ×4, first 2 shown]
	ds_write_b64 v1, v[120:121]
	ds_write2_b64 v246, v[4:5], v[6:7] offset0:36 offset1:37
	v_mov_b32_e32 v4, v148
	v_mov_b32_e32 v5, v149
	v_mov_b32_e32 v6, v116
	v_mov_b32_e32 v7, v117
	ds_write2_b64 v246, v[4:5], v[6:7] offset0:38 offset1:39
	v_mov_b32_e32 v4, v146
	v_mov_b32_e32 v5, v147
	v_mov_b32_e32 v6, v114
	v_mov_b32_e32 v7, v115
	;; [unrolled: 5-line block ×6, first 2 shown]
	ds_write2_b64 v246, v[4:5], v[6:7] offset0:48 offset1:49
	ds_write_b64 v246, v[206:207] offset:400
	ds_read_b64 v[4:5], v1
	s_waitcnt lgkmcnt(0)
	v_cmp_neq_f64_e32 vcc_lo, 0, v[4:5]
	s_and_b32 exec_lo, exec_lo, vcc_lo
	s_cbranch_execz .LBB101_179
; %bb.178:
	v_div_scale_f64 v[6:7], null, v[4:5], v[4:5], 1.0
	v_rcp_f64_e32 v[8:9], v[6:7]
	v_fma_f64 v[10:11], -v[6:7], v[8:9], 1.0
	v_fma_f64 v[8:9], v[8:9], v[10:11], v[8:9]
	v_fma_f64 v[10:11], -v[6:7], v[8:9], 1.0
	v_fma_f64 v[8:9], v[8:9], v[10:11], v[8:9]
	v_div_scale_f64 v[10:11], vcc_lo, 1.0, v[4:5], 1.0
	v_mul_f64 v[12:13], v[10:11], v[8:9]
	v_fma_f64 v[6:7], -v[6:7], v[12:13], v[10:11]
	v_div_fmas_f64 v[6:7], v[6:7], v[8:9], v[12:13]
	v_div_fixup_f64 v[4:5], v[6:7], v[4:5], 1.0
	ds_write_b64 v1, v[4:5]
.LBB101_179:
	s_or_b32 exec_lo, exec_lo, s1
	s_waitcnt lgkmcnt(0)
	s_barrier
	buffer_gl0_inv
	ds_read_b64 v[224:225], v1
	s_mov_b32 s1, exec_lo
	v_cmpx_lt_u32_e32 35, v0
	s_cbranch_execz .LBB101_181
; %bb.180:
	s_waitcnt lgkmcnt(0)
	v_mul_f64 v[120:121], v[224:225], v[120:121]
	ds_read2_b64 v[4:7], v246 offset0:36 offset1:37
	s_waitcnt lgkmcnt(0)
	v_fma_f64 v[150:151], -v[120:121], v[4:5], v[150:151]
	v_fma_f64 v[118:119], -v[120:121], v[6:7], v[118:119]
	ds_read2_b64 v[4:7], v246 offset0:38 offset1:39
	s_waitcnt lgkmcnt(0)
	v_fma_f64 v[148:149], -v[120:121], v[4:5], v[148:149]
	v_fma_f64 v[116:117], -v[120:121], v[6:7], v[116:117]
	;; [unrolled: 4-line block ×6, first 2 shown]
	ds_read2_b64 v[4:7], v246 offset0:48 offset1:49
	s_waitcnt lgkmcnt(0)
	v_fma_f64 v[138:139], -v[120:121], v[4:5], v[138:139]
	ds_read_b64 v[4:5], v246 offset:400
	v_fma_f64 v[106:107], -v[120:121], v[6:7], v[106:107]
	s_waitcnt lgkmcnt(0)
	v_fma_f64 v[206:207], -v[120:121], v[4:5], v[206:207]
.LBB101_181:
	s_or_b32 exec_lo, exec_lo, s1
	s_mov_b32 s1, exec_lo
	s_waitcnt lgkmcnt(0)
	s_barrier
	buffer_gl0_inv
	v_cmpx_eq_u32_e32 36, v0
	s_cbranch_execz .LBB101_184
; %bb.182:
	ds_write_b64 v1, v[150:151]
	ds_write2_b64 v246, v[118:119], v[148:149] offset0:37 offset1:38
	ds_write2_b64 v246, v[116:117], v[146:147] offset0:39 offset1:40
	;; [unrolled: 1-line block ×7, first 2 shown]
	ds_read_b64 v[4:5], v1
	s_waitcnt lgkmcnt(0)
	v_cmp_neq_f64_e32 vcc_lo, 0, v[4:5]
	s_and_b32 exec_lo, exec_lo, vcc_lo
	s_cbranch_execz .LBB101_184
; %bb.183:
	v_div_scale_f64 v[6:7], null, v[4:5], v[4:5], 1.0
	v_rcp_f64_e32 v[8:9], v[6:7]
	v_fma_f64 v[10:11], -v[6:7], v[8:9], 1.0
	v_fma_f64 v[8:9], v[8:9], v[10:11], v[8:9]
	v_fma_f64 v[10:11], -v[6:7], v[8:9], 1.0
	v_fma_f64 v[8:9], v[8:9], v[10:11], v[8:9]
	v_div_scale_f64 v[10:11], vcc_lo, 1.0, v[4:5], 1.0
	v_mul_f64 v[12:13], v[10:11], v[8:9]
	v_fma_f64 v[6:7], -v[6:7], v[12:13], v[10:11]
	v_div_fmas_f64 v[6:7], v[6:7], v[8:9], v[12:13]
	v_div_fixup_f64 v[4:5], v[6:7], v[4:5], 1.0
	ds_write_b64 v1, v[4:5]
.LBB101_184:
	s_or_b32 exec_lo, exec_lo, s1
	s_waitcnt lgkmcnt(0)
	s_barrier
	buffer_gl0_inv
	ds_read_b64 v[226:227], v1
	s_mov_b32 s1, exec_lo
	v_cmpx_lt_u32_e32 36, v0
	s_cbranch_execz .LBB101_186
; %bb.185:
	s_waitcnt lgkmcnt(0)
	v_mul_f64 v[150:151], v[226:227], v[150:151]
	ds_read2_b64 v[4:7], v246 offset0:37 offset1:38
	s_waitcnt lgkmcnt(0)
	v_fma_f64 v[118:119], -v[150:151], v[4:5], v[118:119]
	v_fma_f64 v[148:149], -v[150:151], v[6:7], v[148:149]
	ds_read2_b64 v[4:7], v246 offset0:39 offset1:40
	s_waitcnt lgkmcnt(0)
	v_fma_f64 v[116:117], -v[150:151], v[4:5], v[116:117]
	v_fma_f64 v[146:147], -v[150:151], v[6:7], v[146:147]
	;; [unrolled: 4-line block ×7, first 2 shown]
.LBB101_186:
	s_or_b32 exec_lo, exec_lo, s1
	s_mov_b32 s1, exec_lo
	s_waitcnt lgkmcnt(0)
	s_barrier
	buffer_gl0_inv
	v_cmpx_eq_u32_e32 37, v0
	s_cbranch_execz .LBB101_189
; %bb.187:
	v_mov_b32_e32 v4, v148
	v_mov_b32_e32 v5, v149
	;; [unrolled: 1-line block ×4, first 2 shown]
	ds_write_b64 v1, v[118:119]
	ds_write2_b64 v246, v[4:5], v[6:7] offset0:38 offset1:39
	v_mov_b32_e32 v4, v146
	v_mov_b32_e32 v5, v147
	v_mov_b32_e32 v6, v114
	v_mov_b32_e32 v7, v115
	ds_write2_b64 v246, v[4:5], v[6:7] offset0:40 offset1:41
	v_mov_b32_e32 v4, v144
	v_mov_b32_e32 v5, v145
	v_mov_b32_e32 v6, v112
	v_mov_b32_e32 v7, v113
	;; [unrolled: 5-line block ×5, first 2 shown]
	ds_write2_b64 v246, v[4:5], v[6:7] offset0:48 offset1:49
	ds_write_b64 v246, v[206:207] offset:400
	ds_read_b64 v[4:5], v1
	s_waitcnt lgkmcnt(0)
	v_cmp_neq_f64_e32 vcc_lo, 0, v[4:5]
	s_and_b32 exec_lo, exec_lo, vcc_lo
	s_cbranch_execz .LBB101_189
; %bb.188:
	v_div_scale_f64 v[6:7], null, v[4:5], v[4:5], 1.0
	v_rcp_f64_e32 v[8:9], v[6:7]
	v_fma_f64 v[10:11], -v[6:7], v[8:9], 1.0
	v_fma_f64 v[8:9], v[8:9], v[10:11], v[8:9]
	v_fma_f64 v[10:11], -v[6:7], v[8:9], 1.0
	v_fma_f64 v[8:9], v[8:9], v[10:11], v[8:9]
	v_div_scale_f64 v[10:11], vcc_lo, 1.0, v[4:5], 1.0
	v_mul_f64 v[12:13], v[10:11], v[8:9]
	v_fma_f64 v[6:7], -v[6:7], v[12:13], v[10:11]
	v_div_fmas_f64 v[6:7], v[6:7], v[8:9], v[12:13]
	v_div_fixup_f64 v[4:5], v[6:7], v[4:5], 1.0
	ds_write_b64 v1, v[4:5]
.LBB101_189:
	s_or_b32 exec_lo, exec_lo, s1
	s_waitcnt lgkmcnt(0)
	s_barrier
	buffer_gl0_inv
	ds_read_b64 v[228:229], v1
	s_mov_b32 s1, exec_lo
	v_cmpx_lt_u32_e32 37, v0
	s_cbranch_execz .LBB101_191
; %bb.190:
	s_waitcnt lgkmcnt(0)
	v_mul_f64 v[118:119], v[228:229], v[118:119]
	ds_read2_b64 v[4:7], v246 offset0:38 offset1:39
	s_waitcnt lgkmcnt(0)
	v_fma_f64 v[148:149], -v[118:119], v[4:5], v[148:149]
	v_fma_f64 v[116:117], -v[118:119], v[6:7], v[116:117]
	ds_read2_b64 v[4:7], v246 offset0:40 offset1:41
	s_waitcnt lgkmcnt(0)
	v_fma_f64 v[146:147], -v[118:119], v[4:5], v[146:147]
	v_fma_f64 v[114:115], -v[118:119], v[6:7], v[114:115]
	;; [unrolled: 4-line block ×5, first 2 shown]
	ds_read2_b64 v[4:7], v246 offset0:48 offset1:49
	s_waitcnt lgkmcnt(0)
	v_fma_f64 v[138:139], -v[118:119], v[4:5], v[138:139]
	ds_read_b64 v[4:5], v246 offset:400
	v_fma_f64 v[106:107], -v[118:119], v[6:7], v[106:107]
	s_waitcnt lgkmcnt(0)
	v_fma_f64 v[206:207], -v[118:119], v[4:5], v[206:207]
.LBB101_191:
	s_or_b32 exec_lo, exec_lo, s1
	s_mov_b32 s1, exec_lo
	s_waitcnt lgkmcnt(0)
	s_barrier
	buffer_gl0_inv
	v_cmpx_eq_u32_e32 38, v0
	s_cbranch_execz .LBB101_194
; %bb.192:
	ds_write_b64 v1, v[148:149]
	ds_write2_b64 v246, v[116:117], v[146:147] offset0:39 offset1:40
	ds_write2_b64 v246, v[114:115], v[144:145] offset0:41 offset1:42
	;; [unrolled: 1-line block ×6, first 2 shown]
	ds_read_b64 v[4:5], v1
	s_waitcnt lgkmcnt(0)
	v_cmp_neq_f64_e32 vcc_lo, 0, v[4:5]
	s_and_b32 exec_lo, exec_lo, vcc_lo
	s_cbranch_execz .LBB101_194
; %bb.193:
	v_div_scale_f64 v[6:7], null, v[4:5], v[4:5], 1.0
	v_rcp_f64_e32 v[8:9], v[6:7]
	v_fma_f64 v[10:11], -v[6:7], v[8:9], 1.0
	v_fma_f64 v[8:9], v[8:9], v[10:11], v[8:9]
	v_fma_f64 v[10:11], -v[6:7], v[8:9], 1.0
	v_fma_f64 v[8:9], v[8:9], v[10:11], v[8:9]
	v_div_scale_f64 v[10:11], vcc_lo, 1.0, v[4:5], 1.0
	v_mul_f64 v[12:13], v[10:11], v[8:9]
	v_fma_f64 v[6:7], -v[6:7], v[12:13], v[10:11]
	v_div_fmas_f64 v[6:7], v[6:7], v[8:9], v[12:13]
	v_div_fixup_f64 v[4:5], v[6:7], v[4:5], 1.0
	ds_write_b64 v1, v[4:5]
.LBB101_194:
	s_or_b32 exec_lo, exec_lo, s1
	s_waitcnt lgkmcnt(0)
	s_barrier
	buffer_gl0_inv
	ds_read_b64 v[212:213], v1
	s_mov_b32 s1, exec_lo
	v_cmpx_lt_u32_e32 38, v0
	s_cbranch_execz .LBB101_196
; %bb.195:
	s_waitcnt lgkmcnt(0)
	v_mul_f64 v[148:149], v[212:213], v[148:149]
	ds_read2_b64 v[4:7], v246 offset0:39 offset1:40
	s_waitcnt lgkmcnt(0)
	v_fma_f64 v[116:117], -v[148:149], v[4:5], v[116:117]
	v_fma_f64 v[146:147], -v[148:149], v[6:7], v[146:147]
	ds_read2_b64 v[4:7], v246 offset0:41 offset1:42
	s_waitcnt lgkmcnt(0)
	v_fma_f64 v[114:115], -v[148:149], v[4:5], v[114:115]
	v_fma_f64 v[144:145], -v[148:149], v[6:7], v[144:145]
	;; [unrolled: 4-line block ×6, first 2 shown]
.LBB101_196:
	s_or_b32 exec_lo, exec_lo, s1
	s_mov_b32 s1, exec_lo
	s_waitcnt lgkmcnt(0)
	s_barrier
	buffer_gl0_inv
	v_cmpx_eq_u32_e32 39, v0
	s_cbranch_execz .LBB101_199
; %bb.197:
	v_mov_b32_e32 v4, v146
	v_mov_b32_e32 v5, v147
	v_mov_b32_e32 v6, v114
	v_mov_b32_e32 v7, v115
	ds_write_b64 v1, v[116:117]
	ds_write2_b64 v246, v[4:5], v[6:7] offset0:40 offset1:41
	v_mov_b32_e32 v4, v144
	v_mov_b32_e32 v5, v145
	v_mov_b32_e32 v6, v112
	v_mov_b32_e32 v7, v113
	ds_write2_b64 v246, v[4:5], v[6:7] offset0:42 offset1:43
	v_mov_b32_e32 v4, v142
	v_mov_b32_e32 v5, v143
	v_mov_b32_e32 v6, v110
	v_mov_b32_e32 v7, v111
	;; [unrolled: 5-line block ×4, first 2 shown]
	ds_write2_b64 v246, v[4:5], v[6:7] offset0:48 offset1:49
	ds_write_b64 v246, v[206:207] offset:400
	ds_read_b64 v[4:5], v1
	s_waitcnt lgkmcnt(0)
	v_cmp_neq_f64_e32 vcc_lo, 0, v[4:5]
	s_and_b32 exec_lo, exec_lo, vcc_lo
	s_cbranch_execz .LBB101_199
; %bb.198:
	v_div_scale_f64 v[6:7], null, v[4:5], v[4:5], 1.0
	v_rcp_f64_e32 v[8:9], v[6:7]
	v_fma_f64 v[10:11], -v[6:7], v[8:9], 1.0
	v_fma_f64 v[8:9], v[8:9], v[10:11], v[8:9]
	v_fma_f64 v[10:11], -v[6:7], v[8:9], 1.0
	v_fma_f64 v[8:9], v[8:9], v[10:11], v[8:9]
	v_div_scale_f64 v[10:11], vcc_lo, 1.0, v[4:5], 1.0
	v_mul_f64 v[12:13], v[10:11], v[8:9]
	v_fma_f64 v[6:7], -v[6:7], v[12:13], v[10:11]
	v_div_fmas_f64 v[6:7], v[6:7], v[8:9], v[12:13]
	v_div_fixup_f64 v[4:5], v[6:7], v[4:5], 1.0
	ds_write_b64 v1, v[4:5]
.LBB101_199:
	s_or_b32 exec_lo, exec_lo, s1
	s_waitcnt lgkmcnt(0)
	s_barrier
	buffer_gl0_inv
	ds_read_b64 v[102:103], v1
	s_mov_b32 s1, exec_lo
	v_cmpx_lt_u32_e32 39, v0
	s_cbranch_execz .LBB101_201
; %bb.200:
	s_waitcnt lgkmcnt(0)
	v_mul_f64 v[116:117], v[102:103], v[116:117]
	ds_read2_b64 v[4:7], v246 offset0:40 offset1:41
	s_waitcnt lgkmcnt(0)
	v_fma_f64 v[146:147], -v[116:117], v[4:5], v[146:147]
	v_fma_f64 v[114:115], -v[116:117], v[6:7], v[114:115]
	ds_read2_b64 v[4:7], v246 offset0:42 offset1:43
	s_waitcnt lgkmcnt(0)
	v_fma_f64 v[144:145], -v[116:117], v[4:5], v[144:145]
	v_fma_f64 v[112:113], -v[116:117], v[6:7], v[112:113]
	;; [unrolled: 4-line block ×4, first 2 shown]
	ds_read2_b64 v[4:7], v246 offset0:48 offset1:49
	s_waitcnt lgkmcnt(0)
	v_fma_f64 v[138:139], -v[116:117], v[4:5], v[138:139]
	ds_read_b64 v[4:5], v246 offset:400
	v_fma_f64 v[106:107], -v[116:117], v[6:7], v[106:107]
	s_waitcnt lgkmcnt(0)
	v_fma_f64 v[206:207], -v[116:117], v[4:5], v[206:207]
.LBB101_201:
	s_or_b32 exec_lo, exec_lo, s1
	s_mov_b32 s1, exec_lo
	s_waitcnt lgkmcnt(0)
	s_barrier
	buffer_gl0_inv
	v_cmpx_eq_u32_e32 40, v0
	s_cbranch_execz .LBB101_204
; %bb.202:
	ds_write_b64 v1, v[146:147]
	ds_write2_b64 v246, v[114:115], v[144:145] offset0:41 offset1:42
	ds_write2_b64 v246, v[112:113], v[142:143] offset0:43 offset1:44
	ds_write2_b64 v246, v[110:111], v[140:141] offset0:45 offset1:46
	ds_write2_b64 v246, v[108:109], v[138:139] offset0:47 offset1:48
	ds_write2_b64 v246, v[106:107], v[206:207] offset0:49 offset1:50
	ds_read_b64 v[4:5], v1
	s_waitcnt lgkmcnt(0)
	v_cmp_neq_f64_e32 vcc_lo, 0, v[4:5]
	s_and_b32 exec_lo, exec_lo, vcc_lo
	s_cbranch_execz .LBB101_204
; %bb.203:
	v_div_scale_f64 v[6:7], null, v[4:5], v[4:5], 1.0
	v_rcp_f64_e32 v[8:9], v[6:7]
	v_fma_f64 v[10:11], -v[6:7], v[8:9], 1.0
	v_fma_f64 v[8:9], v[8:9], v[10:11], v[8:9]
	v_fma_f64 v[10:11], -v[6:7], v[8:9], 1.0
	v_fma_f64 v[8:9], v[8:9], v[10:11], v[8:9]
	v_div_scale_f64 v[10:11], vcc_lo, 1.0, v[4:5], 1.0
	v_mul_f64 v[12:13], v[10:11], v[8:9]
	v_fma_f64 v[6:7], -v[6:7], v[12:13], v[10:11]
	v_div_fmas_f64 v[6:7], v[6:7], v[8:9], v[12:13]
	v_div_fixup_f64 v[4:5], v[6:7], v[4:5], 1.0
	ds_write_b64 v1, v[4:5]
.LBB101_204:
	s_or_b32 exec_lo, exec_lo, s1
	s_waitcnt lgkmcnt(0)
	s_barrier
	buffer_gl0_inv
	ds_read_b64 v[214:215], v1
	s_mov_b32 s1, exec_lo
	v_cmpx_lt_u32_e32 40, v0
	s_cbranch_execz .LBB101_206
; %bb.205:
	s_waitcnt lgkmcnt(0)
	v_mul_f64 v[146:147], v[214:215], v[146:147]
	ds_read2_b64 v[4:7], v246 offset0:41 offset1:42
	s_waitcnt lgkmcnt(0)
	v_fma_f64 v[114:115], -v[146:147], v[4:5], v[114:115]
	v_fma_f64 v[144:145], -v[146:147], v[6:7], v[144:145]
	ds_read2_b64 v[4:7], v246 offset0:43 offset1:44
	s_waitcnt lgkmcnt(0)
	v_fma_f64 v[112:113], -v[146:147], v[4:5], v[112:113]
	v_fma_f64 v[142:143], -v[146:147], v[6:7], v[142:143]
	;; [unrolled: 4-line block ×5, first 2 shown]
.LBB101_206:
	s_or_b32 exec_lo, exec_lo, s1
	s_mov_b32 s1, exec_lo
	s_waitcnt lgkmcnt(0)
	s_barrier
	buffer_gl0_inv
	v_cmpx_eq_u32_e32 41, v0
	s_cbranch_execz .LBB101_209
; %bb.207:
	v_mov_b32_e32 v4, v144
	v_mov_b32_e32 v5, v145
	;; [unrolled: 1-line block ×4, first 2 shown]
	ds_write_b64 v1, v[114:115]
	ds_write2_b64 v246, v[4:5], v[6:7] offset0:42 offset1:43
	v_mov_b32_e32 v4, v142
	v_mov_b32_e32 v5, v143
	v_mov_b32_e32 v6, v110
	v_mov_b32_e32 v7, v111
	ds_write2_b64 v246, v[4:5], v[6:7] offset0:44 offset1:45
	v_mov_b32_e32 v4, v140
	v_mov_b32_e32 v5, v141
	v_mov_b32_e32 v6, v108
	v_mov_b32_e32 v7, v109
	;; [unrolled: 5-line block ×3, first 2 shown]
	ds_write2_b64 v246, v[4:5], v[6:7] offset0:48 offset1:49
	ds_write_b64 v246, v[206:207] offset:400
	ds_read_b64 v[4:5], v1
	s_waitcnt lgkmcnt(0)
	v_cmp_neq_f64_e32 vcc_lo, 0, v[4:5]
	s_and_b32 exec_lo, exec_lo, vcc_lo
	s_cbranch_execz .LBB101_209
; %bb.208:
	v_div_scale_f64 v[6:7], null, v[4:5], v[4:5], 1.0
	v_rcp_f64_e32 v[8:9], v[6:7]
	v_fma_f64 v[10:11], -v[6:7], v[8:9], 1.0
	v_fma_f64 v[8:9], v[8:9], v[10:11], v[8:9]
	v_fma_f64 v[10:11], -v[6:7], v[8:9], 1.0
	v_fma_f64 v[8:9], v[8:9], v[10:11], v[8:9]
	v_div_scale_f64 v[10:11], vcc_lo, 1.0, v[4:5], 1.0
	v_mul_f64 v[12:13], v[10:11], v[8:9]
	v_fma_f64 v[6:7], -v[6:7], v[12:13], v[10:11]
	v_div_fmas_f64 v[6:7], v[6:7], v[8:9], v[12:13]
	v_div_fixup_f64 v[4:5], v[6:7], v[4:5], 1.0
	ds_write_b64 v1, v[4:5]
.LBB101_209:
	s_or_b32 exec_lo, exec_lo, s1
	s_waitcnt lgkmcnt(0)
	s_barrier
	buffer_gl0_inv
	ds_read_b64 v[230:231], v1
	s_mov_b32 s1, exec_lo
	v_cmpx_lt_u32_e32 41, v0
	s_cbranch_execz .LBB101_211
; %bb.210:
	s_waitcnt lgkmcnt(0)
	v_mul_f64 v[114:115], v[230:231], v[114:115]
	ds_read2_b64 v[4:7], v246 offset0:42 offset1:43
	s_waitcnt lgkmcnt(0)
	v_fma_f64 v[144:145], -v[114:115], v[4:5], v[144:145]
	v_fma_f64 v[112:113], -v[114:115], v[6:7], v[112:113]
	ds_read2_b64 v[4:7], v246 offset0:44 offset1:45
	s_waitcnt lgkmcnt(0)
	v_fma_f64 v[142:143], -v[114:115], v[4:5], v[142:143]
	v_fma_f64 v[110:111], -v[114:115], v[6:7], v[110:111]
	;; [unrolled: 4-line block ×3, first 2 shown]
	ds_read2_b64 v[4:7], v246 offset0:48 offset1:49
	s_waitcnt lgkmcnt(0)
	v_fma_f64 v[138:139], -v[114:115], v[4:5], v[138:139]
	ds_read_b64 v[4:5], v246 offset:400
	v_fma_f64 v[106:107], -v[114:115], v[6:7], v[106:107]
	s_waitcnt lgkmcnt(0)
	v_fma_f64 v[206:207], -v[114:115], v[4:5], v[206:207]
.LBB101_211:
	s_or_b32 exec_lo, exec_lo, s1
	s_mov_b32 s1, exec_lo
	s_waitcnt lgkmcnt(0)
	s_barrier
	buffer_gl0_inv
	v_cmpx_eq_u32_e32 42, v0
	s_cbranch_execz .LBB101_214
; %bb.212:
	ds_write_b64 v1, v[144:145]
	ds_write2_b64 v246, v[112:113], v[142:143] offset0:43 offset1:44
	ds_write2_b64 v246, v[110:111], v[140:141] offset0:45 offset1:46
	;; [unrolled: 1-line block ×4, first 2 shown]
	ds_read_b64 v[4:5], v1
	s_waitcnt lgkmcnt(0)
	v_cmp_neq_f64_e32 vcc_lo, 0, v[4:5]
	s_and_b32 exec_lo, exec_lo, vcc_lo
	s_cbranch_execz .LBB101_214
; %bb.213:
	v_div_scale_f64 v[6:7], null, v[4:5], v[4:5], 1.0
	v_rcp_f64_e32 v[8:9], v[6:7]
	v_fma_f64 v[10:11], -v[6:7], v[8:9], 1.0
	v_fma_f64 v[8:9], v[8:9], v[10:11], v[8:9]
	v_fma_f64 v[10:11], -v[6:7], v[8:9], 1.0
	v_fma_f64 v[8:9], v[8:9], v[10:11], v[8:9]
	v_div_scale_f64 v[10:11], vcc_lo, 1.0, v[4:5], 1.0
	v_mul_f64 v[12:13], v[10:11], v[8:9]
	v_fma_f64 v[6:7], -v[6:7], v[12:13], v[10:11]
	v_div_fmas_f64 v[6:7], v[6:7], v[8:9], v[12:13]
	v_div_fixup_f64 v[4:5], v[6:7], v[4:5], 1.0
	ds_write_b64 v1, v[4:5]
.LBB101_214:
	s_or_b32 exec_lo, exec_lo, s1
	s_waitcnt lgkmcnt(0)
	s_barrier
	buffer_gl0_inv
	ds_read_b64 v[232:233], v1
	s_mov_b32 s1, exec_lo
	v_cmpx_lt_u32_e32 42, v0
	s_cbranch_execz .LBB101_216
; %bb.215:
	s_waitcnt lgkmcnt(0)
	v_mul_f64 v[144:145], v[232:233], v[144:145]
	ds_read2_b64 v[4:7], v246 offset0:43 offset1:44
	s_waitcnt lgkmcnt(0)
	v_fma_f64 v[112:113], -v[144:145], v[4:5], v[112:113]
	v_fma_f64 v[142:143], -v[144:145], v[6:7], v[142:143]
	ds_read2_b64 v[4:7], v246 offset0:45 offset1:46
	s_waitcnt lgkmcnt(0)
	v_fma_f64 v[110:111], -v[144:145], v[4:5], v[110:111]
	v_fma_f64 v[140:141], -v[144:145], v[6:7], v[140:141]
	;; [unrolled: 4-line block ×4, first 2 shown]
.LBB101_216:
	s_or_b32 exec_lo, exec_lo, s1
	s_mov_b32 s1, exec_lo
	s_waitcnt lgkmcnt(0)
	s_barrier
	buffer_gl0_inv
	v_cmpx_eq_u32_e32 43, v0
	s_cbranch_execz .LBB101_219
; %bb.217:
	v_mov_b32_e32 v4, v142
	v_mov_b32_e32 v5, v143
	;; [unrolled: 1-line block ×4, first 2 shown]
	ds_write_b64 v1, v[112:113]
	ds_write2_b64 v246, v[4:5], v[6:7] offset0:44 offset1:45
	v_mov_b32_e32 v4, v140
	v_mov_b32_e32 v5, v141
	;; [unrolled: 1-line block ×4, first 2 shown]
	ds_write2_b64 v246, v[4:5], v[6:7] offset0:46 offset1:47
	v_mov_b32_e32 v4, v138
	v_mov_b32_e32 v5, v139
	v_mov_b32_e32 v6, v106
	v_mov_b32_e32 v7, v107
	ds_write2_b64 v246, v[4:5], v[6:7] offset0:48 offset1:49
	ds_write_b64 v246, v[206:207] offset:400
	ds_read_b64 v[4:5], v1
	s_waitcnt lgkmcnt(0)
	v_cmp_neq_f64_e32 vcc_lo, 0, v[4:5]
	s_and_b32 exec_lo, exec_lo, vcc_lo
	s_cbranch_execz .LBB101_219
; %bb.218:
	v_div_scale_f64 v[6:7], null, v[4:5], v[4:5], 1.0
	v_rcp_f64_e32 v[8:9], v[6:7]
	v_fma_f64 v[10:11], -v[6:7], v[8:9], 1.0
	v_fma_f64 v[8:9], v[8:9], v[10:11], v[8:9]
	v_fma_f64 v[10:11], -v[6:7], v[8:9], 1.0
	v_fma_f64 v[8:9], v[8:9], v[10:11], v[8:9]
	v_div_scale_f64 v[10:11], vcc_lo, 1.0, v[4:5], 1.0
	v_mul_f64 v[12:13], v[10:11], v[8:9]
	v_fma_f64 v[6:7], -v[6:7], v[12:13], v[10:11]
	v_div_fmas_f64 v[6:7], v[6:7], v[8:9], v[12:13]
	v_div_fixup_f64 v[4:5], v[6:7], v[4:5], 1.0
	ds_write_b64 v1, v[4:5]
.LBB101_219:
	s_or_b32 exec_lo, exec_lo, s1
	s_waitcnt lgkmcnt(0)
	s_barrier
	buffer_gl0_inv
	ds_read_b64 v[236:237], v1
	s_mov_b32 s1, exec_lo
	v_cmpx_lt_u32_e32 43, v0
	s_cbranch_execz .LBB101_221
; %bb.220:
	s_waitcnt lgkmcnt(0)
	v_mul_f64 v[112:113], v[236:237], v[112:113]
	ds_read2_b64 v[4:7], v246 offset0:44 offset1:45
	s_waitcnt lgkmcnt(0)
	v_fma_f64 v[142:143], -v[112:113], v[4:5], v[142:143]
	v_fma_f64 v[110:111], -v[112:113], v[6:7], v[110:111]
	ds_read2_b64 v[4:7], v246 offset0:46 offset1:47
	s_waitcnt lgkmcnt(0)
	v_fma_f64 v[140:141], -v[112:113], v[4:5], v[140:141]
	v_fma_f64 v[108:109], -v[112:113], v[6:7], v[108:109]
	ds_read2_b64 v[4:7], v246 offset0:48 offset1:49
	s_waitcnt lgkmcnt(0)
	v_fma_f64 v[138:139], -v[112:113], v[4:5], v[138:139]
	ds_read_b64 v[4:5], v246 offset:400
	v_fma_f64 v[106:107], -v[112:113], v[6:7], v[106:107]
	s_waitcnt lgkmcnt(0)
	v_fma_f64 v[206:207], -v[112:113], v[4:5], v[206:207]
.LBB101_221:
	s_or_b32 exec_lo, exec_lo, s1
	s_mov_b32 s1, exec_lo
	s_waitcnt lgkmcnt(0)
	s_barrier
	buffer_gl0_inv
	v_cmpx_eq_u32_e32 44, v0
	s_cbranch_execz .LBB101_224
; %bb.222:
	ds_write_b64 v1, v[142:143]
	ds_write2_b64 v246, v[110:111], v[140:141] offset0:45 offset1:46
	ds_write2_b64 v246, v[108:109], v[138:139] offset0:47 offset1:48
	;; [unrolled: 1-line block ×3, first 2 shown]
	ds_read_b64 v[4:5], v1
	s_waitcnt lgkmcnt(0)
	v_cmp_neq_f64_e32 vcc_lo, 0, v[4:5]
	s_and_b32 exec_lo, exec_lo, vcc_lo
	s_cbranch_execz .LBB101_224
; %bb.223:
	v_div_scale_f64 v[6:7], null, v[4:5], v[4:5], 1.0
	v_rcp_f64_e32 v[8:9], v[6:7]
	v_fma_f64 v[10:11], -v[6:7], v[8:9], 1.0
	v_fma_f64 v[8:9], v[8:9], v[10:11], v[8:9]
	v_fma_f64 v[10:11], -v[6:7], v[8:9], 1.0
	v_fma_f64 v[8:9], v[8:9], v[10:11], v[8:9]
	v_div_scale_f64 v[10:11], vcc_lo, 1.0, v[4:5], 1.0
	v_mul_f64 v[12:13], v[10:11], v[8:9]
	v_fma_f64 v[6:7], -v[6:7], v[12:13], v[10:11]
	v_div_fmas_f64 v[6:7], v[6:7], v[8:9], v[12:13]
	v_div_fixup_f64 v[4:5], v[6:7], v[4:5], 1.0
	ds_write_b64 v1, v[4:5]
.LBB101_224:
	s_or_b32 exec_lo, exec_lo, s1
	s_waitcnt lgkmcnt(0)
	s_barrier
	buffer_gl0_inv
	ds_read_b64 v[2:3], v1
	s_mov_b32 s1, exec_lo
	v_cmpx_lt_u32_e32 44, v0
	s_cbranch_execz .LBB101_226
; %bb.225:
	s_waitcnt lgkmcnt(0)
	v_mul_f64 v[142:143], v[2:3], v[142:143]
	ds_read2_b64 v[4:7], v246 offset0:45 offset1:46
	s_waitcnt lgkmcnt(0)
	v_fma_f64 v[110:111], -v[142:143], v[4:5], v[110:111]
	v_fma_f64 v[140:141], -v[142:143], v[6:7], v[140:141]
	ds_read2_b64 v[4:7], v246 offset0:47 offset1:48
	s_waitcnt lgkmcnt(0)
	v_fma_f64 v[108:109], -v[142:143], v[4:5], v[108:109]
	v_fma_f64 v[138:139], -v[142:143], v[6:7], v[138:139]
	;; [unrolled: 4-line block ×3, first 2 shown]
.LBB101_226:
	s_or_b32 exec_lo, exec_lo, s1
	s_mov_b32 s1, exec_lo
	s_waitcnt lgkmcnt(0)
	s_barrier
	buffer_gl0_inv
	v_cmpx_eq_u32_e32 45, v0
	s_cbranch_execz .LBB101_229
; %bb.227:
	v_mov_b32_e32 v4, v140
	v_mov_b32_e32 v5, v141
	;; [unrolled: 1-line block ×4, first 2 shown]
	ds_write_b64 v1, v[110:111]
	ds_write2_b64 v246, v[4:5], v[6:7] offset0:46 offset1:47
	v_mov_b32_e32 v4, v138
	v_mov_b32_e32 v5, v139
	;; [unrolled: 1-line block ×4, first 2 shown]
	ds_write2_b64 v246, v[4:5], v[6:7] offset0:48 offset1:49
	ds_write_b64 v246, v[206:207] offset:400
	ds_read_b64 v[4:5], v1
	s_waitcnt lgkmcnt(0)
	v_cmp_neq_f64_e32 vcc_lo, 0, v[4:5]
	s_and_b32 exec_lo, exec_lo, vcc_lo
	s_cbranch_execz .LBB101_229
; %bb.228:
	v_div_scale_f64 v[6:7], null, v[4:5], v[4:5], 1.0
	v_rcp_f64_e32 v[8:9], v[6:7]
	v_fma_f64 v[10:11], -v[6:7], v[8:9], 1.0
	v_fma_f64 v[8:9], v[8:9], v[10:11], v[8:9]
	v_fma_f64 v[10:11], -v[6:7], v[8:9], 1.0
	v_fma_f64 v[8:9], v[8:9], v[10:11], v[8:9]
	v_div_scale_f64 v[10:11], vcc_lo, 1.0, v[4:5], 1.0
	v_mul_f64 v[12:13], v[10:11], v[8:9]
	v_fma_f64 v[6:7], -v[6:7], v[12:13], v[10:11]
	v_div_fmas_f64 v[6:7], v[6:7], v[8:9], v[12:13]
	v_div_fixup_f64 v[4:5], v[6:7], v[4:5], 1.0
	ds_write_b64 v1, v[4:5]
.LBB101_229:
	s_or_b32 exec_lo, exec_lo, s1
	s_waitcnt lgkmcnt(0)
	s_barrier
	buffer_gl0_inv
	ds_read_b64 v[4:5], v1
	s_mov_b32 s1, exec_lo
	v_cmpx_lt_u32_e32 45, v0
	s_cbranch_execz .LBB101_231
; %bb.230:
	s_waitcnt lgkmcnt(0)
	v_mul_f64 v[110:111], v[4:5], v[110:111]
	ds_read2_b64 v[6:9], v246 offset0:46 offset1:47
	s_waitcnt lgkmcnt(0)
	v_fma_f64 v[140:141], -v[110:111], v[6:7], v[140:141]
	v_fma_f64 v[108:109], -v[110:111], v[8:9], v[108:109]
	ds_read2_b64 v[6:9], v246 offset0:48 offset1:49
	s_waitcnt lgkmcnt(0)
	v_fma_f64 v[138:139], -v[110:111], v[6:7], v[138:139]
	ds_read_b64 v[6:7], v246 offset:400
	v_fma_f64 v[106:107], -v[110:111], v[8:9], v[106:107]
	s_waitcnt lgkmcnt(0)
	v_fma_f64 v[206:207], -v[110:111], v[6:7], v[206:207]
.LBB101_231:
	s_or_b32 exec_lo, exec_lo, s1
	s_mov_b32 s1, exec_lo
	s_waitcnt lgkmcnt(0)
	s_barrier
	buffer_gl0_inv
	v_cmpx_eq_u32_e32 46, v0
	s_cbranch_execz .LBB101_234
; %bb.232:
	ds_write_b64 v1, v[140:141]
	ds_write2_b64 v246, v[108:109], v[138:139] offset0:47 offset1:48
	ds_write2_b64 v246, v[106:107], v[206:207] offset0:49 offset1:50
	ds_read_b64 v[6:7], v1
	s_waitcnt lgkmcnt(0)
	v_cmp_neq_f64_e32 vcc_lo, 0, v[6:7]
	s_and_b32 exec_lo, exec_lo, vcc_lo
	s_cbranch_execz .LBB101_234
; %bb.233:
	v_div_scale_f64 v[8:9], null, v[6:7], v[6:7], 1.0
	v_rcp_f64_e32 v[10:11], v[8:9]
	v_fma_f64 v[12:13], -v[8:9], v[10:11], 1.0
	v_fma_f64 v[10:11], v[10:11], v[12:13], v[10:11]
	v_fma_f64 v[12:13], -v[8:9], v[10:11], 1.0
	v_fma_f64 v[10:11], v[10:11], v[12:13], v[10:11]
	v_div_scale_f64 v[12:13], vcc_lo, 1.0, v[6:7], 1.0
	v_mul_f64 v[14:15], v[12:13], v[10:11]
	v_fma_f64 v[8:9], -v[8:9], v[14:15], v[12:13]
	v_div_fmas_f64 v[8:9], v[8:9], v[10:11], v[14:15]
	v_div_fixup_f64 v[6:7], v[8:9], v[6:7], 1.0
	ds_write_b64 v1, v[6:7]
.LBB101_234:
	s_or_b32 exec_lo, exec_lo, s1
	s_waitcnt lgkmcnt(0)
	s_barrier
	buffer_gl0_inv
	ds_read_b64 v[6:7], v1
	s_mov_b32 s1, exec_lo
	v_cmpx_lt_u32_e32 46, v0
	s_cbranch_execz .LBB101_236
; %bb.235:
	s_waitcnt lgkmcnt(0)
	v_mul_f64 v[140:141], v[6:7], v[140:141]
	ds_read2_b64 v[8:11], v246 offset0:47 offset1:48
	s_waitcnt lgkmcnt(0)
	v_fma_f64 v[108:109], -v[140:141], v[8:9], v[108:109]
	v_fma_f64 v[138:139], -v[140:141], v[10:11], v[138:139]
	ds_read2_b64 v[8:11], v246 offset0:49 offset1:50
	s_waitcnt lgkmcnt(0)
	v_fma_f64 v[106:107], -v[140:141], v[8:9], v[106:107]
	v_fma_f64 v[206:207], -v[140:141], v[10:11], v[206:207]
.LBB101_236:
	s_or_b32 exec_lo, exec_lo, s1
	s_mov_b32 s1, exec_lo
	s_waitcnt lgkmcnt(0)
	s_barrier
	buffer_gl0_inv
	v_cmpx_eq_u32_e32 47, v0
	s_cbranch_execz .LBB101_239
; %bb.237:
	v_mov_b32_e32 v8, v138
	v_mov_b32_e32 v9, v139
	;; [unrolled: 1-line block ×4, first 2 shown]
	ds_write_b64 v1, v[108:109]
	ds_write2_b64 v246, v[8:9], v[10:11] offset0:48 offset1:49
	ds_write_b64 v246, v[206:207] offset:400
	ds_read_b64 v[8:9], v1
	s_waitcnt lgkmcnt(0)
	v_cmp_neq_f64_e32 vcc_lo, 0, v[8:9]
	s_and_b32 exec_lo, exec_lo, vcc_lo
	s_cbranch_execz .LBB101_239
; %bb.238:
	v_div_scale_f64 v[10:11], null, v[8:9], v[8:9], 1.0
	v_rcp_f64_e32 v[12:13], v[10:11]
	v_fma_f64 v[14:15], -v[10:11], v[12:13], 1.0
	v_fma_f64 v[12:13], v[12:13], v[14:15], v[12:13]
	v_fma_f64 v[14:15], -v[10:11], v[12:13], 1.0
	v_fma_f64 v[12:13], v[12:13], v[14:15], v[12:13]
	v_div_scale_f64 v[14:15], vcc_lo, 1.0, v[8:9], 1.0
	v_mul_f64 v[16:17], v[14:15], v[12:13]
	v_fma_f64 v[10:11], -v[10:11], v[16:17], v[14:15]
	v_div_fmas_f64 v[10:11], v[10:11], v[12:13], v[16:17]
	v_div_fixup_f64 v[8:9], v[10:11], v[8:9], 1.0
	ds_write_b64 v1, v[8:9]
.LBB101_239:
	s_or_b32 exec_lo, exec_lo, s1
	s_waitcnt lgkmcnt(0)
	s_barrier
	buffer_gl0_inv
	ds_read_b64 v[8:9], v1
	s_mov_b32 s1, exec_lo
	v_cmpx_lt_u32_e32 47, v0
	s_cbranch_execz .LBB101_241
; %bb.240:
	s_waitcnt lgkmcnt(0)
	v_mul_f64 v[108:109], v[8:9], v[108:109]
	ds_read2_b64 v[10:13], v246 offset0:48 offset1:49
	s_waitcnt lgkmcnt(0)
	v_fma_f64 v[138:139], -v[108:109], v[10:11], v[138:139]
	ds_read_b64 v[10:11], v246 offset:400
	v_fma_f64 v[106:107], -v[108:109], v[12:13], v[106:107]
	s_waitcnt lgkmcnt(0)
	v_fma_f64 v[206:207], -v[108:109], v[10:11], v[206:207]
.LBB101_241:
	s_or_b32 exec_lo, exec_lo, s1
	s_mov_b32 s1, exec_lo
	s_waitcnt lgkmcnt(0)
	s_barrier
	buffer_gl0_inv
	v_cmpx_eq_u32_e32 48, v0
	s_cbranch_execz .LBB101_244
; %bb.242:
	ds_write_b64 v1, v[138:139]
	ds_write2_b64 v246, v[106:107], v[206:207] offset0:49 offset1:50
	ds_read_b64 v[10:11], v1
	s_waitcnt lgkmcnt(0)
	v_cmp_neq_f64_e32 vcc_lo, 0, v[10:11]
	s_and_b32 exec_lo, exec_lo, vcc_lo
	s_cbranch_execz .LBB101_244
; %bb.243:
	v_div_scale_f64 v[12:13], null, v[10:11], v[10:11], 1.0
	v_mov_b32_e32 v209, v19
	v_mov_b32_e32 v208, v18
	v_rcp_f64_e32 v[14:15], v[12:13]
	v_fma_f64 v[16:17], -v[12:13], v[14:15], 1.0
	v_fma_f64 v[14:15], v[14:15], v[16:17], v[14:15]
	v_fma_f64 v[16:17], -v[12:13], v[14:15], 1.0
	v_fma_f64 v[14:15], v[14:15], v[16:17], v[14:15]
	v_div_scale_f64 v[16:17], vcc_lo, 1.0, v[10:11], 1.0
	v_mul_f64 v[18:19], v[16:17], v[14:15]
	v_fma_f64 v[12:13], -v[12:13], v[18:19], v[16:17]
	v_div_fmas_f64 v[12:13], v[12:13], v[14:15], v[18:19]
	v_mov_b32_e32 v18, v208
	v_mov_b32_e32 v19, v209
	v_div_fixup_f64 v[10:11], v[12:13], v[10:11], 1.0
	ds_write_b64 v1, v[10:11]
.LBB101_244:
	s_or_b32 exec_lo, exec_lo, s1
	s_waitcnt lgkmcnt(0)
	s_barrier
	buffer_gl0_inv
	ds_read_b64 v[10:11], v1
	s_mov_b32 s1, exec_lo
	v_cmpx_lt_u32_e32 48, v0
	s_cbranch_execz .LBB101_246
; %bb.245:
	s_waitcnt lgkmcnt(0)
	v_mul_f64 v[138:139], v[10:11], v[138:139]
	ds_read2_b64 v[12:15], v246 offset0:49 offset1:50
	s_waitcnt lgkmcnt(0)
	v_fma_f64 v[106:107], -v[138:139], v[12:13], v[106:107]
	v_fma_f64 v[206:207], -v[138:139], v[14:15], v[206:207]
.LBB101_246:
	s_or_b32 exec_lo, exec_lo, s1
	s_mov_b32 s1, exec_lo
	s_waitcnt lgkmcnt(0)
	s_barrier
	buffer_gl0_inv
	v_cmpx_eq_u32_e32 49, v0
	s_cbranch_execz .LBB101_249
; %bb.247:
	ds_write_b64 v1, v[106:107]
	ds_write_b64 v246, v[206:207] offset:400
	ds_read_b64 v[12:13], v1
	s_waitcnt lgkmcnt(0)
	v_cmp_neq_f64_e32 vcc_lo, 0, v[12:13]
	s_and_b32 exec_lo, exec_lo, vcc_lo
	s_cbranch_execz .LBB101_249
; %bb.248:
	v_div_scale_f64 v[14:15], null, v[12:13], v[12:13], 1.0
	v_mov_b32_e32 v235, v233
	v_mov_b32_e32 v234, v232
	;; [unrolled: 1-line block ×20, first 2 shown]
	v_rcp_f64_e32 v[16:17], v[14:15]
	v_mov_b32_e32 v221, v219
	v_mov_b32_e32 v220, v218
	;; [unrolled: 1-line block ×23, first 2 shown]
	v_fma_f64 v[18:19], -v[14:15], v[16:17], 1.0
	v_mov_b32_e32 v104, v100
	v_mov_b32_e32 v101, v99
	;; [unrolled: 1-line block ×21, first 2 shown]
	v_fma_f64 v[16:17], v[16:17], v[18:19], v[16:17]
	v_mov_b32_e32 v81, v79
	v_mov_b32_e32 v80, v78
	;; [unrolled: 1-line block ×21, first 2 shown]
	v_fma_f64 v[18:19], -v[14:15], v[16:17], 1.0
	v_mov_b32_e32 v60, v58
	v_mov_b32_e32 v59, v57
	;; [unrolled: 1-line block ×21, first 2 shown]
	v_fma_f64 v[16:17], v[16:17], v[18:19], v[16:17]
	v_div_scale_f64 v[18:19], vcc_lo, 1.0, v[12:13], 1.0
	v_mov_b32_e32 v39, v37
	v_mov_b32_e32 v38, v36
	;; [unrolled: 1-line block ×20, first 2 shown]
	v_mul_f64 v[20:21], v[18:19], v[16:17]
	v_mov_b32_e32 v184, v204
	v_mov_b32_e32 v185, v205
	;; [unrolled: 1-line block ×17, first 2 shown]
	v_fma_f64 v[14:15], -v[14:15], v[20:21], v[18:19]
	v_mov_b32_e32 v18, v210
	v_mov_b32_e32 v19, v211
	;; [unrolled: 1-line block ×21, first 2 shown]
	v_div_fmas_f64 v[14:15], v[14:15], v[16:17], v[20:21]
	v_mov_b32_e32 v20, v22
	v_mov_b32_e32 v21, v23
	;; [unrolled: 1-line block ×55, first 2 shown]
	v_div_fixup_f64 v[12:13], v[14:15], v[12:13], 1.0
	v_mov_b32_e32 v75, v77
	v_mov_b32_e32 v76, v78
	;; [unrolled: 1-line block ×53, first 2 shown]
	ds_write_b64 v1, v[12:13]
.LBB101_249:
	s_or_b32 exec_lo, exec_lo, s1
	s_waitcnt lgkmcnt(0)
	s_barrier
	buffer_gl0_inv
	ds_read_b64 v[12:13], v1
	s_mov_b32 s1, exec_lo
	v_cmpx_lt_u32_e32 49, v0
	s_cbranch_execz .LBB101_251
; %bb.250:
	s_waitcnt lgkmcnt(0)
	v_mul_f64 v[106:107], v[12:13], v[106:107]
	ds_read_b64 v[14:15], v246 offset:400
	s_waitcnt lgkmcnt(0)
	v_fma_f64 v[206:207], -v[106:107], v[14:15], v[206:207]
.LBB101_251:
	s_or_b32 exec_lo, exec_lo, s1
	s_mov_b32 s1, exec_lo
	s_waitcnt lgkmcnt(0)
	s_barrier
	buffer_gl0_inv
	v_cmpx_eq_u32_e32 50, v0
	s_cbranch_execz .LBB101_254
; %bb.252:
	v_cmp_neq_f64_e32 vcc_lo, 0, v[206:207]
	ds_write_b64 v1, v[206:207]
	s_and_b32 exec_lo, exec_lo, vcc_lo
	s_cbranch_execz .LBB101_254
; %bb.253:
	v_div_scale_f64 v[14:15], null, v[206:207], v[206:207], 1.0
	v_mov_b32_e32 v209, v19
	v_mov_b32_e32 v208, v18
	;; [unrolled: 1-line block ×20, first 2 shown]
	v_rcp_f64_e32 v[16:17], v[14:15]
	v_mov_b32_e32 v87, v85
	v_mov_b32_e32 v86, v84
	;; [unrolled: 1-line block ×23, first 2 shown]
	v_fma_f64 v[18:19], -v[14:15], v[16:17], 1.0
	v_mov_b32_e32 v64, v62
	v_mov_b32_e32 v63, v61
	v_mov_b32_e32 v62, v60
	v_mov_b32_e32 v61, v59
	v_mov_b32_e32 v60, v58
	v_mov_b32_e32 v59, v57
	v_mov_b32_e32 v58, v56
	v_mov_b32_e32 v57, v55
	v_mov_b32_e32 v56, v54
	v_mov_b32_e32 v55, v53
	v_mov_b32_e32 v54, v52
	v_mov_b32_e32 v53, v51
	v_mov_b32_e32 v52, v50
	v_mov_b32_e32 v51, v49
	v_mov_b32_e32 v50, v48
	v_mov_b32_e32 v49, v47
	v_mov_b32_e32 v48, v46
	v_mov_b32_e32 v47, v45
	v_mov_b32_e32 v46, v44
	v_mov_b32_e32 v45, v43
	v_mov_b32_e32 v44, v42
	v_fma_f64 v[16:17], v[16:17], v[18:19], v[16:17]
	v_mov_b32_e32 v43, v41
	v_mov_b32_e32 v42, v40
	;; [unrolled: 1-line block ×21, first 2 shown]
	v_fma_f64 v[18:19], -v[14:15], v[16:17], 1.0
	v_mov_b32_e32 v22, v20
	v_fma_f64 v[16:17], v[16:17], v[18:19], v[16:17]
	v_div_scale_f64 v[18:19], vcc_lo, 1.0, v[206:207], 1.0
	v_mul_f64 v[20:21], v[18:19], v[16:17]
	v_fma_f64 v[14:15], -v[14:15], v[20:21], v[18:19]
	v_mov_b32_e32 v18, v208
	v_mov_b32_e32 v19, v209
	v_div_fmas_f64 v[14:15], v[14:15], v[16:17], v[20:21]
	v_mov_b32_e32 v20, v22
	v_mov_b32_e32 v21, v23
	v_mov_b32_e32 v22, v24
	v_mov_b32_e32 v23, v25
	v_mov_b32_e32 v24, v26
	v_mov_b32_e32 v25, v27
	v_mov_b32_e32 v26, v28
	v_mov_b32_e32 v27, v29
	v_mov_b32_e32 v28, v30
	v_mov_b32_e32 v29, v31
	v_mov_b32_e32 v30, v32
	v_mov_b32_e32 v31, v33
	v_mov_b32_e32 v32, v34
	v_mov_b32_e32 v33, v35
	v_mov_b32_e32 v34, v36
	v_mov_b32_e32 v35, v37
	v_mov_b32_e32 v36, v38
	v_mov_b32_e32 v37, v39
	v_mov_b32_e32 v38, v40
	v_mov_b32_e32 v39, v41
	v_mov_b32_e32 v40, v42
	v_mov_b32_e32 v41, v43
	v_mov_b32_e32 v42, v44
	v_mov_b32_e32 v43, v45
	v_mov_b32_e32 v44, v46
	v_mov_b32_e32 v45, v47
	v_mov_b32_e32 v46, v48
	v_mov_b32_e32 v47, v49
	v_mov_b32_e32 v48, v50
	v_mov_b32_e32 v49, v51
	v_mov_b32_e32 v50, v52
	v_mov_b32_e32 v51, v53
	v_mov_b32_e32 v52, v54
	v_mov_b32_e32 v53, v55
	v_mov_b32_e32 v54, v56
	v_mov_b32_e32 v55, v57
	v_mov_b32_e32 v56, v58
	v_mov_b32_e32 v57, v59
	v_mov_b32_e32 v58, v60
	v_mov_b32_e32 v59, v61
	v_mov_b32_e32 v60, v62
	v_mov_b32_e32 v61, v63
	v_mov_b32_e32 v62, v64
	v_mov_b32_e32 v63, v65
	v_mov_b32_e32 v64, v66
	v_mov_b32_e32 v65, v67
	v_mov_b32_e32 v66, v68
	v_mov_b32_e32 v67, v69
	v_mov_b32_e32 v68, v70
	v_mov_b32_e32 v69, v71
	v_mov_b32_e32 v70, v72
	v_div_fixup_f64 v[14:15], v[14:15], v[206:207], 1.0
	v_mov_b32_e32 v71, v73
	v_mov_b32_e32 v72, v74
	;; [unrolled: 1-line block ×33, first 2 shown]
	ds_write_b64 v1, v[14:15]
.LBB101_254:
	s_or_b32 exec_lo, exec_lo, s1
	s_waitcnt lgkmcnt(0)
	s_barrier
	buffer_gl0_inv
	ds_read_b64 v[246:247], v1
	s_waitcnt lgkmcnt(0)
	s_barrier
	buffer_gl0_inv
	s_and_saveexec_b32 s1, s0
	s_cbranch_execz .LBB101_257
; %bb.255:
	s_clause 0x1
	buffer_load_dword v14, off, s[12:15], 0 offset:80
	buffer_load_dword v15, off, s[12:15], 0 offset:84
	v_cmp_eq_f64_e32 vcc_lo, 0, v[20:21]
	v_cmp_neq_f64_e64 s0, 0, v[38:39]
	s_load_dwordx2 s[2:3], s[4:5], 0x28
	v_cndmask_b32_e64 v1, 0, 1, vcc_lo
	s_or_b32 vcc_lo, s0, vcc_lo
	v_cndmask_b32_e32 v1, 2, v1, vcc_lo
	v_cmp_eq_f64_e32 vcc_lo, 0, v[252:253]
	v_cmp_eq_u32_e64 s0, 0, v1
	s_and_b32 s0, vcc_lo, s0
	v_cmp_eq_f64_e32 vcc_lo, 0, v[254:255]
	v_cndmask_b32_e64 v1, v1, 3, s0
	v_cmp_eq_u32_e64 s0, 0, v1
	s_and_b32 s0, vcc_lo, s0
	v_cmp_eq_f64_e32 vcc_lo, 0, v[18:19]
	v_cndmask_b32_e64 v1, v1, 4, s0
	v_cmp_eq_u32_e64 s0, 0, v1
	s_and_b32 s0, vcc_lo, s0
	v_cndmask_b32_e64 v1, v1, 5, s0
	v_cmp_eq_u32_e64 s0, 0, v1
	s_waitcnt vmcnt(0)
	v_cmp_eq_f64_e32 vcc_lo, 0, v[14:15]
	s_clause 0x1
	buffer_load_dword v14, off, s[12:15], 0 offset:88
	buffer_load_dword v15, off, s[12:15], 0 offset:92
	s_and_b32 s0, vcc_lo, s0
	v_cndmask_b32_e64 v1, v1, 6, s0
	v_cmp_eq_u32_e64 s0, 0, v1
	s_waitcnt vmcnt(0)
	v_cmp_eq_f64_e32 vcc_lo, 0, v[14:15]
	s_clause 0x1
	buffer_load_dword v14, off, s[12:15], 0 offset:96
	buffer_load_dword v15, off, s[12:15], 0 offset:100
	;; [unrolled: 8-line block ×19, first 2 shown]
	s_and_b32 s0, vcc_lo, s0
	v_cndmask_b32_e64 v1, v1, 24, s0
	v_cmp_eq_u32_e64 s0, 0, v1
	s_waitcnt vmcnt(0)
	v_cmp_eq_f64_e32 vcc_lo, 0, v[14:15]
	s_and_b32 s0, vcc_lo, s0
	v_cmp_eq_f64_e32 vcc_lo, 0, v[238:239]
	v_cndmask_b32_e64 v1, v1, 25, s0
	v_cmp_eq_u32_e64 s0, 0, v1
	s_and_b32 s0, vcc_lo, s0
	v_cmp_eq_f64_e32 vcc_lo, 0, v[240:241]
	v_cndmask_b32_e64 v1, v1, 26, s0
	v_cmp_eq_u32_e64 s0, 0, v1
	;; [unrolled: 4-line block ×26, first 2 shown]
	s_and_b32 s0, vcc_lo, s0
	v_cndmask_b32_e64 v4, v1, 51, s0
	s_clause 0x1
	buffer_load_dword v1, off, s[12:15], 0 offset:248
	buffer_load_dword v2, off, s[12:15], 0 offset:252
	v_cmp_ne_u32_e64 s0, 0, v4
	s_waitcnt vmcnt(0)
	v_lshlrev_b64 v[1:2], 2, v[1:2]
	s_waitcnt lgkmcnt(0)
	v_add_co_u32 v1, vcc_lo, s2, v1
	v_add_co_ci_u32_e64 v2, null, s3, v2, vcc_lo
	global_load_dword v3, v[1:2], off
	s_waitcnt vmcnt(0)
	v_cmp_eq_u32_e32 vcc_lo, 0, v3
	s_and_b32 s0, vcc_lo, s0
	s_and_b32 exec_lo, exec_lo, s0
	s_cbranch_execz .LBB101_257
; %bb.256:
	v_add_nc_u32_e32 v3, s9, v4
	global_store_dword v[1:2], v3, off
.LBB101_257:
	s_or_b32 exec_lo, exec_lo, s1
	s_clause 0x1
	buffer_load_dword v3, off, s[12:15], 0 offset:200
	buffer_load_dword v4, off, s[12:15], 0 offset:204
	v_mul_f64 v[1:2], v[246:247], v[206:207]
	v_cmp_lt_u32_e32 vcc_lo, 50, v0
	s_waitcnt vmcnt(0)
	flat_store_dwordx2 v[3:4], v[168:169]
	flat_store_dwordx2 v[104:105], v[186:187]
	s_clause 0x1
	buffer_load_dword v3, off, s[12:15], 0
	buffer_load_dword v4, off, s[12:15], 0 offset:4
	v_cndmask_b32_e32 v2, v207, v2, vcc_lo
	v_cndmask_b32_e32 v1, v206, v1, vcc_lo
	s_waitcnt vmcnt(0)
	flat_store_dwordx2 v[3:4], v[204:205]
	s_clause 0x1
	buffer_load_dword v3, off, s[12:15], 0 offset:8
	buffer_load_dword v4, off, s[12:15], 0 offset:12
	s_waitcnt vmcnt(0)
	flat_store_dwordx2 v[3:4], v[184:185]
	s_clause 0x1
	buffer_load_dword v3, off, s[12:15], 0 offset:16
	buffer_load_dword v4, off, s[12:15], 0 offset:20
	;; [unrolled: 5-line block ×8, first 2 shown]
	s_waitcnt vmcnt(0)
	flat_store_dwordx2 v[3:4], v[196:197]
	flat_store_dwordx2 v[22:23], v[176:177]
	flat_store_dwordx2 v[24:25], v[194:195]
	flat_store_dwordx2 v[26:27], v[174:175]
	flat_store_dwordx2 v[28:29], v[192:193]
	flat_store_dwordx2 v[30:31], v[172:173]
	flat_store_dwordx2 v[32:33], v[190:191]
	flat_store_dwordx2 v[34:35], v[170:171]
	s_clause 0x1
	buffer_load_dword v3, off, s[12:15], 0 offset:72
	buffer_load_dword v4, off, s[12:15], 0 offset:76
	s_waitcnt vmcnt(0)
	flat_store_dwordx2 v[3:4], v[188:189]
	flat_store_dwordx2 v[36:37], v[136:137]
	flat_store_dwordx2 v[40:41], v[166:167]
	flat_store_dwordx2 v[42:43], v[134:135]
	flat_store_dwordx2 v[44:45], v[164:165]
	flat_store_dwordx2 v[46:47], v[132:133]
	flat_store_dwordx2 v[48:49], v[162:163]
	flat_store_dwordx2 v[50:51], v[130:131]
	flat_store_dwordx2 v[52:53], v[160:161]
	flat_store_dwordx2 v[54:55], v[128:129]
	flat_store_dwordx2 v[56:57], v[158:159]
	flat_store_dwordx2 v[58:59], v[126:127]
	flat_store_dwordx2 v[60:61], v[156:157]
	flat_store_dwordx2 v[62:63], v[124:125]
	flat_store_dwordx2 v[64:65], v[154:155]
	flat_store_dwordx2 v[66:67], v[122:123]
	flat_store_dwordx2 v[68:69], v[152:153]
	flat_store_dwordx2 v[70:71], v[120:121]
	flat_store_dwordx2 v[72:73], v[150:151]
	flat_store_dwordx2 v[74:75], v[118:119]
	flat_store_dwordx2 v[76:77], v[148:149]
	flat_store_dwordx2 v[78:79], v[116:117]
	flat_store_dwordx2 v[80:81], v[146:147]
	flat_store_dwordx2 v[82:83], v[114:115]
	flat_store_dwordx2 v[84:85], v[144:145]
	flat_store_dwordx2 v[86:87], v[112:113]
	flat_store_dwordx2 v[88:89], v[142:143]
	flat_store_dwordx2 v[90:91], v[110:111]
	flat_store_dwordx2 v[92:93], v[140:141]
	flat_store_dwordx2 v[94:95], v[108:109]
	flat_store_dwordx2 v[96:97], v[138:139]
	flat_store_dwordx2 v[98:99], v[106:107]
	flat_store_dwordx2 v[100:101], v[1:2]
.LBB101_258:
	s_endpgm
	.section	.rodata,"a",@progbits
	.p2align	6, 0x0
	.amdhsa_kernel _ZN9rocsolver6v33100L23getf2_npvt_small_kernelILi51EdiiPKPdEEvT1_T3_lS5_lPT2_S5_S5_
		.amdhsa_group_segment_fixed_size 0
		.amdhsa_private_segment_fixed_size 260
		.amdhsa_kernarg_size 312
		.amdhsa_user_sgpr_count 6
		.amdhsa_user_sgpr_private_segment_buffer 1
		.amdhsa_user_sgpr_dispatch_ptr 0
		.amdhsa_user_sgpr_queue_ptr 0
		.amdhsa_user_sgpr_kernarg_segment_ptr 1
		.amdhsa_user_sgpr_dispatch_id 0
		.amdhsa_user_sgpr_flat_scratch_init 0
		.amdhsa_user_sgpr_private_segment_size 0
		.amdhsa_wavefront_size32 1
		.amdhsa_uses_dynamic_stack 0
		.amdhsa_system_sgpr_private_segment_wavefront_offset 1
		.amdhsa_system_sgpr_workgroup_id_x 1
		.amdhsa_system_sgpr_workgroup_id_y 1
		.amdhsa_system_sgpr_workgroup_id_z 0
		.amdhsa_system_sgpr_workgroup_info 0
		.amdhsa_system_vgpr_workitem_id 1
		.amdhsa_next_free_vgpr 256
		.amdhsa_next_free_sgpr 16
		.amdhsa_reserve_vcc 1
		.amdhsa_reserve_flat_scratch 1
		.amdhsa_float_round_mode_32 0
		.amdhsa_float_round_mode_16_64 0
		.amdhsa_float_denorm_mode_32 3
		.amdhsa_float_denorm_mode_16_64 3
		.amdhsa_dx10_clamp 1
		.amdhsa_ieee_mode 1
		.amdhsa_fp16_overflow 0
		.amdhsa_workgroup_processor_mode 1
		.amdhsa_memory_ordered 1
		.amdhsa_forward_progress 1
		.amdhsa_shared_vgpr_count 0
		.amdhsa_exception_fp_ieee_invalid_op 0
		.amdhsa_exception_fp_denorm_src 0
		.amdhsa_exception_fp_ieee_div_zero 0
		.amdhsa_exception_fp_ieee_overflow 0
		.amdhsa_exception_fp_ieee_underflow 0
		.amdhsa_exception_fp_ieee_inexact 0
		.amdhsa_exception_int_div_zero 0
	.end_amdhsa_kernel
	.section	.text._ZN9rocsolver6v33100L23getf2_npvt_small_kernelILi51EdiiPKPdEEvT1_T3_lS5_lPT2_S5_S5_,"axG",@progbits,_ZN9rocsolver6v33100L23getf2_npvt_small_kernelILi51EdiiPKPdEEvT1_T3_lS5_lPT2_S5_S5_,comdat
.Lfunc_end101:
	.size	_ZN9rocsolver6v33100L23getf2_npvt_small_kernelILi51EdiiPKPdEEvT1_T3_lS5_lPT2_S5_S5_, .Lfunc_end101-_ZN9rocsolver6v33100L23getf2_npvt_small_kernelILi51EdiiPKPdEEvT1_T3_lS5_lPT2_S5_S5_
                                        ; -- End function
	.set _ZN9rocsolver6v33100L23getf2_npvt_small_kernelILi51EdiiPKPdEEvT1_T3_lS5_lPT2_S5_S5_.num_vgpr, 256
	.set _ZN9rocsolver6v33100L23getf2_npvt_small_kernelILi51EdiiPKPdEEvT1_T3_lS5_lPT2_S5_S5_.num_agpr, 0
	.set _ZN9rocsolver6v33100L23getf2_npvt_small_kernelILi51EdiiPKPdEEvT1_T3_lS5_lPT2_S5_S5_.numbered_sgpr, 16
	.set _ZN9rocsolver6v33100L23getf2_npvt_small_kernelILi51EdiiPKPdEEvT1_T3_lS5_lPT2_S5_S5_.num_named_barrier, 0
	.set _ZN9rocsolver6v33100L23getf2_npvt_small_kernelILi51EdiiPKPdEEvT1_T3_lS5_lPT2_S5_S5_.private_seg_size, 260
	.set _ZN9rocsolver6v33100L23getf2_npvt_small_kernelILi51EdiiPKPdEEvT1_T3_lS5_lPT2_S5_S5_.uses_vcc, 1
	.set _ZN9rocsolver6v33100L23getf2_npvt_small_kernelILi51EdiiPKPdEEvT1_T3_lS5_lPT2_S5_S5_.uses_flat_scratch, 1
	.set _ZN9rocsolver6v33100L23getf2_npvt_small_kernelILi51EdiiPKPdEEvT1_T3_lS5_lPT2_S5_S5_.has_dyn_sized_stack, 0
	.set _ZN9rocsolver6v33100L23getf2_npvt_small_kernelILi51EdiiPKPdEEvT1_T3_lS5_lPT2_S5_S5_.has_recursion, 0
	.set _ZN9rocsolver6v33100L23getf2_npvt_small_kernelILi51EdiiPKPdEEvT1_T3_lS5_lPT2_S5_S5_.has_indirect_call, 0
	.section	.AMDGPU.csdata,"",@progbits
; Kernel info:
; codeLenInByte = 46188
; TotalNumSgprs: 18
; NumVgprs: 256
; ScratchSize: 260
; MemoryBound: 0
; FloatMode: 240
; IeeeMode: 1
; LDSByteSize: 0 bytes/workgroup (compile time only)
; SGPRBlocks: 0
; VGPRBlocks: 31
; NumSGPRsForWavesPerEU: 18
; NumVGPRsForWavesPerEU: 256
; Occupancy: 4
; WaveLimiterHint : 1
; COMPUTE_PGM_RSRC2:SCRATCH_EN: 1
; COMPUTE_PGM_RSRC2:USER_SGPR: 6
; COMPUTE_PGM_RSRC2:TRAP_HANDLER: 0
; COMPUTE_PGM_RSRC2:TGID_X_EN: 1
; COMPUTE_PGM_RSRC2:TGID_Y_EN: 1
; COMPUTE_PGM_RSRC2:TGID_Z_EN: 0
; COMPUTE_PGM_RSRC2:TIDIG_COMP_CNT: 1
	.section	.text._ZN9rocsolver6v33100L18getf2_small_kernelILi52EdiiPKPdEEvT1_T3_lS5_lPS5_llPT2_S5_S5_S7_l,"axG",@progbits,_ZN9rocsolver6v33100L18getf2_small_kernelILi52EdiiPKPdEEvT1_T3_lS5_lPS5_llPT2_S5_S5_S7_l,comdat
	.globl	_ZN9rocsolver6v33100L18getf2_small_kernelILi52EdiiPKPdEEvT1_T3_lS5_lPS5_llPT2_S5_S5_S7_l ; -- Begin function _ZN9rocsolver6v33100L18getf2_small_kernelILi52EdiiPKPdEEvT1_T3_lS5_lPS5_llPT2_S5_S5_S7_l
	.p2align	8
	.type	_ZN9rocsolver6v33100L18getf2_small_kernelILi52EdiiPKPdEEvT1_T3_lS5_lPS5_llPT2_S5_S5_S7_l,@function
_ZN9rocsolver6v33100L18getf2_small_kernelILi52EdiiPKPdEEvT1_T3_lS5_lPS5_llPT2_S5_S5_S7_l: ; @_ZN9rocsolver6v33100L18getf2_small_kernelILi52EdiiPKPdEEvT1_T3_lS5_lPS5_llPT2_S5_S5_S7_l
; %bb.0:
	s_clause 0x1
	s_load_dword s0, s[4:5], 0x6c
	s_load_dwordx2 s[12:13], s[4:5], 0x48
	s_waitcnt lgkmcnt(0)
	s_lshr_b32 s0, s0, 16
	v_mad_u64_u32 v[2:3], null, s7, s0, v[1:2]
	s_mov_b32 s0, exec_lo
	v_cmpx_gt_i32_e64 s12, v2
	s_cbranch_execz .LBB102_881
; %bb.1:
	s_clause 0x1
	s_load_dwordx4 s[0:3], s[4:5], 0x8
	s_load_dwordx4 s[8:11], s[4:5], 0x50
	v_ashrrev_i32_e32 v3, 31, v2
	v_lshlrev_b64 v[4:5], 3, v[2:3]
	s_waitcnt lgkmcnt(0)
	v_add_co_u32 v4, vcc_lo, s0, v4
	v_add_co_ci_u32_e64 v5, null, s1, v5, vcc_lo
	s_cmp_eq_u64 s[8:9], 0
	s_cselect_b32 s6, -1, 0
	global_load_dwordx2 v[6:7], v[4:5], off
	v_mov_b32_e32 v4, 0
	v_mov_b32_e32 v5, 0
	s_and_b32 vcc_lo, exec_lo, s6
	s_cbranch_vccnz .LBB102_3
; %bb.2:
	v_mul_lo_u32 v8, s11, v2
	v_mul_lo_u32 v9, s10, v3
	v_mad_u64_u32 v[4:5], null, s10, v2, 0
	v_add3_u32 v5, v5, v9, v8
	v_lshlrev_b64 v[4:5], 2, v[4:5]
	v_add_co_u32 v4, vcc_lo, s8, v4
	v_add_co_ci_u32_e64 v5, null, s9, v5, vcc_lo
.LBB102_3:
	s_clause 0x1
	s_load_dword s8, s[4:5], 0x18
	s_load_dword s7, s[4:5], 0x0
	s_lshl_b64 s[0:1], s[2:3], 3
	v_lshlrev_b32_e32 v162, 3, v0
	s_waitcnt vmcnt(0)
	v_add_co_u32 v114, vcc_lo, v6, s0
	v_add_co_ci_u32_e64 v115, null, s1, v7, vcc_lo
	s_waitcnt lgkmcnt(0)
	v_add3_u32 v8, s8, s8, v0
	s_ashr_i32 s9, s8, 31
	s_max_i32 s0, s7, 52
	s_lshl_b64 s[10:11], s[8:9], 3
	v_mul_lo_u32 v1, s0, v1
	v_add_nc_u32_e32 v10, s8, v8
	v_ashrrev_i32_e32 v9, 31, v8
	s_cmp_lt_i32 s7, 2
	v_ashrrev_i32_e32 v11, 31, v10
	v_add_nc_u32_e32 v12, s8, v10
	v_lshlrev_b64 v[8:9], 3, v[8:9]
	v_lshlrev_b64 v[6:7], 3, v[10:11]
	v_add_nc_u32_e32 v10, s8, v12
	v_ashrrev_i32_e32 v13, 31, v12
	v_add_co_u32 v8, vcc_lo, v114, v8
	v_add_co_ci_u32_e64 v9, null, v115, v9, vcc_lo
	v_add_nc_u32_e32 v14, s8, v10
	v_ashrrev_i32_e32 v11, 31, v10
	v_lshlrev_b64 v[12:13], 3, v[12:13]
	v_add_co_u32 v6, vcc_lo, v114, v6
	v_add_nc_u32_e32 v16, s8, v14
	v_ashrrev_i32_e32 v15, 31, v14
	v_lshlrev_b64 v[10:11], 3, v[10:11]
	v_add_co_ci_u32_e64 v7, null, v115, v7, vcc_lo
	v_add_nc_u32_e32 v18, s8, v16
	v_ashrrev_i32_e32 v17, 31, v16
	v_lshlrev_b64 v[14:15], 3, v[14:15]
	v_add_co_u32 v12, vcc_lo, v114, v12
	v_add_nc_u32_e32 v20, s8, v18
	v_ashrrev_i32_e32 v19, 31, v18
	v_lshlrev_b64 v[16:17], 3, v[16:17]
	v_add_co_ci_u32_e64 v13, null, v115, v13, vcc_lo
	v_add_nc_u32_e32 v22, s8, v20
	v_ashrrev_i32_e32 v21, 31, v20
	v_add_co_u32 v10, vcc_lo, v114, v10
	v_lshlrev_b64 v[18:19], 3, v[18:19]
	v_add_nc_u32_e32 v24, s8, v22
	v_ashrrev_i32_e32 v23, 31, v22
	v_add_co_ci_u32_e64 v11, null, v115, v11, vcc_lo
	v_add_co_u32 v14, vcc_lo, v114, v14
	v_add_nc_u32_e32 v26, s8, v24
	v_ashrrev_i32_e32 v25, 31, v24
	v_lshlrev_b64 v[20:21], 3, v[20:21]
	v_add_co_ci_u32_e64 v15, null, v115, v15, vcc_lo
	v_add_nc_u32_e32 v28, s8, v26
	v_ashrrev_i32_e32 v27, 31, v26
	v_add_co_u32 v16, vcc_lo, v114, v16
	v_lshlrev_b64 v[22:23], 3, v[22:23]
	v_add_nc_u32_e32 v30, s8, v28
	v_ashrrev_i32_e32 v29, 31, v28
	v_add_co_ci_u32_e64 v17, null, v115, v17, vcc_lo
	v_add_co_u32 v18, vcc_lo, v114, v18
	v_add_nc_u32_e32 v32, s8, v30
	v_lshlrev_b64 v[24:25], 3, v[24:25]
	v_ashrrev_i32_e32 v31, 31, v30
	v_add_co_ci_u32_e64 v19, null, v115, v19, vcc_lo
	v_add_nc_u32_e32 v34, s8, v32
	v_add_co_u32 v20, vcc_lo, v114, v20
	v_lshlrev_b64 v[26:27], 3, v[26:27]
	v_ashrrev_i32_e32 v33, 31, v32
	v_add_nc_u32_e32 v36, s8, v34
	v_add_co_ci_u32_e64 v21, null, v115, v21, vcc_lo
	v_add_co_u32 v22, vcc_lo, v114, v22
	v_add_nc_u32_e32 v38, s8, v36
	v_lshlrev_b64 v[28:29], 3, v[28:29]
	v_ashrrev_i32_e32 v35, 31, v34
	v_add_co_ci_u32_e64 v23, null, v115, v23, vcc_lo
	v_add_nc_u32_e32 v40, s8, v38
	v_add_co_u32 v24, vcc_lo, v114, v24
	v_lshlrev_b64 v[30:31], 3, v[30:31]
	v_ashrrev_i32_e32 v37, 31, v36
	v_add_nc_u32_e32 v42, s8, v40
	;; [unrolled: 11-line block ×3, first 2 shown]
	v_add_co_ci_u32_e64 v29, null, v115, v29, vcc_lo
	v_add_co_u32 v30, vcc_lo, v114, v30
	v_add_nc_u32_e32 v50, s8, v48
	v_lshlrev_b64 v[36:37], 3, v[36:37]
	v_ashrrev_i32_e32 v43, 31, v42
	v_add_co_ci_u32_e64 v31, null, v115, v31, vcc_lo
	v_add_nc_u32_e32 v52, s8, v50
	v_add_co_u32 v32, vcc_lo, v114, v32
	v_lshlrev_b64 v[38:39], 3, v[38:39]
	v_ashrrev_i32_e32 v45, 31, v44
	v_add_co_ci_u32_e64 v33, null, v115, v33, vcc_lo
	v_add_co_u32 v34, vcc_lo, v114, v34
	v_lshlrev_b64 v[40:41], 3, v[40:41]
	v_ashrrev_i32_e32 v47, 31, v46
	v_add_co_ci_u32_e64 v35, null, v115, v35, vcc_lo
	v_add_co_u32 v36, vcc_lo, v114, v36
	v_lshlrev_b64 v[42:43], 3, v[42:43]
	v_add_nc_u32_e32 v54, s8, v52
	v_ashrrev_i32_e32 v49, 31, v48
	v_add_co_ci_u32_e64 v37, null, v115, v37, vcc_lo
	v_add_co_u32 v38, vcc_lo, v114, v38
	v_lshlrev_b64 v[44:45], 3, v[44:45]
	v_ashrrev_i32_e32 v51, 31, v50
	v_add_co_ci_u32_e64 v39, null, v115, v39, vcc_lo
	v_add_co_u32 v40, vcc_lo, v114, v40
	v_lshlrev_b64 v[46:47], 3, v[46:47]
	v_ashrrev_i32_e32 v53, 31, v52
	v_add_nc_u32_e32 v56, s8, v54
	v_add_co_ci_u32_e64 v41, null, v115, v41, vcc_lo
	v_add_co_u32 v42, vcc_lo, v114, v42
	v_lshlrev_b64 v[48:49], 3, v[48:49]
	v_ashrrev_i32_e32 v55, 31, v54
	v_add_co_ci_u32_e64 v43, null, v115, v43, vcc_lo
	v_add_co_u32 v44, vcc_lo, v114, v44
	v_lshlrev_b64 v[50:51], 3, v[50:51]
	v_add_co_ci_u32_e64 v45, null, v115, v45, vcc_lo
	v_add_co_u32 v46, vcc_lo, v114, v46
	v_lshlrev_b64 v[52:53], 3, v[52:53]
	v_add_nc_u32_e32 v58, s8, v56
	v_add_co_ci_u32_e64 v47, null, v115, v47, vcc_lo
	v_add_co_u32 v48, vcc_lo, v114, v48
	v_lshlrev_b64 v[54:55], 3, v[54:55]
	v_ashrrev_i32_e32 v57, 31, v56
	v_add_co_ci_u32_e64 v49, null, v115, v49, vcc_lo
	v_add_co_u32 v50, vcc_lo, v114, v50
	v_ashrrev_i32_e32 v59, 31, v58
	v_add_nc_u32_e32 v60, s8, v58
	v_add_co_ci_u32_e64 v51, null, v115, v51, vcc_lo
	v_add_co_u32 v52, vcc_lo, v114, v52
	v_lshlrev_b64 v[56:57], 3, v[56:57]
	v_add_co_ci_u32_e64 v53, null, v115, v53, vcc_lo
	v_add_co_u32 v108, vcc_lo, v114, v54
	v_add_co_ci_u32_e64 v109, null, v115, v55, vcc_lo
	v_lshlrev_b64 v[54:55], 3, v[58:59]
	v_ashrrev_i32_e32 v61, 31, v60
	v_add_nc_u32_e32 v58, s8, v60
	v_add_co_u32 v110, vcc_lo, v114, v56
	v_add_co_ci_u32_e64 v111, null, v115, v57, vcc_lo
	v_lshlrev_b64 v[56:57], 3, v[60:61]
	v_ashrrev_i32_e32 v59, 31, v58
	v_add_nc_u32_e32 v60, s8, v58
	;; [unrolled: 5-line block ×20, first 2 shown]
	v_add_co_u32 v150, vcc_lo, v114, v54
	v_add_co_ci_u32_e64 v151, null, v115, v55, vcc_lo
	v_lshlrev_b64 v[54:55], 3, v[58:59]
	v_add_nc_u32_e32 v58, s8, v60
	v_ashrrev_i32_e32 v61, 31, v60
	v_add_co_u32 v152, vcc_lo, v114, v56
	v_add_co_ci_u32_e64 v153, null, v115, v57, vcc_lo
	v_ashrrev_i32_e32 v59, 31, v58
	v_lshlrev_b64 v[56:57], 3, v[60:61]
	v_add_co_u32 v154, vcc_lo, v114, v54
	v_add_co_ci_u32_e64 v155, null, v115, v55, vcc_lo
	v_lshlrev_b64 v[54:55], 3, v[58:59]
	v_add_nc_u32_e32 v58, s8, v58
	v_add_co_u32 v156, vcc_lo, v114, v56
	v_add_co_ci_u32_e64 v157, null, v115, v57, vcc_lo
	v_ashrrev_i32_e32 v59, 31, v58
	v_add_co_u32 v158, vcc_lo, v114, v54
	v_add_co_ci_u32_e64 v159, null, v115, v55, vcc_lo
	v_add_co_u32 v56, vcc_lo, v114, v162
	v_add_co_ci_u32_e64 v57, null, 0, v115, vcc_lo
	v_lshlrev_b64 v[54:55], 3, v[58:59]
	v_add_co_u32 v58, vcc_lo, v56, s10
	v_add_co_ci_u32_e64 v59, null, s11, v57, vcc_lo
	v_add_co_u32 v160, vcc_lo, v114, v54
	v_add_co_ci_u32_e64 v161, null, v115, v55, vcc_lo
	s_clause 0x33
	flat_load_dwordx2 v[106:107], v[56:57]
	flat_load_dwordx2 v[104:105], v[58:59]
	;; [unrolled: 1-line block ×52, first 2 shown]
	v_lshl_add_u32 v116, v1, 3, 0
	v_lshlrev_b32_e32 v117, 3, v1
	v_mov_b32_e32 v112, 0
	v_add_nc_u32_e32 v110, v116, v162
	s_waitcnt vmcnt(51) lgkmcnt(51)
	ds_write_b64 v110, v[106:107]
	s_waitcnt vmcnt(0) lgkmcnt(0)
	s_barrier
	buffer_gl0_inv
	ds_read_b64 v[110:111], v116
	s_cbranch_scc1 .LBB102_6
; %bb.4:
	v_add3_u32 v1, v117, 0, 8
	v_mov_b32_e32 v112, 0
	s_mov_b32 s0, 1
.LBB102_5:                              ; =>This Inner Loop Header: Depth=1
	ds_read_b64 v[118:119], v1
	v_add_nc_u32_e32 v1, 8, v1
	s_waitcnt lgkmcnt(0)
	v_cmp_lt_f64_e64 vcc_lo, |v[110:111]|, |v[118:119]|
	v_cndmask_b32_e32 v111, v111, v119, vcc_lo
	v_cndmask_b32_e32 v110, v110, v118, vcc_lo
	v_cndmask_b32_e64 v112, v112, s0, vcc_lo
	s_add_i32 s0, s0, 1
	s_cmp_eq_u32 s7, s0
	s_cbranch_scc0 .LBB102_5
.LBB102_6:
	s_mov_b32 s0, exec_lo
                                        ; implicit-def: $vgpr119
	v_cmpx_ne_u32_e64 v0, v112
	s_xor_b32 s0, exec_lo, s0
	s_cbranch_execz .LBB102_12
; %bb.7:
	s_mov_b32 s1, exec_lo
	v_cmpx_eq_u32_e32 0, v0
	s_cbranch_execz .LBB102_11
; %bb.8:
	v_cmp_ne_u32_e32 vcc_lo, 0, v112
	s_xor_b32 s2, s6, -1
	s_and_b32 s3, s2, vcc_lo
	s_and_saveexec_b32 s2, s3
	s_cbranch_execz .LBB102_10
; %bb.9:
	v_ashrrev_i32_e32 v113, 31, v112
	v_lshlrev_b64 v[0:1], 2, v[112:113]
	v_add_co_u32 v0, vcc_lo, v4, v0
	v_add_co_ci_u32_e64 v1, null, v5, v1, vcc_lo
	s_clause 0x1
	global_load_dword v113, v[0:1], off
	global_load_dword v118, v[4:5], off
	s_waitcnt vmcnt(1)
	global_store_dword v[4:5], v113, off
	s_waitcnt vmcnt(0)
	global_store_dword v[0:1], v118, off
.LBB102_10:
	s_or_b32 exec_lo, exec_lo, s2
	v_mov_b32_e32 v0, v112
.LBB102_11:
	s_or_b32 exec_lo, exec_lo, s1
	v_mov_b32_e32 v119, v0
                                        ; implicit-def: $vgpr0
.LBB102_12:
	s_or_saveexec_b32 s0, s0
	v_mov_b32_e32 v118, v119
	s_xor_b32 exec_lo, exec_lo, s0
	s_cbranch_execz .LBB102_14
; %bb.13:
	v_mov_b32_e32 v119, 0
	v_mov_b32_e32 v118, v0
	ds_write2_b64 v116, v[104:105], v[102:103] offset0:1 offset1:2
	ds_write2_b64 v116, v[98:99], v[100:101] offset0:3 offset1:4
	;; [unrolled: 1-line block ×25, first 2 shown]
	ds_write_b64 v116, v[108:109] offset:408
.LBB102_14:
	s_or_b32 exec_lo, exec_lo, s0
	s_waitcnt lgkmcnt(0)
	v_cmp_eq_f64_e64 s0, 0, v[110:111]
	s_mov_b32 s1, exec_lo
	s_waitcnt_vscnt null, 0x0
	s_barrier
	buffer_gl0_inv
	v_cmpx_lt_i32_e32 0, v119
	s_cbranch_execz .LBB102_16
; %bb.15:
	v_div_scale_f64 v[0:1], null, v[110:111], v[110:111], 1.0
	v_div_scale_f64 v[122:123], vcc_lo, 1.0, v[110:111], 1.0
	v_rcp_f64_e32 v[112:113], v[0:1]
	v_fma_f64 v[120:121], -v[0:1], v[112:113], 1.0
	v_fma_f64 v[112:113], v[112:113], v[120:121], v[112:113]
	v_fma_f64 v[120:121], -v[0:1], v[112:113], 1.0
	v_fma_f64 v[112:113], v[112:113], v[120:121], v[112:113]
	v_mul_f64 v[120:121], v[122:123], v[112:113]
	v_fma_f64 v[0:1], -v[0:1], v[120:121], v[122:123]
	v_div_fmas_f64 v[0:1], v[0:1], v[112:113], v[120:121]
	v_div_fixup_f64 v[0:1], v[0:1], v[110:111], 1.0
	v_cndmask_b32_e64 v1, v1, v111, s0
	v_cndmask_b32_e64 v0, v0, v110, s0
	ds_read2_b64 v[110:113], v116 offset0:1 offset1:2
	ds_read2_b64 v[120:123], v116 offset0:3 offset1:4
	;; [unrolled: 1-line block ×20, first 2 shown]
	v_mul_f64 v[106:107], v[0:1], v[106:107]
	s_waitcnt lgkmcnt(19)
	v_fma_f64 v[104:105], -v[106:107], v[110:111], v[104:105]
	v_fma_f64 v[102:103], -v[106:107], v[112:113], v[102:103]
	s_waitcnt lgkmcnt(18)
	v_fma_f64 v[98:99], -v[106:107], v[120:121], v[98:99]
	v_fma_f64 v[100:101], -v[106:107], v[122:123], v[100:101]
	ds_read2_b64 v[110:113], v116 offset0:41 offset1:42
	ds_read2_b64 v[120:123], v116 offset0:43 offset1:44
	s_waitcnt lgkmcnt(19)
	v_fma_f64 v[94:95], -v[106:107], v[124:125], v[94:95]
	v_fma_f64 v[96:97], -v[106:107], v[126:127], v[96:97]
	s_waitcnt lgkmcnt(18)
	v_fma_f64 v[92:93], -v[106:107], v[128:129], v[92:93]
	v_fma_f64 v[90:91], -v[106:107], v[130:131], v[90:91]
	ds_read2_b64 v[124:127], v116 offset0:45 offset1:46
	ds_read2_b64 v[128:131], v116 offset0:47 offset1:48
	s_waitcnt lgkmcnt(19)
	v_fma_f64 v[88:89], -v[106:107], v[132:133], v[88:89]
	v_fma_f64 v[86:87], -v[106:107], v[134:135], v[86:87]
	ds_read2_b64 v[132:135], v116 offset0:49 offset1:50
	ds_read_b64 v[0:1], v116 offset:408
	s_waitcnt lgkmcnt(20)
	v_fma_f64 v[84:85], -v[106:107], v[136:137], v[84:85]
	v_fma_f64 v[82:83], -v[106:107], v[138:139], v[82:83]
	s_waitcnt lgkmcnt(19)
	v_fma_f64 v[78:79], -v[106:107], v[140:141], v[78:79]
	v_fma_f64 v[80:81], -v[106:107], v[142:143], v[80:81]
	;; [unrolled: 3-line block ×20, first 2 shown]
	s_waitcnt lgkmcnt(0)
	v_fma_f64 v[108:109], -v[106:107], v[0:1], v[108:109]
.LBB102_16:
	s_or_b32 exec_lo, exec_lo, s1
	v_lshl_add_u32 v0, v119, 3, v116
	s_barrier
	buffer_gl0_inv
	v_mov_b32_e32 v110, 1
	ds_write_b64 v0, v[104:105]
	s_waitcnt lgkmcnt(0)
	s_barrier
	buffer_gl0_inv
	ds_read_b64 v[0:1], v116 offset:8
	s_cmp_lt_i32 s7, 3
	s_cbranch_scc1 .LBB102_19
; %bb.17:
	v_add3_u32 v111, v117, 0, 16
	v_mov_b32_e32 v110, 1
	s_mov_b32 s1, 2
.LBB102_18:                             ; =>This Inner Loop Header: Depth=1
	ds_read_b64 v[112:113], v111
	v_add_nc_u32_e32 v111, 8, v111
	s_waitcnt lgkmcnt(0)
	v_cmp_lt_f64_e64 vcc_lo, |v[0:1]|, |v[112:113]|
	v_cndmask_b32_e32 v1, v1, v113, vcc_lo
	v_cndmask_b32_e32 v0, v0, v112, vcc_lo
	v_cndmask_b32_e64 v110, v110, s1, vcc_lo
	s_add_i32 s1, s1, 1
	s_cmp_lg_u32 s7, s1
	s_cbranch_scc1 .LBB102_18
.LBB102_19:
	s_mov_b32 s1, exec_lo
	v_cmpx_ne_u32_e64 v119, v110
	s_xor_b32 s1, exec_lo, s1
	s_cbranch_execz .LBB102_25
; %bb.20:
	s_mov_b32 s2, exec_lo
	v_cmpx_eq_u32_e32 1, v119
	s_cbranch_execz .LBB102_24
; %bb.21:
	v_cmp_ne_u32_e32 vcc_lo, 1, v110
	s_xor_b32 s3, s6, -1
	s_and_b32 s9, s3, vcc_lo
	s_and_saveexec_b32 s3, s9
	s_cbranch_execz .LBB102_23
; %bb.22:
	v_ashrrev_i32_e32 v111, 31, v110
	v_lshlrev_b64 v[111:112], 2, v[110:111]
	v_add_co_u32 v111, vcc_lo, v4, v111
	v_add_co_ci_u32_e64 v112, null, v5, v112, vcc_lo
	s_clause 0x1
	global_load_dword v113, v[111:112], off
	global_load_dword v118, v[4:5], off offset:4
	s_waitcnt vmcnt(1)
	global_store_dword v[4:5], v113, off offset:4
	s_waitcnt vmcnt(0)
	global_store_dword v[111:112], v118, off
.LBB102_23:
	s_or_b32 exec_lo, exec_lo, s3
	v_mov_b32_e32 v118, v110
	v_mov_b32_e32 v119, v110
.LBB102_24:
	s_or_b32 exec_lo, exec_lo, s2
.LBB102_25:
	s_andn2_saveexec_b32 s1, s1
	s_cbranch_execz .LBB102_27
; %bb.26:
	v_mov_b32_e32 v110, v102
	v_mov_b32_e32 v111, v103
	;; [unrolled: 1-line block ×8, first 2 shown]
	ds_write2_b64 v116, v[110:111], v[112:113] offset0:2 offset1:3
	v_mov_b32_e32 v110, v94
	v_mov_b32_e32 v111, v95
	v_mov_b32_e32 v112, v96
	v_mov_b32_e32 v113, v97
	v_mov_b32_e32 v123, v90
	v_mov_b32_e32 v124, v91
	v_mov_b32_e32 v125, v88
	v_mov_b32_e32 v126, v89
	v_mov_b32_e32 v127, v86
	v_mov_b32_e32 v128, v87
	v_mov_b32_e32 v129, v84
	v_mov_b32_e32 v130, v85
	v_mov_b32_e32 v131, v82
	v_mov_b32_e32 v132, v83
	v_mov_b32_e32 v133, v78
	v_mov_b32_e32 v134, v79
	ds_write2_b64 v116, v[119:120], v[110:111] offset0:4 offset1:5
	ds_write2_b64 v116, v[112:113], v[121:122] offset0:6 offset1:7
	ds_write2_b64 v116, v[123:124], v[125:126] offset0:8 offset1:9
	ds_write2_b64 v116, v[127:128], v[129:130] offset0:10 offset1:11
	ds_write2_b64 v116, v[131:132], v[133:134] offset0:12 offset1:13
	v_mov_b32_e32 v110, v80
	v_mov_b32_e32 v111, v81
	v_mov_b32_e32 v112, v74
	v_mov_b32_e32 v113, v75
	v_mov_b32_e32 v119, v76
	v_mov_b32_e32 v120, v77
	v_mov_b32_e32 v121, v72
	v_mov_b32_e32 v122, v73
	v_mov_b32_e32 v123, v70
	v_mov_b32_e32 v124, v71
	v_mov_b32_e32 v125, v68
	v_mov_b32_e32 v126, v69
	v_mov_b32_e32 v127, v66
	v_mov_b32_e32 v128, v67
	v_mov_b32_e32 v129, v64
	v_mov_b32_e32 v130, v65
	v_mov_b32_e32 v131, v62
	v_mov_b32_e32 v132, v63
	v_mov_b32_e32 v133, v58
	v_mov_b32_e32 v134, v59
	ds_write2_b64 v116, v[110:111], v[112:113] offset0:14 offset1:15
	ds_write2_b64 v116, v[119:120], v[121:122] offset0:16 offset1:17
	ds_write2_b64 v116, v[123:124], v[125:126] offset0:18 offset1:19
	ds_write2_b64 v116, v[127:128], v[129:130] offset0:20 offset1:21
	ds_write2_b64 v116, v[131:132], v[133:134] offset0:22 offset1:23
	v_mov_b32_e32 v110, v60
	v_mov_b32_e32 v111, v61
	v_mov_b32_e32 v112, v54
	v_mov_b32_e32 v113, v55
	;; [unrolled: 25-line block ×4, first 2 shown]
	v_mov_b32_e32 v119, 1
	v_mov_b32_e32 v120, v14
	;; [unrolled: 1-line block ×11, first 2 shown]
	ds_write2_b64 v116, v[110:111], v[112:113] offset0:44 offset1:45
	ds_write2_b64 v116, v[120:121], v[122:123] offset0:46 offset1:47
	;; [unrolled: 1-line block ×4, first 2 shown]
.LBB102_27:
	s_or_b32 exec_lo, exec_lo, s1
	s_waitcnt lgkmcnt(0)
	v_cmp_neq_f64_e64 s1, 0, v[0:1]
	s_mov_b32 s2, exec_lo
	s_waitcnt_vscnt null, 0x0
	s_barrier
	buffer_gl0_inv
	v_cmpx_lt_i32_e32 1, v119
	s_cbranch_execz .LBB102_29
; %bb.28:
	v_div_scale_f64 v[110:111], null, v[0:1], v[0:1], 1.0
	v_div_scale_f64 v[122:123], vcc_lo, 1.0, v[0:1], 1.0
	v_rcp_f64_e32 v[112:113], v[110:111]
	v_fma_f64 v[120:121], -v[110:111], v[112:113], 1.0
	v_fma_f64 v[112:113], v[112:113], v[120:121], v[112:113]
	v_fma_f64 v[120:121], -v[110:111], v[112:113], 1.0
	v_fma_f64 v[112:113], v[112:113], v[120:121], v[112:113]
	v_mul_f64 v[120:121], v[122:123], v[112:113]
	v_fma_f64 v[110:111], -v[110:111], v[120:121], v[122:123]
	v_div_fmas_f64 v[110:111], v[110:111], v[112:113], v[120:121]
	v_div_fixup_f64 v[110:111], v[110:111], v[0:1], 1.0
	v_cndmask_b32_e64 v1, v1, v111, s1
	v_cndmask_b32_e64 v0, v0, v110, s1
	ds_read2_b64 v[110:113], v116 offset0:2 offset1:3
	ds_read2_b64 v[120:123], v116 offset0:4 offset1:5
	;; [unrolled: 1-line block ×25, first 2 shown]
	v_mul_f64 v[104:105], v[0:1], v[104:105]
	s_waitcnt lgkmcnt(24)
	v_fma_f64 v[102:103], -v[104:105], v[110:111], v[102:103]
	v_fma_f64 v[98:99], -v[104:105], v[112:113], v[98:99]
	s_waitcnt lgkmcnt(23)
	v_fma_f64 v[100:101], -v[104:105], v[120:121], v[100:101]
	v_fma_f64 v[94:95], -v[104:105], v[122:123], v[94:95]
	;; [unrolled: 3-line block ×25, first 2 shown]
.LBB102_29:
	s_or_b32 exec_lo, exec_lo, s2
	v_lshl_add_u32 v0, v119, 3, v116
	s_barrier
	buffer_gl0_inv
	v_mov_b32_e32 v110, 2
	ds_write_b64 v0, v[102:103]
	s_waitcnt lgkmcnt(0)
	s_barrier
	buffer_gl0_inv
	ds_read_b64 v[0:1], v116 offset:16
	s_cmp_lt_i32 s7, 4
	s_mov_b32 s2, 3
	s_cbranch_scc1 .LBB102_32
; %bb.30:
	v_add3_u32 v111, v117, 0, 24
	v_mov_b32_e32 v110, 2
.LBB102_31:                             ; =>This Inner Loop Header: Depth=1
	ds_read_b64 v[112:113], v111
	v_add_nc_u32_e32 v111, 8, v111
	s_waitcnt lgkmcnt(0)
	v_cmp_lt_f64_e64 vcc_lo, |v[0:1]|, |v[112:113]|
	v_cndmask_b32_e32 v1, v1, v113, vcc_lo
	v_cndmask_b32_e32 v0, v0, v112, vcc_lo
	v_cndmask_b32_e64 v110, v110, s2, vcc_lo
	s_add_i32 s2, s2, 1
	s_cmp_lg_u32 s7, s2
	s_cbranch_scc1 .LBB102_31
.LBB102_32:
	v_cndmask_b32_e64 v111, 2, 1, s0
	v_cndmask_b32_e64 v112, 0, 1, s0
	s_mov_b32 s0, exec_lo
	v_cndmask_b32_e64 v113, v111, v112, s1
	s_waitcnt lgkmcnt(0)
	v_cmpx_eq_f64_e32 0, v[0:1]
	s_xor_b32 s0, exec_lo, s0
; %bb.33:
	v_cmp_ne_u32_e32 vcc_lo, 0, v113
	v_cndmask_b32_e32 v113, 3, v113, vcc_lo
; %bb.34:
	s_andn2_saveexec_b32 s0, s0
	s_cbranch_execz .LBB102_36
; %bb.35:
	v_div_scale_f64 v[111:112], null, v[0:1], v[0:1], 1.0
	v_rcp_f64_e32 v[120:121], v[111:112]
	v_fma_f64 v[122:123], -v[111:112], v[120:121], 1.0
	v_fma_f64 v[120:121], v[120:121], v[122:123], v[120:121]
	v_fma_f64 v[122:123], -v[111:112], v[120:121], 1.0
	v_fma_f64 v[120:121], v[120:121], v[122:123], v[120:121]
	v_div_scale_f64 v[122:123], vcc_lo, 1.0, v[0:1], 1.0
	v_mul_f64 v[124:125], v[122:123], v[120:121]
	v_fma_f64 v[111:112], -v[111:112], v[124:125], v[122:123]
	v_div_fmas_f64 v[111:112], v[111:112], v[120:121], v[124:125]
	v_div_fixup_f64 v[0:1], v[111:112], v[0:1], 1.0
.LBB102_36:
	s_or_b32 exec_lo, exec_lo, s0
	s_mov_b32 s0, exec_lo
	v_cmpx_ne_u32_e64 v119, v110
	s_xor_b32 s0, exec_lo, s0
	s_cbranch_execz .LBB102_42
; %bb.37:
	s_mov_b32 s1, exec_lo
	v_cmpx_eq_u32_e32 2, v119
	s_cbranch_execz .LBB102_41
; %bb.38:
	v_cmp_ne_u32_e32 vcc_lo, 2, v110
	s_xor_b32 s2, s6, -1
	s_and_b32 s3, s2, vcc_lo
	s_and_saveexec_b32 s2, s3
	s_cbranch_execz .LBB102_40
; %bb.39:
	v_ashrrev_i32_e32 v111, 31, v110
	v_lshlrev_b64 v[111:112], 2, v[110:111]
	v_add_co_u32 v111, vcc_lo, v4, v111
	v_add_co_ci_u32_e64 v112, null, v5, v112, vcc_lo
	s_clause 0x1
	global_load_dword v118, v[111:112], off
	global_load_dword v119, v[4:5], off offset:8
	s_waitcnt vmcnt(1)
	global_store_dword v[4:5], v118, off offset:8
	s_waitcnt vmcnt(0)
	global_store_dword v[111:112], v119, off
.LBB102_40:
	s_or_b32 exec_lo, exec_lo, s2
	v_mov_b32_e32 v118, v110
	v_mov_b32_e32 v119, v110
.LBB102_41:
	s_or_b32 exec_lo, exec_lo, s1
.LBB102_42:
	s_andn2_saveexec_b32 s0, s0
	s_cbranch_execz .LBB102_44
; %bb.43:
	v_mov_b32_e32 v119, 2
	ds_write2_b64 v116, v[98:99], v[100:101] offset0:3 offset1:4
	ds_write2_b64 v116, v[94:95], v[96:97] offset0:5 offset1:6
	;; [unrolled: 1-line block ×24, first 2 shown]
	ds_write_b64 v116, v[108:109] offset:408
.LBB102_44:
	s_or_b32 exec_lo, exec_lo, s0
	s_mov_b32 s0, exec_lo
	s_waitcnt lgkmcnt(0)
	s_waitcnt_vscnt null, 0x0
	s_barrier
	buffer_gl0_inv
	v_cmpx_lt_i32_e32 2, v119
	s_cbranch_execz .LBB102_46
; %bb.45:
	v_mul_f64 v[102:103], v[0:1], v[102:103]
	ds_read2_b64 v[120:123], v116 offset0:3 offset1:4
	ds_read2_b64 v[124:127], v116 offset0:5 offset1:6
	;; [unrolled: 1-line block ×12, first 2 shown]
	ds_read_b64 v[0:1], v116 offset:408
	s_waitcnt lgkmcnt(12)
	v_fma_f64 v[98:99], -v[102:103], v[120:121], v[98:99]
	v_fma_f64 v[100:101], -v[102:103], v[122:123], v[100:101]
	s_waitcnt lgkmcnt(11)
	v_fma_f64 v[94:95], -v[102:103], v[124:125], v[94:95]
	v_fma_f64 v[96:97], -v[102:103], v[126:127], v[96:97]
	ds_read2_b64 v[120:123], v116 offset0:27 offset1:28
	ds_read2_b64 v[124:127], v116 offset0:29 offset1:30
	s_waitcnt lgkmcnt(12)
	v_fma_f64 v[92:93], -v[102:103], v[128:129], v[92:93]
	v_fma_f64 v[90:91], -v[102:103], v[130:131], v[90:91]
	s_waitcnt lgkmcnt(11)
	v_fma_f64 v[88:89], -v[102:103], v[132:133], v[88:89]
	v_fma_f64 v[86:87], -v[102:103], v[134:135], v[86:87]
	;; [unrolled: 3-line block ×7, first 2 shown]
	ds_read2_b64 v[128:131], v116 offset0:31 offset1:32
	ds_read2_b64 v[132:135], v116 offset0:33 offset1:34
	s_waitcnt lgkmcnt(7)
	v_fma_f64 v[64:65], -v[102:103], v[156:157], v[64:65]
	v_fma_f64 v[62:63], -v[102:103], v[158:159], v[62:63]
	ds_read2_b64 v[136:139], v116 offset0:35 offset1:36
	ds_read2_b64 v[140:143], v116 offset0:37 offset1:38
	ds_read2_b64 v[144:147], v116 offset0:39 offset1:40
	ds_read2_b64 v[148:151], v116 offset0:41 offset1:42
	s_waitcnt lgkmcnt(7)
	v_fma_f64 v[52:53], -v[102:103], v[120:121], v[52:53]
	ds_read2_b64 v[152:155], v116 offset0:43 offset1:44
	v_fma_f64 v[50:51], -v[102:103], v[122:123], v[50:51]
	ds_read2_b64 v[120:123], v116 offset0:45 offset1:46
	s_waitcnt lgkmcnt(8)
	v_fma_f64 v[48:49], -v[102:103], v[124:125], v[48:49]
	ds_read2_b64 v[156:159], v116 offset0:47 offset1:48
	v_fma_f64 v[46:47], -v[102:103], v[126:127], v[46:47]
	ds_read2_b64 v[124:127], v116 offset0:49 offset1:50
	v_fma_f64 v[58:59], -v[102:103], v[160:161], v[58:59]
	v_fma_f64 v[60:61], -v[102:103], v[162:163], v[60:61]
	;; [unrolled: 1-line block ×4, first 2 shown]
	s_waitcnt lgkmcnt(9)
	v_fma_f64 v[44:45], -v[102:103], v[128:129], v[44:45]
	v_fma_f64 v[42:43], -v[102:103], v[130:131], v[42:43]
	s_waitcnt lgkmcnt(8)
	v_fma_f64 v[38:39], -v[102:103], v[132:133], v[38:39]
	v_fma_f64 v[40:41], -v[102:103], v[134:135], v[40:41]
	;; [unrolled: 3-line block ×10, first 2 shown]
	v_fma_f64 v[108:109], -v[102:103], v[0:1], v[108:109]
.LBB102_46:
	s_or_b32 exec_lo, exec_lo, s0
	v_lshl_add_u32 v0, v119, 3, v116
	s_barrier
	buffer_gl0_inv
	v_mov_b32_e32 v110, 3
	ds_write_b64 v0, v[98:99]
	s_waitcnt lgkmcnt(0)
	s_barrier
	buffer_gl0_inv
	ds_read_b64 v[0:1], v116 offset:24
	s_cmp_lt_i32 s7, 5
	s_cbranch_scc1 .LBB102_49
; %bb.47:
	v_mov_b32_e32 v110, 3
	v_add3_u32 v111, v117, 0, 32
	s_mov_b32 s0, 4
.LBB102_48:                             ; =>This Inner Loop Header: Depth=1
	ds_read_b64 v[120:121], v111
	v_add_nc_u32_e32 v111, 8, v111
	s_waitcnt lgkmcnt(0)
	v_cmp_lt_f64_e64 vcc_lo, |v[0:1]|, |v[120:121]|
	v_cndmask_b32_e32 v1, v1, v121, vcc_lo
	v_cndmask_b32_e32 v0, v0, v120, vcc_lo
	v_cndmask_b32_e64 v110, v110, s0, vcc_lo
	s_add_i32 s0, s0, 1
	s_cmp_lg_u32 s7, s0
	s_cbranch_scc1 .LBB102_48
.LBB102_49:
	s_mov_b32 s0, exec_lo
	s_waitcnt lgkmcnt(0)
	v_cmpx_eq_f64_e32 0, v[0:1]
	s_xor_b32 s0, exec_lo, s0
; %bb.50:
	v_cmp_ne_u32_e32 vcc_lo, 0, v113
	v_cndmask_b32_e32 v113, 4, v113, vcc_lo
; %bb.51:
	s_andn2_saveexec_b32 s0, s0
	s_cbranch_execz .LBB102_53
; %bb.52:
	v_div_scale_f64 v[111:112], null, v[0:1], v[0:1], 1.0
	v_rcp_f64_e32 v[120:121], v[111:112]
	v_fma_f64 v[122:123], -v[111:112], v[120:121], 1.0
	v_fma_f64 v[120:121], v[120:121], v[122:123], v[120:121]
	v_fma_f64 v[122:123], -v[111:112], v[120:121], 1.0
	v_fma_f64 v[120:121], v[120:121], v[122:123], v[120:121]
	v_div_scale_f64 v[122:123], vcc_lo, 1.0, v[0:1], 1.0
	v_mul_f64 v[124:125], v[122:123], v[120:121]
	v_fma_f64 v[111:112], -v[111:112], v[124:125], v[122:123]
	v_div_fmas_f64 v[111:112], v[111:112], v[120:121], v[124:125]
	v_div_fixup_f64 v[0:1], v[111:112], v[0:1], 1.0
.LBB102_53:
	s_or_b32 exec_lo, exec_lo, s0
	s_mov_b32 s0, exec_lo
	v_cmpx_ne_u32_e64 v119, v110
	s_xor_b32 s0, exec_lo, s0
	s_cbranch_execz .LBB102_59
; %bb.54:
	s_mov_b32 s1, exec_lo
	v_cmpx_eq_u32_e32 3, v119
	s_cbranch_execz .LBB102_58
; %bb.55:
	v_cmp_ne_u32_e32 vcc_lo, 3, v110
	s_xor_b32 s2, s6, -1
	s_and_b32 s3, s2, vcc_lo
	s_and_saveexec_b32 s2, s3
	s_cbranch_execz .LBB102_57
; %bb.56:
	v_ashrrev_i32_e32 v111, 31, v110
	v_lshlrev_b64 v[111:112], 2, v[110:111]
	v_add_co_u32 v111, vcc_lo, v4, v111
	v_add_co_ci_u32_e64 v112, null, v5, v112, vcc_lo
	s_clause 0x1
	global_load_dword v118, v[111:112], off
	global_load_dword v119, v[4:5], off offset:12
	s_waitcnt vmcnt(1)
	global_store_dword v[4:5], v118, off offset:12
	s_waitcnt vmcnt(0)
	global_store_dword v[111:112], v119, off
.LBB102_57:
	s_or_b32 exec_lo, exec_lo, s2
	v_mov_b32_e32 v118, v110
	v_mov_b32_e32 v119, v110
.LBB102_58:
	s_or_b32 exec_lo, exec_lo, s1
.LBB102_59:
	s_andn2_saveexec_b32 s0, s0
	s_cbranch_execz .LBB102_61
; %bb.60:
	v_mov_b32_e32 v110, v100
	v_mov_b32_e32 v111, v101
	v_mov_b32_e32 v119, v94
	v_mov_b32_e32 v120, v95
	v_mov_b32_e32 v121, v96
	v_mov_b32_e32 v122, v97
	v_mov_b32_e32 v123, v92
	v_mov_b32_e32 v124, v93
	v_mov_b32_e32 v125, v90
	v_mov_b32_e32 v126, v91
	v_mov_b32_e32 v127, v88
	v_mov_b32_e32 v128, v89
	v_mov_b32_e32 v129, v86
	v_mov_b32_e32 v130, v87
	v_mov_b32_e32 v131, v84
	v_mov_b32_e32 v132, v85
	v_mov_b32_e32 v133, v82
	v_mov_b32_e32 v134, v83
	v_mov_b32_e32 v135, v78
	v_mov_b32_e32 v136, v79
	ds_write2_b64 v116, v[110:111], v[119:120] offset0:4 offset1:5
	ds_write2_b64 v116, v[121:122], v[123:124] offset0:6 offset1:7
	ds_write2_b64 v116, v[125:126], v[127:128] offset0:8 offset1:9
	ds_write2_b64 v116, v[129:130], v[131:132] offset0:10 offset1:11
	ds_write2_b64 v116, v[133:134], v[135:136] offset0:12 offset1:13
	v_mov_b32_e32 v110, v80
	v_mov_b32_e32 v111, v81
	v_mov_b32_e32 v119, v74
	v_mov_b32_e32 v120, v75
	v_mov_b32_e32 v121, v76
	v_mov_b32_e32 v122, v77
	v_mov_b32_e32 v123, v72
	v_mov_b32_e32 v124, v73
	v_mov_b32_e32 v125, v70
	v_mov_b32_e32 v126, v71
	v_mov_b32_e32 v127, v68
	v_mov_b32_e32 v128, v69
	v_mov_b32_e32 v129, v66
	v_mov_b32_e32 v130, v67
	v_mov_b32_e32 v131, v64
	v_mov_b32_e32 v132, v65
	v_mov_b32_e32 v133, v62
	v_mov_b32_e32 v134, v63
	v_mov_b32_e32 v135, v58
	v_mov_b32_e32 v136, v59
	ds_write2_b64 v116, v[110:111], v[119:120] offset0:14 offset1:15
	ds_write2_b64 v116, v[121:122], v[123:124] offset0:16 offset1:17
	ds_write2_b64 v116, v[125:126], v[127:128] offset0:18 offset1:19
	ds_write2_b64 v116, v[129:130], v[131:132] offset0:20 offset1:21
	ds_write2_b64 v116, v[133:134], v[135:136] offset0:22 offset1:23
	;; [unrolled: 25-line block ×4, first 2 shown]
	v_mov_b32_e32 v110, v20
	v_mov_b32_e32 v111, v21
	;; [unrolled: 1-line block ×15, first 2 shown]
	ds_write2_b64 v116, v[110:111], v[120:121] offset0:44 offset1:45
	ds_write2_b64 v116, v[122:123], v[124:125] offset0:46 offset1:47
	ds_write2_b64 v116, v[126:127], v[128:129] offset0:48 offset1:49
	ds_write2_b64 v116, v[130:131], v[108:109] offset0:50 offset1:51
.LBB102_61:
	s_or_b32 exec_lo, exec_lo, s0
	s_mov_b32 s0, exec_lo
	s_waitcnt lgkmcnt(0)
	s_waitcnt_vscnt null, 0x0
	s_barrier
	buffer_gl0_inv
	v_cmpx_lt_i32_e32 3, v119
	s_cbranch_execz .LBB102_63
; %bb.62:
	v_mul_f64 v[98:99], v[0:1], v[98:99]
	ds_read2_b64 v[120:123], v116 offset0:4 offset1:5
	ds_read2_b64 v[124:127], v116 offset0:6 offset1:7
	;; [unrolled: 1-line block ×12, first 2 shown]
	s_waitcnt lgkmcnt(11)
	v_fma_f64 v[100:101], -v[98:99], v[120:121], v[100:101]
	v_fma_f64 v[94:95], -v[98:99], v[122:123], v[94:95]
	ds_read2_b64 v[120:123], v116 offset0:28 offset1:29
	s_waitcnt lgkmcnt(11)
	v_fma_f64 v[96:97], -v[98:99], v[124:125], v[96:97]
	v_fma_f64 v[92:93], -v[98:99], v[126:127], v[92:93]
	s_waitcnt lgkmcnt(10)
	v_fma_f64 v[90:91], -v[98:99], v[128:129], v[90:91]
	v_fma_f64 v[88:89], -v[98:99], v[130:131], v[88:89]
	;; [unrolled: 3-line block ×7, first 2 shown]
	ds_read2_b64 v[124:127], v116 offset0:30 offset1:31
	s_waitcnt lgkmcnt(5)
	v_fma_f64 v[66:67], -v[98:99], v[152:153], v[66:67]
	v_fma_f64 v[64:65], -v[98:99], v[154:155], v[64:65]
	ds_read2_b64 v[128:131], v116 offset0:32 offset1:33
	ds_read2_b64 v[132:135], v116 offset0:34 offset1:35
	s_waitcnt lgkmcnt(6)
	v_fma_f64 v[62:63], -v[98:99], v[156:157], v[62:63]
	v_fma_f64 v[58:59], -v[98:99], v[158:159], v[58:59]
	ds_read2_b64 v[136:139], v116 offset0:36 offset1:37
	;; [unrolled: 5-line block ×3, first 2 shown]
	ds_read2_b64 v[148:151], v116 offset0:42 offset1:43
	ds_read2_b64 v[152:155], v116 offset0:44 offset1:45
	;; [unrolled: 1-line block ×3, first 2 shown]
	s_waitcnt lgkmcnt(9)
	v_fma_f64 v[50:51], -v[98:99], v[120:121], v[50:51]
	v_fma_f64 v[48:49], -v[98:99], v[122:123], v[48:49]
	ds_read2_b64 v[120:123], v116 offset0:48 offset1:49
	ds_read2_b64 v[160:163], v116 offset0:50 offset1:51
	v_fma_f64 v[56:57], -v[98:99], v[164:165], v[56:57]
	v_fma_f64 v[52:53], -v[98:99], v[166:167], v[52:53]
	s_waitcnt lgkmcnt(10)
	v_fma_f64 v[46:47], -v[98:99], v[124:125], v[46:47]
	v_fma_f64 v[44:45], -v[98:99], v[126:127], v[44:45]
	s_waitcnt lgkmcnt(9)
	;; [unrolled: 3-line block ×11, first 2 shown]
	v_fma_f64 v[10:11], -v[98:99], v[160:161], v[10:11]
	v_fma_f64 v[108:109], -v[98:99], v[162:163], v[108:109]
.LBB102_63:
	s_or_b32 exec_lo, exec_lo, s0
	v_lshl_add_u32 v0, v119, 3, v116
	s_barrier
	buffer_gl0_inv
	v_mov_b32_e32 v110, 4
	ds_write_b64 v0, v[100:101]
	s_waitcnt lgkmcnt(0)
	s_barrier
	buffer_gl0_inv
	ds_read_b64 v[0:1], v116 offset:32
	s_cmp_lt_i32 s7, 6
	s_cbranch_scc1 .LBB102_66
; %bb.64:
	v_add3_u32 v111, v117, 0, 40
	v_mov_b32_e32 v110, 4
	s_mov_b32 s0, 5
.LBB102_65:                             ; =>This Inner Loop Header: Depth=1
	ds_read_b64 v[120:121], v111
	v_add_nc_u32_e32 v111, 8, v111
	s_waitcnt lgkmcnt(0)
	v_cmp_lt_f64_e64 vcc_lo, |v[0:1]|, |v[120:121]|
	v_cndmask_b32_e32 v1, v1, v121, vcc_lo
	v_cndmask_b32_e32 v0, v0, v120, vcc_lo
	v_cndmask_b32_e64 v110, v110, s0, vcc_lo
	s_add_i32 s0, s0, 1
	s_cmp_lg_u32 s7, s0
	s_cbranch_scc1 .LBB102_65
.LBB102_66:
	s_mov_b32 s0, exec_lo
	s_waitcnt lgkmcnt(0)
	v_cmpx_eq_f64_e32 0, v[0:1]
	s_xor_b32 s0, exec_lo, s0
; %bb.67:
	v_cmp_ne_u32_e32 vcc_lo, 0, v113
	v_cndmask_b32_e32 v113, 5, v113, vcc_lo
; %bb.68:
	s_andn2_saveexec_b32 s0, s0
	s_cbranch_execz .LBB102_70
; %bb.69:
	v_div_scale_f64 v[111:112], null, v[0:1], v[0:1], 1.0
	v_rcp_f64_e32 v[120:121], v[111:112]
	v_fma_f64 v[122:123], -v[111:112], v[120:121], 1.0
	v_fma_f64 v[120:121], v[120:121], v[122:123], v[120:121]
	v_fma_f64 v[122:123], -v[111:112], v[120:121], 1.0
	v_fma_f64 v[120:121], v[120:121], v[122:123], v[120:121]
	v_div_scale_f64 v[122:123], vcc_lo, 1.0, v[0:1], 1.0
	v_mul_f64 v[124:125], v[122:123], v[120:121]
	v_fma_f64 v[111:112], -v[111:112], v[124:125], v[122:123]
	v_div_fmas_f64 v[111:112], v[111:112], v[120:121], v[124:125]
	v_div_fixup_f64 v[0:1], v[111:112], v[0:1], 1.0
.LBB102_70:
	s_or_b32 exec_lo, exec_lo, s0
	s_mov_b32 s0, exec_lo
	v_cmpx_ne_u32_e64 v119, v110
	s_xor_b32 s0, exec_lo, s0
	s_cbranch_execz .LBB102_76
; %bb.71:
	s_mov_b32 s1, exec_lo
	v_cmpx_eq_u32_e32 4, v119
	s_cbranch_execz .LBB102_75
; %bb.72:
	v_cmp_ne_u32_e32 vcc_lo, 4, v110
	s_xor_b32 s2, s6, -1
	s_and_b32 s3, s2, vcc_lo
	s_and_saveexec_b32 s2, s3
	s_cbranch_execz .LBB102_74
; %bb.73:
	v_ashrrev_i32_e32 v111, 31, v110
	v_lshlrev_b64 v[111:112], 2, v[110:111]
	v_add_co_u32 v111, vcc_lo, v4, v111
	v_add_co_ci_u32_e64 v112, null, v5, v112, vcc_lo
	s_clause 0x1
	global_load_dword v118, v[111:112], off
	global_load_dword v119, v[4:5], off offset:16
	s_waitcnt vmcnt(1)
	global_store_dword v[4:5], v118, off offset:16
	s_waitcnt vmcnt(0)
	global_store_dword v[111:112], v119, off
.LBB102_74:
	s_or_b32 exec_lo, exec_lo, s2
	v_mov_b32_e32 v118, v110
	v_mov_b32_e32 v119, v110
.LBB102_75:
	s_or_b32 exec_lo, exec_lo, s1
.LBB102_76:
	s_andn2_saveexec_b32 s0, s0
	s_cbranch_execz .LBB102_78
; %bb.77:
	v_mov_b32_e32 v119, 4
	ds_write2_b64 v116, v[94:95], v[96:97] offset0:5 offset1:6
	ds_write2_b64 v116, v[92:93], v[90:91] offset0:7 offset1:8
	;; [unrolled: 1-line block ×23, first 2 shown]
	ds_write_b64 v116, v[108:109] offset:408
.LBB102_78:
	s_or_b32 exec_lo, exec_lo, s0
	s_mov_b32 s0, exec_lo
	s_waitcnt lgkmcnt(0)
	s_waitcnt_vscnt null, 0x0
	s_barrier
	buffer_gl0_inv
	v_cmpx_lt_i32_e32 4, v119
	s_cbranch_execz .LBB102_80
; %bb.79:
	v_mul_f64 v[100:101], v[0:1], v[100:101]
	ds_read2_b64 v[120:123], v116 offset0:5 offset1:6
	ds_read2_b64 v[124:127], v116 offset0:7 offset1:8
	;; [unrolled: 1-line block ×12, first 2 shown]
	ds_read_b64 v[0:1], v116 offset:408
	s_waitcnt lgkmcnt(12)
	v_fma_f64 v[94:95], -v[100:101], v[120:121], v[94:95]
	v_fma_f64 v[96:97], -v[100:101], v[122:123], v[96:97]
	ds_read2_b64 v[120:123], v116 offset0:29 offset1:30
	s_waitcnt lgkmcnt(12)
	v_fma_f64 v[92:93], -v[100:101], v[124:125], v[92:93]
	v_fma_f64 v[90:91], -v[100:101], v[126:127], v[90:91]
	s_waitcnt lgkmcnt(11)
	v_fma_f64 v[88:89], -v[100:101], v[128:129], v[88:89]
	v_fma_f64 v[86:87], -v[100:101], v[130:131], v[86:87]
	;; [unrolled: 3-line block ×7, first 2 shown]
	ds_read2_b64 v[124:127], v116 offset0:31 offset1:32
	s_waitcnt lgkmcnt(6)
	v_fma_f64 v[64:65], -v[100:101], v[152:153], v[64:65]
	v_fma_f64 v[62:63], -v[100:101], v[154:155], v[62:63]
	ds_read2_b64 v[128:131], v116 offset0:33 offset1:34
	ds_read2_b64 v[132:135], v116 offset0:35 offset1:36
	s_waitcnt lgkmcnt(7)
	v_fma_f64 v[58:59], -v[100:101], v[156:157], v[58:59]
	v_fma_f64 v[60:61], -v[100:101], v[158:159], v[60:61]
	ds_read2_b64 v[136:139], v116 offset0:37 offset1:38
	ds_read2_b64 v[140:143], v116 offset0:39 offset1:40
	;; [unrolled: 1-line block ×6, first 2 shown]
	s_waitcnt lgkmcnt(9)
	v_fma_f64 v[48:49], -v[100:101], v[120:121], v[48:49]
	v_fma_f64 v[46:47], -v[100:101], v[122:123], v[46:47]
	ds_read2_b64 v[120:123], v116 offset0:49 offset1:50
	v_fma_f64 v[54:55], -v[100:101], v[160:161], v[54:55]
	v_fma_f64 v[56:57], -v[100:101], v[162:163], v[56:57]
	v_fma_f64 v[52:53], -v[100:101], v[164:165], v[52:53]
	v_fma_f64 v[50:51], -v[100:101], v[166:167], v[50:51]
	s_waitcnt lgkmcnt(9)
	v_fma_f64 v[44:45], -v[100:101], v[124:125], v[44:45]
	v_fma_f64 v[42:43], -v[100:101], v[126:127], v[42:43]
	;; [unrolled: 1-line block ×3, first 2 shown]
	s_waitcnt lgkmcnt(8)
	v_fma_f64 v[38:39], -v[100:101], v[128:129], v[38:39]
	v_fma_f64 v[40:41], -v[100:101], v[130:131], v[40:41]
	s_waitcnt lgkmcnt(7)
	v_fma_f64 v[34:35], -v[100:101], v[132:133], v[34:35]
	v_fma_f64 v[36:37], -v[100:101], v[134:135], v[36:37]
	;; [unrolled: 3-line block ×9, first 2 shown]
.LBB102_80:
	s_or_b32 exec_lo, exec_lo, s0
	v_lshl_add_u32 v0, v119, 3, v116
	s_barrier
	buffer_gl0_inv
	v_mov_b32_e32 v110, 5
	ds_write_b64 v0, v[94:95]
	s_waitcnt lgkmcnt(0)
	s_barrier
	buffer_gl0_inv
	ds_read_b64 v[0:1], v116 offset:40
	s_cmp_lt_i32 s7, 7
	s_cbranch_scc1 .LBB102_83
; %bb.81:
	v_add3_u32 v111, v117, 0, 48
	v_mov_b32_e32 v110, 5
	s_mov_b32 s0, 6
.LBB102_82:                             ; =>This Inner Loop Header: Depth=1
	ds_read_b64 v[120:121], v111
	v_add_nc_u32_e32 v111, 8, v111
	s_waitcnt lgkmcnt(0)
	v_cmp_lt_f64_e64 vcc_lo, |v[0:1]|, |v[120:121]|
	v_cndmask_b32_e32 v1, v1, v121, vcc_lo
	v_cndmask_b32_e32 v0, v0, v120, vcc_lo
	v_cndmask_b32_e64 v110, v110, s0, vcc_lo
	s_add_i32 s0, s0, 1
	s_cmp_lg_u32 s7, s0
	s_cbranch_scc1 .LBB102_82
.LBB102_83:
	s_mov_b32 s0, exec_lo
	s_waitcnt lgkmcnt(0)
	v_cmpx_eq_f64_e32 0, v[0:1]
	s_xor_b32 s0, exec_lo, s0
; %bb.84:
	v_cmp_ne_u32_e32 vcc_lo, 0, v113
	v_cndmask_b32_e32 v113, 6, v113, vcc_lo
; %bb.85:
	s_andn2_saveexec_b32 s0, s0
	s_cbranch_execz .LBB102_87
; %bb.86:
	v_div_scale_f64 v[111:112], null, v[0:1], v[0:1], 1.0
	v_rcp_f64_e32 v[120:121], v[111:112]
	v_fma_f64 v[122:123], -v[111:112], v[120:121], 1.0
	v_fma_f64 v[120:121], v[120:121], v[122:123], v[120:121]
	v_fma_f64 v[122:123], -v[111:112], v[120:121], 1.0
	v_fma_f64 v[120:121], v[120:121], v[122:123], v[120:121]
	v_div_scale_f64 v[122:123], vcc_lo, 1.0, v[0:1], 1.0
	v_mul_f64 v[124:125], v[122:123], v[120:121]
	v_fma_f64 v[111:112], -v[111:112], v[124:125], v[122:123]
	v_div_fmas_f64 v[111:112], v[111:112], v[120:121], v[124:125]
	v_div_fixup_f64 v[0:1], v[111:112], v[0:1], 1.0
.LBB102_87:
	s_or_b32 exec_lo, exec_lo, s0
	s_mov_b32 s0, exec_lo
	v_cmpx_ne_u32_e64 v119, v110
	s_xor_b32 s0, exec_lo, s0
	s_cbranch_execz .LBB102_93
; %bb.88:
	s_mov_b32 s1, exec_lo
	v_cmpx_eq_u32_e32 5, v119
	s_cbranch_execz .LBB102_92
; %bb.89:
	v_cmp_ne_u32_e32 vcc_lo, 5, v110
	s_xor_b32 s2, s6, -1
	s_and_b32 s3, s2, vcc_lo
	s_and_saveexec_b32 s2, s3
	s_cbranch_execz .LBB102_91
; %bb.90:
	v_ashrrev_i32_e32 v111, 31, v110
	v_lshlrev_b64 v[111:112], 2, v[110:111]
	v_add_co_u32 v111, vcc_lo, v4, v111
	v_add_co_ci_u32_e64 v112, null, v5, v112, vcc_lo
	s_clause 0x1
	global_load_dword v118, v[111:112], off
	global_load_dword v119, v[4:5], off offset:20
	s_waitcnt vmcnt(1)
	global_store_dword v[4:5], v118, off offset:20
	s_waitcnt vmcnt(0)
	global_store_dword v[111:112], v119, off
.LBB102_91:
	s_or_b32 exec_lo, exec_lo, s2
	v_mov_b32_e32 v118, v110
	v_mov_b32_e32 v119, v110
.LBB102_92:
	s_or_b32 exec_lo, exec_lo, s1
.LBB102_93:
	s_andn2_saveexec_b32 s0, s0
	s_cbranch_execz .LBB102_95
; %bb.94:
	v_mov_b32_e32 v110, v96
	v_mov_b32_e32 v111, v97
	;; [unrolled: 1-line block ×16, first 2 shown]
	ds_write2_b64 v116, v[110:111], v[119:120] offset0:6 offset1:7
	ds_write2_b64 v116, v[121:122], v[123:124] offset0:8 offset1:9
	ds_write2_b64 v116, v[125:126], v[127:128] offset0:10 offset1:11
	ds_write2_b64 v116, v[129:130], v[131:132] offset0:12 offset1:13
	v_mov_b32_e32 v110, v80
	v_mov_b32_e32 v111, v81
	v_mov_b32_e32 v119, v74
	v_mov_b32_e32 v120, v75
	v_mov_b32_e32 v121, v76
	v_mov_b32_e32 v122, v77
	v_mov_b32_e32 v123, v72
	v_mov_b32_e32 v124, v73
	v_mov_b32_e32 v125, v70
	v_mov_b32_e32 v126, v71
	v_mov_b32_e32 v127, v68
	v_mov_b32_e32 v128, v69
	v_mov_b32_e32 v129, v66
	v_mov_b32_e32 v130, v67
	v_mov_b32_e32 v131, v64
	v_mov_b32_e32 v132, v65
	v_mov_b32_e32 v133, v62
	v_mov_b32_e32 v134, v63
	v_mov_b32_e32 v135, v58
	v_mov_b32_e32 v136, v59
	ds_write2_b64 v116, v[110:111], v[119:120] offset0:14 offset1:15
	ds_write2_b64 v116, v[121:122], v[123:124] offset0:16 offset1:17
	ds_write2_b64 v116, v[125:126], v[127:128] offset0:18 offset1:19
	ds_write2_b64 v116, v[129:130], v[131:132] offset0:20 offset1:21
	ds_write2_b64 v116, v[133:134], v[135:136] offset0:22 offset1:23
	v_mov_b32_e32 v110, v60
	v_mov_b32_e32 v111, v61
	v_mov_b32_e32 v119, v54
	v_mov_b32_e32 v120, v55
	v_mov_b32_e32 v121, v56
	v_mov_b32_e32 v122, v57
	v_mov_b32_e32 v123, v52
	v_mov_b32_e32 v124, v53
	v_mov_b32_e32 v125, v50
	v_mov_b32_e32 v126, v51
	v_mov_b32_e32 v127, v48
	v_mov_b32_e32 v128, v49
	v_mov_b32_e32 v129, v46
	v_mov_b32_e32 v130, v47
	v_mov_b32_e32 v131, v44
	v_mov_b32_e32 v132, v45
	v_mov_b32_e32 v133, v42
	v_mov_b32_e32 v134, v43
	v_mov_b32_e32 v135, v38
	v_mov_b32_e32 v136, v39
	ds_write2_b64 v116, v[110:111], v[119:120] offset0:24 offset1:25
	;; [unrolled: 25-line block ×3, first 2 shown]
	ds_write2_b64 v116, v[121:122], v[123:124] offset0:36 offset1:37
	ds_write2_b64 v116, v[125:126], v[127:128] offset0:38 offset1:39
	;; [unrolled: 1-line block ×4, first 2 shown]
	v_mov_b32_e32 v110, v20
	v_mov_b32_e32 v111, v21
	;; [unrolled: 1-line block ×15, first 2 shown]
	ds_write2_b64 v116, v[110:111], v[120:121] offset0:44 offset1:45
	ds_write2_b64 v116, v[122:123], v[124:125] offset0:46 offset1:47
	;; [unrolled: 1-line block ×4, first 2 shown]
.LBB102_95:
	s_or_b32 exec_lo, exec_lo, s0
	s_mov_b32 s0, exec_lo
	s_waitcnt lgkmcnt(0)
	s_waitcnt_vscnt null, 0x0
	s_barrier
	buffer_gl0_inv
	v_cmpx_lt_i32_e32 5, v119
	s_cbranch_execz .LBB102_97
; %bb.96:
	v_mul_f64 v[94:95], v[0:1], v[94:95]
	ds_read2_b64 v[120:123], v116 offset0:6 offset1:7
	ds_read2_b64 v[124:127], v116 offset0:8 offset1:9
	ds_read2_b64 v[128:131], v116 offset0:10 offset1:11
	ds_read2_b64 v[132:135], v116 offset0:12 offset1:13
	ds_read2_b64 v[136:139], v116 offset0:14 offset1:15
	ds_read2_b64 v[140:143], v116 offset0:16 offset1:17
	ds_read2_b64 v[144:147], v116 offset0:18 offset1:19
	ds_read2_b64 v[148:151], v116 offset0:20 offset1:21
	ds_read2_b64 v[152:155], v116 offset0:22 offset1:23
	ds_read2_b64 v[156:159], v116 offset0:24 offset1:25
	ds_read2_b64 v[160:163], v116 offset0:26 offset1:27
	s_waitcnt lgkmcnt(10)
	v_fma_f64 v[96:97], -v[94:95], v[120:121], v[96:97]
	v_fma_f64 v[92:93], -v[94:95], v[122:123], v[92:93]
	ds_read2_b64 v[120:123], v116 offset0:28 offset1:29
	s_waitcnt lgkmcnt(10)
	v_fma_f64 v[90:91], -v[94:95], v[124:125], v[90:91]
	v_fma_f64 v[88:89], -v[94:95], v[126:127], v[88:89]
	s_waitcnt lgkmcnt(9)
	v_fma_f64 v[86:87], -v[94:95], v[128:129], v[86:87]
	v_fma_f64 v[84:85], -v[94:95], v[130:131], v[84:85]
	;; [unrolled: 3-line block ×6, first 2 shown]
	ds_read2_b64 v[124:127], v116 offset0:30 offset1:31
	s_waitcnt lgkmcnt(5)
	v_fma_f64 v[66:67], -v[94:95], v[148:149], v[66:67]
	v_fma_f64 v[64:65], -v[94:95], v[150:151], v[64:65]
	ds_read2_b64 v[128:131], v116 offset0:32 offset1:33
	ds_read2_b64 v[132:135], v116 offset0:34 offset1:35
	s_waitcnt lgkmcnt(6)
	v_fma_f64 v[62:63], -v[94:95], v[152:153], v[62:63]
	v_fma_f64 v[58:59], -v[94:95], v[154:155], v[58:59]
	ds_read2_b64 v[136:139], v116 offset0:36 offset1:37
	;; [unrolled: 5-line block ×5, first 2 shown]
	ds_read2_b64 v[160:163], v116 offset0:50 offset1:51
	s_waitcnt lgkmcnt(10)
	v_fma_f64 v[46:47], -v[94:95], v[124:125], v[46:47]
	v_fma_f64 v[44:45], -v[94:95], v[126:127], v[44:45]
	s_waitcnt lgkmcnt(9)
	v_fma_f64 v[42:43], -v[94:95], v[128:129], v[42:43]
	v_fma_f64 v[38:39], -v[94:95], v[130:131], v[38:39]
	;; [unrolled: 3-line block ×11, first 2 shown]
.LBB102_97:
	s_or_b32 exec_lo, exec_lo, s0
	v_lshl_add_u32 v0, v119, 3, v116
	s_barrier
	buffer_gl0_inv
	v_mov_b32_e32 v110, 6
	ds_write_b64 v0, v[96:97]
	s_waitcnt lgkmcnt(0)
	s_barrier
	buffer_gl0_inv
	ds_read_b64 v[0:1], v116 offset:48
	s_cmp_lt_i32 s7, 8
	s_cbranch_scc1 .LBB102_100
; %bb.98:
	v_add3_u32 v111, v117, 0, 56
	v_mov_b32_e32 v110, 6
	s_mov_b32 s0, 7
.LBB102_99:                             ; =>This Inner Loop Header: Depth=1
	ds_read_b64 v[120:121], v111
	v_add_nc_u32_e32 v111, 8, v111
	s_waitcnt lgkmcnt(0)
	v_cmp_lt_f64_e64 vcc_lo, |v[0:1]|, |v[120:121]|
	v_cndmask_b32_e32 v1, v1, v121, vcc_lo
	v_cndmask_b32_e32 v0, v0, v120, vcc_lo
	v_cndmask_b32_e64 v110, v110, s0, vcc_lo
	s_add_i32 s0, s0, 1
	s_cmp_lg_u32 s7, s0
	s_cbranch_scc1 .LBB102_99
.LBB102_100:
	s_mov_b32 s0, exec_lo
	s_waitcnt lgkmcnt(0)
	v_cmpx_eq_f64_e32 0, v[0:1]
	s_xor_b32 s0, exec_lo, s0
; %bb.101:
	v_cmp_ne_u32_e32 vcc_lo, 0, v113
	v_cndmask_b32_e32 v113, 7, v113, vcc_lo
; %bb.102:
	s_andn2_saveexec_b32 s0, s0
	s_cbranch_execz .LBB102_104
; %bb.103:
	v_div_scale_f64 v[111:112], null, v[0:1], v[0:1], 1.0
	v_rcp_f64_e32 v[120:121], v[111:112]
	v_fma_f64 v[122:123], -v[111:112], v[120:121], 1.0
	v_fma_f64 v[120:121], v[120:121], v[122:123], v[120:121]
	v_fma_f64 v[122:123], -v[111:112], v[120:121], 1.0
	v_fma_f64 v[120:121], v[120:121], v[122:123], v[120:121]
	v_div_scale_f64 v[122:123], vcc_lo, 1.0, v[0:1], 1.0
	v_mul_f64 v[124:125], v[122:123], v[120:121]
	v_fma_f64 v[111:112], -v[111:112], v[124:125], v[122:123]
	v_div_fmas_f64 v[111:112], v[111:112], v[120:121], v[124:125]
	v_div_fixup_f64 v[0:1], v[111:112], v[0:1], 1.0
.LBB102_104:
	s_or_b32 exec_lo, exec_lo, s0
	s_mov_b32 s0, exec_lo
	v_cmpx_ne_u32_e64 v119, v110
	s_xor_b32 s0, exec_lo, s0
	s_cbranch_execz .LBB102_110
; %bb.105:
	s_mov_b32 s1, exec_lo
	v_cmpx_eq_u32_e32 6, v119
	s_cbranch_execz .LBB102_109
; %bb.106:
	v_cmp_ne_u32_e32 vcc_lo, 6, v110
	s_xor_b32 s2, s6, -1
	s_and_b32 s3, s2, vcc_lo
	s_and_saveexec_b32 s2, s3
	s_cbranch_execz .LBB102_108
; %bb.107:
	v_ashrrev_i32_e32 v111, 31, v110
	v_lshlrev_b64 v[111:112], 2, v[110:111]
	v_add_co_u32 v111, vcc_lo, v4, v111
	v_add_co_ci_u32_e64 v112, null, v5, v112, vcc_lo
	s_clause 0x1
	global_load_dword v118, v[111:112], off
	global_load_dword v119, v[4:5], off offset:24
	s_waitcnt vmcnt(1)
	global_store_dword v[4:5], v118, off offset:24
	s_waitcnt vmcnt(0)
	global_store_dword v[111:112], v119, off
.LBB102_108:
	s_or_b32 exec_lo, exec_lo, s2
	v_mov_b32_e32 v118, v110
	v_mov_b32_e32 v119, v110
.LBB102_109:
	s_or_b32 exec_lo, exec_lo, s1
.LBB102_110:
	s_andn2_saveexec_b32 s0, s0
	s_cbranch_execz .LBB102_112
; %bb.111:
	v_mov_b32_e32 v119, 6
	ds_write2_b64 v116, v[92:93], v[90:91] offset0:7 offset1:8
	ds_write2_b64 v116, v[88:89], v[86:87] offset0:9 offset1:10
	;; [unrolled: 1-line block ×22, first 2 shown]
	ds_write_b64 v116, v[108:109] offset:408
.LBB102_112:
	s_or_b32 exec_lo, exec_lo, s0
	s_mov_b32 s0, exec_lo
	s_waitcnt lgkmcnt(0)
	s_waitcnt_vscnt null, 0x0
	s_barrier
	buffer_gl0_inv
	v_cmpx_lt_i32_e32 6, v119
	s_cbranch_execz .LBB102_114
; %bb.113:
	v_mul_f64 v[96:97], v[0:1], v[96:97]
	ds_read2_b64 v[120:123], v116 offset0:7 offset1:8
	ds_read2_b64 v[124:127], v116 offset0:9 offset1:10
	;; [unrolled: 1-line block ×11, first 2 shown]
	ds_read_b64 v[0:1], v116 offset:408
	s_waitcnt lgkmcnt(11)
	v_fma_f64 v[92:93], -v[96:97], v[120:121], v[92:93]
	v_fma_f64 v[90:91], -v[96:97], v[122:123], v[90:91]
	ds_read2_b64 v[120:123], v116 offset0:29 offset1:30
	s_waitcnt lgkmcnt(11)
	v_fma_f64 v[88:89], -v[96:97], v[124:125], v[88:89]
	v_fma_f64 v[86:87], -v[96:97], v[126:127], v[86:87]
	s_waitcnt lgkmcnt(10)
	v_fma_f64 v[84:85], -v[96:97], v[128:129], v[84:85]
	v_fma_f64 v[82:83], -v[96:97], v[130:131], v[82:83]
	;; [unrolled: 3-line block ×6, first 2 shown]
	ds_read2_b64 v[124:127], v116 offset0:31 offset1:32
	s_waitcnt lgkmcnt(6)
	v_fma_f64 v[64:65], -v[96:97], v[148:149], v[64:65]
	v_fma_f64 v[62:63], -v[96:97], v[150:151], v[62:63]
	ds_read2_b64 v[128:131], v116 offset0:33 offset1:34
	ds_read2_b64 v[132:135], v116 offset0:35 offset1:36
	s_waitcnt lgkmcnt(7)
	v_fma_f64 v[58:59], -v[96:97], v[152:153], v[58:59]
	v_fma_f64 v[60:61], -v[96:97], v[154:155], v[60:61]
	ds_read2_b64 v[136:139], v116 offset0:37 offset1:38
	;; [unrolled: 5-line block ×3, first 2 shown]
	ds_read2_b64 v[148:151], v116 offset0:43 offset1:44
	ds_read2_b64 v[152:155], v116 offset0:45 offset1:46
	;; [unrolled: 1-line block ×3, first 2 shown]
	s_waitcnt lgkmcnt(9)
	v_fma_f64 v[48:49], -v[96:97], v[120:121], v[48:49]
	v_fma_f64 v[46:47], -v[96:97], v[122:123], v[46:47]
	ds_read2_b64 v[120:123], v116 offset0:49 offset1:50
	v_fma_f64 v[52:53], -v[96:97], v[160:161], v[52:53]
	v_fma_f64 v[50:51], -v[96:97], v[162:163], v[50:51]
	s_waitcnt lgkmcnt(9)
	v_fma_f64 v[44:45], -v[96:97], v[124:125], v[44:45]
	v_fma_f64 v[42:43], -v[96:97], v[126:127], v[42:43]
	;; [unrolled: 1-line block ×3, first 2 shown]
	s_waitcnt lgkmcnt(8)
	v_fma_f64 v[38:39], -v[96:97], v[128:129], v[38:39]
	v_fma_f64 v[40:41], -v[96:97], v[130:131], v[40:41]
	s_waitcnt lgkmcnt(7)
	v_fma_f64 v[34:35], -v[96:97], v[132:133], v[34:35]
	v_fma_f64 v[36:37], -v[96:97], v[134:135], v[36:37]
	;; [unrolled: 3-line block ×9, first 2 shown]
.LBB102_114:
	s_or_b32 exec_lo, exec_lo, s0
	v_lshl_add_u32 v0, v119, 3, v116
	s_barrier
	buffer_gl0_inv
	v_mov_b32_e32 v110, 7
	ds_write_b64 v0, v[92:93]
	s_waitcnt lgkmcnt(0)
	s_barrier
	buffer_gl0_inv
	ds_read_b64 v[0:1], v116 offset:56
	s_cmp_lt_i32 s7, 9
	s_cbranch_scc1 .LBB102_117
; %bb.115:
	v_add3_u32 v111, v117, 0, 64
	v_mov_b32_e32 v110, 7
	s_mov_b32 s0, 8
.LBB102_116:                            ; =>This Inner Loop Header: Depth=1
	ds_read_b64 v[120:121], v111
	v_add_nc_u32_e32 v111, 8, v111
	s_waitcnt lgkmcnt(0)
	v_cmp_lt_f64_e64 vcc_lo, |v[0:1]|, |v[120:121]|
	v_cndmask_b32_e32 v1, v1, v121, vcc_lo
	v_cndmask_b32_e32 v0, v0, v120, vcc_lo
	v_cndmask_b32_e64 v110, v110, s0, vcc_lo
	s_add_i32 s0, s0, 1
	s_cmp_lg_u32 s7, s0
	s_cbranch_scc1 .LBB102_116
.LBB102_117:
	s_mov_b32 s0, exec_lo
	s_waitcnt lgkmcnt(0)
	v_cmpx_eq_f64_e32 0, v[0:1]
	s_xor_b32 s0, exec_lo, s0
; %bb.118:
	v_cmp_ne_u32_e32 vcc_lo, 0, v113
	v_cndmask_b32_e32 v113, 8, v113, vcc_lo
; %bb.119:
	s_andn2_saveexec_b32 s0, s0
	s_cbranch_execz .LBB102_121
; %bb.120:
	v_div_scale_f64 v[111:112], null, v[0:1], v[0:1], 1.0
	v_rcp_f64_e32 v[120:121], v[111:112]
	v_fma_f64 v[122:123], -v[111:112], v[120:121], 1.0
	v_fma_f64 v[120:121], v[120:121], v[122:123], v[120:121]
	v_fma_f64 v[122:123], -v[111:112], v[120:121], 1.0
	v_fma_f64 v[120:121], v[120:121], v[122:123], v[120:121]
	v_div_scale_f64 v[122:123], vcc_lo, 1.0, v[0:1], 1.0
	v_mul_f64 v[124:125], v[122:123], v[120:121]
	v_fma_f64 v[111:112], -v[111:112], v[124:125], v[122:123]
	v_div_fmas_f64 v[111:112], v[111:112], v[120:121], v[124:125]
	v_div_fixup_f64 v[0:1], v[111:112], v[0:1], 1.0
.LBB102_121:
	s_or_b32 exec_lo, exec_lo, s0
	s_mov_b32 s0, exec_lo
	v_cmpx_ne_u32_e64 v119, v110
	s_xor_b32 s0, exec_lo, s0
	s_cbranch_execz .LBB102_127
; %bb.122:
	s_mov_b32 s1, exec_lo
	v_cmpx_eq_u32_e32 7, v119
	s_cbranch_execz .LBB102_126
; %bb.123:
	v_cmp_ne_u32_e32 vcc_lo, 7, v110
	s_xor_b32 s2, s6, -1
	s_and_b32 s3, s2, vcc_lo
	s_and_saveexec_b32 s2, s3
	s_cbranch_execz .LBB102_125
; %bb.124:
	v_ashrrev_i32_e32 v111, 31, v110
	v_lshlrev_b64 v[111:112], 2, v[110:111]
	v_add_co_u32 v111, vcc_lo, v4, v111
	v_add_co_ci_u32_e64 v112, null, v5, v112, vcc_lo
	s_clause 0x1
	global_load_dword v118, v[111:112], off
	global_load_dword v119, v[4:5], off offset:28
	s_waitcnt vmcnt(1)
	global_store_dword v[4:5], v118, off offset:28
	s_waitcnt vmcnt(0)
	global_store_dword v[111:112], v119, off
.LBB102_125:
	s_or_b32 exec_lo, exec_lo, s2
	v_mov_b32_e32 v118, v110
	v_mov_b32_e32 v119, v110
.LBB102_126:
	s_or_b32 exec_lo, exec_lo, s1
.LBB102_127:
	s_andn2_saveexec_b32 s0, s0
	s_cbranch_execz .LBB102_129
; %bb.128:
	v_mov_b32_e32 v110, v90
	v_mov_b32_e32 v111, v91
	;; [unrolled: 1-line block ×12, first 2 shown]
	ds_write2_b64 v116, v[110:111], v[119:120] offset0:8 offset1:9
	ds_write2_b64 v116, v[121:122], v[123:124] offset0:10 offset1:11
	ds_write2_b64 v116, v[125:126], v[127:128] offset0:12 offset1:13
	v_mov_b32_e32 v110, v80
	v_mov_b32_e32 v111, v81
	v_mov_b32_e32 v119, v74
	v_mov_b32_e32 v120, v75
	v_mov_b32_e32 v121, v76
	v_mov_b32_e32 v122, v77
	v_mov_b32_e32 v123, v72
	v_mov_b32_e32 v124, v73
	v_mov_b32_e32 v125, v70
	v_mov_b32_e32 v126, v71
	v_mov_b32_e32 v127, v68
	v_mov_b32_e32 v128, v69
	v_mov_b32_e32 v129, v66
	v_mov_b32_e32 v130, v67
	v_mov_b32_e32 v131, v64
	v_mov_b32_e32 v132, v65
	v_mov_b32_e32 v133, v62
	v_mov_b32_e32 v134, v63
	v_mov_b32_e32 v135, v58
	v_mov_b32_e32 v136, v59
	ds_write2_b64 v116, v[110:111], v[119:120] offset0:14 offset1:15
	ds_write2_b64 v116, v[121:122], v[123:124] offset0:16 offset1:17
	ds_write2_b64 v116, v[125:126], v[127:128] offset0:18 offset1:19
	ds_write2_b64 v116, v[129:130], v[131:132] offset0:20 offset1:21
	ds_write2_b64 v116, v[133:134], v[135:136] offset0:22 offset1:23
	v_mov_b32_e32 v110, v60
	v_mov_b32_e32 v111, v61
	v_mov_b32_e32 v119, v54
	v_mov_b32_e32 v120, v55
	v_mov_b32_e32 v121, v56
	v_mov_b32_e32 v122, v57
	v_mov_b32_e32 v123, v52
	v_mov_b32_e32 v124, v53
	v_mov_b32_e32 v125, v50
	v_mov_b32_e32 v126, v51
	v_mov_b32_e32 v127, v48
	v_mov_b32_e32 v128, v49
	v_mov_b32_e32 v129, v46
	v_mov_b32_e32 v130, v47
	v_mov_b32_e32 v131, v44
	v_mov_b32_e32 v132, v45
	v_mov_b32_e32 v133, v42
	v_mov_b32_e32 v134, v43
	v_mov_b32_e32 v135, v38
	v_mov_b32_e32 v136, v39
	ds_write2_b64 v116, v[110:111], v[119:120] offset0:24 offset1:25
	ds_write2_b64 v116, v[121:122], v[123:124] offset0:26 offset1:27
	;; [unrolled: 25-line block ×3, first 2 shown]
	ds_write2_b64 v116, v[125:126], v[127:128] offset0:38 offset1:39
	ds_write2_b64 v116, v[129:130], v[131:132] offset0:40 offset1:41
	;; [unrolled: 1-line block ×3, first 2 shown]
	v_mov_b32_e32 v110, v20
	v_mov_b32_e32 v111, v21
	;; [unrolled: 1-line block ×15, first 2 shown]
	ds_write2_b64 v116, v[110:111], v[120:121] offset0:44 offset1:45
	ds_write2_b64 v116, v[122:123], v[124:125] offset0:46 offset1:47
	;; [unrolled: 1-line block ×4, first 2 shown]
.LBB102_129:
	s_or_b32 exec_lo, exec_lo, s0
	s_mov_b32 s0, exec_lo
	s_waitcnt lgkmcnt(0)
	s_waitcnt_vscnt null, 0x0
	s_barrier
	buffer_gl0_inv
	v_cmpx_lt_i32_e32 7, v119
	s_cbranch_execz .LBB102_131
; %bb.130:
	v_mul_f64 v[92:93], v[0:1], v[92:93]
	ds_read2_b64 v[120:123], v116 offset0:8 offset1:9
	ds_read2_b64 v[124:127], v116 offset0:10 offset1:11
	;; [unrolled: 1-line block ×11, first 2 shown]
	s_waitcnt lgkmcnt(10)
	v_fma_f64 v[90:91], -v[92:93], v[120:121], v[90:91]
	v_fma_f64 v[88:89], -v[92:93], v[122:123], v[88:89]
	s_waitcnt lgkmcnt(9)
	v_fma_f64 v[86:87], -v[92:93], v[124:125], v[86:87]
	v_fma_f64 v[84:85], -v[92:93], v[126:127], v[84:85]
	;; [unrolled: 3-line block ×6, first 2 shown]
	ds_read2_b64 v[120:123], v116 offset0:30 offset1:31
	ds_read2_b64 v[124:127], v116 offset0:32 offset1:33
	s_waitcnt lgkmcnt(6)
	v_fma_f64 v[66:67], -v[92:93], v[144:145], v[66:67]
	v_fma_f64 v[64:65], -v[92:93], v[146:147], v[64:65]
	s_waitcnt lgkmcnt(5)
	v_fma_f64 v[62:63], -v[92:93], v[148:149], v[62:63]
	ds_read2_b64 v[128:131], v116 offset0:34 offset1:35
	ds_read2_b64 v[132:135], v116 offset0:36 offset1:37
	v_fma_f64 v[58:59], -v[92:93], v[150:151], v[58:59]
	s_waitcnt lgkmcnt(6)
	v_fma_f64 v[60:61], -v[92:93], v[152:153], v[60:61]
	ds_read2_b64 v[136:139], v116 offset0:38 offset1:39
	ds_read2_b64 v[140:143], v116 offset0:40 offset1:41
	;; [unrolled: 5-line block ×4, first 2 shown]
	v_fma_f64 v[48:49], -v[92:93], v[162:163], v[48:49]
	ds_read2_b64 v[160:163], v116 offset0:50 offset1:51
	s_waitcnt lgkmcnt(10)
	v_fma_f64 v[46:47], -v[92:93], v[120:121], v[46:47]
	v_fma_f64 v[44:45], -v[92:93], v[122:123], v[44:45]
	s_waitcnt lgkmcnt(9)
	v_fma_f64 v[42:43], -v[92:93], v[124:125], v[42:43]
	v_fma_f64 v[38:39], -v[92:93], v[126:127], v[38:39]
	;; [unrolled: 3-line block ×11, first 2 shown]
.LBB102_131:
	s_or_b32 exec_lo, exec_lo, s0
	v_lshl_add_u32 v0, v119, 3, v116
	s_barrier
	buffer_gl0_inv
	v_mov_b32_e32 v110, 8
	ds_write_b64 v0, v[90:91]
	s_waitcnt lgkmcnt(0)
	s_barrier
	buffer_gl0_inv
	ds_read_b64 v[0:1], v116 offset:64
	s_cmp_lt_i32 s7, 10
	s_cbranch_scc1 .LBB102_134
; %bb.132:
	v_add3_u32 v111, v117, 0, 0x48
	v_mov_b32_e32 v110, 8
	s_mov_b32 s0, 9
.LBB102_133:                            ; =>This Inner Loop Header: Depth=1
	ds_read_b64 v[120:121], v111
	v_add_nc_u32_e32 v111, 8, v111
	s_waitcnt lgkmcnt(0)
	v_cmp_lt_f64_e64 vcc_lo, |v[0:1]|, |v[120:121]|
	v_cndmask_b32_e32 v1, v1, v121, vcc_lo
	v_cndmask_b32_e32 v0, v0, v120, vcc_lo
	v_cndmask_b32_e64 v110, v110, s0, vcc_lo
	s_add_i32 s0, s0, 1
	s_cmp_lg_u32 s7, s0
	s_cbranch_scc1 .LBB102_133
.LBB102_134:
	s_mov_b32 s0, exec_lo
	s_waitcnt lgkmcnt(0)
	v_cmpx_eq_f64_e32 0, v[0:1]
	s_xor_b32 s0, exec_lo, s0
; %bb.135:
	v_cmp_ne_u32_e32 vcc_lo, 0, v113
	v_cndmask_b32_e32 v113, 9, v113, vcc_lo
; %bb.136:
	s_andn2_saveexec_b32 s0, s0
	s_cbranch_execz .LBB102_138
; %bb.137:
	v_div_scale_f64 v[111:112], null, v[0:1], v[0:1], 1.0
	v_rcp_f64_e32 v[120:121], v[111:112]
	v_fma_f64 v[122:123], -v[111:112], v[120:121], 1.0
	v_fma_f64 v[120:121], v[120:121], v[122:123], v[120:121]
	v_fma_f64 v[122:123], -v[111:112], v[120:121], 1.0
	v_fma_f64 v[120:121], v[120:121], v[122:123], v[120:121]
	v_div_scale_f64 v[122:123], vcc_lo, 1.0, v[0:1], 1.0
	v_mul_f64 v[124:125], v[122:123], v[120:121]
	v_fma_f64 v[111:112], -v[111:112], v[124:125], v[122:123]
	v_div_fmas_f64 v[111:112], v[111:112], v[120:121], v[124:125]
	v_div_fixup_f64 v[0:1], v[111:112], v[0:1], 1.0
.LBB102_138:
	s_or_b32 exec_lo, exec_lo, s0
	s_mov_b32 s0, exec_lo
	v_cmpx_ne_u32_e64 v119, v110
	s_xor_b32 s0, exec_lo, s0
	s_cbranch_execz .LBB102_144
; %bb.139:
	s_mov_b32 s1, exec_lo
	v_cmpx_eq_u32_e32 8, v119
	s_cbranch_execz .LBB102_143
; %bb.140:
	v_cmp_ne_u32_e32 vcc_lo, 8, v110
	s_xor_b32 s2, s6, -1
	s_and_b32 s3, s2, vcc_lo
	s_and_saveexec_b32 s2, s3
	s_cbranch_execz .LBB102_142
; %bb.141:
	v_ashrrev_i32_e32 v111, 31, v110
	v_lshlrev_b64 v[111:112], 2, v[110:111]
	v_add_co_u32 v111, vcc_lo, v4, v111
	v_add_co_ci_u32_e64 v112, null, v5, v112, vcc_lo
	s_clause 0x1
	global_load_dword v118, v[111:112], off
	global_load_dword v119, v[4:5], off offset:32
	s_waitcnt vmcnt(1)
	global_store_dword v[4:5], v118, off offset:32
	s_waitcnt vmcnt(0)
	global_store_dword v[111:112], v119, off
.LBB102_142:
	s_or_b32 exec_lo, exec_lo, s2
	v_mov_b32_e32 v118, v110
	v_mov_b32_e32 v119, v110
.LBB102_143:
	s_or_b32 exec_lo, exec_lo, s1
.LBB102_144:
	s_andn2_saveexec_b32 s0, s0
	s_cbranch_execz .LBB102_146
; %bb.145:
	v_mov_b32_e32 v119, 8
	ds_write2_b64 v116, v[88:89], v[86:87] offset0:9 offset1:10
	ds_write2_b64 v116, v[84:85], v[82:83] offset0:11 offset1:12
	;; [unrolled: 1-line block ×21, first 2 shown]
	ds_write_b64 v116, v[108:109] offset:408
.LBB102_146:
	s_or_b32 exec_lo, exec_lo, s0
	s_mov_b32 s0, exec_lo
	s_waitcnt lgkmcnt(0)
	s_waitcnt_vscnt null, 0x0
	s_barrier
	buffer_gl0_inv
	v_cmpx_lt_i32_e32 8, v119
	s_cbranch_execz .LBB102_148
; %bb.147:
	v_mul_f64 v[90:91], v[0:1], v[90:91]
	ds_read2_b64 v[120:123], v116 offset0:9 offset1:10
	ds_read2_b64 v[124:127], v116 offset0:11 offset1:12
	;; [unrolled: 1-line block ×11, first 2 shown]
	ds_read_b64 v[0:1], v116 offset:408
	s_waitcnt lgkmcnt(11)
	v_fma_f64 v[88:89], -v[90:91], v[120:121], v[88:89]
	v_fma_f64 v[86:87], -v[90:91], v[122:123], v[86:87]
	s_waitcnt lgkmcnt(10)
	v_fma_f64 v[84:85], -v[90:91], v[124:125], v[84:85]
	v_fma_f64 v[82:83], -v[90:91], v[126:127], v[82:83]
	;; [unrolled: 3-line block ×6, first 2 shown]
	ds_read2_b64 v[120:123], v116 offset0:31 offset1:32
	ds_read2_b64 v[124:127], v116 offset0:33 offset1:34
	s_waitcnt lgkmcnt(7)
	v_fma_f64 v[64:65], -v[90:91], v[144:145], v[64:65]
	v_fma_f64 v[62:63], -v[90:91], v[146:147], v[62:63]
	s_waitcnt lgkmcnt(6)
	v_fma_f64 v[58:59], -v[90:91], v[148:149], v[58:59]
	ds_read2_b64 v[128:131], v116 offset0:35 offset1:36
	ds_read2_b64 v[132:135], v116 offset0:37 offset1:38
	v_fma_f64 v[60:61], -v[90:91], v[150:151], v[60:61]
	s_waitcnt lgkmcnt(7)
	v_fma_f64 v[54:55], -v[90:91], v[152:153], v[54:55]
	ds_read2_b64 v[136:139], v116 offset0:39 offset1:40
	ds_read2_b64 v[140:143], v116 offset0:41 offset1:42
	;; [unrolled: 5-line block ×3, first 2 shown]
	v_fma_f64 v[50:51], -v[90:91], v[158:159], v[50:51]
	ds_read2_b64 v[152:155], v116 offset0:47 offset1:48
	ds_read2_b64 v[156:159], v116 offset0:49 offset1:50
	s_waitcnt lgkmcnt(11)
	v_fma_f64 v[48:49], -v[90:91], v[160:161], v[48:49]
	v_fma_f64 v[46:47], -v[90:91], v[162:163], v[46:47]
	s_waitcnt lgkmcnt(9)
	v_fma_f64 v[44:45], -v[90:91], v[120:121], v[44:45]
	v_fma_f64 v[42:43], -v[90:91], v[122:123], v[42:43]
	;; [unrolled: 3-line block ×3, first 2 shown]
	v_fma_f64 v[108:109], -v[90:91], v[0:1], v[108:109]
	s_waitcnt lgkmcnt(7)
	v_fma_f64 v[34:35], -v[90:91], v[128:129], v[34:35]
	v_fma_f64 v[36:37], -v[90:91], v[130:131], v[36:37]
	s_waitcnt lgkmcnt(6)
	v_fma_f64 v[32:33], -v[90:91], v[132:133], v[32:33]
	;; [unrolled: 3-line block ×8, first 2 shown]
	v_fma_f64 v[10:11], -v[90:91], v[158:159], v[10:11]
.LBB102_148:
	s_or_b32 exec_lo, exec_lo, s0
	v_lshl_add_u32 v0, v119, 3, v116
	s_barrier
	buffer_gl0_inv
	v_mov_b32_e32 v110, 9
	ds_write_b64 v0, v[88:89]
	s_waitcnt lgkmcnt(0)
	s_barrier
	buffer_gl0_inv
	ds_read_b64 v[0:1], v116 offset:72
	s_cmp_lt_i32 s7, 11
	s_cbranch_scc1 .LBB102_151
; %bb.149:
	v_add3_u32 v111, v117, 0, 0x50
	v_mov_b32_e32 v110, 9
	s_mov_b32 s0, 10
.LBB102_150:                            ; =>This Inner Loop Header: Depth=1
	ds_read_b64 v[120:121], v111
	v_add_nc_u32_e32 v111, 8, v111
	s_waitcnt lgkmcnt(0)
	v_cmp_lt_f64_e64 vcc_lo, |v[0:1]|, |v[120:121]|
	v_cndmask_b32_e32 v1, v1, v121, vcc_lo
	v_cndmask_b32_e32 v0, v0, v120, vcc_lo
	v_cndmask_b32_e64 v110, v110, s0, vcc_lo
	s_add_i32 s0, s0, 1
	s_cmp_lg_u32 s7, s0
	s_cbranch_scc1 .LBB102_150
.LBB102_151:
	s_mov_b32 s0, exec_lo
	s_waitcnt lgkmcnt(0)
	v_cmpx_eq_f64_e32 0, v[0:1]
	s_xor_b32 s0, exec_lo, s0
; %bb.152:
	v_cmp_ne_u32_e32 vcc_lo, 0, v113
	v_cndmask_b32_e32 v113, 10, v113, vcc_lo
; %bb.153:
	s_andn2_saveexec_b32 s0, s0
	s_cbranch_execz .LBB102_155
; %bb.154:
	v_div_scale_f64 v[111:112], null, v[0:1], v[0:1], 1.0
	v_rcp_f64_e32 v[120:121], v[111:112]
	v_fma_f64 v[122:123], -v[111:112], v[120:121], 1.0
	v_fma_f64 v[120:121], v[120:121], v[122:123], v[120:121]
	v_fma_f64 v[122:123], -v[111:112], v[120:121], 1.0
	v_fma_f64 v[120:121], v[120:121], v[122:123], v[120:121]
	v_div_scale_f64 v[122:123], vcc_lo, 1.0, v[0:1], 1.0
	v_mul_f64 v[124:125], v[122:123], v[120:121]
	v_fma_f64 v[111:112], -v[111:112], v[124:125], v[122:123]
	v_div_fmas_f64 v[111:112], v[111:112], v[120:121], v[124:125]
	v_div_fixup_f64 v[0:1], v[111:112], v[0:1], 1.0
.LBB102_155:
	s_or_b32 exec_lo, exec_lo, s0
	s_mov_b32 s0, exec_lo
	v_cmpx_ne_u32_e64 v119, v110
	s_xor_b32 s0, exec_lo, s0
	s_cbranch_execz .LBB102_161
; %bb.156:
	s_mov_b32 s1, exec_lo
	v_cmpx_eq_u32_e32 9, v119
	s_cbranch_execz .LBB102_160
; %bb.157:
	v_cmp_ne_u32_e32 vcc_lo, 9, v110
	s_xor_b32 s2, s6, -1
	s_and_b32 s3, s2, vcc_lo
	s_and_saveexec_b32 s2, s3
	s_cbranch_execz .LBB102_159
; %bb.158:
	v_ashrrev_i32_e32 v111, 31, v110
	v_lshlrev_b64 v[111:112], 2, v[110:111]
	v_add_co_u32 v111, vcc_lo, v4, v111
	v_add_co_ci_u32_e64 v112, null, v5, v112, vcc_lo
	s_clause 0x1
	global_load_dword v118, v[111:112], off
	global_load_dword v119, v[4:5], off offset:36
	s_waitcnt vmcnt(1)
	global_store_dword v[4:5], v118, off offset:36
	s_waitcnt vmcnt(0)
	global_store_dword v[111:112], v119, off
.LBB102_159:
	s_or_b32 exec_lo, exec_lo, s2
	v_mov_b32_e32 v118, v110
	v_mov_b32_e32 v119, v110
.LBB102_160:
	s_or_b32 exec_lo, exec_lo, s1
.LBB102_161:
	s_andn2_saveexec_b32 s0, s0
	s_cbranch_execz .LBB102_163
; %bb.162:
	v_mov_b32_e32 v110, v86
	v_mov_b32_e32 v111, v87
	;; [unrolled: 1-line block ×8, first 2 shown]
	ds_write2_b64 v116, v[110:111], v[119:120] offset0:10 offset1:11
	ds_write2_b64 v116, v[121:122], v[123:124] offset0:12 offset1:13
	v_mov_b32_e32 v110, v80
	v_mov_b32_e32 v111, v81
	v_mov_b32_e32 v119, v74
	v_mov_b32_e32 v120, v75
	v_mov_b32_e32 v121, v76
	v_mov_b32_e32 v122, v77
	v_mov_b32_e32 v123, v72
	v_mov_b32_e32 v124, v73
	v_mov_b32_e32 v125, v70
	v_mov_b32_e32 v126, v71
	v_mov_b32_e32 v127, v68
	v_mov_b32_e32 v128, v69
	v_mov_b32_e32 v129, v66
	v_mov_b32_e32 v130, v67
	v_mov_b32_e32 v131, v64
	v_mov_b32_e32 v132, v65
	v_mov_b32_e32 v133, v62
	v_mov_b32_e32 v134, v63
	v_mov_b32_e32 v135, v58
	v_mov_b32_e32 v136, v59
	ds_write2_b64 v116, v[110:111], v[119:120] offset0:14 offset1:15
	ds_write2_b64 v116, v[121:122], v[123:124] offset0:16 offset1:17
	ds_write2_b64 v116, v[125:126], v[127:128] offset0:18 offset1:19
	ds_write2_b64 v116, v[129:130], v[131:132] offset0:20 offset1:21
	ds_write2_b64 v116, v[133:134], v[135:136] offset0:22 offset1:23
	v_mov_b32_e32 v110, v60
	v_mov_b32_e32 v111, v61
	v_mov_b32_e32 v119, v54
	v_mov_b32_e32 v120, v55
	v_mov_b32_e32 v121, v56
	v_mov_b32_e32 v122, v57
	v_mov_b32_e32 v123, v52
	v_mov_b32_e32 v124, v53
	v_mov_b32_e32 v125, v50
	v_mov_b32_e32 v126, v51
	v_mov_b32_e32 v127, v48
	v_mov_b32_e32 v128, v49
	v_mov_b32_e32 v129, v46
	v_mov_b32_e32 v130, v47
	v_mov_b32_e32 v131, v44
	v_mov_b32_e32 v132, v45
	v_mov_b32_e32 v133, v42
	v_mov_b32_e32 v134, v43
	v_mov_b32_e32 v135, v38
	v_mov_b32_e32 v136, v39
	ds_write2_b64 v116, v[110:111], v[119:120] offset0:24 offset1:25
	ds_write2_b64 v116, v[121:122], v[123:124] offset0:26 offset1:27
	ds_write2_b64 v116, v[125:126], v[127:128] offset0:28 offset1:29
	;; [unrolled: 25-line block ×3, first 2 shown]
	ds_write2_b64 v116, v[129:130], v[131:132] offset0:40 offset1:41
	ds_write2_b64 v116, v[133:134], v[135:136] offset0:42 offset1:43
	v_mov_b32_e32 v110, v20
	v_mov_b32_e32 v111, v21
	;; [unrolled: 1-line block ×15, first 2 shown]
	ds_write2_b64 v116, v[110:111], v[120:121] offset0:44 offset1:45
	ds_write2_b64 v116, v[122:123], v[124:125] offset0:46 offset1:47
	;; [unrolled: 1-line block ×4, first 2 shown]
.LBB102_163:
	s_or_b32 exec_lo, exec_lo, s0
	s_mov_b32 s0, exec_lo
	s_waitcnt lgkmcnt(0)
	s_waitcnt_vscnt null, 0x0
	s_barrier
	buffer_gl0_inv
	v_cmpx_lt_i32_e32 9, v119
	s_cbranch_execz .LBB102_165
; %bb.164:
	v_mul_f64 v[88:89], v[0:1], v[88:89]
	ds_read2_b64 v[120:123], v116 offset0:10 offset1:11
	ds_read2_b64 v[124:127], v116 offset0:12 offset1:13
	;; [unrolled: 1-line block ×11, first 2 shown]
	s_waitcnt lgkmcnt(10)
	v_fma_f64 v[86:87], -v[88:89], v[120:121], v[86:87]
	v_fma_f64 v[84:85], -v[88:89], v[122:123], v[84:85]
	s_waitcnt lgkmcnt(9)
	v_fma_f64 v[82:83], -v[88:89], v[124:125], v[82:83]
	v_fma_f64 v[78:79], -v[88:89], v[126:127], v[78:79]
	;; [unrolled: 3-line block ×6, first 2 shown]
	ds_read2_b64 v[120:123], v116 offset0:32 offset1:33
	ds_read2_b64 v[124:127], v116 offset0:34 offset1:35
	s_waitcnt lgkmcnt(6)
	v_fma_f64 v[62:63], -v[88:89], v[144:145], v[62:63]
	v_fma_f64 v[58:59], -v[88:89], v[146:147], v[58:59]
	ds_read2_b64 v[128:131], v116 offset0:36 offset1:37
	ds_read2_b64 v[132:135], v116 offset0:38 offset1:39
	s_waitcnt lgkmcnt(7)
	v_fma_f64 v[60:61], -v[88:89], v[148:149], v[60:61]
	v_fma_f64 v[54:55], -v[88:89], v[150:151], v[54:55]
	;; [unrolled: 5-line block ×5, first 2 shown]
	s_waitcnt lgkmcnt(9)
	v_fma_f64 v[42:43], -v[88:89], v[120:121], v[42:43]
	v_fma_f64 v[38:39], -v[88:89], v[122:123], v[38:39]
	s_waitcnt lgkmcnt(8)
	v_fma_f64 v[40:41], -v[88:89], v[124:125], v[40:41]
	v_fma_f64 v[34:35], -v[88:89], v[126:127], v[34:35]
	;; [unrolled: 3-line block ×10, first 2 shown]
.LBB102_165:
	s_or_b32 exec_lo, exec_lo, s0
	v_lshl_add_u32 v0, v119, 3, v116
	s_barrier
	buffer_gl0_inv
	v_mov_b32_e32 v110, 10
	ds_write_b64 v0, v[86:87]
	s_waitcnt lgkmcnt(0)
	s_barrier
	buffer_gl0_inv
	ds_read_b64 v[0:1], v116 offset:80
	s_cmp_lt_i32 s7, 12
	s_cbranch_scc1 .LBB102_168
; %bb.166:
	v_add3_u32 v111, v117, 0, 0x58
	v_mov_b32_e32 v110, 10
	s_mov_b32 s0, 11
.LBB102_167:                            ; =>This Inner Loop Header: Depth=1
	ds_read_b64 v[120:121], v111
	v_add_nc_u32_e32 v111, 8, v111
	s_waitcnt lgkmcnt(0)
	v_cmp_lt_f64_e64 vcc_lo, |v[0:1]|, |v[120:121]|
	v_cndmask_b32_e32 v1, v1, v121, vcc_lo
	v_cndmask_b32_e32 v0, v0, v120, vcc_lo
	v_cndmask_b32_e64 v110, v110, s0, vcc_lo
	s_add_i32 s0, s0, 1
	s_cmp_lg_u32 s7, s0
	s_cbranch_scc1 .LBB102_167
.LBB102_168:
	s_mov_b32 s0, exec_lo
	s_waitcnt lgkmcnt(0)
	v_cmpx_eq_f64_e32 0, v[0:1]
	s_xor_b32 s0, exec_lo, s0
; %bb.169:
	v_cmp_ne_u32_e32 vcc_lo, 0, v113
	v_cndmask_b32_e32 v113, 11, v113, vcc_lo
; %bb.170:
	s_andn2_saveexec_b32 s0, s0
	s_cbranch_execz .LBB102_172
; %bb.171:
	v_div_scale_f64 v[111:112], null, v[0:1], v[0:1], 1.0
	v_rcp_f64_e32 v[120:121], v[111:112]
	v_fma_f64 v[122:123], -v[111:112], v[120:121], 1.0
	v_fma_f64 v[120:121], v[120:121], v[122:123], v[120:121]
	v_fma_f64 v[122:123], -v[111:112], v[120:121], 1.0
	v_fma_f64 v[120:121], v[120:121], v[122:123], v[120:121]
	v_div_scale_f64 v[122:123], vcc_lo, 1.0, v[0:1], 1.0
	v_mul_f64 v[124:125], v[122:123], v[120:121]
	v_fma_f64 v[111:112], -v[111:112], v[124:125], v[122:123]
	v_div_fmas_f64 v[111:112], v[111:112], v[120:121], v[124:125]
	v_div_fixup_f64 v[0:1], v[111:112], v[0:1], 1.0
.LBB102_172:
	s_or_b32 exec_lo, exec_lo, s0
	s_mov_b32 s0, exec_lo
	v_cmpx_ne_u32_e64 v119, v110
	s_xor_b32 s0, exec_lo, s0
	s_cbranch_execz .LBB102_178
; %bb.173:
	s_mov_b32 s1, exec_lo
	v_cmpx_eq_u32_e32 10, v119
	s_cbranch_execz .LBB102_177
; %bb.174:
	v_cmp_ne_u32_e32 vcc_lo, 10, v110
	s_xor_b32 s2, s6, -1
	s_and_b32 s3, s2, vcc_lo
	s_and_saveexec_b32 s2, s3
	s_cbranch_execz .LBB102_176
; %bb.175:
	v_ashrrev_i32_e32 v111, 31, v110
	v_lshlrev_b64 v[111:112], 2, v[110:111]
	v_add_co_u32 v111, vcc_lo, v4, v111
	v_add_co_ci_u32_e64 v112, null, v5, v112, vcc_lo
	s_clause 0x1
	global_load_dword v118, v[111:112], off
	global_load_dword v119, v[4:5], off offset:40
	s_waitcnt vmcnt(1)
	global_store_dword v[4:5], v118, off offset:40
	s_waitcnt vmcnt(0)
	global_store_dword v[111:112], v119, off
.LBB102_176:
	s_or_b32 exec_lo, exec_lo, s2
	v_mov_b32_e32 v118, v110
	v_mov_b32_e32 v119, v110
.LBB102_177:
	s_or_b32 exec_lo, exec_lo, s1
.LBB102_178:
	s_andn2_saveexec_b32 s0, s0
	s_cbranch_execz .LBB102_180
; %bb.179:
	v_mov_b32_e32 v119, 10
	ds_write2_b64 v116, v[84:85], v[82:83] offset0:11 offset1:12
	ds_write2_b64 v116, v[78:79], v[80:81] offset0:13 offset1:14
	;; [unrolled: 1-line block ×20, first 2 shown]
	ds_write_b64 v116, v[108:109] offset:408
.LBB102_180:
	s_or_b32 exec_lo, exec_lo, s0
	s_mov_b32 s0, exec_lo
	s_waitcnt lgkmcnt(0)
	s_waitcnt_vscnt null, 0x0
	s_barrier
	buffer_gl0_inv
	v_cmpx_lt_i32_e32 10, v119
	s_cbranch_execz .LBB102_182
; %bb.181:
	v_mul_f64 v[86:87], v[0:1], v[86:87]
	ds_read2_b64 v[120:123], v116 offset0:11 offset1:12
	ds_read2_b64 v[124:127], v116 offset0:13 offset1:14
	;; [unrolled: 1-line block ×11, first 2 shown]
	ds_read_b64 v[0:1], v116 offset:408
	s_waitcnt lgkmcnt(11)
	v_fma_f64 v[84:85], -v[86:87], v[120:121], v[84:85]
	v_fma_f64 v[82:83], -v[86:87], v[122:123], v[82:83]
	s_waitcnt lgkmcnt(10)
	v_fma_f64 v[78:79], -v[86:87], v[124:125], v[78:79]
	v_fma_f64 v[80:81], -v[86:87], v[126:127], v[80:81]
	;; [unrolled: 3-line block ×6, first 2 shown]
	ds_read2_b64 v[120:123], v116 offset0:33 offset1:34
	ds_read2_b64 v[124:127], v116 offset0:35 offset1:36
	s_waitcnt lgkmcnt(7)
	v_fma_f64 v[58:59], -v[86:87], v[144:145], v[58:59]
	v_fma_f64 v[60:61], -v[86:87], v[146:147], v[60:61]
	ds_read2_b64 v[128:131], v116 offset0:37 offset1:38
	ds_read2_b64 v[132:135], v116 offset0:39 offset1:40
	s_waitcnt lgkmcnt(8)
	v_fma_f64 v[54:55], -v[86:87], v[148:149], v[54:55]
	v_fma_f64 v[56:57], -v[86:87], v[150:151], v[56:57]
	;; [unrolled: 5-line block ×3, first 2 shown]
	ds_read2_b64 v[144:147], v116 offset0:45 offset1:46
	ds_read2_b64 v[148:151], v116 offset0:47 offset1:48
	;; [unrolled: 1-line block ×3, first 2 shown]
	s_waitcnt lgkmcnt(11)
	v_fma_f64 v[48:49], -v[86:87], v[156:157], v[48:49]
	v_fma_f64 v[46:47], -v[86:87], v[158:159], v[46:47]
	s_waitcnt lgkmcnt(10)
	v_fma_f64 v[44:45], -v[86:87], v[160:161], v[44:45]
	v_fma_f64 v[42:43], -v[86:87], v[162:163], v[42:43]
	s_waitcnt lgkmcnt(9)
	v_fma_f64 v[108:109], -v[86:87], v[0:1], v[108:109]
	s_waitcnt lgkmcnt(8)
	v_fma_f64 v[38:39], -v[86:87], v[120:121], v[38:39]
	v_fma_f64 v[40:41], -v[86:87], v[122:123], v[40:41]
	s_waitcnt lgkmcnt(7)
	v_fma_f64 v[34:35], -v[86:87], v[124:125], v[34:35]
	;; [unrolled: 3-line block ×9, first 2 shown]
	v_fma_f64 v[10:11], -v[86:87], v[154:155], v[10:11]
.LBB102_182:
	s_or_b32 exec_lo, exec_lo, s0
	v_lshl_add_u32 v0, v119, 3, v116
	s_barrier
	buffer_gl0_inv
	v_mov_b32_e32 v110, 11
	ds_write_b64 v0, v[84:85]
	s_waitcnt lgkmcnt(0)
	s_barrier
	buffer_gl0_inv
	ds_read_b64 v[0:1], v116 offset:88
	s_cmp_lt_i32 s7, 13
	s_cbranch_scc1 .LBB102_185
; %bb.183:
	v_add3_u32 v111, v117, 0, 0x60
	v_mov_b32_e32 v110, 11
	s_mov_b32 s0, 12
.LBB102_184:                            ; =>This Inner Loop Header: Depth=1
	ds_read_b64 v[120:121], v111
	v_add_nc_u32_e32 v111, 8, v111
	s_waitcnt lgkmcnt(0)
	v_cmp_lt_f64_e64 vcc_lo, |v[0:1]|, |v[120:121]|
	v_cndmask_b32_e32 v1, v1, v121, vcc_lo
	v_cndmask_b32_e32 v0, v0, v120, vcc_lo
	v_cndmask_b32_e64 v110, v110, s0, vcc_lo
	s_add_i32 s0, s0, 1
	s_cmp_lg_u32 s7, s0
	s_cbranch_scc1 .LBB102_184
.LBB102_185:
	s_mov_b32 s0, exec_lo
	s_waitcnt lgkmcnt(0)
	v_cmpx_eq_f64_e32 0, v[0:1]
	s_xor_b32 s0, exec_lo, s0
; %bb.186:
	v_cmp_ne_u32_e32 vcc_lo, 0, v113
	v_cndmask_b32_e32 v113, 12, v113, vcc_lo
; %bb.187:
	s_andn2_saveexec_b32 s0, s0
	s_cbranch_execz .LBB102_189
; %bb.188:
	v_div_scale_f64 v[111:112], null, v[0:1], v[0:1], 1.0
	v_rcp_f64_e32 v[120:121], v[111:112]
	v_fma_f64 v[122:123], -v[111:112], v[120:121], 1.0
	v_fma_f64 v[120:121], v[120:121], v[122:123], v[120:121]
	v_fma_f64 v[122:123], -v[111:112], v[120:121], 1.0
	v_fma_f64 v[120:121], v[120:121], v[122:123], v[120:121]
	v_div_scale_f64 v[122:123], vcc_lo, 1.0, v[0:1], 1.0
	v_mul_f64 v[124:125], v[122:123], v[120:121]
	v_fma_f64 v[111:112], -v[111:112], v[124:125], v[122:123]
	v_div_fmas_f64 v[111:112], v[111:112], v[120:121], v[124:125]
	v_div_fixup_f64 v[0:1], v[111:112], v[0:1], 1.0
.LBB102_189:
	s_or_b32 exec_lo, exec_lo, s0
	s_mov_b32 s0, exec_lo
	v_cmpx_ne_u32_e64 v119, v110
	s_xor_b32 s0, exec_lo, s0
	s_cbranch_execz .LBB102_195
; %bb.190:
	s_mov_b32 s1, exec_lo
	v_cmpx_eq_u32_e32 11, v119
	s_cbranch_execz .LBB102_194
; %bb.191:
	v_cmp_ne_u32_e32 vcc_lo, 11, v110
	s_xor_b32 s2, s6, -1
	s_and_b32 s3, s2, vcc_lo
	s_and_saveexec_b32 s2, s3
	s_cbranch_execz .LBB102_193
; %bb.192:
	v_ashrrev_i32_e32 v111, 31, v110
	v_lshlrev_b64 v[111:112], 2, v[110:111]
	v_add_co_u32 v111, vcc_lo, v4, v111
	v_add_co_ci_u32_e64 v112, null, v5, v112, vcc_lo
	s_clause 0x1
	global_load_dword v118, v[111:112], off
	global_load_dword v119, v[4:5], off offset:44
	s_waitcnt vmcnt(1)
	global_store_dword v[4:5], v118, off offset:44
	s_waitcnt vmcnt(0)
	global_store_dword v[111:112], v119, off
.LBB102_193:
	s_or_b32 exec_lo, exec_lo, s2
	v_mov_b32_e32 v118, v110
	v_mov_b32_e32 v119, v110
.LBB102_194:
	s_or_b32 exec_lo, exec_lo, s1
.LBB102_195:
	s_andn2_saveexec_b32 s0, s0
	s_cbranch_execz .LBB102_197
; %bb.196:
	v_mov_b32_e32 v110, v82
	v_mov_b32_e32 v111, v83
	;; [unrolled: 1-line block ×8, first 2 shown]
	ds_write2_b64 v116, v[110:111], v[119:120] offset0:12 offset1:13
	v_mov_b32_e32 v110, v74
	v_mov_b32_e32 v111, v75
	v_mov_b32_e32 v119, v76
	v_mov_b32_e32 v120, v77
	v_mov_b32_e32 v125, v70
	v_mov_b32_e32 v126, v71
	v_mov_b32_e32 v127, v68
	v_mov_b32_e32 v128, v69
	v_mov_b32_e32 v129, v66
	v_mov_b32_e32 v130, v67
	v_mov_b32_e32 v131, v64
	v_mov_b32_e32 v132, v65
	v_mov_b32_e32 v133, v62
	v_mov_b32_e32 v134, v63
	v_mov_b32_e32 v135, v58
	v_mov_b32_e32 v136, v59
	ds_write2_b64 v116, v[121:122], v[110:111] offset0:14 offset1:15
	ds_write2_b64 v116, v[119:120], v[123:124] offset0:16 offset1:17
	ds_write2_b64 v116, v[125:126], v[127:128] offset0:18 offset1:19
	ds_write2_b64 v116, v[129:130], v[131:132] offset0:20 offset1:21
	ds_write2_b64 v116, v[133:134], v[135:136] offset0:22 offset1:23
	v_mov_b32_e32 v110, v60
	v_mov_b32_e32 v111, v61
	v_mov_b32_e32 v119, v54
	v_mov_b32_e32 v120, v55
	v_mov_b32_e32 v121, v56
	v_mov_b32_e32 v122, v57
	v_mov_b32_e32 v123, v52
	v_mov_b32_e32 v124, v53
	v_mov_b32_e32 v125, v50
	v_mov_b32_e32 v126, v51
	v_mov_b32_e32 v127, v48
	v_mov_b32_e32 v128, v49
	v_mov_b32_e32 v129, v46
	v_mov_b32_e32 v130, v47
	v_mov_b32_e32 v131, v44
	v_mov_b32_e32 v132, v45
	v_mov_b32_e32 v133, v42
	v_mov_b32_e32 v134, v43
	v_mov_b32_e32 v135, v38
	v_mov_b32_e32 v136, v39
	ds_write2_b64 v116, v[110:111], v[119:120] offset0:24 offset1:25
	ds_write2_b64 v116, v[121:122], v[123:124] offset0:26 offset1:27
	ds_write2_b64 v116, v[125:126], v[127:128] offset0:28 offset1:29
	ds_write2_b64 v116, v[129:130], v[131:132] offset0:30 offset1:31
	ds_write2_b64 v116, v[133:134], v[135:136] offset0:32 offset1:33
	v_mov_b32_e32 v110, v40
	v_mov_b32_e32 v111, v41
	v_mov_b32_e32 v119, v34
	v_mov_b32_e32 v120, v35
	;; [unrolled: 25-line block ×3, first 2 shown]
	v_mov_b32_e32 v119, 11
	v_mov_b32_e32 v122, v14
	;; [unrolled: 1-line block ×11, first 2 shown]
	ds_write2_b64 v116, v[110:111], v[120:121] offset0:44 offset1:45
	ds_write2_b64 v116, v[122:123], v[124:125] offset0:46 offset1:47
	;; [unrolled: 1-line block ×4, first 2 shown]
.LBB102_197:
	s_or_b32 exec_lo, exec_lo, s0
	s_mov_b32 s0, exec_lo
	s_waitcnt lgkmcnt(0)
	s_waitcnt_vscnt null, 0x0
	s_barrier
	buffer_gl0_inv
	v_cmpx_lt_i32_e32 11, v119
	s_cbranch_execz .LBB102_199
; %bb.198:
	v_mul_f64 v[84:85], v[0:1], v[84:85]
	ds_read2_b64 v[120:123], v116 offset0:12 offset1:13
	ds_read2_b64 v[124:127], v116 offset0:14 offset1:15
	ds_read2_b64 v[128:131], v116 offset0:16 offset1:17
	ds_read2_b64 v[132:135], v116 offset0:18 offset1:19
	ds_read2_b64 v[136:139], v116 offset0:20 offset1:21
	ds_read2_b64 v[140:143], v116 offset0:22 offset1:23
	ds_read2_b64 v[144:147], v116 offset0:24 offset1:25
	ds_read2_b64 v[148:151], v116 offset0:26 offset1:27
	ds_read2_b64 v[152:155], v116 offset0:28 offset1:29
	ds_read2_b64 v[156:159], v116 offset0:30 offset1:31
	ds_read2_b64 v[160:163], v116 offset0:32 offset1:33
	s_waitcnt lgkmcnt(10)
	v_fma_f64 v[82:83], -v[84:85], v[120:121], v[82:83]
	v_fma_f64 v[78:79], -v[84:85], v[122:123], v[78:79]
	s_waitcnt lgkmcnt(9)
	v_fma_f64 v[80:81], -v[84:85], v[124:125], v[80:81]
	v_fma_f64 v[74:75], -v[84:85], v[126:127], v[74:75]
	;; [unrolled: 3-line block ×5, first 2 shown]
	s_waitcnt lgkmcnt(5)
	v_fma_f64 v[62:63], -v[84:85], v[140:141], v[62:63]
	ds_read2_b64 v[120:123], v116 offset0:34 offset1:35
	ds_read2_b64 v[124:127], v116 offset0:36 offset1:37
	v_fma_f64 v[58:59], -v[84:85], v[142:143], v[58:59]
	s_waitcnt lgkmcnt(6)
	v_fma_f64 v[60:61], -v[84:85], v[144:145], v[60:61]
	ds_read2_b64 v[128:131], v116 offset0:38 offset1:39
	ds_read2_b64 v[132:135], v116 offset0:40 offset1:41
	v_fma_f64 v[54:55], -v[84:85], v[146:147], v[54:55]
	s_waitcnt lgkmcnt(7)
	v_fma_f64 v[56:57], -v[84:85], v[148:149], v[56:57]
	ds_read2_b64 v[136:139], v116 offset0:42 offset1:43
	ds_read2_b64 v[140:143], v116 offset0:44 offset1:45
	v_fma_f64 v[52:53], -v[84:85], v[150:151], v[52:53]
	s_waitcnt lgkmcnt(8)
	v_fma_f64 v[50:51], -v[84:85], v[152:153], v[50:51]
	ds_read2_b64 v[144:147], v116 offset0:46 offset1:47
	ds_read2_b64 v[148:151], v116 offset0:48 offset1:49
	v_fma_f64 v[48:49], -v[84:85], v[154:155], v[48:49]
	ds_read2_b64 v[152:155], v116 offset0:50 offset1:51
	s_waitcnt lgkmcnt(10)
	v_fma_f64 v[46:47], -v[84:85], v[156:157], v[46:47]
	v_fma_f64 v[44:45], -v[84:85], v[158:159], v[44:45]
	s_waitcnt lgkmcnt(9)
	v_fma_f64 v[42:43], -v[84:85], v[160:161], v[42:43]
	v_fma_f64 v[38:39], -v[84:85], v[162:163], v[38:39]
	;; [unrolled: 3-line block ×11, first 2 shown]
.LBB102_199:
	s_or_b32 exec_lo, exec_lo, s0
	v_lshl_add_u32 v0, v119, 3, v116
	s_barrier
	buffer_gl0_inv
	v_mov_b32_e32 v110, 12
	ds_write_b64 v0, v[82:83]
	s_waitcnt lgkmcnt(0)
	s_barrier
	buffer_gl0_inv
	ds_read_b64 v[0:1], v116 offset:96
	s_cmp_lt_i32 s7, 14
	s_cbranch_scc1 .LBB102_202
; %bb.200:
	v_add3_u32 v111, v117, 0, 0x68
	v_mov_b32_e32 v110, 12
	s_mov_b32 s0, 13
.LBB102_201:                            ; =>This Inner Loop Header: Depth=1
	ds_read_b64 v[120:121], v111
	v_add_nc_u32_e32 v111, 8, v111
	s_waitcnt lgkmcnt(0)
	v_cmp_lt_f64_e64 vcc_lo, |v[0:1]|, |v[120:121]|
	v_cndmask_b32_e32 v1, v1, v121, vcc_lo
	v_cndmask_b32_e32 v0, v0, v120, vcc_lo
	v_cndmask_b32_e64 v110, v110, s0, vcc_lo
	s_add_i32 s0, s0, 1
	s_cmp_lg_u32 s7, s0
	s_cbranch_scc1 .LBB102_201
.LBB102_202:
	s_mov_b32 s0, exec_lo
	s_waitcnt lgkmcnt(0)
	v_cmpx_eq_f64_e32 0, v[0:1]
	s_xor_b32 s0, exec_lo, s0
; %bb.203:
	v_cmp_ne_u32_e32 vcc_lo, 0, v113
	v_cndmask_b32_e32 v113, 13, v113, vcc_lo
; %bb.204:
	s_andn2_saveexec_b32 s0, s0
	s_cbranch_execz .LBB102_206
; %bb.205:
	v_div_scale_f64 v[111:112], null, v[0:1], v[0:1], 1.0
	v_rcp_f64_e32 v[120:121], v[111:112]
	v_fma_f64 v[122:123], -v[111:112], v[120:121], 1.0
	v_fma_f64 v[120:121], v[120:121], v[122:123], v[120:121]
	v_fma_f64 v[122:123], -v[111:112], v[120:121], 1.0
	v_fma_f64 v[120:121], v[120:121], v[122:123], v[120:121]
	v_div_scale_f64 v[122:123], vcc_lo, 1.0, v[0:1], 1.0
	v_mul_f64 v[124:125], v[122:123], v[120:121]
	v_fma_f64 v[111:112], -v[111:112], v[124:125], v[122:123]
	v_div_fmas_f64 v[111:112], v[111:112], v[120:121], v[124:125]
	v_div_fixup_f64 v[0:1], v[111:112], v[0:1], 1.0
.LBB102_206:
	s_or_b32 exec_lo, exec_lo, s0
	s_mov_b32 s0, exec_lo
	v_cmpx_ne_u32_e64 v119, v110
	s_xor_b32 s0, exec_lo, s0
	s_cbranch_execz .LBB102_212
; %bb.207:
	s_mov_b32 s1, exec_lo
	v_cmpx_eq_u32_e32 12, v119
	s_cbranch_execz .LBB102_211
; %bb.208:
	v_cmp_ne_u32_e32 vcc_lo, 12, v110
	s_xor_b32 s2, s6, -1
	s_and_b32 s3, s2, vcc_lo
	s_and_saveexec_b32 s2, s3
	s_cbranch_execz .LBB102_210
; %bb.209:
	v_ashrrev_i32_e32 v111, 31, v110
	v_lshlrev_b64 v[111:112], 2, v[110:111]
	v_add_co_u32 v111, vcc_lo, v4, v111
	v_add_co_ci_u32_e64 v112, null, v5, v112, vcc_lo
	s_clause 0x1
	global_load_dword v118, v[111:112], off
	global_load_dword v119, v[4:5], off offset:48
	s_waitcnt vmcnt(1)
	global_store_dword v[4:5], v118, off offset:48
	s_waitcnt vmcnt(0)
	global_store_dword v[111:112], v119, off
.LBB102_210:
	s_or_b32 exec_lo, exec_lo, s2
	v_mov_b32_e32 v118, v110
	v_mov_b32_e32 v119, v110
.LBB102_211:
	s_or_b32 exec_lo, exec_lo, s1
.LBB102_212:
	s_andn2_saveexec_b32 s0, s0
	s_cbranch_execz .LBB102_214
; %bb.213:
	v_mov_b32_e32 v119, 12
	ds_write2_b64 v116, v[78:79], v[80:81] offset0:13 offset1:14
	ds_write2_b64 v116, v[74:75], v[76:77] offset0:15 offset1:16
	;; [unrolled: 1-line block ×19, first 2 shown]
	ds_write_b64 v116, v[108:109] offset:408
.LBB102_214:
	s_or_b32 exec_lo, exec_lo, s0
	s_mov_b32 s0, exec_lo
	s_waitcnt lgkmcnt(0)
	s_waitcnt_vscnt null, 0x0
	s_barrier
	buffer_gl0_inv
	v_cmpx_lt_i32_e32 12, v119
	s_cbranch_execz .LBB102_216
; %bb.215:
	v_mul_f64 v[82:83], v[0:1], v[82:83]
	ds_read2_b64 v[120:123], v116 offset0:13 offset1:14
	ds_read2_b64 v[124:127], v116 offset0:15 offset1:16
	;; [unrolled: 1-line block ×11, first 2 shown]
	ds_read_b64 v[0:1], v116 offset:408
	s_waitcnt lgkmcnt(11)
	v_fma_f64 v[78:79], -v[82:83], v[120:121], v[78:79]
	v_fma_f64 v[80:81], -v[82:83], v[122:123], v[80:81]
	s_waitcnt lgkmcnt(10)
	v_fma_f64 v[74:75], -v[82:83], v[124:125], v[74:75]
	v_fma_f64 v[76:77], -v[82:83], v[126:127], v[76:77]
	;; [unrolled: 3-line block ×5, first 2 shown]
	s_waitcnt lgkmcnt(6)
	v_fma_f64 v[58:59], -v[82:83], v[140:141], v[58:59]
	ds_read2_b64 v[120:123], v116 offset0:35 offset1:36
	ds_read2_b64 v[124:127], v116 offset0:37 offset1:38
	v_fma_f64 v[60:61], -v[82:83], v[142:143], v[60:61]
	s_waitcnt lgkmcnt(7)
	v_fma_f64 v[54:55], -v[82:83], v[144:145], v[54:55]
	ds_read2_b64 v[128:131], v116 offset0:39 offset1:40
	ds_read2_b64 v[132:135], v116 offset0:41 offset1:42
	v_fma_f64 v[56:57], -v[82:83], v[146:147], v[56:57]
	;; [unrolled: 5-line block ×3, first 2 shown]
	ds_read2_b64 v[144:147], v116 offset0:47 offset1:48
	ds_read2_b64 v[148:151], v116 offset0:49 offset1:50
	s_waitcnt lgkmcnt(11)
	v_fma_f64 v[48:49], -v[82:83], v[152:153], v[48:49]
	v_fma_f64 v[46:47], -v[82:83], v[154:155], v[46:47]
	s_waitcnt lgkmcnt(10)
	v_fma_f64 v[44:45], -v[82:83], v[156:157], v[44:45]
	v_fma_f64 v[42:43], -v[82:83], v[158:159], v[42:43]
	;; [unrolled: 3-line block ×3, first 2 shown]
	s_waitcnt lgkmcnt(8)
	v_fma_f64 v[108:109], -v[82:83], v[0:1], v[108:109]
	s_waitcnt lgkmcnt(7)
	v_fma_f64 v[34:35], -v[82:83], v[120:121], v[34:35]
	v_fma_f64 v[36:37], -v[82:83], v[122:123], v[36:37]
	s_waitcnt lgkmcnt(6)
	v_fma_f64 v[32:33], -v[82:83], v[124:125], v[32:33]
	;; [unrolled: 3-line block ×8, first 2 shown]
	v_fma_f64 v[10:11], -v[82:83], v[150:151], v[10:11]
.LBB102_216:
	s_or_b32 exec_lo, exec_lo, s0
	v_lshl_add_u32 v0, v119, 3, v116
	s_barrier
	buffer_gl0_inv
	v_mov_b32_e32 v110, 13
	ds_write_b64 v0, v[78:79]
	s_waitcnt lgkmcnt(0)
	s_barrier
	buffer_gl0_inv
	ds_read_b64 v[0:1], v116 offset:104
	s_cmp_lt_i32 s7, 15
	s_cbranch_scc1 .LBB102_219
; %bb.217:
	v_add3_u32 v111, v117, 0, 0x70
	v_mov_b32_e32 v110, 13
	s_mov_b32 s0, 14
.LBB102_218:                            ; =>This Inner Loop Header: Depth=1
	ds_read_b64 v[120:121], v111
	v_add_nc_u32_e32 v111, 8, v111
	s_waitcnt lgkmcnt(0)
	v_cmp_lt_f64_e64 vcc_lo, |v[0:1]|, |v[120:121]|
	v_cndmask_b32_e32 v1, v1, v121, vcc_lo
	v_cndmask_b32_e32 v0, v0, v120, vcc_lo
	v_cndmask_b32_e64 v110, v110, s0, vcc_lo
	s_add_i32 s0, s0, 1
	s_cmp_lg_u32 s7, s0
	s_cbranch_scc1 .LBB102_218
.LBB102_219:
	s_mov_b32 s0, exec_lo
	s_waitcnt lgkmcnt(0)
	v_cmpx_eq_f64_e32 0, v[0:1]
	s_xor_b32 s0, exec_lo, s0
; %bb.220:
	v_cmp_ne_u32_e32 vcc_lo, 0, v113
	v_cndmask_b32_e32 v113, 14, v113, vcc_lo
; %bb.221:
	s_andn2_saveexec_b32 s0, s0
	s_cbranch_execz .LBB102_223
; %bb.222:
	v_div_scale_f64 v[111:112], null, v[0:1], v[0:1], 1.0
	v_rcp_f64_e32 v[120:121], v[111:112]
	v_fma_f64 v[122:123], -v[111:112], v[120:121], 1.0
	v_fma_f64 v[120:121], v[120:121], v[122:123], v[120:121]
	v_fma_f64 v[122:123], -v[111:112], v[120:121], 1.0
	v_fma_f64 v[120:121], v[120:121], v[122:123], v[120:121]
	v_div_scale_f64 v[122:123], vcc_lo, 1.0, v[0:1], 1.0
	v_mul_f64 v[124:125], v[122:123], v[120:121]
	v_fma_f64 v[111:112], -v[111:112], v[124:125], v[122:123]
	v_div_fmas_f64 v[111:112], v[111:112], v[120:121], v[124:125]
	v_div_fixup_f64 v[0:1], v[111:112], v[0:1], 1.0
.LBB102_223:
	s_or_b32 exec_lo, exec_lo, s0
	s_mov_b32 s0, exec_lo
	v_cmpx_ne_u32_e64 v119, v110
	s_xor_b32 s0, exec_lo, s0
	s_cbranch_execz .LBB102_229
; %bb.224:
	s_mov_b32 s1, exec_lo
	v_cmpx_eq_u32_e32 13, v119
	s_cbranch_execz .LBB102_228
; %bb.225:
	v_cmp_ne_u32_e32 vcc_lo, 13, v110
	s_xor_b32 s2, s6, -1
	s_and_b32 s3, s2, vcc_lo
	s_and_saveexec_b32 s2, s3
	s_cbranch_execz .LBB102_227
; %bb.226:
	v_ashrrev_i32_e32 v111, 31, v110
	v_lshlrev_b64 v[111:112], 2, v[110:111]
	v_add_co_u32 v111, vcc_lo, v4, v111
	v_add_co_ci_u32_e64 v112, null, v5, v112, vcc_lo
	s_clause 0x1
	global_load_dword v118, v[111:112], off
	global_load_dword v119, v[4:5], off offset:52
	s_waitcnt vmcnt(1)
	global_store_dword v[4:5], v118, off offset:52
	s_waitcnt vmcnt(0)
	global_store_dword v[111:112], v119, off
.LBB102_227:
	s_or_b32 exec_lo, exec_lo, s2
	v_mov_b32_e32 v118, v110
	v_mov_b32_e32 v119, v110
.LBB102_228:
	s_or_b32 exec_lo, exec_lo, s1
.LBB102_229:
	s_andn2_saveexec_b32 s0, s0
	s_cbranch_execz .LBB102_231
; %bb.230:
	v_mov_b32_e32 v110, v80
	v_mov_b32_e32 v111, v81
	v_mov_b32_e32 v119, v74
	v_mov_b32_e32 v120, v75
	v_mov_b32_e32 v121, v76
	v_mov_b32_e32 v122, v77
	v_mov_b32_e32 v123, v72
	v_mov_b32_e32 v124, v73
	v_mov_b32_e32 v125, v70
	v_mov_b32_e32 v126, v71
	v_mov_b32_e32 v127, v68
	v_mov_b32_e32 v128, v69
	v_mov_b32_e32 v129, v66
	v_mov_b32_e32 v130, v67
	v_mov_b32_e32 v131, v64
	v_mov_b32_e32 v132, v65
	v_mov_b32_e32 v133, v62
	v_mov_b32_e32 v134, v63
	v_mov_b32_e32 v135, v58
	v_mov_b32_e32 v136, v59
	ds_write2_b64 v116, v[110:111], v[119:120] offset0:14 offset1:15
	ds_write2_b64 v116, v[121:122], v[123:124] offset0:16 offset1:17
	ds_write2_b64 v116, v[125:126], v[127:128] offset0:18 offset1:19
	ds_write2_b64 v116, v[129:130], v[131:132] offset0:20 offset1:21
	ds_write2_b64 v116, v[133:134], v[135:136] offset0:22 offset1:23
	v_mov_b32_e32 v110, v60
	v_mov_b32_e32 v111, v61
	v_mov_b32_e32 v119, v54
	v_mov_b32_e32 v120, v55
	v_mov_b32_e32 v121, v56
	v_mov_b32_e32 v122, v57
	v_mov_b32_e32 v123, v52
	v_mov_b32_e32 v124, v53
	v_mov_b32_e32 v125, v50
	v_mov_b32_e32 v126, v51
	v_mov_b32_e32 v127, v48
	v_mov_b32_e32 v128, v49
	v_mov_b32_e32 v129, v46
	v_mov_b32_e32 v130, v47
	v_mov_b32_e32 v131, v44
	v_mov_b32_e32 v132, v45
	v_mov_b32_e32 v133, v42
	v_mov_b32_e32 v134, v43
	v_mov_b32_e32 v135, v38
	v_mov_b32_e32 v136, v39
	ds_write2_b64 v116, v[110:111], v[119:120] offset0:24 offset1:25
	ds_write2_b64 v116, v[121:122], v[123:124] offset0:26 offset1:27
	ds_write2_b64 v116, v[125:126], v[127:128] offset0:28 offset1:29
	ds_write2_b64 v116, v[129:130], v[131:132] offset0:30 offset1:31
	ds_write2_b64 v116, v[133:134], v[135:136] offset0:32 offset1:33
	;; [unrolled: 25-line block ×3, first 2 shown]
	v_mov_b32_e32 v110, v20
	v_mov_b32_e32 v111, v21
	;; [unrolled: 1-line block ×15, first 2 shown]
	ds_write2_b64 v116, v[110:111], v[120:121] offset0:44 offset1:45
	ds_write2_b64 v116, v[122:123], v[124:125] offset0:46 offset1:47
	ds_write2_b64 v116, v[126:127], v[128:129] offset0:48 offset1:49
	ds_write2_b64 v116, v[130:131], v[108:109] offset0:50 offset1:51
.LBB102_231:
	s_or_b32 exec_lo, exec_lo, s0
	s_mov_b32 s0, exec_lo
	s_waitcnt lgkmcnt(0)
	s_waitcnt_vscnt null, 0x0
	s_barrier
	buffer_gl0_inv
	v_cmpx_lt_i32_e32 13, v119
	s_cbranch_execz .LBB102_233
; %bb.232:
	v_mul_f64 v[78:79], v[0:1], v[78:79]
	ds_read2_b64 v[120:123], v116 offset0:14 offset1:15
	ds_read2_b64 v[124:127], v116 offset0:16 offset1:17
	;; [unrolled: 1-line block ×12, first 2 shown]
	s_waitcnt lgkmcnt(11)
	v_fma_f64 v[80:81], -v[78:79], v[120:121], v[80:81]
	v_fma_f64 v[74:75], -v[78:79], v[122:123], v[74:75]
	s_waitcnt lgkmcnt(10)
	v_fma_f64 v[76:77], -v[78:79], v[124:125], v[76:77]
	v_fma_f64 v[72:73], -v[78:79], v[126:127], v[72:73]
	;; [unrolled: 3-line block ×5, first 2 shown]
	s_waitcnt lgkmcnt(6)
	v_fma_f64 v[60:61], -v[78:79], v[140:141], v[60:61]
	ds_read2_b64 v[120:123], v116 offset0:38 offset1:39
	ds_read2_b64 v[124:127], v116 offset0:40 offset1:41
	v_fma_f64 v[54:55], -v[78:79], v[142:143], v[54:55]
	s_waitcnt lgkmcnt(7)
	v_fma_f64 v[56:57], -v[78:79], v[144:145], v[56:57]
	ds_read2_b64 v[128:131], v116 offset0:42 offset1:43
	ds_read2_b64 v[132:135], v116 offset0:44 offset1:45
	v_fma_f64 v[52:53], -v[78:79], v[146:147], v[52:53]
	ds_read2_b64 v[136:139], v116 offset0:46 offset1:47
	ds_read2_b64 v[140:143], v116 offset0:48 offset1:49
	;; [unrolled: 1-line block ×3, first 2 shown]
	s_waitcnt lgkmcnt(11)
	v_fma_f64 v[50:51], -v[78:79], v[148:149], v[50:51]
	v_fma_f64 v[48:49], -v[78:79], v[150:151], v[48:49]
	s_waitcnt lgkmcnt(10)
	v_fma_f64 v[46:47], -v[78:79], v[152:153], v[46:47]
	v_fma_f64 v[44:45], -v[78:79], v[154:155], v[44:45]
	s_waitcnt lgkmcnt(9)
	v_fma_f64 v[42:43], -v[78:79], v[156:157], v[42:43]
	v_fma_f64 v[38:39], -v[78:79], v[158:159], v[38:39]
	s_waitcnt lgkmcnt(8)
	v_fma_f64 v[40:41], -v[78:79], v[160:161], v[40:41]
	v_fma_f64 v[34:35], -v[78:79], v[162:163], v[34:35]
	s_waitcnt lgkmcnt(7)
	v_fma_f64 v[36:37], -v[78:79], v[164:165], v[36:37]
	v_fma_f64 v[32:33], -v[78:79], v[166:167], v[32:33]
	s_waitcnt lgkmcnt(6)
	v_fma_f64 v[30:31], -v[78:79], v[120:121], v[30:31]
	v_fma_f64 v[28:29], -v[78:79], v[122:123], v[28:29]
	s_waitcnt lgkmcnt(5)
	v_fma_f64 v[26:27], -v[78:79], v[124:125], v[26:27]
	v_fma_f64 v[24:25], -v[78:79], v[126:127], v[24:25]
	s_waitcnt lgkmcnt(4)
	v_fma_f64 v[22:23], -v[78:79], v[128:129], v[22:23]
	v_fma_f64 v[18:19], -v[78:79], v[130:131], v[18:19]
	s_waitcnt lgkmcnt(3)
	v_fma_f64 v[20:21], -v[78:79], v[132:133], v[20:21]
	v_fma_f64 v[16:17], -v[78:79], v[134:135], v[16:17]
	s_waitcnt lgkmcnt(2)
	v_fma_f64 v[14:15], -v[78:79], v[136:137], v[14:15]
	v_fma_f64 v[8:9], -v[78:79], v[138:139], v[8:9]
	s_waitcnt lgkmcnt(1)
	v_fma_f64 v[12:13], -v[78:79], v[140:141], v[12:13]
	v_fma_f64 v[6:7], -v[78:79], v[142:143], v[6:7]
	s_waitcnt lgkmcnt(0)
	v_fma_f64 v[10:11], -v[78:79], v[144:145], v[10:11]
	v_fma_f64 v[108:109], -v[78:79], v[146:147], v[108:109]
.LBB102_233:
	s_or_b32 exec_lo, exec_lo, s0
	v_lshl_add_u32 v0, v119, 3, v116
	s_barrier
	buffer_gl0_inv
	v_mov_b32_e32 v110, 14
	ds_write_b64 v0, v[80:81]
	s_waitcnt lgkmcnt(0)
	s_barrier
	buffer_gl0_inv
	ds_read_b64 v[0:1], v116 offset:112
	s_cmp_lt_i32 s7, 16
	s_cbranch_scc1 .LBB102_236
; %bb.234:
	v_add3_u32 v111, v117, 0, 0x78
	v_mov_b32_e32 v110, 14
	s_mov_b32 s0, 15
.LBB102_235:                            ; =>This Inner Loop Header: Depth=1
	ds_read_b64 v[120:121], v111
	v_add_nc_u32_e32 v111, 8, v111
	s_waitcnt lgkmcnt(0)
	v_cmp_lt_f64_e64 vcc_lo, |v[0:1]|, |v[120:121]|
	v_cndmask_b32_e32 v1, v1, v121, vcc_lo
	v_cndmask_b32_e32 v0, v0, v120, vcc_lo
	v_cndmask_b32_e64 v110, v110, s0, vcc_lo
	s_add_i32 s0, s0, 1
	s_cmp_lg_u32 s7, s0
	s_cbranch_scc1 .LBB102_235
.LBB102_236:
	s_mov_b32 s0, exec_lo
	s_waitcnt lgkmcnt(0)
	v_cmpx_eq_f64_e32 0, v[0:1]
	s_xor_b32 s0, exec_lo, s0
; %bb.237:
	v_cmp_ne_u32_e32 vcc_lo, 0, v113
	v_cndmask_b32_e32 v113, 15, v113, vcc_lo
; %bb.238:
	s_andn2_saveexec_b32 s0, s0
	s_cbranch_execz .LBB102_240
; %bb.239:
	v_div_scale_f64 v[111:112], null, v[0:1], v[0:1], 1.0
	v_rcp_f64_e32 v[120:121], v[111:112]
	v_fma_f64 v[122:123], -v[111:112], v[120:121], 1.0
	v_fma_f64 v[120:121], v[120:121], v[122:123], v[120:121]
	v_fma_f64 v[122:123], -v[111:112], v[120:121], 1.0
	v_fma_f64 v[120:121], v[120:121], v[122:123], v[120:121]
	v_div_scale_f64 v[122:123], vcc_lo, 1.0, v[0:1], 1.0
	v_mul_f64 v[124:125], v[122:123], v[120:121]
	v_fma_f64 v[111:112], -v[111:112], v[124:125], v[122:123]
	v_div_fmas_f64 v[111:112], v[111:112], v[120:121], v[124:125]
	v_div_fixup_f64 v[0:1], v[111:112], v[0:1], 1.0
.LBB102_240:
	s_or_b32 exec_lo, exec_lo, s0
	s_mov_b32 s0, exec_lo
	v_cmpx_ne_u32_e64 v119, v110
	s_xor_b32 s0, exec_lo, s0
	s_cbranch_execz .LBB102_246
; %bb.241:
	s_mov_b32 s1, exec_lo
	v_cmpx_eq_u32_e32 14, v119
	s_cbranch_execz .LBB102_245
; %bb.242:
	v_cmp_ne_u32_e32 vcc_lo, 14, v110
	s_xor_b32 s2, s6, -1
	s_and_b32 s3, s2, vcc_lo
	s_and_saveexec_b32 s2, s3
	s_cbranch_execz .LBB102_244
; %bb.243:
	v_ashrrev_i32_e32 v111, 31, v110
	v_lshlrev_b64 v[111:112], 2, v[110:111]
	v_add_co_u32 v111, vcc_lo, v4, v111
	v_add_co_ci_u32_e64 v112, null, v5, v112, vcc_lo
	s_clause 0x1
	global_load_dword v118, v[111:112], off
	global_load_dword v119, v[4:5], off offset:56
	s_waitcnt vmcnt(1)
	global_store_dword v[4:5], v118, off offset:56
	s_waitcnt vmcnt(0)
	global_store_dword v[111:112], v119, off
.LBB102_244:
	s_or_b32 exec_lo, exec_lo, s2
	v_mov_b32_e32 v118, v110
	v_mov_b32_e32 v119, v110
.LBB102_245:
	s_or_b32 exec_lo, exec_lo, s1
.LBB102_246:
	s_andn2_saveexec_b32 s0, s0
	s_cbranch_execz .LBB102_248
; %bb.247:
	v_mov_b32_e32 v119, 14
	ds_write2_b64 v116, v[74:75], v[76:77] offset0:15 offset1:16
	ds_write2_b64 v116, v[72:73], v[70:71] offset0:17 offset1:18
	;; [unrolled: 1-line block ×18, first 2 shown]
	ds_write_b64 v116, v[108:109] offset:408
.LBB102_248:
	s_or_b32 exec_lo, exec_lo, s0
	s_mov_b32 s0, exec_lo
	s_waitcnt lgkmcnt(0)
	s_waitcnt_vscnt null, 0x0
	s_barrier
	buffer_gl0_inv
	v_cmpx_lt_i32_e32 14, v119
	s_cbranch_execz .LBB102_250
; %bb.249:
	v_mul_f64 v[80:81], v[0:1], v[80:81]
	ds_read2_b64 v[120:123], v116 offset0:15 offset1:16
	ds_read2_b64 v[124:127], v116 offset0:17 offset1:18
	;; [unrolled: 1-line block ×12, first 2 shown]
	ds_read_b64 v[0:1], v116 offset:408
	s_waitcnt lgkmcnt(12)
	v_fma_f64 v[74:75], -v[80:81], v[120:121], v[74:75]
	v_fma_f64 v[76:77], -v[80:81], v[122:123], v[76:77]
	s_waitcnt lgkmcnt(11)
	v_fma_f64 v[72:73], -v[80:81], v[124:125], v[72:73]
	v_fma_f64 v[70:71], -v[80:81], v[126:127], v[70:71]
	;; [unrolled: 3-line block ×5, first 2 shown]
	s_waitcnt lgkmcnt(7)
	v_fma_f64 v[54:55], -v[80:81], v[140:141], v[54:55]
	ds_read2_b64 v[120:123], v116 offset0:39 offset1:40
	ds_read2_b64 v[124:127], v116 offset0:41 offset1:42
	v_fma_f64 v[56:57], -v[80:81], v[142:143], v[56:57]
	ds_read2_b64 v[128:131], v116 offset0:43 offset1:44
	ds_read2_b64 v[132:135], v116 offset0:45 offset1:46
	;; [unrolled: 1-line block ×4, first 2 shown]
	s_waitcnt lgkmcnt(12)
	v_fma_f64 v[52:53], -v[80:81], v[144:145], v[52:53]
	v_fma_f64 v[50:51], -v[80:81], v[146:147], v[50:51]
	s_waitcnt lgkmcnt(11)
	v_fma_f64 v[48:49], -v[80:81], v[148:149], v[48:49]
	v_fma_f64 v[46:47], -v[80:81], v[150:151], v[46:47]
	;; [unrolled: 3-line block ×6, first 2 shown]
	s_waitcnt lgkmcnt(6)
	v_fma_f64 v[108:109], -v[80:81], v[0:1], v[108:109]
	s_waitcnt lgkmcnt(5)
	v_fma_f64 v[28:29], -v[80:81], v[120:121], v[28:29]
	v_fma_f64 v[26:27], -v[80:81], v[122:123], v[26:27]
	s_waitcnt lgkmcnt(4)
	v_fma_f64 v[24:25], -v[80:81], v[124:125], v[24:25]
	;; [unrolled: 3-line block ×6, first 2 shown]
	v_fma_f64 v[10:11], -v[80:81], v[142:143], v[10:11]
.LBB102_250:
	s_or_b32 exec_lo, exec_lo, s0
	v_lshl_add_u32 v0, v119, 3, v116
	s_barrier
	buffer_gl0_inv
	v_mov_b32_e32 v110, 15
	ds_write_b64 v0, v[74:75]
	s_waitcnt lgkmcnt(0)
	s_barrier
	buffer_gl0_inv
	ds_read_b64 v[0:1], v116 offset:120
	s_cmp_lt_i32 s7, 17
	s_cbranch_scc1 .LBB102_253
; %bb.251:
	v_add3_u32 v111, v117, 0, 0x80
	v_mov_b32_e32 v110, 15
	s_mov_b32 s0, 16
.LBB102_252:                            ; =>This Inner Loop Header: Depth=1
	ds_read_b64 v[120:121], v111
	v_add_nc_u32_e32 v111, 8, v111
	s_waitcnt lgkmcnt(0)
	v_cmp_lt_f64_e64 vcc_lo, |v[0:1]|, |v[120:121]|
	v_cndmask_b32_e32 v1, v1, v121, vcc_lo
	v_cndmask_b32_e32 v0, v0, v120, vcc_lo
	v_cndmask_b32_e64 v110, v110, s0, vcc_lo
	s_add_i32 s0, s0, 1
	s_cmp_lg_u32 s7, s0
	s_cbranch_scc1 .LBB102_252
.LBB102_253:
	s_mov_b32 s0, exec_lo
	s_waitcnt lgkmcnt(0)
	v_cmpx_eq_f64_e32 0, v[0:1]
	s_xor_b32 s0, exec_lo, s0
; %bb.254:
	v_cmp_ne_u32_e32 vcc_lo, 0, v113
	v_cndmask_b32_e32 v113, 16, v113, vcc_lo
; %bb.255:
	s_andn2_saveexec_b32 s0, s0
	s_cbranch_execz .LBB102_257
; %bb.256:
	v_div_scale_f64 v[111:112], null, v[0:1], v[0:1], 1.0
	v_rcp_f64_e32 v[120:121], v[111:112]
	v_fma_f64 v[122:123], -v[111:112], v[120:121], 1.0
	v_fma_f64 v[120:121], v[120:121], v[122:123], v[120:121]
	v_fma_f64 v[122:123], -v[111:112], v[120:121], 1.0
	v_fma_f64 v[120:121], v[120:121], v[122:123], v[120:121]
	v_div_scale_f64 v[122:123], vcc_lo, 1.0, v[0:1], 1.0
	v_mul_f64 v[124:125], v[122:123], v[120:121]
	v_fma_f64 v[111:112], -v[111:112], v[124:125], v[122:123]
	v_div_fmas_f64 v[111:112], v[111:112], v[120:121], v[124:125]
	v_div_fixup_f64 v[0:1], v[111:112], v[0:1], 1.0
.LBB102_257:
	s_or_b32 exec_lo, exec_lo, s0
	s_mov_b32 s0, exec_lo
	v_cmpx_ne_u32_e64 v119, v110
	s_xor_b32 s0, exec_lo, s0
	s_cbranch_execz .LBB102_263
; %bb.258:
	s_mov_b32 s1, exec_lo
	v_cmpx_eq_u32_e32 15, v119
	s_cbranch_execz .LBB102_262
; %bb.259:
	v_cmp_ne_u32_e32 vcc_lo, 15, v110
	s_xor_b32 s2, s6, -1
	s_and_b32 s3, s2, vcc_lo
	s_and_saveexec_b32 s2, s3
	s_cbranch_execz .LBB102_261
; %bb.260:
	v_ashrrev_i32_e32 v111, 31, v110
	v_lshlrev_b64 v[111:112], 2, v[110:111]
	v_add_co_u32 v111, vcc_lo, v4, v111
	v_add_co_ci_u32_e64 v112, null, v5, v112, vcc_lo
	s_clause 0x1
	global_load_dword v118, v[111:112], off
	global_load_dword v119, v[4:5], off offset:60
	s_waitcnt vmcnt(1)
	global_store_dword v[4:5], v118, off offset:60
	s_waitcnt vmcnt(0)
	global_store_dword v[111:112], v119, off
.LBB102_261:
	s_or_b32 exec_lo, exec_lo, s2
	v_mov_b32_e32 v118, v110
	v_mov_b32_e32 v119, v110
.LBB102_262:
	s_or_b32 exec_lo, exec_lo, s1
.LBB102_263:
	s_andn2_saveexec_b32 s0, s0
	s_cbranch_execz .LBB102_265
; %bb.264:
	v_mov_b32_e32 v110, v76
	v_mov_b32_e32 v111, v77
	;; [unrolled: 1-line block ×16, first 2 shown]
	ds_write2_b64 v116, v[110:111], v[119:120] offset0:16 offset1:17
	ds_write2_b64 v116, v[121:122], v[123:124] offset0:18 offset1:19
	;; [unrolled: 1-line block ×4, first 2 shown]
	v_mov_b32_e32 v110, v60
	v_mov_b32_e32 v111, v61
	;; [unrolled: 1-line block ×20, first 2 shown]
	ds_write2_b64 v116, v[110:111], v[119:120] offset0:24 offset1:25
	ds_write2_b64 v116, v[121:122], v[123:124] offset0:26 offset1:27
	;; [unrolled: 1-line block ×5, first 2 shown]
	v_mov_b32_e32 v110, v40
	v_mov_b32_e32 v111, v41
	;; [unrolled: 1-line block ×20, first 2 shown]
	ds_write2_b64 v116, v[110:111], v[119:120] offset0:34 offset1:35
	ds_write2_b64 v116, v[121:122], v[123:124] offset0:36 offset1:37
	;; [unrolled: 1-line block ×5, first 2 shown]
	v_mov_b32_e32 v110, v20
	v_mov_b32_e32 v111, v21
	;; [unrolled: 1-line block ×15, first 2 shown]
	ds_write2_b64 v116, v[110:111], v[120:121] offset0:44 offset1:45
	ds_write2_b64 v116, v[122:123], v[124:125] offset0:46 offset1:47
	;; [unrolled: 1-line block ×4, first 2 shown]
.LBB102_265:
	s_or_b32 exec_lo, exec_lo, s0
	s_mov_b32 s0, exec_lo
	s_waitcnt lgkmcnt(0)
	s_waitcnt_vscnt null, 0x0
	s_barrier
	buffer_gl0_inv
	v_cmpx_lt_i32_e32 15, v119
	s_cbranch_execz .LBB102_267
; %bb.266:
	v_mul_f64 v[74:75], v[0:1], v[74:75]
	ds_read2_b64 v[120:123], v116 offset0:16 offset1:17
	ds_read2_b64 v[124:127], v116 offset0:18 offset1:19
	;; [unrolled: 1-line block ×12, first 2 shown]
	s_waitcnt lgkmcnt(11)
	v_fma_f64 v[76:77], -v[74:75], v[120:121], v[76:77]
	v_fma_f64 v[72:73], -v[74:75], v[122:123], v[72:73]
	s_waitcnt lgkmcnt(10)
	v_fma_f64 v[70:71], -v[74:75], v[124:125], v[70:71]
	v_fma_f64 v[68:69], -v[74:75], v[126:127], v[68:69]
	s_waitcnt lgkmcnt(9)
	v_fma_f64 v[66:67], -v[74:75], v[128:129], v[66:67]
	v_fma_f64 v[64:65], -v[74:75], v[130:131], v[64:65]
	s_waitcnt lgkmcnt(8)
	v_fma_f64 v[62:63], -v[74:75], v[132:133], v[62:63]
	v_fma_f64 v[58:59], -v[74:75], v[134:135], v[58:59]
	s_waitcnt lgkmcnt(7)
	v_fma_f64 v[60:61], -v[74:75], v[136:137], v[60:61]
	v_fma_f64 v[54:55], -v[74:75], v[138:139], v[54:55]
	ds_read2_b64 v[120:123], v116 offset0:40 offset1:41
	ds_read2_b64 v[124:127], v116 offset0:42 offset1:43
	s_waitcnt lgkmcnt(8)
	v_fma_f64 v[56:57], -v[74:75], v[140:141], v[56:57]
	v_fma_f64 v[52:53], -v[74:75], v[142:143], v[52:53]
	ds_read2_b64 v[128:131], v116 offset0:44 offset1:45
	ds_read2_b64 v[132:135], v116 offset0:46 offset1:47
	;; [unrolled: 1-line block ×4, first 2 shown]
	s_waitcnt lgkmcnt(11)
	v_fma_f64 v[50:51], -v[74:75], v[144:145], v[50:51]
	v_fma_f64 v[48:49], -v[74:75], v[146:147], v[48:49]
	s_waitcnt lgkmcnt(10)
	v_fma_f64 v[46:47], -v[74:75], v[148:149], v[46:47]
	v_fma_f64 v[44:45], -v[74:75], v[150:151], v[44:45]
	;; [unrolled: 3-line block ×12, first 2 shown]
.LBB102_267:
	s_or_b32 exec_lo, exec_lo, s0
	v_lshl_add_u32 v0, v119, 3, v116
	s_barrier
	buffer_gl0_inv
	v_mov_b32_e32 v110, 16
	ds_write_b64 v0, v[76:77]
	s_waitcnt lgkmcnt(0)
	s_barrier
	buffer_gl0_inv
	ds_read_b64 v[0:1], v116 offset:128
	s_cmp_lt_i32 s7, 18
	s_cbranch_scc1 .LBB102_270
; %bb.268:
	v_add3_u32 v111, v117, 0, 0x88
	v_mov_b32_e32 v110, 16
	s_mov_b32 s0, 17
.LBB102_269:                            ; =>This Inner Loop Header: Depth=1
	ds_read_b64 v[120:121], v111
	v_add_nc_u32_e32 v111, 8, v111
	s_waitcnt lgkmcnt(0)
	v_cmp_lt_f64_e64 vcc_lo, |v[0:1]|, |v[120:121]|
	v_cndmask_b32_e32 v1, v1, v121, vcc_lo
	v_cndmask_b32_e32 v0, v0, v120, vcc_lo
	v_cndmask_b32_e64 v110, v110, s0, vcc_lo
	s_add_i32 s0, s0, 1
	s_cmp_lg_u32 s7, s0
	s_cbranch_scc1 .LBB102_269
.LBB102_270:
	s_mov_b32 s0, exec_lo
	s_waitcnt lgkmcnt(0)
	v_cmpx_eq_f64_e32 0, v[0:1]
	s_xor_b32 s0, exec_lo, s0
; %bb.271:
	v_cmp_ne_u32_e32 vcc_lo, 0, v113
	v_cndmask_b32_e32 v113, 17, v113, vcc_lo
; %bb.272:
	s_andn2_saveexec_b32 s0, s0
	s_cbranch_execz .LBB102_274
; %bb.273:
	v_div_scale_f64 v[111:112], null, v[0:1], v[0:1], 1.0
	v_rcp_f64_e32 v[120:121], v[111:112]
	v_fma_f64 v[122:123], -v[111:112], v[120:121], 1.0
	v_fma_f64 v[120:121], v[120:121], v[122:123], v[120:121]
	v_fma_f64 v[122:123], -v[111:112], v[120:121], 1.0
	v_fma_f64 v[120:121], v[120:121], v[122:123], v[120:121]
	v_div_scale_f64 v[122:123], vcc_lo, 1.0, v[0:1], 1.0
	v_mul_f64 v[124:125], v[122:123], v[120:121]
	v_fma_f64 v[111:112], -v[111:112], v[124:125], v[122:123]
	v_div_fmas_f64 v[111:112], v[111:112], v[120:121], v[124:125]
	v_div_fixup_f64 v[0:1], v[111:112], v[0:1], 1.0
.LBB102_274:
	s_or_b32 exec_lo, exec_lo, s0
	s_mov_b32 s0, exec_lo
	v_cmpx_ne_u32_e64 v119, v110
	s_xor_b32 s0, exec_lo, s0
	s_cbranch_execz .LBB102_280
; %bb.275:
	s_mov_b32 s1, exec_lo
	v_cmpx_eq_u32_e32 16, v119
	s_cbranch_execz .LBB102_279
; %bb.276:
	v_cmp_ne_u32_e32 vcc_lo, 16, v110
	s_xor_b32 s2, s6, -1
	s_and_b32 s3, s2, vcc_lo
	s_and_saveexec_b32 s2, s3
	s_cbranch_execz .LBB102_278
; %bb.277:
	v_ashrrev_i32_e32 v111, 31, v110
	v_lshlrev_b64 v[111:112], 2, v[110:111]
	v_add_co_u32 v111, vcc_lo, v4, v111
	v_add_co_ci_u32_e64 v112, null, v5, v112, vcc_lo
	s_clause 0x1
	global_load_dword v118, v[111:112], off
	global_load_dword v119, v[4:5], off offset:64
	s_waitcnt vmcnt(1)
	global_store_dword v[4:5], v118, off offset:64
	s_waitcnt vmcnt(0)
	global_store_dword v[111:112], v119, off
.LBB102_278:
	s_or_b32 exec_lo, exec_lo, s2
	v_mov_b32_e32 v118, v110
	v_mov_b32_e32 v119, v110
.LBB102_279:
	s_or_b32 exec_lo, exec_lo, s1
.LBB102_280:
	s_andn2_saveexec_b32 s0, s0
	s_cbranch_execz .LBB102_282
; %bb.281:
	v_mov_b32_e32 v119, 16
	ds_write2_b64 v116, v[72:73], v[70:71] offset0:17 offset1:18
	ds_write2_b64 v116, v[68:69], v[66:67] offset0:19 offset1:20
	;; [unrolled: 1-line block ×17, first 2 shown]
	ds_write_b64 v116, v[108:109] offset:408
.LBB102_282:
	s_or_b32 exec_lo, exec_lo, s0
	s_mov_b32 s0, exec_lo
	s_waitcnt lgkmcnt(0)
	s_waitcnt_vscnt null, 0x0
	s_barrier
	buffer_gl0_inv
	v_cmpx_lt_i32_e32 16, v119
	s_cbranch_execz .LBB102_284
; %bb.283:
	v_mul_f64 v[76:77], v[0:1], v[76:77]
	ds_read2_b64 v[120:123], v116 offset0:17 offset1:18
	ds_read2_b64 v[124:127], v116 offset0:19 offset1:20
	;; [unrolled: 1-line block ×12, first 2 shown]
	ds_read_b64 v[0:1], v116 offset:408
	s_waitcnt lgkmcnt(12)
	v_fma_f64 v[72:73], -v[76:77], v[120:121], v[72:73]
	v_fma_f64 v[70:71], -v[76:77], v[122:123], v[70:71]
	s_waitcnt lgkmcnt(11)
	v_fma_f64 v[68:69], -v[76:77], v[124:125], v[68:69]
	v_fma_f64 v[66:67], -v[76:77], v[126:127], v[66:67]
	;; [unrolled: 3-line block ×5, first 2 shown]
	ds_read2_b64 v[120:123], v116 offset0:41 offset1:42
	ds_read2_b64 v[124:127], v116 offset0:43 offset1:44
	;; [unrolled: 1-line block ×5, first 2 shown]
	s_waitcnt lgkmcnt(12)
	v_fma_f64 v[52:53], -v[76:77], v[140:141], v[52:53]
	v_fma_f64 v[50:51], -v[76:77], v[142:143], v[50:51]
	s_waitcnt lgkmcnt(11)
	v_fma_f64 v[48:49], -v[76:77], v[144:145], v[48:49]
	v_fma_f64 v[46:47], -v[76:77], v[146:147], v[46:47]
	;; [unrolled: 3-line block ×7, first 2 shown]
	s_waitcnt lgkmcnt(5)
	v_fma_f64 v[108:109], -v[76:77], v[0:1], v[108:109]
	s_waitcnt lgkmcnt(4)
	v_fma_f64 v[24:25], -v[76:77], v[120:121], v[24:25]
	v_fma_f64 v[22:23], -v[76:77], v[122:123], v[22:23]
	s_waitcnt lgkmcnt(3)
	v_fma_f64 v[18:19], -v[76:77], v[124:125], v[18:19]
	;; [unrolled: 3-line block ×5, first 2 shown]
	v_fma_f64 v[10:11], -v[76:77], v[138:139], v[10:11]
.LBB102_284:
	s_or_b32 exec_lo, exec_lo, s0
	v_lshl_add_u32 v0, v119, 3, v116
	s_barrier
	buffer_gl0_inv
	v_mov_b32_e32 v110, 17
	ds_write_b64 v0, v[72:73]
	s_waitcnt lgkmcnt(0)
	s_barrier
	buffer_gl0_inv
	ds_read_b64 v[0:1], v116 offset:136
	s_cmp_lt_i32 s7, 19
	s_cbranch_scc1 .LBB102_287
; %bb.285:
	v_add3_u32 v111, v117, 0, 0x90
	v_mov_b32_e32 v110, 17
	s_mov_b32 s0, 18
.LBB102_286:                            ; =>This Inner Loop Header: Depth=1
	ds_read_b64 v[120:121], v111
	v_add_nc_u32_e32 v111, 8, v111
	s_waitcnt lgkmcnt(0)
	v_cmp_lt_f64_e64 vcc_lo, |v[0:1]|, |v[120:121]|
	v_cndmask_b32_e32 v1, v1, v121, vcc_lo
	v_cndmask_b32_e32 v0, v0, v120, vcc_lo
	v_cndmask_b32_e64 v110, v110, s0, vcc_lo
	s_add_i32 s0, s0, 1
	s_cmp_lg_u32 s7, s0
	s_cbranch_scc1 .LBB102_286
.LBB102_287:
	s_mov_b32 s0, exec_lo
	s_waitcnt lgkmcnt(0)
	v_cmpx_eq_f64_e32 0, v[0:1]
	s_xor_b32 s0, exec_lo, s0
; %bb.288:
	v_cmp_ne_u32_e32 vcc_lo, 0, v113
	v_cndmask_b32_e32 v113, 18, v113, vcc_lo
; %bb.289:
	s_andn2_saveexec_b32 s0, s0
	s_cbranch_execz .LBB102_291
; %bb.290:
	v_div_scale_f64 v[111:112], null, v[0:1], v[0:1], 1.0
	v_rcp_f64_e32 v[120:121], v[111:112]
	v_fma_f64 v[122:123], -v[111:112], v[120:121], 1.0
	v_fma_f64 v[120:121], v[120:121], v[122:123], v[120:121]
	v_fma_f64 v[122:123], -v[111:112], v[120:121], 1.0
	v_fma_f64 v[120:121], v[120:121], v[122:123], v[120:121]
	v_div_scale_f64 v[122:123], vcc_lo, 1.0, v[0:1], 1.0
	v_mul_f64 v[124:125], v[122:123], v[120:121]
	v_fma_f64 v[111:112], -v[111:112], v[124:125], v[122:123]
	v_div_fmas_f64 v[111:112], v[111:112], v[120:121], v[124:125]
	v_div_fixup_f64 v[0:1], v[111:112], v[0:1], 1.0
.LBB102_291:
	s_or_b32 exec_lo, exec_lo, s0
	s_mov_b32 s0, exec_lo
	v_cmpx_ne_u32_e64 v119, v110
	s_xor_b32 s0, exec_lo, s0
	s_cbranch_execz .LBB102_297
; %bb.292:
	s_mov_b32 s1, exec_lo
	v_cmpx_eq_u32_e32 17, v119
	s_cbranch_execz .LBB102_296
; %bb.293:
	v_cmp_ne_u32_e32 vcc_lo, 17, v110
	s_xor_b32 s2, s6, -1
	s_and_b32 s3, s2, vcc_lo
	s_and_saveexec_b32 s2, s3
	s_cbranch_execz .LBB102_295
; %bb.294:
	v_ashrrev_i32_e32 v111, 31, v110
	v_lshlrev_b64 v[111:112], 2, v[110:111]
	v_add_co_u32 v111, vcc_lo, v4, v111
	v_add_co_ci_u32_e64 v112, null, v5, v112, vcc_lo
	s_clause 0x1
	global_load_dword v118, v[111:112], off
	global_load_dword v119, v[4:5], off offset:68
	s_waitcnt vmcnt(1)
	global_store_dword v[4:5], v118, off offset:68
	s_waitcnt vmcnt(0)
	global_store_dword v[111:112], v119, off
.LBB102_295:
	s_or_b32 exec_lo, exec_lo, s2
	v_mov_b32_e32 v118, v110
	v_mov_b32_e32 v119, v110
.LBB102_296:
	s_or_b32 exec_lo, exec_lo, s1
.LBB102_297:
	s_andn2_saveexec_b32 s0, s0
	s_cbranch_execz .LBB102_299
; %bb.298:
	v_mov_b32_e32 v110, v70
	v_mov_b32_e32 v111, v71
	;; [unrolled: 1-line block ×12, first 2 shown]
	ds_write2_b64 v116, v[110:111], v[119:120] offset0:18 offset1:19
	ds_write2_b64 v116, v[121:122], v[123:124] offset0:20 offset1:21
	ds_write2_b64 v116, v[125:126], v[127:128] offset0:22 offset1:23
	v_mov_b32_e32 v110, v60
	v_mov_b32_e32 v111, v61
	;; [unrolled: 1-line block ×20, first 2 shown]
	ds_write2_b64 v116, v[110:111], v[119:120] offset0:24 offset1:25
	ds_write2_b64 v116, v[121:122], v[123:124] offset0:26 offset1:27
	;; [unrolled: 1-line block ×5, first 2 shown]
	v_mov_b32_e32 v110, v40
	v_mov_b32_e32 v111, v41
	;; [unrolled: 1-line block ×20, first 2 shown]
	ds_write2_b64 v116, v[110:111], v[119:120] offset0:34 offset1:35
	ds_write2_b64 v116, v[121:122], v[123:124] offset0:36 offset1:37
	ds_write2_b64 v116, v[125:126], v[127:128] offset0:38 offset1:39
	ds_write2_b64 v116, v[129:130], v[131:132] offset0:40 offset1:41
	ds_write2_b64 v116, v[133:134], v[135:136] offset0:42 offset1:43
	v_mov_b32_e32 v110, v20
	v_mov_b32_e32 v111, v21
	;; [unrolled: 1-line block ×15, first 2 shown]
	ds_write2_b64 v116, v[110:111], v[120:121] offset0:44 offset1:45
	ds_write2_b64 v116, v[122:123], v[124:125] offset0:46 offset1:47
	;; [unrolled: 1-line block ×4, first 2 shown]
.LBB102_299:
	s_or_b32 exec_lo, exec_lo, s0
	s_mov_b32 s0, exec_lo
	s_waitcnt lgkmcnt(0)
	s_waitcnt_vscnt null, 0x0
	s_barrier
	buffer_gl0_inv
	v_cmpx_lt_i32_e32 17, v119
	s_cbranch_execz .LBB102_301
; %bb.300:
	v_mul_f64 v[72:73], v[0:1], v[72:73]
	ds_read2_b64 v[120:123], v116 offset0:18 offset1:19
	ds_read2_b64 v[124:127], v116 offset0:20 offset1:21
	;; [unrolled: 1-line block ×13, first 2 shown]
	s_waitcnt lgkmcnt(12)
	v_fma_f64 v[70:71], -v[72:73], v[120:121], v[70:71]
	v_fma_f64 v[68:69], -v[72:73], v[122:123], v[68:69]
	s_waitcnt lgkmcnt(11)
	v_fma_f64 v[66:67], -v[72:73], v[124:125], v[66:67]
	v_fma_f64 v[64:65], -v[72:73], v[126:127], v[64:65]
	;; [unrolled: 3-line block ×4, first 2 shown]
	ds_read2_b64 v[120:123], v116 offset0:44 offset1:45
	ds_read2_b64 v[124:127], v116 offset0:46 offset1:47
	;; [unrolled: 1-line block ×4, first 2 shown]
	s_waitcnt lgkmcnt(12)
	v_fma_f64 v[56:57], -v[72:73], v[136:137], v[56:57]
	v_fma_f64 v[52:53], -v[72:73], v[138:139], v[52:53]
	s_waitcnt lgkmcnt(11)
	v_fma_f64 v[50:51], -v[72:73], v[140:141], v[50:51]
	v_fma_f64 v[48:49], -v[72:73], v[142:143], v[48:49]
	;; [unrolled: 3-line block ×13, first 2 shown]
.LBB102_301:
	s_or_b32 exec_lo, exec_lo, s0
	v_lshl_add_u32 v0, v119, 3, v116
	s_barrier
	buffer_gl0_inv
	v_mov_b32_e32 v110, 18
	ds_write_b64 v0, v[70:71]
	s_waitcnt lgkmcnt(0)
	s_barrier
	buffer_gl0_inv
	ds_read_b64 v[0:1], v116 offset:144
	s_cmp_lt_i32 s7, 20
	s_cbranch_scc1 .LBB102_304
; %bb.302:
	v_add3_u32 v111, v117, 0, 0x98
	v_mov_b32_e32 v110, 18
	s_mov_b32 s0, 19
.LBB102_303:                            ; =>This Inner Loop Header: Depth=1
	ds_read_b64 v[120:121], v111
	v_add_nc_u32_e32 v111, 8, v111
	s_waitcnt lgkmcnt(0)
	v_cmp_lt_f64_e64 vcc_lo, |v[0:1]|, |v[120:121]|
	v_cndmask_b32_e32 v1, v1, v121, vcc_lo
	v_cndmask_b32_e32 v0, v0, v120, vcc_lo
	v_cndmask_b32_e64 v110, v110, s0, vcc_lo
	s_add_i32 s0, s0, 1
	s_cmp_lg_u32 s7, s0
	s_cbranch_scc1 .LBB102_303
.LBB102_304:
	s_mov_b32 s0, exec_lo
	s_waitcnt lgkmcnt(0)
	v_cmpx_eq_f64_e32 0, v[0:1]
	s_xor_b32 s0, exec_lo, s0
; %bb.305:
	v_cmp_ne_u32_e32 vcc_lo, 0, v113
	v_cndmask_b32_e32 v113, 19, v113, vcc_lo
; %bb.306:
	s_andn2_saveexec_b32 s0, s0
	s_cbranch_execz .LBB102_308
; %bb.307:
	v_div_scale_f64 v[111:112], null, v[0:1], v[0:1], 1.0
	v_rcp_f64_e32 v[120:121], v[111:112]
	v_fma_f64 v[122:123], -v[111:112], v[120:121], 1.0
	v_fma_f64 v[120:121], v[120:121], v[122:123], v[120:121]
	v_fma_f64 v[122:123], -v[111:112], v[120:121], 1.0
	v_fma_f64 v[120:121], v[120:121], v[122:123], v[120:121]
	v_div_scale_f64 v[122:123], vcc_lo, 1.0, v[0:1], 1.0
	v_mul_f64 v[124:125], v[122:123], v[120:121]
	v_fma_f64 v[111:112], -v[111:112], v[124:125], v[122:123]
	v_div_fmas_f64 v[111:112], v[111:112], v[120:121], v[124:125]
	v_div_fixup_f64 v[0:1], v[111:112], v[0:1], 1.0
.LBB102_308:
	s_or_b32 exec_lo, exec_lo, s0
	s_mov_b32 s0, exec_lo
	v_cmpx_ne_u32_e64 v119, v110
	s_xor_b32 s0, exec_lo, s0
	s_cbranch_execz .LBB102_314
; %bb.309:
	s_mov_b32 s1, exec_lo
	v_cmpx_eq_u32_e32 18, v119
	s_cbranch_execz .LBB102_313
; %bb.310:
	v_cmp_ne_u32_e32 vcc_lo, 18, v110
	s_xor_b32 s2, s6, -1
	s_and_b32 s3, s2, vcc_lo
	s_and_saveexec_b32 s2, s3
	s_cbranch_execz .LBB102_312
; %bb.311:
	v_ashrrev_i32_e32 v111, 31, v110
	v_lshlrev_b64 v[111:112], 2, v[110:111]
	v_add_co_u32 v111, vcc_lo, v4, v111
	v_add_co_ci_u32_e64 v112, null, v5, v112, vcc_lo
	s_clause 0x1
	global_load_dword v118, v[111:112], off
	global_load_dword v119, v[4:5], off offset:72
	s_waitcnt vmcnt(1)
	global_store_dword v[4:5], v118, off offset:72
	s_waitcnt vmcnt(0)
	global_store_dword v[111:112], v119, off
.LBB102_312:
	s_or_b32 exec_lo, exec_lo, s2
	v_mov_b32_e32 v118, v110
	v_mov_b32_e32 v119, v110
.LBB102_313:
	s_or_b32 exec_lo, exec_lo, s1
.LBB102_314:
	s_andn2_saveexec_b32 s0, s0
	s_cbranch_execz .LBB102_316
; %bb.315:
	v_mov_b32_e32 v119, 18
	ds_write2_b64 v116, v[68:69], v[66:67] offset0:19 offset1:20
	ds_write2_b64 v116, v[64:65], v[62:63] offset0:21 offset1:22
	;; [unrolled: 1-line block ×16, first 2 shown]
	ds_write_b64 v116, v[108:109] offset:408
.LBB102_316:
	s_or_b32 exec_lo, exec_lo, s0
	s_mov_b32 s0, exec_lo
	s_waitcnt lgkmcnt(0)
	s_waitcnt_vscnt null, 0x0
	s_barrier
	buffer_gl0_inv
	v_cmpx_lt_i32_e32 18, v119
	s_cbranch_execz .LBB102_318
; %bb.317:
	v_mul_f64 v[70:71], v[0:1], v[70:71]
	ds_read2_b64 v[120:123], v116 offset0:19 offset1:20
	ds_read2_b64 v[124:127], v116 offset0:21 offset1:22
	;; [unrolled: 1-line block ×13, first 2 shown]
	ds_read_b64 v[0:1], v116 offset:408
	s_waitcnt lgkmcnt(13)
	v_fma_f64 v[68:69], -v[70:71], v[120:121], v[68:69]
	v_fma_f64 v[66:67], -v[70:71], v[122:123], v[66:67]
	s_waitcnt lgkmcnt(12)
	v_fma_f64 v[64:65], -v[70:71], v[124:125], v[64:65]
	v_fma_f64 v[62:63], -v[70:71], v[126:127], v[62:63]
	;; [unrolled: 3-line block ×3, first 2 shown]
	ds_read2_b64 v[120:123], v116 offset0:45 offset1:46
	ds_read2_b64 v[124:127], v116 offset0:47 offset1:48
	;; [unrolled: 1-line block ×3, first 2 shown]
	s_waitcnt lgkmcnt(13)
	v_fma_f64 v[54:55], -v[70:71], v[132:133], v[54:55]
	v_fma_f64 v[56:57], -v[70:71], v[134:135], v[56:57]
	s_waitcnt lgkmcnt(12)
	v_fma_f64 v[52:53], -v[70:71], v[136:137], v[52:53]
	v_fma_f64 v[50:51], -v[70:71], v[138:139], v[50:51]
	;; [unrolled: 3-line block ×13, first 2 shown]
	v_fma_f64 v[108:109], -v[70:71], v[0:1], v[108:109]
.LBB102_318:
	s_or_b32 exec_lo, exec_lo, s0
	v_lshl_add_u32 v0, v119, 3, v116
	s_barrier
	buffer_gl0_inv
	v_mov_b32_e32 v110, 19
	ds_write_b64 v0, v[68:69]
	s_waitcnt lgkmcnt(0)
	s_barrier
	buffer_gl0_inv
	ds_read_b64 v[0:1], v116 offset:152
	s_cmp_lt_i32 s7, 21
	s_cbranch_scc1 .LBB102_321
; %bb.319:
	v_add3_u32 v111, v117, 0, 0xa0
	v_mov_b32_e32 v110, 19
	s_mov_b32 s0, 20
.LBB102_320:                            ; =>This Inner Loop Header: Depth=1
	ds_read_b64 v[120:121], v111
	v_add_nc_u32_e32 v111, 8, v111
	s_waitcnt lgkmcnt(0)
	v_cmp_lt_f64_e64 vcc_lo, |v[0:1]|, |v[120:121]|
	v_cndmask_b32_e32 v1, v1, v121, vcc_lo
	v_cndmask_b32_e32 v0, v0, v120, vcc_lo
	v_cndmask_b32_e64 v110, v110, s0, vcc_lo
	s_add_i32 s0, s0, 1
	s_cmp_lg_u32 s7, s0
	s_cbranch_scc1 .LBB102_320
.LBB102_321:
	s_mov_b32 s0, exec_lo
	s_waitcnt lgkmcnt(0)
	v_cmpx_eq_f64_e32 0, v[0:1]
	s_xor_b32 s0, exec_lo, s0
; %bb.322:
	v_cmp_ne_u32_e32 vcc_lo, 0, v113
	v_cndmask_b32_e32 v113, 20, v113, vcc_lo
; %bb.323:
	s_andn2_saveexec_b32 s0, s0
	s_cbranch_execz .LBB102_325
; %bb.324:
	v_div_scale_f64 v[111:112], null, v[0:1], v[0:1], 1.0
	v_rcp_f64_e32 v[120:121], v[111:112]
	v_fma_f64 v[122:123], -v[111:112], v[120:121], 1.0
	v_fma_f64 v[120:121], v[120:121], v[122:123], v[120:121]
	v_fma_f64 v[122:123], -v[111:112], v[120:121], 1.0
	v_fma_f64 v[120:121], v[120:121], v[122:123], v[120:121]
	v_div_scale_f64 v[122:123], vcc_lo, 1.0, v[0:1], 1.0
	v_mul_f64 v[124:125], v[122:123], v[120:121]
	v_fma_f64 v[111:112], -v[111:112], v[124:125], v[122:123]
	v_div_fmas_f64 v[111:112], v[111:112], v[120:121], v[124:125]
	v_div_fixup_f64 v[0:1], v[111:112], v[0:1], 1.0
.LBB102_325:
	s_or_b32 exec_lo, exec_lo, s0
	s_mov_b32 s0, exec_lo
	v_cmpx_ne_u32_e64 v119, v110
	s_xor_b32 s0, exec_lo, s0
	s_cbranch_execz .LBB102_331
; %bb.326:
	s_mov_b32 s1, exec_lo
	v_cmpx_eq_u32_e32 19, v119
	s_cbranch_execz .LBB102_330
; %bb.327:
	v_cmp_ne_u32_e32 vcc_lo, 19, v110
	s_xor_b32 s2, s6, -1
	s_and_b32 s3, s2, vcc_lo
	s_and_saveexec_b32 s2, s3
	s_cbranch_execz .LBB102_329
; %bb.328:
	v_ashrrev_i32_e32 v111, 31, v110
	v_lshlrev_b64 v[111:112], 2, v[110:111]
	v_add_co_u32 v111, vcc_lo, v4, v111
	v_add_co_ci_u32_e64 v112, null, v5, v112, vcc_lo
	s_clause 0x1
	global_load_dword v118, v[111:112], off
	global_load_dword v119, v[4:5], off offset:76
	s_waitcnt vmcnt(1)
	global_store_dword v[4:5], v118, off offset:76
	s_waitcnt vmcnt(0)
	global_store_dword v[111:112], v119, off
.LBB102_329:
	s_or_b32 exec_lo, exec_lo, s2
	v_mov_b32_e32 v118, v110
	v_mov_b32_e32 v119, v110
.LBB102_330:
	s_or_b32 exec_lo, exec_lo, s1
.LBB102_331:
	s_andn2_saveexec_b32 s0, s0
	s_cbranch_execz .LBB102_333
; %bb.332:
	v_mov_b32_e32 v110, v66
	v_mov_b32_e32 v111, v67
	v_mov_b32_e32 v119, v64
	v_mov_b32_e32 v120, v65
	v_mov_b32_e32 v121, v62
	v_mov_b32_e32 v122, v63
	v_mov_b32_e32 v123, v58
	v_mov_b32_e32 v124, v59
	ds_write2_b64 v116, v[110:111], v[119:120] offset0:20 offset1:21
	ds_write2_b64 v116, v[121:122], v[123:124] offset0:22 offset1:23
	v_mov_b32_e32 v110, v60
	v_mov_b32_e32 v111, v61
	;; [unrolled: 1-line block ×20, first 2 shown]
	ds_write2_b64 v116, v[110:111], v[119:120] offset0:24 offset1:25
	ds_write2_b64 v116, v[121:122], v[123:124] offset0:26 offset1:27
	ds_write2_b64 v116, v[125:126], v[127:128] offset0:28 offset1:29
	ds_write2_b64 v116, v[129:130], v[131:132] offset0:30 offset1:31
	ds_write2_b64 v116, v[133:134], v[135:136] offset0:32 offset1:33
	v_mov_b32_e32 v110, v40
	v_mov_b32_e32 v111, v41
	;; [unrolled: 1-line block ×20, first 2 shown]
	ds_write2_b64 v116, v[110:111], v[119:120] offset0:34 offset1:35
	ds_write2_b64 v116, v[121:122], v[123:124] offset0:36 offset1:37
	;; [unrolled: 1-line block ×5, first 2 shown]
	v_mov_b32_e32 v110, v20
	v_mov_b32_e32 v111, v21
	v_mov_b32_e32 v120, v16
	v_mov_b32_e32 v121, v17
	v_mov_b32_e32 v119, 19
	v_mov_b32_e32 v122, v14
	v_mov_b32_e32 v123, v15
	v_mov_b32_e32 v124, v8
	v_mov_b32_e32 v125, v9
	v_mov_b32_e32 v126, v12
	v_mov_b32_e32 v127, v13
	v_mov_b32_e32 v128, v6
	v_mov_b32_e32 v129, v7
	v_mov_b32_e32 v130, v10
	v_mov_b32_e32 v131, v11
	ds_write2_b64 v116, v[110:111], v[120:121] offset0:44 offset1:45
	ds_write2_b64 v116, v[122:123], v[124:125] offset0:46 offset1:47
	ds_write2_b64 v116, v[126:127], v[128:129] offset0:48 offset1:49
	ds_write2_b64 v116, v[130:131], v[108:109] offset0:50 offset1:51
.LBB102_333:
	s_or_b32 exec_lo, exec_lo, s0
	s_mov_b32 s0, exec_lo
	s_waitcnt lgkmcnt(0)
	s_waitcnt_vscnt null, 0x0
	s_barrier
	buffer_gl0_inv
	v_cmpx_lt_i32_e32 19, v119
	s_cbranch_execz .LBB102_335
; %bb.334:
	v_mul_f64 v[68:69], v[0:1], v[68:69]
	ds_read2_b64 v[120:123], v116 offset0:20 offset1:21
	ds_read2_b64 v[124:127], v116 offset0:22 offset1:23
	;; [unrolled: 1-line block ×13, first 2 shown]
	s_waitcnt lgkmcnt(12)
	v_fma_f64 v[66:67], -v[68:69], v[120:121], v[66:67]
	v_fma_f64 v[64:65], -v[68:69], v[122:123], v[64:65]
	s_waitcnt lgkmcnt(11)
	v_fma_f64 v[62:63], -v[68:69], v[124:125], v[62:63]
	v_fma_f64 v[58:59], -v[68:69], v[126:127], v[58:59]
	;; [unrolled: 3-line block ×3, first 2 shown]
	ds_read2_b64 v[120:123], v116 offset0:46 offset1:47
	ds_read2_b64 v[124:127], v116 offset0:48 offset1:49
	;; [unrolled: 1-line block ×3, first 2 shown]
	s_waitcnt lgkmcnt(12)
	v_fma_f64 v[56:57], -v[68:69], v[132:133], v[56:57]
	v_fma_f64 v[52:53], -v[68:69], v[134:135], v[52:53]
	s_waitcnt lgkmcnt(11)
	v_fma_f64 v[50:51], -v[68:69], v[136:137], v[50:51]
	v_fma_f64 v[48:49], -v[68:69], v[138:139], v[48:49]
	;; [unrolled: 3-line block ×13, first 2 shown]
.LBB102_335:
	s_or_b32 exec_lo, exec_lo, s0
	v_lshl_add_u32 v0, v119, 3, v116
	s_barrier
	buffer_gl0_inv
	v_mov_b32_e32 v110, 20
	ds_write_b64 v0, v[66:67]
	s_waitcnt lgkmcnt(0)
	s_barrier
	buffer_gl0_inv
	ds_read_b64 v[0:1], v116 offset:160
	s_cmp_lt_i32 s7, 22
	s_cbranch_scc1 .LBB102_338
; %bb.336:
	v_add3_u32 v111, v117, 0, 0xa8
	v_mov_b32_e32 v110, 20
	s_mov_b32 s0, 21
.LBB102_337:                            ; =>This Inner Loop Header: Depth=1
	ds_read_b64 v[120:121], v111
	v_add_nc_u32_e32 v111, 8, v111
	s_waitcnt lgkmcnt(0)
	v_cmp_lt_f64_e64 vcc_lo, |v[0:1]|, |v[120:121]|
	v_cndmask_b32_e32 v1, v1, v121, vcc_lo
	v_cndmask_b32_e32 v0, v0, v120, vcc_lo
	v_cndmask_b32_e64 v110, v110, s0, vcc_lo
	s_add_i32 s0, s0, 1
	s_cmp_lg_u32 s7, s0
	s_cbranch_scc1 .LBB102_337
.LBB102_338:
	s_mov_b32 s0, exec_lo
	s_waitcnt lgkmcnt(0)
	v_cmpx_eq_f64_e32 0, v[0:1]
	s_xor_b32 s0, exec_lo, s0
; %bb.339:
	v_cmp_ne_u32_e32 vcc_lo, 0, v113
	v_cndmask_b32_e32 v113, 21, v113, vcc_lo
; %bb.340:
	s_andn2_saveexec_b32 s0, s0
	s_cbranch_execz .LBB102_342
; %bb.341:
	v_div_scale_f64 v[111:112], null, v[0:1], v[0:1], 1.0
	v_rcp_f64_e32 v[120:121], v[111:112]
	v_fma_f64 v[122:123], -v[111:112], v[120:121], 1.0
	v_fma_f64 v[120:121], v[120:121], v[122:123], v[120:121]
	v_fma_f64 v[122:123], -v[111:112], v[120:121], 1.0
	v_fma_f64 v[120:121], v[120:121], v[122:123], v[120:121]
	v_div_scale_f64 v[122:123], vcc_lo, 1.0, v[0:1], 1.0
	v_mul_f64 v[124:125], v[122:123], v[120:121]
	v_fma_f64 v[111:112], -v[111:112], v[124:125], v[122:123]
	v_div_fmas_f64 v[111:112], v[111:112], v[120:121], v[124:125]
	v_div_fixup_f64 v[0:1], v[111:112], v[0:1], 1.0
.LBB102_342:
	s_or_b32 exec_lo, exec_lo, s0
	s_mov_b32 s0, exec_lo
	v_cmpx_ne_u32_e64 v119, v110
	s_xor_b32 s0, exec_lo, s0
	s_cbranch_execz .LBB102_348
; %bb.343:
	s_mov_b32 s1, exec_lo
	v_cmpx_eq_u32_e32 20, v119
	s_cbranch_execz .LBB102_347
; %bb.344:
	v_cmp_ne_u32_e32 vcc_lo, 20, v110
	s_xor_b32 s2, s6, -1
	s_and_b32 s3, s2, vcc_lo
	s_and_saveexec_b32 s2, s3
	s_cbranch_execz .LBB102_346
; %bb.345:
	v_ashrrev_i32_e32 v111, 31, v110
	v_lshlrev_b64 v[111:112], 2, v[110:111]
	v_add_co_u32 v111, vcc_lo, v4, v111
	v_add_co_ci_u32_e64 v112, null, v5, v112, vcc_lo
	s_clause 0x1
	global_load_dword v118, v[111:112], off
	global_load_dword v119, v[4:5], off offset:80
	s_waitcnt vmcnt(1)
	global_store_dword v[4:5], v118, off offset:80
	s_waitcnt vmcnt(0)
	global_store_dword v[111:112], v119, off
.LBB102_346:
	s_or_b32 exec_lo, exec_lo, s2
	v_mov_b32_e32 v118, v110
	v_mov_b32_e32 v119, v110
.LBB102_347:
	s_or_b32 exec_lo, exec_lo, s1
.LBB102_348:
	s_andn2_saveexec_b32 s0, s0
	s_cbranch_execz .LBB102_350
; %bb.349:
	v_mov_b32_e32 v119, 20
	ds_write2_b64 v116, v[64:65], v[62:63] offset0:21 offset1:22
	ds_write2_b64 v116, v[58:59], v[60:61] offset0:23 offset1:24
	;; [unrolled: 1-line block ×15, first 2 shown]
	ds_write_b64 v116, v[108:109] offset:408
.LBB102_350:
	s_or_b32 exec_lo, exec_lo, s0
	s_mov_b32 s0, exec_lo
	s_waitcnt lgkmcnt(0)
	s_waitcnt_vscnt null, 0x0
	s_barrier
	buffer_gl0_inv
	v_cmpx_lt_i32_e32 20, v119
	s_cbranch_execz .LBB102_352
; %bb.351:
	v_mul_f64 v[66:67], v[0:1], v[66:67]
	ds_read2_b64 v[120:123], v116 offset0:21 offset1:22
	ds_read2_b64 v[124:127], v116 offset0:23 offset1:24
	;; [unrolled: 1-line block ×13, first 2 shown]
	ds_read_b64 v[0:1], v116 offset:408
	s_waitcnt lgkmcnt(13)
	v_fma_f64 v[64:65], -v[66:67], v[120:121], v[64:65]
	v_fma_f64 v[62:63], -v[66:67], v[122:123], v[62:63]
	s_waitcnt lgkmcnt(12)
	v_fma_f64 v[58:59], -v[66:67], v[124:125], v[58:59]
	v_fma_f64 v[60:61], -v[66:67], v[126:127], v[60:61]
	ds_read2_b64 v[120:123], v116 offset0:47 offset1:48
	ds_read2_b64 v[124:127], v116 offset0:49 offset1:50
	s_waitcnt lgkmcnt(13)
	v_fma_f64 v[54:55], -v[66:67], v[128:129], v[54:55]
	v_fma_f64 v[56:57], -v[66:67], v[130:131], v[56:57]
	s_waitcnt lgkmcnt(12)
	v_fma_f64 v[52:53], -v[66:67], v[132:133], v[52:53]
	v_fma_f64 v[50:51], -v[66:67], v[134:135], v[50:51]
	;; [unrolled: 3-line block ×13, first 2 shown]
	v_fma_f64 v[108:109], -v[66:67], v[0:1], v[108:109]
.LBB102_352:
	s_or_b32 exec_lo, exec_lo, s0
	v_lshl_add_u32 v0, v119, 3, v116
	s_barrier
	buffer_gl0_inv
	v_mov_b32_e32 v110, 21
	ds_write_b64 v0, v[64:65]
	s_waitcnt lgkmcnt(0)
	s_barrier
	buffer_gl0_inv
	ds_read_b64 v[0:1], v116 offset:168
	s_cmp_lt_i32 s7, 23
	s_cbranch_scc1 .LBB102_355
; %bb.353:
	v_add3_u32 v111, v117, 0, 0xb0
	v_mov_b32_e32 v110, 21
	s_mov_b32 s0, 22
.LBB102_354:                            ; =>This Inner Loop Header: Depth=1
	ds_read_b64 v[120:121], v111
	v_add_nc_u32_e32 v111, 8, v111
	s_waitcnt lgkmcnt(0)
	v_cmp_lt_f64_e64 vcc_lo, |v[0:1]|, |v[120:121]|
	v_cndmask_b32_e32 v1, v1, v121, vcc_lo
	v_cndmask_b32_e32 v0, v0, v120, vcc_lo
	v_cndmask_b32_e64 v110, v110, s0, vcc_lo
	s_add_i32 s0, s0, 1
	s_cmp_lg_u32 s7, s0
	s_cbranch_scc1 .LBB102_354
.LBB102_355:
	s_mov_b32 s0, exec_lo
	s_waitcnt lgkmcnt(0)
	v_cmpx_eq_f64_e32 0, v[0:1]
	s_xor_b32 s0, exec_lo, s0
; %bb.356:
	v_cmp_ne_u32_e32 vcc_lo, 0, v113
	v_cndmask_b32_e32 v113, 22, v113, vcc_lo
; %bb.357:
	s_andn2_saveexec_b32 s0, s0
	s_cbranch_execz .LBB102_359
; %bb.358:
	v_div_scale_f64 v[111:112], null, v[0:1], v[0:1], 1.0
	v_rcp_f64_e32 v[120:121], v[111:112]
	v_fma_f64 v[122:123], -v[111:112], v[120:121], 1.0
	v_fma_f64 v[120:121], v[120:121], v[122:123], v[120:121]
	v_fma_f64 v[122:123], -v[111:112], v[120:121], 1.0
	v_fma_f64 v[120:121], v[120:121], v[122:123], v[120:121]
	v_div_scale_f64 v[122:123], vcc_lo, 1.0, v[0:1], 1.0
	v_mul_f64 v[124:125], v[122:123], v[120:121]
	v_fma_f64 v[111:112], -v[111:112], v[124:125], v[122:123]
	v_div_fmas_f64 v[111:112], v[111:112], v[120:121], v[124:125]
	v_div_fixup_f64 v[0:1], v[111:112], v[0:1], 1.0
.LBB102_359:
	s_or_b32 exec_lo, exec_lo, s0
	s_mov_b32 s0, exec_lo
	v_cmpx_ne_u32_e64 v119, v110
	s_xor_b32 s0, exec_lo, s0
	s_cbranch_execz .LBB102_365
; %bb.360:
	s_mov_b32 s1, exec_lo
	v_cmpx_eq_u32_e32 21, v119
	s_cbranch_execz .LBB102_364
; %bb.361:
	v_cmp_ne_u32_e32 vcc_lo, 21, v110
	s_xor_b32 s2, s6, -1
	s_and_b32 s3, s2, vcc_lo
	s_and_saveexec_b32 s2, s3
	s_cbranch_execz .LBB102_363
; %bb.362:
	v_ashrrev_i32_e32 v111, 31, v110
	v_lshlrev_b64 v[111:112], 2, v[110:111]
	v_add_co_u32 v111, vcc_lo, v4, v111
	v_add_co_ci_u32_e64 v112, null, v5, v112, vcc_lo
	s_clause 0x1
	global_load_dword v118, v[111:112], off
	global_load_dword v119, v[4:5], off offset:84
	s_waitcnt vmcnt(1)
	global_store_dword v[4:5], v118, off offset:84
	s_waitcnt vmcnt(0)
	global_store_dword v[111:112], v119, off
.LBB102_363:
	s_or_b32 exec_lo, exec_lo, s2
	v_mov_b32_e32 v118, v110
	v_mov_b32_e32 v119, v110
.LBB102_364:
	s_or_b32 exec_lo, exec_lo, s1
.LBB102_365:
	s_andn2_saveexec_b32 s0, s0
	s_cbranch_execz .LBB102_367
; %bb.366:
	v_mov_b32_e32 v110, v62
	v_mov_b32_e32 v111, v63
	;; [unrolled: 1-line block ×8, first 2 shown]
	ds_write2_b64 v116, v[110:111], v[119:120] offset0:22 offset1:23
	v_mov_b32_e32 v110, v54
	v_mov_b32_e32 v111, v55
	;; [unrolled: 1-line block ×16, first 2 shown]
	ds_write2_b64 v116, v[121:122], v[110:111] offset0:24 offset1:25
	ds_write2_b64 v116, v[119:120], v[123:124] offset0:26 offset1:27
	;; [unrolled: 1-line block ×5, first 2 shown]
	v_mov_b32_e32 v110, v40
	v_mov_b32_e32 v111, v41
	v_mov_b32_e32 v119, v34
	v_mov_b32_e32 v120, v35
	v_mov_b32_e32 v121, v36
	v_mov_b32_e32 v122, v37
	v_mov_b32_e32 v123, v32
	v_mov_b32_e32 v124, v33
	v_mov_b32_e32 v125, v30
	v_mov_b32_e32 v126, v31
	v_mov_b32_e32 v127, v28
	v_mov_b32_e32 v128, v29
	v_mov_b32_e32 v129, v26
	v_mov_b32_e32 v130, v27
	v_mov_b32_e32 v131, v24
	v_mov_b32_e32 v132, v25
	v_mov_b32_e32 v133, v22
	v_mov_b32_e32 v134, v23
	v_mov_b32_e32 v135, v18
	v_mov_b32_e32 v136, v19
	ds_write2_b64 v116, v[110:111], v[119:120] offset0:34 offset1:35
	ds_write2_b64 v116, v[121:122], v[123:124] offset0:36 offset1:37
	;; [unrolled: 1-line block ×5, first 2 shown]
	v_mov_b32_e32 v110, v20
	v_mov_b32_e32 v111, v21
	;; [unrolled: 1-line block ×15, first 2 shown]
	ds_write2_b64 v116, v[110:111], v[120:121] offset0:44 offset1:45
	ds_write2_b64 v116, v[122:123], v[124:125] offset0:46 offset1:47
	;; [unrolled: 1-line block ×4, first 2 shown]
.LBB102_367:
	s_or_b32 exec_lo, exec_lo, s0
	s_mov_b32 s0, exec_lo
	s_waitcnt lgkmcnt(0)
	s_waitcnt_vscnt null, 0x0
	s_barrier
	buffer_gl0_inv
	v_cmpx_lt_i32_e32 21, v119
	s_cbranch_execz .LBB102_369
; %bb.368:
	v_mul_f64 v[64:65], v[0:1], v[64:65]
	ds_read2_b64 v[120:123], v116 offset0:22 offset1:23
	ds_read2_b64 v[124:127], v116 offset0:24 offset1:25
	;; [unrolled: 1-line block ×14, first 2 shown]
	s_waitcnt lgkmcnt(13)
	v_fma_f64 v[62:63], -v[64:65], v[120:121], v[62:63]
	v_fma_f64 v[58:59], -v[64:65], v[122:123], v[58:59]
	ds_read2_b64 v[120:123], v116 offset0:50 offset1:51
	s_waitcnt lgkmcnt(13)
	v_fma_f64 v[60:61], -v[64:65], v[124:125], v[60:61]
	v_fma_f64 v[54:55], -v[64:65], v[126:127], v[54:55]
	s_waitcnt lgkmcnt(12)
	v_fma_f64 v[56:57], -v[64:65], v[128:129], v[56:57]
	v_fma_f64 v[52:53], -v[64:65], v[130:131], v[52:53]
	;; [unrolled: 3-line block ×14, first 2 shown]
.LBB102_369:
	s_or_b32 exec_lo, exec_lo, s0
	v_lshl_add_u32 v0, v119, 3, v116
	s_barrier
	buffer_gl0_inv
	v_mov_b32_e32 v110, 22
	ds_write_b64 v0, v[62:63]
	s_waitcnt lgkmcnt(0)
	s_barrier
	buffer_gl0_inv
	ds_read_b64 v[0:1], v116 offset:176
	s_cmp_lt_i32 s7, 24
	s_cbranch_scc1 .LBB102_372
; %bb.370:
	v_add3_u32 v111, v117, 0, 0xb8
	v_mov_b32_e32 v110, 22
	s_mov_b32 s0, 23
.LBB102_371:                            ; =>This Inner Loop Header: Depth=1
	ds_read_b64 v[120:121], v111
	v_add_nc_u32_e32 v111, 8, v111
	s_waitcnt lgkmcnt(0)
	v_cmp_lt_f64_e64 vcc_lo, |v[0:1]|, |v[120:121]|
	v_cndmask_b32_e32 v1, v1, v121, vcc_lo
	v_cndmask_b32_e32 v0, v0, v120, vcc_lo
	v_cndmask_b32_e64 v110, v110, s0, vcc_lo
	s_add_i32 s0, s0, 1
	s_cmp_lg_u32 s7, s0
	s_cbranch_scc1 .LBB102_371
.LBB102_372:
	s_mov_b32 s0, exec_lo
	s_waitcnt lgkmcnt(0)
	v_cmpx_eq_f64_e32 0, v[0:1]
	s_xor_b32 s0, exec_lo, s0
; %bb.373:
	v_cmp_ne_u32_e32 vcc_lo, 0, v113
	v_cndmask_b32_e32 v113, 23, v113, vcc_lo
; %bb.374:
	s_andn2_saveexec_b32 s0, s0
	s_cbranch_execz .LBB102_376
; %bb.375:
	v_div_scale_f64 v[111:112], null, v[0:1], v[0:1], 1.0
	v_rcp_f64_e32 v[120:121], v[111:112]
	v_fma_f64 v[122:123], -v[111:112], v[120:121], 1.0
	v_fma_f64 v[120:121], v[120:121], v[122:123], v[120:121]
	v_fma_f64 v[122:123], -v[111:112], v[120:121], 1.0
	v_fma_f64 v[120:121], v[120:121], v[122:123], v[120:121]
	v_div_scale_f64 v[122:123], vcc_lo, 1.0, v[0:1], 1.0
	v_mul_f64 v[124:125], v[122:123], v[120:121]
	v_fma_f64 v[111:112], -v[111:112], v[124:125], v[122:123]
	v_div_fmas_f64 v[111:112], v[111:112], v[120:121], v[124:125]
	v_div_fixup_f64 v[0:1], v[111:112], v[0:1], 1.0
.LBB102_376:
	s_or_b32 exec_lo, exec_lo, s0
	s_mov_b32 s0, exec_lo
	v_cmpx_ne_u32_e64 v119, v110
	s_xor_b32 s0, exec_lo, s0
	s_cbranch_execz .LBB102_382
; %bb.377:
	s_mov_b32 s1, exec_lo
	v_cmpx_eq_u32_e32 22, v119
	s_cbranch_execz .LBB102_381
; %bb.378:
	v_cmp_ne_u32_e32 vcc_lo, 22, v110
	s_xor_b32 s2, s6, -1
	s_and_b32 s3, s2, vcc_lo
	s_and_saveexec_b32 s2, s3
	s_cbranch_execz .LBB102_380
; %bb.379:
	v_ashrrev_i32_e32 v111, 31, v110
	v_lshlrev_b64 v[111:112], 2, v[110:111]
	v_add_co_u32 v111, vcc_lo, v4, v111
	v_add_co_ci_u32_e64 v112, null, v5, v112, vcc_lo
	s_clause 0x1
	global_load_dword v118, v[111:112], off
	global_load_dword v119, v[4:5], off offset:88
	s_waitcnt vmcnt(1)
	global_store_dword v[4:5], v118, off offset:88
	s_waitcnt vmcnt(0)
	global_store_dword v[111:112], v119, off
.LBB102_380:
	s_or_b32 exec_lo, exec_lo, s2
	v_mov_b32_e32 v118, v110
	v_mov_b32_e32 v119, v110
.LBB102_381:
	s_or_b32 exec_lo, exec_lo, s1
.LBB102_382:
	s_andn2_saveexec_b32 s0, s0
	s_cbranch_execz .LBB102_384
; %bb.383:
	v_mov_b32_e32 v119, 22
	ds_write2_b64 v116, v[58:59], v[60:61] offset0:23 offset1:24
	ds_write2_b64 v116, v[54:55], v[56:57] offset0:25 offset1:26
	;; [unrolled: 1-line block ×14, first 2 shown]
	ds_write_b64 v116, v[108:109] offset:408
.LBB102_384:
	s_or_b32 exec_lo, exec_lo, s0
	s_mov_b32 s0, exec_lo
	s_waitcnt lgkmcnt(0)
	s_waitcnt_vscnt null, 0x0
	s_barrier
	buffer_gl0_inv
	v_cmpx_lt_i32_e32 22, v119
	s_cbranch_execz .LBB102_386
; %bb.385:
	v_mul_f64 v[62:63], v[0:1], v[62:63]
	ds_read2_b64 v[120:123], v116 offset0:23 offset1:24
	ds_read2_b64 v[124:127], v116 offset0:25 offset1:26
	;; [unrolled: 1-line block ×14, first 2 shown]
	ds_read_b64 v[0:1], v116 offset:408
	s_waitcnt lgkmcnt(14)
	v_fma_f64 v[58:59], -v[62:63], v[120:121], v[58:59]
	v_fma_f64 v[60:61], -v[62:63], v[122:123], v[60:61]
	s_waitcnt lgkmcnt(13)
	v_fma_f64 v[54:55], -v[62:63], v[124:125], v[54:55]
	v_fma_f64 v[56:57], -v[62:63], v[126:127], v[56:57]
	;; [unrolled: 3-line block ×14, first 2 shown]
	s_waitcnt lgkmcnt(0)
	v_fma_f64 v[108:109], -v[62:63], v[0:1], v[108:109]
.LBB102_386:
	s_or_b32 exec_lo, exec_lo, s0
	v_lshl_add_u32 v0, v119, 3, v116
	s_barrier
	buffer_gl0_inv
	v_mov_b32_e32 v110, 23
	ds_write_b64 v0, v[58:59]
	s_waitcnt lgkmcnt(0)
	s_barrier
	buffer_gl0_inv
	ds_read_b64 v[0:1], v116 offset:184
	s_cmp_lt_i32 s7, 25
	s_cbranch_scc1 .LBB102_389
; %bb.387:
	v_add3_u32 v111, v117, 0, 0xc0
	v_mov_b32_e32 v110, 23
	s_mov_b32 s0, 24
.LBB102_388:                            ; =>This Inner Loop Header: Depth=1
	ds_read_b64 v[120:121], v111
	v_add_nc_u32_e32 v111, 8, v111
	s_waitcnt lgkmcnt(0)
	v_cmp_lt_f64_e64 vcc_lo, |v[0:1]|, |v[120:121]|
	v_cndmask_b32_e32 v1, v1, v121, vcc_lo
	v_cndmask_b32_e32 v0, v0, v120, vcc_lo
	v_cndmask_b32_e64 v110, v110, s0, vcc_lo
	s_add_i32 s0, s0, 1
	s_cmp_lg_u32 s7, s0
	s_cbranch_scc1 .LBB102_388
.LBB102_389:
	s_mov_b32 s0, exec_lo
	s_waitcnt lgkmcnt(0)
	v_cmpx_eq_f64_e32 0, v[0:1]
	s_xor_b32 s0, exec_lo, s0
; %bb.390:
	v_cmp_ne_u32_e32 vcc_lo, 0, v113
	v_cndmask_b32_e32 v113, 24, v113, vcc_lo
; %bb.391:
	s_andn2_saveexec_b32 s0, s0
	s_cbranch_execz .LBB102_393
; %bb.392:
	v_div_scale_f64 v[111:112], null, v[0:1], v[0:1], 1.0
	v_rcp_f64_e32 v[120:121], v[111:112]
	v_fma_f64 v[122:123], -v[111:112], v[120:121], 1.0
	v_fma_f64 v[120:121], v[120:121], v[122:123], v[120:121]
	v_fma_f64 v[122:123], -v[111:112], v[120:121], 1.0
	v_fma_f64 v[120:121], v[120:121], v[122:123], v[120:121]
	v_div_scale_f64 v[122:123], vcc_lo, 1.0, v[0:1], 1.0
	v_mul_f64 v[124:125], v[122:123], v[120:121]
	v_fma_f64 v[111:112], -v[111:112], v[124:125], v[122:123]
	v_div_fmas_f64 v[111:112], v[111:112], v[120:121], v[124:125]
	v_div_fixup_f64 v[0:1], v[111:112], v[0:1], 1.0
.LBB102_393:
	s_or_b32 exec_lo, exec_lo, s0
	s_mov_b32 s0, exec_lo
	v_cmpx_ne_u32_e64 v119, v110
	s_xor_b32 s0, exec_lo, s0
	s_cbranch_execz .LBB102_399
; %bb.394:
	s_mov_b32 s1, exec_lo
	v_cmpx_eq_u32_e32 23, v119
	s_cbranch_execz .LBB102_398
; %bb.395:
	v_cmp_ne_u32_e32 vcc_lo, 23, v110
	s_xor_b32 s2, s6, -1
	s_and_b32 s3, s2, vcc_lo
	s_and_saveexec_b32 s2, s3
	s_cbranch_execz .LBB102_397
; %bb.396:
	v_ashrrev_i32_e32 v111, 31, v110
	v_lshlrev_b64 v[111:112], 2, v[110:111]
	v_add_co_u32 v111, vcc_lo, v4, v111
	v_add_co_ci_u32_e64 v112, null, v5, v112, vcc_lo
	s_clause 0x1
	global_load_dword v118, v[111:112], off
	global_load_dword v119, v[4:5], off offset:92
	s_waitcnt vmcnt(1)
	global_store_dword v[4:5], v118, off offset:92
	s_waitcnt vmcnt(0)
	global_store_dword v[111:112], v119, off
.LBB102_397:
	s_or_b32 exec_lo, exec_lo, s2
	v_mov_b32_e32 v118, v110
	v_mov_b32_e32 v119, v110
.LBB102_398:
	s_or_b32 exec_lo, exec_lo, s1
.LBB102_399:
	s_andn2_saveexec_b32 s0, s0
	s_cbranch_execz .LBB102_401
; %bb.400:
	v_mov_b32_e32 v110, v60
	v_mov_b32_e32 v111, v61
	;; [unrolled: 1-line block ×20, first 2 shown]
	ds_write2_b64 v116, v[110:111], v[119:120] offset0:24 offset1:25
	ds_write2_b64 v116, v[121:122], v[123:124] offset0:26 offset1:27
	ds_write2_b64 v116, v[125:126], v[127:128] offset0:28 offset1:29
	ds_write2_b64 v116, v[129:130], v[131:132] offset0:30 offset1:31
	ds_write2_b64 v116, v[133:134], v[135:136] offset0:32 offset1:33
	v_mov_b32_e32 v110, v40
	v_mov_b32_e32 v111, v41
	;; [unrolled: 1-line block ×20, first 2 shown]
	ds_write2_b64 v116, v[110:111], v[119:120] offset0:34 offset1:35
	ds_write2_b64 v116, v[121:122], v[123:124] offset0:36 offset1:37
	;; [unrolled: 1-line block ×5, first 2 shown]
	v_mov_b32_e32 v110, v20
	v_mov_b32_e32 v111, v21
	;; [unrolled: 1-line block ×15, first 2 shown]
	ds_write2_b64 v116, v[110:111], v[120:121] offset0:44 offset1:45
	ds_write2_b64 v116, v[122:123], v[124:125] offset0:46 offset1:47
	;; [unrolled: 1-line block ×4, first 2 shown]
.LBB102_401:
	s_or_b32 exec_lo, exec_lo, s0
	s_mov_b32 s0, exec_lo
	s_waitcnt lgkmcnt(0)
	s_waitcnt_vscnt null, 0x0
	s_barrier
	buffer_gl0_inv
	v_cmpx_lt_i32_e32 23, v119
	s_cbranch_execz .LBB102_403
; %bb.402:
	v_mul_f64 v[58:59], v[0:1], v[58:59]
	ds_read2_b64 v[120:123], v116 offset0:24 offset1:25
	ds_read2_b64 v[124:127], v116 offset0:26 offset1:27
	ds_read2_b64 v[128:131], v116 offset0:28 offset1:29
	ds_read2_b64 v[132:135], v116 offset0:30 offset1:31
	ds_read2_b64 v[136:139], v116 offset0:32 offset1:33
	ds_read2_b64 v[140:143], v116 offset0:34 offset1:35
	ds_read2_b64 v[144:147], v116 offset0:36 offset1:37
	ds_read2_b64 v[148:151], v116 offset0:38 offset1:39
	ds_read2_b64 v[152:155], v116 offset0:40 offset1:41
	ds_read2_b64 v[156:159], v116 offset0:42 offset1:43
	ds_read2_b64 v[160:163], v116 offset0:44 offset1:45
	ds_read2_b64 v[164:167], v116 offset0:46 offset1:47
	ds_read2_b64 v[168:171], v116 offset0:48 offset1:49
	ds_read2_b64 v[172:175], v116 offset0:50 offset1:51
	s_waitcnt lgkmcnt(13)
	v_fma_f64 v[60:61], -v[58:59], v[120:121], v[60:61]
	v_fma_f64 v[54:55], -v[58:59], v[122:123], v[54:55]
	s_waitcnt lgkmcnt(12)
	v_fma_f64 v[56:57], -v[58:59], v[124:125], v[56:57]
	v_fma_f64 v[52:53], -v[58:59], v[126:127], v[52:53]
	;; [unrolled: 3-line block ×14, first 2 shown]
.LBB102_403:
	s_or_b32 exec_lo, exec_lo, s0
	v_lshl_add_u32 v0, v119, 3, v116
	s_barrier
	buffer_gl0_inv
	v_mov_b32_e32 v110, 24
	ds_write_b64 v0, v[60:61]
	s_waitcnt lgkmcnt(0)
	s_barrier
	buffer_gl0_inv
	ds_read_b64 v[0:1], v116 offset:192
	s_cmp_lt_i32 s7, 26
	s_cbranch_scc1 .LBB102_406
; %bb.404:
	v_add3_u32 v111, v117, 0, 0xc8
	v_mov_b32_e32 v110, 24
	s_mov_b32 s0, 25
.LBB102_405:                            ; =>This Inner Loop Header: Depth=1
	ds_read_b64 v[120:121], v111
	v_add_nc_u32_e32 v111, 8, v111
	s_waitcnt lgkmcnt(0)
	v_cmp_lt_f64_e64 vcc_lo, |v[0:1]|, |v[120:121]|
	v_cndmask_b32_e32 v1, v1, v121, vcc_lo
	v_cndmask_b32_e32 v0, v0, v120, vcc_lo
	v_cndmask_b32_e64 v110, v110, s0, vcc_lo
	s_add_i32 s0, s0, 1
	s_cmp_lg_u32 s7, s0
	s_cbranch_scc1 .LBB102_405
.LBB102_406:
	s_mov_b32 s0, exec_lo
	s_waitcnt lgkmcnt(0)
	v_cmpx_eq_f64_e32 0, v[0:1]
	s_xor_b32 s0, exec_lo, s0
; %bb.407:
	v_cmp_ne_u32_e32 vcc_lo, 0, v113
	v_cndmask_b32_e32 v113, 25, v113, vcc_lo
; %bb.408:
	s_andn2_saveexec_b32 s0, s0
	s_cbranch_execz .LBB102_410
; %bb.409:
	v_div_scale_f64 v[111:112], null, v[0:1], v[0:1], 1.0
	v_rcp_f64_e32 v[120:121], v[111:112]
	v_fma_f64 v[122:123], -v[111:112], v[120:121], 1.0
	v_fma_f64 v[120:121], v[120:121], v[122:123], v[120:121]
	v_fma_f64 v[122:123], -v[111:112], v[120:121], 1.0
	v_fma_f64 v[120:121], v[120:121], v[122:123], v[120:121]
	v_div_scale_f64 v[122:123], vcc_lo, 1.0, v[0:1], 1.0
	v_mul_f64 v[124:125], v[122:123], v[120:121]
	v_fma_f64 v[111:112], -v[111:112], v[124:125], v[122:123]
	v_div_fmas_f64 v[111:112], v[111:112], v[120:121], v[124:125]
	v_div_fixup_f64 v[0:1], v[111:112], v[0:1], 1.0
.LBB102_410:
	s_or_b32 exec_lo, exec_lo, s0
	s_mov_b32 s0, exec_lo
	v_cmpx_ne_u32_e64 v119, v110
	s_xor_b32 s0, exec_lo, s0
	s_cbranch_execz .LBB102_416
; %bb.411:
	s_mov_b32 s1, exec_lo
	v_cmpx_eq_u32_e32 24, v119
	s_cbranch_execz .LBB102_415
; %bb.412:
	v_cmp_ne_u32_e32 vcc_lo, 24, v110
	s_xor_b32 s2, s6, -1
	s_and_b32 s3, s2, vcc_lo
	s_and_saveexec_b32 s2, s3
	s_cbranch_execz .LBB102_414
; %bb.413:
	v_ashrrev_i32_e32 v111, 31, v110
	v_lshlrev_b64 v[111:112], 2, v[110:111]
	v_add_co_u32 v111, vcc_lo, v4, v111
	v_add_co_ci_u32_e64 v112, null, v5, v112, vcc_lo
	s_clause 0x1
	global_load_dword v118, v[111:112], off
	global_load_dword v119, v[4:5], off offset:96
	s_waitcnt vmcnt(1)
	global_store_dword v[4:5], v118, off offset:96
	s_waitcnt vmcnt(0)
	global_store_dword v[111:112], v119, off
.LBB102_414:
	s_or_b32 exec_lo, exec_lo, s2
	v_mov_b32_e32 v118, v110
	v_mov_b32_e32 v119, v110
.LBB102_415:
	s_or_b32 exec_lo, exec_lo, s1
.LBB102_416:
	s_andn2_saveexec_b32 s0, s0
	s_cbranch_execz .LBB102_418
; %bb.417:
	v_mov_b32_e32 v119, 24
	ds_write2_b64 v116, v[54:55], v[56:57] offset0:25 offset1:26
	ds_write2_b64 v116, v[52:53], v[50:51] offset0:27 offset1:28
	ds_write2_b64 v116, v[48:49], v[46:47] offset0:29 offset1:30
	ds_write2_b64 v116, v[44:45], v[42:43] offset0:31 offset1:32
	ds_write2_b64 v116, v[38:39], v[40:41] offset0:33 offset1:34
	ds_write2_b64 v116, v[34:35], v[36:37] offset0:35 offset1:36
	ds_write2_b64 v116, v[32:33], v[30:31] offset0:37 offset1:38
	ds_write2_b64 v116, v[28:29], v[26:27] offset0:39 offset1:40
	ds_write2_b64 v116, v[24:25], v[22:23] offset0:41 offset1:42
	ds_write2_b64 v116, v[18:19], v[20:21] offset0:43 offset1:44
	ds_write2_b64 v116, v[16:17], v[14:15] offset0:45 offset1:46
	ds_write2_b64 v116, v[8:9], v[12:13] offset0:47 offset1:48
	ds_write2_b64 v116, v[6:7], v[10:11] offset0:49 offset1:50
	ds_write_b64 v116, v[108:109] offset:408
.LBB102_418:
	s_or_b32 exec_lo, exec_lo, s0
	s_mov_b32 s0, exec_lo
	s_waitcnt lgkmcnt(0)
	s_waitcnt_vscnt null, 0x0
	s_barrier
	buffer_gl0_inv
	v_cmpx_lt_i32_e32 24, v119
	s_cbranch_execz .LBB102_420
; %bb.419:
	v_mul_f64 v[60:61], v[0:1], v[60:61]
	ds_read2_b64 v[120:123], v116 offset0:25 offset1:26
	ds_read2_b64 v[124:127], v116 offset0:27 offset1:28
	ds_read2_b64 v[128:131], v116 offset0:29 offset1:30
	ds_read2_b64 v[132:135], v116 offset0:31 offset1:32
	ds_read2_b64 v[136:139], v116 offset0:33 offset1:34
	ds_read2_b64 v[140:143], v116 offset0:35 offset1:36
	ds_read2_b64 v[144:147], v116 offset0:37 offset1:38
	ds_read2_b64 v[148:151], v116 offset0:39 offset1:40
	ds_read2_b64 v[152:155], v116 offset0:41 offset1:42
	ds_read2_b64 v[156:159], v116 offset0:43 offset1:44
	ds_read2_b64 v[160:163], v116 offset0:45 offset1:46
	ds_read2_b64 v[164:167], v116 offset0:47 offset1:48
	ds_read2_b64 v[168:171], v116 offset0:49 offset1:50
	ds_read_b64 v[0:1], v116 offset:408
	s_waitcnt lgkmcnt(13)
	v_fma_f64 v[54:55], -v[60:61], v[120:121], v[54:55]
	v_fma_f64 v[56:57], -v[60:61], v[122:123], v[56:57]
	s_waitcnt lgkmcnt(12)
	v_fma_f64 v[52:53], -v[60:61], v[124:125], v[52:53]
	v_fma_f64 v[50:51], -v[60:61], v[126:127], v[50:51]
	s_waitcnt lgkmcnt(11)
	v_fma_f64 v[48:49], -v[60:61], v[128:129], v[48:49]
	v_fma_f64 v[46:47], -v[60:61], v[130:131], v[46:47]
	s_waitcnt lgkmcnt(10)
	v_fma_f64 v[44:45], -v[60:61], v[132:133], v[44:45]
	v_fma_f64 v[42:43], -v[60:61], v[134:135], v[42:43]
	s_waitcnt lgkmcnt(9)
	v_fma_f64 v[38:39], -v[60:61], v[136:137], v[38:39]
	v_fma_f64 v[40:41], -v[60:61], v[138:139], v[40:41]
	s_waitcnt lgkmcnt(8)
	v_fma_f64 v[34:35], -v[60:61], v[140:141], v[34:35]
	v_fma_f64 v[36:37], -v[60:61], v[142:143], v[36:37]
	s_waitcnt lgkmcnt(7)
	v_fma_f64 v[32:33], -v[60:61], v[144:145], v[32:33]
	v_fma_f64 v[30:31], -v[60:61], v[146:147], v[30:31]
	s_waitcnt lgkmcnt(6)
	v_fma_f64 v[28:29], -v[60:61], v[148:149], v[28:29]
	v_fma_f64 v[26:27], -v[60:61], v[150:151], v[26:27]
	s_waitcnt lgkmcnt(5)
	v_fma_f64 v[24:25], -v[60:61], v[152:153], v[24:25]
	v_fma_f64 v[22:23], -v[60:61], v[154:155], v[22:23]
	s_waitcnt lgkmcnt(4)
	v_fma_f64 v[18:19], -v[60:61], v[156:157], v[18:19]
	v_fma_f64 v[20:21], -v[60:61], v[158:159], v[20:21]
	s_waitcnt lgkmcnt(3)
	v_fma_f64 v[16:17], -v[60:61], v[160:161], v[16:17]
	v_fma_f64 v[14:15], -v[60:61], v[162:163], v[14:15]
	s_waitcnt lgkmcnt(2)
	v_fma_f64 v[8:9], -v[60:61], v[164:165], v[8:9]
	v_fma_f64 v[12:13], -v[60:61], v[166:167], v[12:13]
	s_waitcnt lgkmcnt(1)
	v_fma_f64 v[6:7], -v[60:61], v[168:169], v[6:7]
	v_fma_f64 v[10:11], -v[60:61], v[170:171], v[10:11]
	s_waitcnt lgkmcnt(0)
	v_fma_f64 v[108:109], -v[60:61], v[0:1], v[108:109]
.LBB102_420:
	s_or_b32 exec_lo, exec_lo, s0
	v_lshl_add_u32 v0, v119, 3, v116
	s_barrier
	buffer_gl0_inv
	v_mov_b32_e32 v110, 25
	ds_write_b64 v0, v[54:55]
	s_waitcnt lgkmcnt(0)
	s_barrier
	buffer_gl0_inv
	ds_read_b64 v[0:1], v116 offset:200
	s_cmp_lt_i32 s7, 27
	s_cbranch_scc1 .LBB102_423
; %bb.421:
	v_add3_u32 v111, v117, 0, 0xd0
	v_mov_b32_e32 v110, 25
	s_mov_b32 s0, 26
.LBB102_422:                            ; =>This Inner Loop Header: Depth=1
	ds_read_b64 v[120:121], v111
	v_add_nc_u32_e32 v111, 8, v111
	s_waitcnt lgkmcnt(0)
	v_cmp_lt_f64_e64 vcc_lo, |v[0:1]|, |v[120:121]|
	v_cndmask_b32_e32 v1, v1, v121, vcc_lo
	v_cndmask_b32_e32 v0, v0, v120, vcc_lo
	v_cndmask_b32_e64 v110, v110, s0, vcc_lo
	s_add_i32 s0, s0, 1
	s_cmp_lg_u32 s7, s0
	s_cbranch_scc1 .LBB102_422
.LBB102_423:
	s_mov_b32 s0, exec_lo
	s_waitcnt lgkmcnt(0)
	v_cmpx_eq_f64_e32 0, v[0:1]
	s_xor_b32 s0, exec_lo, s0
; %bb.424:
	v_cmp_ne_u32_e32 vcc_lo, 0, v113
	v_cndmask_b32_e32 v113, 26, v113, vcc_lo
; %bb.425:
	s_andn2_saveexec_b32 s0, s0
	s_cbranch_execz .LBB102_427
; %bb.426:
	v_div_scale_f64 v[111:112], null, v[0:1], v[0:1], 1.0
	v_rcp_f64_e32 v[120:121], v[111:112]
	v_fma_f64 v[122:123], -v[111:112], v[120:121], 1.0
	v_fma_f64 v[120:121], v[120:121], v[122:123], v[120:121]
	v_fma_f64 v[122:123], -v[111:112], v[120:121], 1.0
	v_fma_f64 v[120:121], v[120:121], v[122:123], v[120:121]
	v_div_scale_f64 v[122:123], vcc_lo, 1.0, v[0:1], 1.0
	v_mul_f64 v[124:125], v[122:123], v[120:121]
	v_fma_f64 v[111:112], -v[111:112], v[124:125], v[122:123]
	v_div_fmas_f64 v[111:112], v[111:112], v[120:121], v[124:125]
	v_div_fixup_f64 v[0:1], v[111:112], v[0:1], 1.0
.LBB102_427:
	s_or_b32 exec_lo, exec_lo, s0
	s_mov_b32 s0, exec_lo
	v_cmpx_ne_u32_e64 v119, v110
	s_xor_b32 s0, exec_lo, s0
	s_cbranch_execz .LBB102_433
; %bb.428:
	s_mov_b32 s1, exec_lo
	v_cmpx_eq_u32_e32 25, v119
	s_cbranch_execz .LBB102_432
; %bb.429:
	v_cmp_ne_u32_e32 vcc_lo, 25, v110
	s_xor_b32 s2, s6, -1
	s_and_b32 s3, s2, vcc_lo
	s_and_saveexec_b32 s2, s3
	s_cbranch_execz .LBB102_431
; %bb.430:
	v_ashrrev_i32_e32 v111, 31, v110
	v_lshlrev_b64 v[111:112], 2, v[110:111]
	v_add_co_u32 v111, vcc_lo, v4, v111
	v_add_co_ci_u32_e64 v112, null, v5, v112, vcc_lo
	s_clause 0x1
	global_load_dword v118, v[111:112], off
	global_load_dword v119, v[4:5], off offset:100
	s_waitcnt vmcnt(1)
	global_store_dword v[4:5], v118, off offset:100
	s_waitcnt vmcnt(0)
	global_store_dword v[111:112], v119, off
.LBB102_431:
	s_or_b32 exec_lo, exec_lo, s2
	v_mov_b32_e32 v118, v110
	v_mov_b32_e32 v119, v110
.LBB102_432:
	s_or_b32 exec_lo, exec_lo, s1
.LBB102_433:
	s_andn2_saveexec_b32 s0, s0
	s_cbranch_execz .LBB102_435
; %bb.434:
	v_mov_b32_e32 v110, v56
	v_mov_b32_e32 v111, v57
	;; [unrolled: 1-line block ×16, first 2 shown]
	ds_write2_b64 v116, v[110:111], v[119:120] offset0:26 offset1:27
	ds_write2_b64 v116, v[121:122], v[123:124] offset0:28 offset1:29
	;; [unrolled: 1-line block ×4, first 2 shown]
	v_mov_b32_e32 v110, v40
	v_mov_b32_e32 v111, v41
	;; [unrolled: 1-line block ×20, first 2 shown]
	ds_write2_b64 v116, v[110:111], v[119:120] offset0:34 offset1:35
	ds_write2_b64 v116, v[121:122], v[123:124] offset0:36 offset1:37
	;; [unrolled: 1-line block ×5, first 2 shown]
	v_mov_b32_e32 v110, v20
	v_mov_b32_e32 v111, v21
	;; [unrolled: 1-line block ×15, first 2 shown]
	ds_write2_b64 v116, v[110:111], v[120:121] offset0:44 offset1:45
	ds_write2_b64 v116, v[122:123], v[124:125] offset0:46 offset1:47
	;; [unrolled: 1-line block ×4, first 2 shown]
.LBB102_435:
	s_or_b32 exec_lo, exec_lo, s0
	s_mov_b32 s0, exec_lo
	s_waitcnt lgkmcnt(0)
	s_waitcnt_vscnt null, 0x0
	s_barrier
	buffer_gl0_inv
	v_cmpx_lt_i32_e32 25, v119
	s_cbranch_execz .LBB102_437
; %bb.436:
	v_mul_f64 v[54:55], v[0:1], v[54:55]
	ds_read2_b64 v[120:123], v116 offset0:26 offset1:27
	ds_read2_b64 v[124:127], v116 offset0:28 offset1:29
	;; [unrolled: 1-line block ×13, first 2 shown]
	s_waitcnt lgkmcnt(12)
	v_fma_f64 v[56:57], -v[54:55], v[120:121], v[56:57]
	v_fma_f64 v[52:53], -v[54:55], v[122:123], v[52:53]
	s_waitcnt lgkmcnt(11)
	v_fma_f64 v[50:51], -v[54:55], v[124:125], v[50:51]
	v_fma_f64 v[48:49], -v[54:55], v[126:127], v[48:49]
	s_waitcnt lgkmcnt(10)
	v_fma_f64 v[46:47], -v[54:55], v[128:129], v[46:47]
	v_fma_f64 v[44:45], -v[54:55], v[130:131], v[44:45]
	s_waitcnt lgkmcnt(9)
	v_fma_f64 v[42:43], -v[54:55], v[132:133], v[42:43]
	v_fma_f64 v[38:39], -v[54:55], v[134:135], v[38:39]
	s_waitcnt lgkmcnt(8)
	v_fma_f64 v[40:41], -v[54:55], v[136:137], v[40:41]
	v_fma_f64 v[34:35], -v[54:55], v[138:139], v[34:35]
	s_waitcnt lgkmcnt(7)
	v_fma_f64 v[36:37], -v[54:55], v[140:141], v[36:37]
	v_fma_f64 v[32:33], -v[54:55], v[142:143], v[32:33]
	s_waitcnt lgkmcnt(6)
	v_fma_f64 v[30:31], -v[54:55], v[144:145], v[30:31]
	v_fma_f64 v[28:29], -v[54:55], v[146:147], v[28:29]
	s_waitcnt lgkmcnt(5)
	v_fma_f64 v[26:27], -v[54:55], v[148:149], v[26:27]
	v_fma_f64 v[24:25], -v[54:55], v[150:151], v[24:25]
	s_waitcnt lgkmcnt(4)
	v_fma_f64 v[22:23], -v[54:55], v[152:153], v[22:23]
	v_fma_f64 v[18:19], -v[54:55], v[154:155], v[18:19]
	s_waitcnt lgkmcnt(3)
	v_fma_f64 v[20:21], -v[54:55], v[156:157], v[20:21]
	v_fma_f64 v[16:17], -v[54:55], v[158:159], v[16:17]
	s_waitcnt lgkmcnt(2)
	v_fma_f64 v[14:15], -v[54:55], v[160:161], v[14:15]
	v_fma_f64 v[8:9], -v[54:55], v[162:163], v[8:9]
	s_waitcnt lgkmcnt(1)
	v_fma_f64 v[12:13], -v[54:55], v[164:165], v[12:13]
	v_fma_f64 v[6:7], -v[54:55], v[166:167], v[6:7]
	s_waitcnt lgkmcnt(0)
	v_fma_f64 v[10:11], -v[54:55], v[168:169], v[10:11]
	v_fma_f64 v[108:109], -v[54:55], v[170:171], v[108:109]
.LBB102_437:
	s_or_b32 exec_lo, exec_lo, s0
	v_lshl_add_u32 v0, v119, 3, v116
	s_barrier
	buffer_gl0_inv
	v_mov_b32_e32 v110, 26
	ds_write_b64 v0, v[56:57]
	s_waitcnt lgkmcnt(0)
	s_barrier
	buffer_gl0_inv
	ds_read_b64 v[0:1], v116 offset:208
	s_cmp_lt_i32 s7, 28
	s_cbranch_scc1 .LBB102_440
; %bb.438:
	v_add3_u32 v111, v117, 0, 0xd8
	v_mov_b32_e32 v110, 26
	s_mov_b32 s0, 27
.LBB102_439:                            ; =>This Inner Loop Header: Depth=1
	ds_read_b64 v[120:121], v111
	v_add_nc_u32_e32 v111, 8, v111
	s_waitcnt lgkmcnt(0)
	v_cmp_lt_f64_e64 vcc_lo, |v[0:1]|, |v[120:121]|
	v_cndmask_b32_e32 v1, v1, v121, vcc_lo
	v_cndmask_b32_e32 v0, v0, v120, vcc_lo
	v_cndmask_b32_e64 v110, v110, s0, vcc_lo
	s_add_i32 s0, s0, 1
	s_cmp_lg_u32 s7, s0
	s_cbranch_scc1 .LBB102_439
.LBB102_440:
	s_mov_b32 s0, exec_lo
	s_waitcnt lgkmcnt(0)
	v_cmpx_eq_f64_e32 0, v[0:1]
	s_xor_b32 s0, exec_lo, s0
; %bb.441:
	v_cmp_ne_u32_e32 vcc_lo, 0, v113
	v_cndmask_b32_e32 v113, 27, v113, vcc_lo
; %bb.442:
	s_andn2_saveexec_b32 s0, s0
	s_cbranch_execz .LBB102_444
; %bb.443:
	v_div_scale_f64 v[111:112], null, v[0:1], v[0:1], 1.0
	v_rcp_f64_e32 v[120:121], v[111:112]
	v_fma_f64 v[122:123], -v[111:112], v[120:121], 1.0
	v_fma_f64 v[120:121], v[120:121], v[122:123], v[120:121]
	v_fma_f64 v[122:123], -v[111:112], v[120:121], 1.0
	v_fma_f64 v[120:121], v[120:121], v[122:123], v[120:121]
	v_div_scale_f64 v[122:123], vcc_lo, 1.0, v[0:1], 1.0
	v_mul_f64 v[124:125], v[122:123], v[120:121]
	v_fma_f64 v[111:112], -v[111:112], v[124:125], v[122:123]
	v_div_fmas_f64 v[111:112], v[111:112], v[120:121], v[124:125]
	v_div_fixup_f64 v[0:1], v[111:112], v[0:1], 1.0
.LBB102_444:
	s_or_b32 exec_lo, exec_lo, s0
	s_mov_b32 s0, exec_lo
	v_cmpx_ne_u32_e64 v119, v110
	s_xor_b32 s0, exec_lo, s0
	s_cbranch_execz .LBB102_450
; %bb.445:
	s_mov_b32 s1, exec_lo
	v_cmpx_eq_u32_e32 26, v119
	s_cbranch_execz .LBB102_449
; %bb.446:
	v_cmp_ne_u32_e32 vcc_lo, 26, v110
	s_xor_b32 s2, s6, -1
	s_and_b32 s3, s2, vcc_lo
	s_and_saveexec_b32 s2, s3
	s_cbranch_execz .LBB102_448
; %bb.447:
	v_ashrrev_i32_e32 v111, 31, v110
	v_lshlrev_b64 v[111:112], 2, v[110:111]
	v_add_co_u32 v111, vcc_lo, v4, v111
	v_add_co_ci_u32_e64 v112, null, v5, v112, vcc_lo
	s_clause 0x1
	global_load_dword v118, v[111:112], off
	global_load_dword v119, v[4:5], off offset:104
	s_waitcnt vmcnt(1)
	global_store_dword v[4:5], v118, off offset:104
	s_waitcnt vmcnt(0)
	global_store_dword v[111:112], v119, off
.LBB102_448:
	s_or_b32 exec_lo, exec_lo, s2
	v_mov_b32_e32 v118, v110
	v_mov_b32_e32 v119, v110
.LBB102_449:
	s_or_b32 exec_lo, exec_lo, s1
.LBB102_450:
	s_andn2_saveexec_b32 s0, s0
	s_cbranch_execz .LBB102_452
; %bb.451:
	v_mov_b32_e32 v119, 26
	ds_write2_b64 v116, v[52:53], v[50:51] offset0:27 offset1:28
	ds_write2_b64 v116, v[48:49], v[46:47] offset0:29 offset1:30
	;; [unrolled: 1-line block ×12, first 2 shown]
	ds_write_b64 v116, v[108:109] offset:408
.LBB102_452:
	s_or_b32 exec_lo, exec_lo, s0
	s_mov_b32 s0, exec_lo
	s_waitcnt lgkmcnt(0)
	s_waitcnt_vscnt null, 0x0
	s_barrier
	buffer_gl0_inv
	v_cmpx_lt_i32_e32 26, v119
	s_cbranch_execz .LBB102_454
; %bb.453:
	v_mul_f64 v[56:57], v[0:1], v[56:57]
	ds_read2_b64 v[120:123], v116 offset0:27 offset1:28
	ds_read2_b64 v[124:127], v116 offset0:29 offset1:30
	;; [unrolled: 1-line block ×12, first 2 shown]
	ds_read_b64 v[0:1], v116 offset:408
	s_waitcnt lgkmcnt(12)
	v_fma_f64 v[52:53], -v[56:57], v[120:121], v[52:53]
	v_fma_f64 v[50:51], -v[56:57], v[122:123], v[50:51]
	s_waitcnt lgkmcnt(11)
	v_fma_f64 v[48:49], -v[56:57], v[124:125], v[48:49]
	v_fma_f64 v[46:47], -v[56:57], v[126:127], v[46:47]
	;; [unrolled: 3-line block ×12, first 2 shown]
	s_waitcnt lgkmcnt(0)
	v_fma_f64 v[108:109], -v[56:57], v[0:1], v[108:109]
.LBB102_454:
	s_or_b32 exec_lo, exec_lo, s0
	v_lshl_add_u32 v0, v119, 3, v116
	s_barrier
	buffer_gl0_inv
	v_mov_b32_e32 v110, 27
	ds_write_b64 v0, v[52:53]
	s_waitcnt lgkmcnt(0)
	s_barrier
	buffer_gl0_inv
	ds_read_b64 v[0:1], v116 offset:216
	s_cmp_lt_i32 s7, 29
	s_cbranch_scc1 .LBB102_457
; %bb.455:
	v_add3_u32 v111, v117, 0, 0xe0
	v_mov_b32_e32 v110, 27
	s_mov_b32 s0, 28
.LBB102_456:                            ; =>This Inner Loop Header: Depth=1
	ds_read_b64 v[120:121], v111
	v_add_nc_u32_e32 v111, 8, v111
	s_waitcnt lgkmcnt(0)
	v_cmp_lt_f64_e64 vcc_lo, |v[0:1]|, |v[120:121]|
	v_cndmask_b32_e32 v1, v1, v121, vcc_lo
	v_cndmask_b32_e32 v0, v0, v120, vcc_lo
	v_cndmask_b32_e64 v110, v110, s0, vcc_lo
	s_add_i32 s0, s0, 1
	s_cmp_lg_u32 s7, s0
	s_cbranch_scc1 .LBB102_456
.LBB102_457:
	s_mov_b32 s0, exec_lo
	s_waitcnt lgkmcnt(0)
	v_cmpx_eq_f64_e32 0, v[0:1]
	s_xor_b32 s0, exec_lo, s0
; %bb.458:
	v_cmp_ne_u32_e32 vcc_lo, 0, v113
	v_cndmask_b32_e32 v113, 28, v113, vcc_lo
; %bb.459:
	s_andn2_saveexec_b32 s0, s0
	s_cbranch_execz .LBB102_461
; %bb.460:
	v_div_scale_f64 v[111:112], null, v[0:1], v[0:1], 1.0
	v_rcp_f64_e32 v[120:121], v[111:112]
	v_fma_f64 v[122:123], -v[111:112], v[120:121], 1.0
	v_fma_f64 v[120:121], v[120:121], v[122:123], v[120:121]
	v_fma_f64 v[122:123], -v[111:112], v[120:121], 1.0
	v_fma_f64 v[120:121], v[120:121], v[122:123], v[120:121]
	v_div_scale_f64 v[122:123], vcc_lo, 1.0, v[0:1], 1.0
	v_mul_f64 v[124:125], v[122:123], v[120:121]
	v_fma_f64 v[111:112], -v[111:112], v[124:125], v[122:123]
	v_div_fmas_f64 v[111:112], v[111:112], v[120:121], v[124:125]
	v_div_fixup_f64 v[0:1], v[111:112], v[0:1], 1.0
.LBB102_461:
	s_or_b32 exec_lo, exec_lo, s0
	s_mov_b32 s0, exec_lo
	v_cmpx_ne_u32_e64 v119, v110
	s_xor_b32 s0, exec_lo, s0
	s_cbranch_execz .LBB102_467
; %bb.462:
	s_mov_b32 s1, exec_lo
	v_cmpx_eq_u32_e32 27, v119
	s_cbranch_execz .LBB102_466
; %bb.463:
	v_cmp_ne_u32_e32 vcc_lo, 27, v110
	s_xor_b32 s2, s6, -1
	s_and_b32 s3, s2, vcc_lo
	s_and_saveexec_b32 s2, s3
	s_cbranch_execz .LBB102_465
; %bb.464:
	v_ashrrev_i32_e32 v111, 31, v110
	v_lshlrev_b64 v[111:112], 2, v[110:111]
	v_add_co_u32 v111, vcc_lo, v4, v111
	v_add_co_ci_u32_e64 v112, null, v5, v112, vcc_lo
	s_clause 0x1
	global_load_dword v118, v[111:112], off
	global_load_dword v119, v[4:5], off offset:108
	s_waitcnt vmcnt(1)
	global_store_dword v[4:5], v118, off offset:108
	s_waitcnt vmcnt(0)
	global_store_dword v[111:112], v119, off
.LBB102_465:
	s_or_b32 exec_lo, exec_lo, s2
	v_mov_b32_e32 v118, v110
	v_mov_b32_e32 v119, v110
.LBB102_466:
	s_or_b32 exec_lo, exec_lo, s1
.LBB102_467:
	s_andn2_saveexec_b32 s0, s0
	s_cbranch_execz .LBB102_469
; %bb.468:
	v_mov_b32_e32 v110, v50
	v_mov_b32_e32 v111, v51
	;; [unrolled: 1-line block ×12, first 2 shown]
	ds_write2_b64 v116, v[110:111], v[119:120] offset0:28 offset1:29
	ds_write2_b64 v116, v[121:122], v[123:124] offset0:30 offset1:31
	;; [unrolled: 1-line block ×3, first 2 shown]
	v_mov_b32_e32 v110, v40
	v_mov_b32_e32 v111, v41
	;; [unrolled: 1-line block ×20, first 2 shown]
	ds_write2_b64 v116, v[110:111], v[119:120] offset0:34 offset1:35
	ds_write2_b64 v116, v[121:122], v[123:124] offset0:36 offset1:37
	;; [unrolled: 1-line block ×5, first 2 shown]
	v_mov_b32_e32 v110, v20
	v_mov_b32_e32 v111, v21
	;; [unrolled: 1-line block ×15, first 2 shown]
	ds_write2_b64 v116, v[110:111], v[120:121] offset0:44 offset1:45
	ds_write2_b64 v116, v[122:123], v[124:125] offset0:46 offset1:47
	;; [unrolled: 1-line block ×4, first 2 shown]
.LBB102_469:
	s_or_b32 exec_lo, exec_lo, s0
	s_mov_b32 s0, exec_lo
	s_waitcnt lgkmcnt(0)
	s_waitcnt_vscnt null, 0x0
	s_barrier
	buffer_gl0_inv
	v_cmpx_lt_i32_e32 27, v119
	s_cbranch_execz .LBB102_471
; %bb.470:
	v_mul_f64 v[52:53], v[0:1], v[52:53]
	ds_read2_b64 v[120:123], v116 offset0:28 offset1:29
	ds_read2_b64 v[124:127], v116 offset0:30 offset1:31
	;; [unrolled: 1-line block ×12, first 2 shown]
	s_waitcnt lgkmcnt(11)
	v_fma_f64 v[50:51], -v[52:53], v[120:121], v[50:51]
	v_fma_f64 v[48:49], -v[52:53], v[122:123], v[48:49]
	s_waitcnt lgkmcnt(10)
	v_fma_f64 v[46:47], -v[52:53], v[124:125], v[46:47]
	v_fma_f64 v[44:45], -v[52:53], v[126:127], v[44:45]
	;; [unrolled: 3-line block ×12, first 2 shown]
.LBB102_471:
	s_or_b32 exec_lo, exec_lo, s0
	v_lshl_add_u32 v0, v119, 3, v116
	s_barrier
	buffer_gl0_inv
	v_mov_b32_e32 v110, 28
	ds_write_b64 v0, v[50:51]
	s_waitcnt lgkmcnt(0)
	s_barrier
	buffer_gl0_inv
	ds_read_b64 v[0:1], v116 offset:224
	s_cmp_lt_i32 s7, 30
	s_cbranch_scc1 .LBB102_474
; %bb.472:
	v_add3_u32 v111, v117, 0, 0xe8
	v_mov_b32_e32 v110, 28
	s_mov_b32 s0, 29
.LBB102_473:                            ; =>This Inner Loop Header: Depth=1
	ds_read_b64 v[120:121], v111
	v_add_nc_u32_e32 v111, 8, v111
	s_waitcnt lgkmcnt(0)
	v_cmp_lt_f64_e64 vcc_lo, |v[0:1]|, |v[120:121]|
	v_cndmask_b32_e32 v1, v1, v121, vcc_lo
	v_cndmask_b32_e32 v0, v0, v120, vcc_lo
	v_cndmask_b32_e64 v110, v110, s0, vcc_lo
	s_add_i32 s0, s0, 1
	s_cmp_lg_u32 s7, s0
	s_cbranch_scc1 .LBB102_473
.LBB102_474:
	s_mov_b32 s0, exec_lo
	s_waitcnt lgkmcnt(0)
	v_cmpx_eq_f64_e32 0, v[0:1]
	s_xor_b32 s0, exec_lo, s0
; %bb.475:
	v_cmp_ne_u32_e32 vcc_lo, 0, v113
	v_cndmask_b32_e32 v113, 29, v113, vcc_lo
; %bb.476:
	s_andn2_saveexec_b32 s0, s0
	s_cbranch_execz .LBB102_478
; %bb.477:
	v_div_scale_f64 v[111:112], null, v[0:1], v[0:1], 1.0
	v_rcp_f64_e32 v[120:121], v[111:112]
	v_fma_f64 v[122:123], -v[111:112], v[120:121], 1.0
	v_fma_f64 v[120:121], v[120:121], v[122:123], v[120:121]
	v_fma_f64 v[122:123], -v[111:112], v[120:121], 1.0
	v_fma_f64 v[120:121], v[120:121], v[122:123], v[120:121]
	v_div_scale_f64 v[122:123], vcc_lo, 1.0, v[0:1], 1.0
	v_mul_f64 v[124:125], v[122:123], v[120:121]
	v_fma_f64 v[111:112], -v[111:112], v[124:125], v[122:123]
	v_div_fmas_f64 v[111:112], v[111:112], v[120:121], v[124:125]
	v_div_fixup_f64 v[0:1], v[111:112], v[0:1], 1.0
.LBB102_478:
	s_or_b32 exec_lo, exec_lo, s0
	s_mov_b32 s0, exec_lo
	v_cmpx_ne_u32_e64 v119, v110
	s_xor_b32 s0, exec_lo, s0
	s_cbranch_execz .LBB102_484
; %bb.479:
	s_mov_b32 s1, exec_lo
	v_cmpx_eq_u32_e32 28, v119
	s_cbranch_execz .LBB102_483
; %bb.480:
	v_cmp_ne_u32_e32 vcc_lo, 28, v110
	s_xor_b32 s2, s6, -1
	s_and_b32 s3, s2, vcc_lo
	s_and_saveexec_b32 s2, s3
	s_cbranch_execz .LBB102_482
; %bb.481:
	v_ashrrev_i32_e32 v111, 31, v110
	v_lshlrev_b64 v[111:112], 2, v[110:111]
	v_add_co_u32 v111, vcc_lo, v4, v111
	v_add_co_ci_u32_e64 v112, null, v5, v112, vcc_lo
	s_clause 0x1
	global_load_dword v118, v[111:112], off
	global_load_dword v119, v[4:5], off offset:112
	s_waitcnt vmcnt(1)
	global_store_dword v[4:5], v118, off offset:112
	s_waitcnt vmcnt(0)
	global_store_dword v[111:112], v119, off
.LBB102_482:
	s_or_b32 exec_lo, exec_lo, s2
	v_mov_b32_e32 v118, v110
	v_mov_b32_e32 v119, v110
.LBB102_483:
	s_or_b32 exec_lo, exec_lo, s1
.LBB102_484:
	s_andn2_saveexec_b32 s0, s0
	s_cbranch_execz .LBB102_486
; %bb.485:
	v_mov_b32_e32 v119, 28
	ds_write2_b64 v116, v[48:49], v[46:47] offset0:29 offset1:30
	ds_write2_b64 v116, v[44:45], v[42:43] offset0:31 offset1:32
	;; [unrolled: 1-line block ×11, first 2 shown]
	ds_write_b64 v116, v[108:109] offset:408
.LBB102_486:
	s_or_b32 exec_lo, exec_lo, s0
	s_mov_b32 s0, exec_lo
	s_waitcnt lgkmcnt(0)
	s_waitcnt_vscnt null, 0x0
	s_barrier
	buffer_gl0_inv
	v_cmpx_lt_i32_e32 28, v119
	s_cbranch_execz .LBB102_488
; %bb.487:
	v_mul_f64 v[50:51], v[0:1], v[50:51]
	ds_read2_b64 v[120:123], v116 offset0:29 offset1:30
	ds_read2_b64 v[124:127], v116 offset0:31 offset1:32
	;; [unrolled: 1-line block ×11, first 2 shown]
	ds_read_b64 v[0:1], v116 offset:408
	s_waitcnt lgkmcnt(11)
	v_fma_f64 v[48:49], -v[50:51], v[120:121], v[48:49]
	v_fma_f64 v[46:47], -v[50:51], v[122:123], v[46:47]
	s_waitcnt lgkmcnt(10)
	v_fma_f64 v[44:45], -v[50:51], v[124:125], v[44:45]
	v_fma_f64 v[42:43], -v[50:51], v[126:127], v[42:43]
	;; [unrolled: 3-line block ×11, first 2 shown]
	s_waitcnt lgkmcnt(0)
	v_fma_f64 v[108:109], -v[50:51], v[0:1], v[108:109]
.LBB102_488:
	s_or_b32 exec_lo, exec_lo, s0
	v_lshl_add_u32 v0, v119, 3, v116
	s_barrier
	buffer_gl0_inv
	v_mov_b32_e32 v110, 29
	ds_write_b64 v0, v[48:49]
	s_waitcnt lgkmcnt(0)
	s_barrier
	buffer_gl0_inv
	ds_read_b64 v[0:1], v116 offset:232
	s_cmp_lt_i32 s7, 31
	s_cbranch_scc1 .LBB102_491
; %bb.489:
	v_add3_u32 v111, v117, 0, 0xf0
	v_mov_b32_e32 v110, 29
	s_mov_b32 s0, 30
.LBB102_490:                            ; =>This Inner Loop Header: Depth=1
	ds_read_b64 v[120:121], v111
	v_add_nc_u32_e32 v111, 8, v111
	s_waitcnt lgkmcnt(0)
	v_cmp_lt_f64_e64 vcc_lo, |v[0:1]|, |v[120:121]|
	v_cndmask_b32_e32 v1, v1, v121, vcc_lo
	v_cndmask_b32_e32 v0, v0, v120, vcc_lo
	v_cndmask_b32_e64 v110, v110, s0, vcc_lo
	s_add_i32 s0, s0, 1
	s_cmp_lg_u32 s7, s0
	s_cbranch_scc1 .LBB102_490
.LBB102_491:
	s_mov_b32 s0, exec_lo
	s_waitcnt lgkmcnt(0)
	v_cmpx_eq_f64_e32 0, v[0:1]
	s_xor_b32 s0, exec_lo, s0
; %bb.492:
	v_cmp_ne_u32_e32 vcc_lo, 0, v113
	v_cndmask_b32_e32 v113, 30, v113, vcc_lo
; %bb.493:
	s_andn2_saveexec_b32 s0, s0
	s_cbranch_execz .LBB102_495
; %bb.494:
	v_div_scale_f64 v[111:112], null, v[0:1], v[0:1], 1.0
	v_rcp_f64_e32 v[120:121], v[111:112]
	v_fma_f64 v[122:123], -v[111:112], v[120:121], 1.0
	v_fma_f64 v[120:121], v[120:121], v[122:123], v[120:121]
	v_fma_f64 v[122:123], -v[111:112], v[120:121], 1.0
	v_fma_f64 v[120:121], v[120:121], v[122:123], v[120:121]
	v_div_scale_f64 v[122:123], vcc_lo, 1.0, v[0:1], 1.0
	v_mul_f64 v[124:125], v[122:123], v[120:121]
	v_fma_f64 v[111:112], -v[111:112], v[124:125], v[122:123]
	v_div_fmas_f64 v[111:112], v[111:112], v[120:121], v[124:125]
	v_div_fixup_f64 v[0:1], v[111:112], v[0:1], 1.0
.LBB102_495:
	s_or_b32 exec_lo, exec_lo, s0
	s_mov_b32 s0, exec_lo
	v_cmpx_ne_u32_e64 v119, v110
	s_xor_b32 s0, exec_lo, s0
	s_cbranch_execz .LBB102_501
; %bb.496:
	s_mov_b32 s1, exec_lo
	v_cmpx_eq_u32_e32 29, v119
	s_cbranch_execz .LBB102_500
; %bb.497:
	v_cmp_ne_u32_e32 vcc_lo, 29, v110
	s_xor_b32 s2, s6, -1
	s_and_b32 s3, s2, vcc_lo
	s_and_saveexec_b32 s2, s3
	s_cbranch_execz .LBB102_499
; %bb.498:
	v_ashrrev_i32_e32 v111, 31, v110
	v_lshlrev_b64 v[111:112], 2, v[110:111]
	v_add_co_u32 v111, vcc_lo, v4, v111
	v_add_co_ci_u32_e64 v112, null, v5, v112, vcc_lo
	s_clause 0x1
	global_load_dword v118, v[111:112], off
	global_load_dword v119, v[4:5], off offset:116
	s_waitcnt vmcnt(1)
	global_store_dword v[4:5], v118, off offset:116
	s_waitcnt vmcnt(0)
	global_store_dword v[111:112], v119, off
.LBB102_499:
	s_or_b32 exec_lo, exec_lo, s2
	v_mov_b32_e32 v118, v110
	v_mov_b32_e32 v119, v110
.LBB102_500:
	s_or_b32 exec_lo, exec_lo, s1
.LBB102_501:
	s_andn2_saveexec_b32 s0, s0
	s_cbranch_execz .LBB102_503
; %bb.502:
	v_mov_b32_e32 v110, v46
	v_mov_b32_e32 v111, v47
	;; [unrolled: 1-line block ×8, first 2 shown]
	ds_write2_b64 v116, v[110:111], v[119:120] offset0:30 offset1:31
	ds_write2_b64 v116, v[121:122], v[123:124] offset0:32 offset1:33
	v_mov_b32_e32 v110, v40
	v_mov_b32_e32 v111, v41
	;; [unrolled: 1-line block ×20, first 2 shown]
	ds_write2_b64 v116, v[110:111], v[119:120] offset0:34 offset1:35
	ds_write2_b64 v116, v[121:122], v[123:124] offset0:36 offset1:37
	;; [unrolled: 1-line block ×5, first 2 shown]
	v_mov_b32_e32 v110, v20
	v_mov_b32_e32 v111, v21
	v_mov_b32_e32 v120, v16
	v_mov_b32_e32 v121, v17
	v_mov_b32_e32 v119, 29
	v_mov_b32_e32 v122, v14
	v_mov_b32_e32 v123, v15
	v_mov_b32_e32 v124, v8
	v_mov_b32_e32 v125, v9
	v_mov_b32_e32 v126, v12
	v_mov_b32_e32 v127, v13
	v_mov_b32_e32 v128, v6
	v_mov_b32_e32 v129, v7
	v_mov_b32_e32 v130, v10
	v_mov_b32_e32 v131, v11
	ds_write2_b64 v116, v[110:111], v[120:121] offset0:44 offset1:45
	ds_write2_b64 v116, v[122:123], v[124:125] offset0:46 offset1:47
	;; [unrolled: 1-line block ×4, first 2 shown]
.LBB102_503:
	s_or_b32 exec_lo, exec_lo, s0
	s_mov_b32 s0, exec_lo
	s_waitcnt lgkmcnt(0)
	s_waitcnt_vscnt null, 0x0
	s_barrier
	buffer_gl0_inv
	v_cmpx_lt_i32_e32 29, v119
	s_cbranch_execz .LBB102_505
; %bb.504:
	v_mul_f64 v[48:49], v[0:1], v[48:49]
	ds_read2_b64 v[120:123], v116 offset0:30 offset1:31
	ds_read2_b64 v[124:127], v116 offset0:32 offset1:33
	;; [unrolled: 1-line block ×11, first 2 shown]
	s_waitcnt lgkmcnt(10)
	v_fma_f64 v[46:47], -v[48:49], v[120:121], v[46:47]
	v_fma_f64 v[44:45], -v[48:49], v[122:123], v[44:45]
	s_waitcnt lgkmcnt(9)
	v_fma_f64 v[42:43], -v[48:49], v[124:125], v[42:43]
	v_fma_f64 v[38:39], -v[48:49], v[126:127], v[38:39]
	;; [unrolled: 3-line block ×11, first 2 shown]
.LBB102_505:
	s_or_b32 exec_lo, exec_lo, s0
	v_lshl_add_u32 v0, v119, 3, v116
	s_barrier
	buffer_gl0_inv
	v_mov_b32_e32 v110, 30
	ds_write_b64 v0, v[46:47]
	s_waitcnt lgkmcnt(0)
	s_barrier
	buffer_gl0_inv
	ds_read_b64 v[0:1], v116 offset:240
	s_cmp_lt_i32 s7, 32
	s_cbranch_scc1 .LBB102_508
; %bb.506:
	v_add3_u32 v111, v117, 0, 0xf8
	v_mov_b32_e32 v110, 30
	s_mov_b32 s0, 31
.LBB102_507:                            ; =>This Inner Loop Header: Depth=1
	ds_read_b64 v[120:121], v111
	v_add_nc_u32_e32 v111, 8, v111
	s_waitcnt lgkmcnt(0)
	v_cmp_lt_f64_e64 vcc_lo, |v[0:1]|, |v[120:121]|
	v_cndmask_b32_e32 v1, v1, v121, vcc_lo
	v_cndmask_b32_e32 v0, v0, v120, vcc_lo
	v_cndmask_b32_e64 v110, v110, s0, vcc_lo
	s_add_i32 s0, s0, 1
	s_cmp_lg_u32 s7, s0
	s_cbranch_scc1 .LBB102_507
.LBB102_508:
	s_mov_b32 s0, exec_lo
	s_waitcnt lgkmcnt(0)
	v_cmpx_eq_f64_e32 0, v[0:1]
	s_xor_b32 s0, exec_lo, s0
; %bb.509:
	v_cmp_ne_u32_e32 vcc_lo, 0, v113
	v_cndmask_b32_e32 v113, 31, v113, vcc_lo
; %bb.510:
	s_andn2_saveexec_b32 s0, s0
	s_cbranch_execz .LBB102_512
; %bb.511:
	v_div_scale_f64 v[111:112], null, v[0:1], v[0:1], 1.0
	v_rcp_f64_e32 v[120:121], v[111:112]
	v_fma_f64 v[122:123], -v[111:112], v[120:121], 1.0
	v_fma_f64 v[120:121], v[120:121], v[122:123], v[120:121]
	v_fma_f64 v[122:123], -v[111:112], v[120:121], 1.0
	v_fma_f64 v[120:121], v[120:121], v[122:123], v[120:121]
	v_div_scale_f64 v[122:123], vcc_lo, 1.0, v[0:1], 1.0
	v_mul_f64 v[124:125], v[122:123], v[120:121]
	v_fma_f64 v[111:112], -v[111:112], v[124:125], v[122:123]
	v_div_fmas_f64 v[111:112], v[111:112], v[120:121], v[124:125]
	v_div_fixup_f64 v[0:1], v[111:112], v[0:1], 1.0
.LBB102_512:
	s_or_b32 exec_lo, exec_lo, s0
	s_mov_b32 s0, exec_lo
	v_cmpx_ne_u32_e64 v119, v110
	s_xor_b32 s0, exec_lo, s0
	s_cbranch_execz .LBB102_518
; %bb.513:
	s_mov_b32 s1, exec_lo
	v_cmpx_eq_u32_e32 30, v119
	s_cbranch_execz .LBB102_517
; %bb.514:
	v_cmp_ne_u32_e32 vcc_lo, 30, v110
	s_xor_b32 s2, s6, -1
	s_and_b32 s3, s2, vcc_lo
	s_and_saveexec_b32 s2, s3
	s_cbranch_execz .LBB102_516
; %bb.515:
	v_ashrrev_i32_e32 v111, 31, v110
	v_lshlrev_b64 v[111:112], 2, v[110:111]
	v_add_co_u32 v111, vcc_lo, v4, v111
	v_add_co_ci_u32_e64 v112, null, v5, v112, vcc_lo
	s_clause 0x1
	global_load_dword v118, v[111:112], off
	global_load_dword v119, v[4:5], off offset:120
	s_waitcnt vmcnt(1)
	global_store_dword v[4:5], v118, off offset:120
	s_waitcnt vmcnt(0)
	global_store_dword v[111:112], v119, off
.LBB102_516:
	s_or_b32 exec_lo, exec_lo, s2
	v_mov_b32_e32 v118, v110
	v_mov_b32_e32 v119, v110
.LBB102_517:
	s_or_b32 exec_lo, exec_lo, s1
.LBB102_518:
	s_andn2_saveexec_b32 s0, s0
	s_cbranch_execz .LBB102_520
; %bb.519:
	v_mov_b32_e32 v119, 30
	ds_write2_b64 v116, v[44:45], v[42:43] offset0:31 offset1:32
	ds_write2_b64 v116, v[38:39], v[40:41] offset0:33 offset1:34
	;; [unrolled: 1-line block ×10, first 2 shown]
	ds_write_b64 v116, v[108:109] offset:408
.LBB102_520:
	s_or_b32 exec_lo, exec_lo, s0
	s_mov_b32 s0, exec_lo
	s_waitcnt lgkmcnt(0)
	s_waitcnt_vscnt null, 0x0
	s_barrier
	buffer_gl0_inv
	v_cmpx_lt_i32_e32 30, v119
	s_cbranch_execz .LBB102_522
; %bb.521:
	v_mul_f64 v[46:47], v[0:1], v[46:47]
	ds_read2_b64 v[120:123], v116 offset0:31 offset1:32
	ds_read2_b64 v[124:127], v116 offset0:33 offset1:34
	;; [unrolled: 1-line block ×10, first 2 shown]
	ds_read_b64 v[0:1], v116 offset:408
	s_waitcnt lgkmcnt(10)
	v_fma_f64 v[44:45], -v[46:47], v[120:121], v[44:45]
	v_fma_f64 v[42:43], -v[46:47], v[122:123], v[42:43]
	s_waitcnt lgkmcnt(9)
	v_fma_f64 v[38:39], -v[46:47], v[124:125], v[38:39]
	v_fma_f64 v[40:41], -v[46:47], v[126:127], v[40:41]
	;; [unrolled: 3-line block ×10, first 2 shown]
	s_waitcnt lgkmcnt(0)
	v_fma_f64 v[108:109], -v[46:47], v[0:1], v[108:109]
.LBB102_522:
	s_or_b32 exec_lo, exec_lo, s0
	v_lshl_add_u32 v0, v119, 3, v116
	s_barrier
	buffer_gl0_inv
	v_mov_b32_e32 v110, 31
	ds_write_b64 v0, v[44:45]
	s_waitcnt lgkmcnt(0)
	s_barrier
	buffer_gl0_inv
	ds_read_b64 v[0:1], v116 offset:248
	s_cmp_lt_i32 s7, 33
	s_cbranch_scc1 .LBB102_525
; %bb.523:
	v_add3_u32 v111, v117, 0, 0x100
	v_mov_b32_e32 v110, 31
	s_mov_b32 s0, 32
.LBB102_524:                            ; =>This Inner Loop Header: Depth=1
	ds_read_b64 v[120:121], v111
	v_add_nc_u32_e32 v111, 8, v111
	s_waitcnt lgkmcnt(0)
	v_cmp_lt_f64_e64 vcc_lo, |v[0:1]|, |v[120:121]|
	v_cndmask_b32_e32 v1, v1, v121, vcc_lo
	v_cndmask_b32_e32 v0, v0, v120, vcc_lo
	v_cndmask_b32_e64 v110, v110, s0, vcc_lo
	s_add_i32 s0, s0, 1
	s_cmp_lg_u32 s7, s0
	s_cbranch_scc1 .LBB102_524
.LBB102_525:
	s_mov_b32 s0, exec_lo
	s_waitcnt lgkmcnt(0)
	v_cmpx_eq_f64_e32 0, v[0:1]
	s_xor_b32 s0, exec_lo, s0
; %bb.526:
	v_cmp_ne_u32_e32 vcc_lo, 0, v113
	v_cndmask_b32_e32 v113, 32, v113, vcc_lo
; %bb.527:
	s_andn2_saveexec_b32 s0, s0
	s_cbranch_execz .LBB102_529
; %bb.528:
	v_div_scale_f64 v[111:112], null, v[0:1], v[0:1], 1.0
	v_rcp_f64_e32 v[120:121], v[111:112]
	v_fma_f64 v[122:123], -v[111:112], v[120:121], 1.0
	v_fma_f64 v[120:121], v[120:121], v[122:123], v[120:121]
	v_fma_f64 v[122:123], -v[111:112], v[120:121], 1.0
	v_fma_f64 v[120:121], v[120:121], v[122:123], v[120:121]
	v_div_scale_f64 v[122:123], vcc_lo, 1.0, v[0:1], 1.0
	v_mul_f64 v[124:125], v[122:123], v[120:121]
	v_fma_f64 v[111:112], -v[111:112], v[124:125], v[122:123]
	v_div_fmas_f64 v[111:112], v[111:112], v[120:121], v[124:125]
	v_div_fixup_f64 v[0:1], v[111:112], v[0:1], 1.0
.LBB102_529:
	s_or_b32 exec_lo, exec_lo, s0
	s_mov_b32 s0, exec_lo
	v_cmpx_ne_u32_e64 v119, v110
	s_xor_b32 s0, exec_lo, s0
	s_cbranch_execz .LBB102_535
; %bb.530:
	s_mov_b32 s1, exec_lo
	v_cmpx_eq_u32_e32 31, v119
	s_cbranch_execz .LBB102_534
; %bb.531:
	v_cmp_ne_u32_e32 vcc_lo, 31, v110
	s_xor_b32 s2, s6, -1
	s_and_b32 s3, s2, vcc_lo
	s_and_saveexec_b32 s2, s3
	s_cbranch_execz .LBB102_533
; %bb.532:
	v_ashrrev_i32_e32 v111, 31, v110
	v_lshlrev_b64 v[111:112], 2, v[110:111]
	v_add_co_u32 v111, vcc_lo, v4, v111
	v_add_co_ci_u32_e64 v112, null, v5, v112, vcc_lo
	s_clause 0x1
	global_load_dword v118, v[111:112], off
	global_load_dword v119, v[4:5], off offset:124
	s_waitcnt vmcnt(1)
	global_store_dword v[4:5], v118, off offset:124
	s_waitcnt vmcnt(0)
	global_store_dword v[111:112], v119, off
.LBB102_533:
	s_or_b32 exec_lo, exec_lo, s2
	v_mov_b32_e32 v118, v110
	v_mov_b32_e32 v119, v110
.LBB102_534:
	s_or_b32 exec_lo, exec_lo, s1
.LBB102_535:
	s_andn2_saveexec_b32 s0, s0
	s_cbranch_execz .LBB102_537
; %bb.536:
	v_mov_b32_e32 v110, v42
	v_mov_b32_e32 v111, v43
	;; [unrolled: 1-line block ×8, first 2 shown]
	ds_write2_b64 v116, v[110:111], v[119:120] offset0:32 offset1:33
	v_mov_b32_e32 v110, v34
	v_mov_b32_e32 v111, v35
	v_mov_b32_e32 v119, v36
	v_mov_b32_e32 v120, v37
	v_mov_b32_e32 v125, v30
	v_mov_b32_e32 v126, v31
	v_mov_b32_e32 v127, v28
	v_mov_b32_e32 v128, v29
	v_mov_b32_e32 v129, v26
	v_mov_b32_e32 v130, v27
	v_mov_b32_e32 v131, v24
	v_mov_b32_e32 v132, v25
	v_mov_b32_e32 v133, v22
	v_mov_b32_e32 v134, v23
	v_mov_b32_e32 v135, v18
	v_mov_b32_e32 v136, v19
	ds_write2_b64 v116, v[121:122], v[110:111] offset0:34 offset1:35
	ds_write2_b64 v116, v[119:120], v[123:124] offset0:36 offset1:37
	;; [unrolled: 1-line block ×5, first 2 shown]
	v_mov_b32_e32 v110, v20
	v_mov_b32_e32 v111, v21
	;; [unrolled: 1-line block ×15, first 2 shown]
	ds_write2_b64 v116, v[110:111], v[120:121] offset0:44 offset1:45
	ds_write2_b64 v116, v[122:123], v[124:125] offset0:46 offset1:47
	ds_write2_b64 v116, v[126:127], v[128:129] offset0:48 offset1:49
	ds_write2_b64 v116, v[130:131], v[108:109] offset0:50 offset1:51
.LBB102_537:
	s_or_b32 exec_lo, exec_lo, s0
	s_mov_b32 s0, exec_lo
	s_waitcnt lgkmcnt(0)
	s_waitcnt_vscnt null, 0x0
	s_barrier
	buffer_gl0_inv
	v_cmpx_lt_i32_e32 31, v119
	s_cbranch_execz .LBB102_539
; %bb.538:
	v_mul_f64 v[44:45], v[0:1], v[44:45]
	ds_read2_b64 v[120:123], v116 offset0:32 offset1:33
	ds_read2_b64 v[124:127], v116 offset0:34 offset1:35
	;; [unrolled: 1-line block ×10, first 2 shown]
	s_waitcnt lgkmcnt(9)
	v_fma_f64 v[42:43], -v[44:45], v[120:121], v[42:43]
	v_fma_f64 v[38:39], -v[44:45], v[122:123], v[38:39]
	s_waitcnt lgkmcnt(8)
	v_fma_f64 v[40:41], -v[44:45], v[124:125], v[40:41]
	v_fma_f64 v[34:35], -v[44:45], v[126:127], v[34:35]
	;; [unrolled: 3-line block ×10, first 2 shown]
.LBB102_539:
	s_or_b32 exec_lo, exec_lo, s0
	v_lshl_add_u32 v0, v119, 3, v116
	s_barrier
	buffer_gl0_inv
	v_mov_b32_e32 v110, 32
	ds_write_b64 v0, v[42:43]
	s_waitcnt lgkmcnt(0)
	s_barrier
	buffer_gl0_inv
	ds_read_b64 v[0:1], v116 offset:256
	s_cmp_lt_i32 s7, 34
	s_cbranch_scc1 .LBB102_542
; %bb.540:
	v_add3_u32 v111, v117, 0, 0x108
	v_mov_b32_e32 v110, 32
	s_mov_b32 s0, 33
.LBB102_541:                            ; =>This Inner Loop Header: Depth=1
	ds_read_b64 v[120:121], v111
	v_add_nc_u32_e32 v111, 8, v111
	s_waitcnt lgkmcnt(0)
	v_cmp_lt_f64_e64 vcc_lo, |v[0:1]|, |v[120:121]|
	v_cndmask_b32_e32 v1, v1, v121, vcc_lo
	v_cndmask_b32_e32 v0, v0, v120, vcc_lo
	v_cndmask_b32_e64 v110, v110, s0, vcc_lo
	s_add_i32 s0, s0, 1
	s_cmp_lg_u32 s7, s0
	s_cbranch_scc1 .LBB102_541
.LBB102_542:
	s_mov_b32 s0, exec_lo
	s_waitcnt lgkmcnt(0)
	v_cmpx_eq_f64_e32 0, v[0:1]
	s_xor_b32 s0, exec_lo, s0
; %bb.543:
	v_cmp_ne_u32_e32 vcc_lo, 0, v113
	v_cndmask_b32_e32 v113, 33, v113, vcc_lo
; %bb.544:
	s_andn2_saveexec_b32 s0, s0
	s_cbranch_execz .LBB102_546
; %bb.545:
	v_div_scale_f64 v[111:112], null, v[0:1], v[0:1], 1.0
	v_rcp_f64_e32 v[120:121], v[111:112]
	v_fma_f64 v[122:123], -v[111:112], v[120:121], 1.0
	v_fma_f64 v[120:121], v[120:121], v[122:123], v[120:121]
	v_fma_f64 v[122:123], -v[111:112], v[120:121], 1.0
	v_fma_f64 v[120:121], v[120:121], v[122:123], v[120:121]
	v_div_scale_f64 v[122:123], vcc_lo, 1.0, v[0:1], 1.0
	v_mul_f64 v[124:125], v[122:123], v[120:121]
	v_fma_f64 v[111:112], -v[111:112], v[124:125], v[122:123]
	v_div_fmas_f64 v[111:112], v[111:112], v[120:121], v[124:125]
	v_div_fixup_f64 v[0:1], v[111:112], v[0:1], 1.0
.LBB102_546:
	s_or_b32 exec_lo, exec_lo, s0
	s_mov_b32 s0, exec_lo
	v_cmpx_ne_u32_e64 v119, v110
	s_xor_b32 s0, exec_lo, s0
	s_cbranch_execz .LBB102_552
; %bb.547:
	s_mov_b32 s1, exec_lo
	v_cmpx_eq_u32_e32 32, v119
	s_cbranch_execz .LBB102_551
; %bb.548:
	v_cmp_ne_u32_e32 vcc_lo, 32, v110
	s_xor_b32 s2, s6, -1
	s_and_b32 s3, s2, vcc_lo
	s_and_saveexec_b32 s2, s3
	s_cbranch_execz .LBB102_550
; %bb.549:
	v_ashrrev_i32_e32 v111, 31, v110
	v_lshlrev_b64 v[111:112], 2, v[110:111]
	v_add_co_u32 v111, vcc_lo, v4, v111
	v_add_co_ci_u32_e64 v112, null, v5, v112, vcc_lo
	s_clause 0x1
	global_load_dword v118, v[111:112], off
	global_load_dword v119, v[4:5], off offset:128
	s_waitcnt vmcnt(1)
	global_store_dword v[4:5], v118, off offset:128
	s_waitcnt vmcnt(0)
	global_store_dword v[111:112], v119, off
.LBB102_550:
	s_or_b32 exec_lo, exec_lo, s2
	v_mov_b32_e32 v118, v110
	v_mov_b32_e32 v119, v110
.LBB102_551:
	s_or_b32 exec_lo, exec_lo, s1
.LBB102_552:
	s_andn2_saveexec_b32 s0, s0
	s_cbranch_execz .LBB102_554
; %bb.553:
	v_mov_b32_e32 v119, 32
	ds_write2_b64 v116, v[38:39], v[40:41] offset0:33 offset1:34
	ds_write2_b64 v116, v[34:35], v[36:37] offset0:35 offset1:36
	;; [unrolled: 1-line block ×9, first 2 shown]
	ds_write_b64 v116, v[108:109] offset:408
.LBB102_554:
	s_or_b32 exec_lo, exec_lo, s0
	s_mov_b32 s0, exec_lo
	s_waitcnt lgkmcnt(0)
	s_waitcnt_vscnt null, 0x0
	s_barrier
	buffer_gl0_inv
	v_cmpx_lt_i32_e32 32, v119
	s_cbranch_execz .LBB102_556
; %bb.555:
	v_mul_f64 v[42:43], v[0:1], v[42:43]
	ds_read2_b64 v[120:123], v116 offset0:33 offset1:34
	ds_read2_b64 v[124:127], v116 offset0:35 offset1:36
	;; [unrolled: 1-line block ×9, first 2 shown]
	ds_read_b64 v[0:1], v116 offset:408
	s_waitcnt lgkmcnt(9)
	v_fma_f64 v[38:39], -v[42:43], v[120:121], v[38:39]
	v_fma_f64 v[40:41], -v[42:43], v[122:123], v[40:41]
	s_waitcnt lgkmcnt(8)
	v_fma_f64 v[34:35], -v[42:43], v[124:125], v[34:35]
	v_fma_f64 v[36:37], -v[42:43], v[126:127], v[36:37]
	;; [unrolled: 3-line block ×9, first 2 shown]
	s_waitcnt lgkmcnt(0)
	v_fma_f64 v[108:109], -v[42:43], v[0:1], v[108:109]
.LBB102_556:
	s_or_b32 exec_lo, exec_lo, s0
	v_lshl_add_u32 v0, v119, 3, v116
	s_barrier
	buffer_gl0_inv
	v_mov_b32_e32 v110, 33
	ds_write_b64 v0, v[38:39]
	s_waitcnt lgkmcnt(0)
	s_barrier
	buffer_gl0_inv
	ds_read_b64 v[0:1], v116 offset:264
	s_cmp_lt_i32 s7, 35
	s_cbranch_scc1 .LBB102_559
; %bb.557:
	v_add3_u32 v111, v117, 0, 0x110
	v_mov_b32_e32 v110, 33
	s_mov_b32 s0, 34
.LBB102_558:                            ; =>This Inner Loop Header: Depth=1
	ds_read_b64 v[120:121], v111
	v_add_nc_u32_e32 v111, 8, v111
	s_waitcnt lgkmcnt(0)
	v_cmp_lt_f64_e64 vcc_lo, |v[0:1]|, |v[120:121]|
	v_cndmask_b32_e32 v1, v1, v121, vcc_lo
	v_cndmask_b32_e32 v0, v0, v120, vcc_lo
	v_cndmask_b32_e64 v110, v110, s0, vcc_lo
	s_add_i32 s0, s0, 1
	s_cmp_lg_u32 s7, s0
	s_cbranch_scc1 .LBB102_558
.LBB102_559:
	s_mov_b32 s0, exec_lo
	s_waitcnt lgkmcnt(0)
	v_cmpx_eq_f64_e32 0, v[0:1]
	s_xor_b32 s0, exec_lo, s0
; %bb.560:
	v_cmp_ne_u32_e32 vcc_lo, 0, v113
	v_cndmask_b32_e32 v113, 34, v113, vcc_lo
; %bb.561:
	s_andn2_saveexec_b32 s0, s0
	s_cbranch_execz .LBB102_563
; %bb.562:
	v_div_scale_f64 v[111:112], null, v[0:1], v[0:1], 1.0
	v_rcp_f64_e32 v[120:121], v[111:112]
	v_fma_f64 v[122:123], -v[111:112], v[120:121], 1.0
	v_fma_f64 v[120:121], v[120:121], v[122:123], v[120:121]
	v_fma_f64 v[122:123], -v[111:112], v[120:121], 1.0
	v_fma_f64 v[120:121], v[120:121], v[122:123], v[120:121]
	v_div_scale_f64 v[122:123], vcc_lo, 1.0, v[0:1], 1.0
	v_mul_f64 v[124:125], v[122:123], v[120:121]
	v_fma_f64 v[111:112], -v[111:112], v[124:125], v[122:123]
	v_div_fmas_f64 v[111:112], v[111:112], v[120:121], v[124:125]
	v_div_fixup_f64 v[0:1], v[111:112], v[0:1], 1.0
.LBB102_563:
	s_or_b32 exec_lo, exec_lo, s0
	s_mov_b32 s0, exec_lo
	v_cmpx_ne_u32_e64 v119, v110
	s_xor_b32 s0, exec_lo, s0
	s_cbranch_execz .LBB102_569
; %bb.564:
	s_mov_b32 s1, exec_lo
	v_cmpx_eq_u32_e32 33, v119
	s_cbranch_execz .LBB102_568
; %bb.565:
	v_cmp_ne_u32_e32 vcc_lo, 33, v110
	s_xor_b32 s2, s6, -1
	s_and_b32 s3, s2, vcc_lo
	s_and_saveexec_b32 s2, s3
	s_cbranch_execz .LBB102_567
; %bb.566:
	v_ashrrev_i32_e32 v111, 31, v110
	v_lshlrev_b64 v[111:112], 2, v[110:111]
	v_add_co_u32 v111, vcc_lo, v4, v111
	v_add_co_ci_u32_e64 v112, null, v5, v112, vcc_lo
	s_clause 0x1
	global_load_dword v118, v[111:112], off
	global_load_dword v119, v[4:5], off offset:132
	s_waitcnt vmcnt(1)
	global_store_dword v[4:5], v118, off offset:132
	s_waitcnt vmcnt(0)
	global_store_dword v[111:112], v119, off
.LBB102_567:
	s_or_b32 exec_lo, exec_lo, s2
	v_mov_b32_e32 v118, v110
	v_mov_b32_e32 v119, v110
.LBB102_568:
	s_or_b32 exec_lo, exec_lo, s1
.LBB102_569:
	s_andn2_saveexec_b32 s0, s0
	s_cbranch_execz .LBB102_571
; %bb.570:
	v_mov_b32_e32 v110, v40
	v_mov_b32_e32 v111, v41
	;; [unrolled: 1-line block ×20, first 2 shown]
	ds_write2_b64 v116, v[110:111], v[119:120] offset0:34 offset1:35
	ds_write2_b64 v116, v[121:122], v[123:124] offset0:36 offset1:37
	;; [unrolled: 1-line block ×5, first 2 shown]
	v_mov_b32_e32 v110, v20
	v_mov_b32_e32 v111, v21
	;; [unrolled: 1-line block ×15, first 2 shown]
	ds_write2_b64 v116, v[110:111], v[120:121] offset0:44 offset1:45
	ds_write2_b64 v116, v[122:123], v[124:125] offset0:46 offset1:47
	;; [unrolled: 1-line block ×4, first 2 shown]
.LBB102_571:
	s_or_b32 exec_lo, exec_lo, s0
	s_mov_b32 s0, exec_lo
	s_waitcnt lgkmcnt(0)
	s_waitcnt_vscnt null, 0x0
	s_barrier
	buffer_gl0_inv
	v_cmpx_lt_i32_e32 33, v119
	s_cbranch_execz .LBB102_573
; %bb.572:
	v_mul_f64 v[38:39], v[0:1], v[38:39]
	ds_read2_b64 v[120:123], v116 offset0:34 offset1:35
	ds_read2_b64 v[124:127], v116 offset0:36 offset1:37
	;; [unrolled: 1-line block ×9, first 2 shown]
	s_waitcnt lgkmcnt(8)
	v_fma_f64 v[40:41], -v[38:39], v[120:121], v[40:41]
	v_fma_f64 v[34:35], -v[38:39], v[122:123], v[34:35]
	s_waitcnt lgkmcnt(7)
	v_fma_f64 v[36:37], -v[38:39], v[124:125], v[36:37]
	v_fma_f64 v[32:33], -v[38:39], v[126:127], v[32:33]
	;; [unrolled: 3-line block ×9, first 2 shown]
.LBB102_573:
	s_or_b32 exec_lo, exec_lo, s0
	v_lshl_add_u32 v0, v119, 3, v116
	s_barrier
	buffer_gl0_inv
	v_mov_b32_e32 v110, 34
	ds_write_b64 v0, v[40:41]
	s_waitcnt lgkmcnt(0)
	s_barrier
	buffer_gl0_inv
	ds_read_b64 v[0:1], v116 offset:272
	s_cmp_lt_i32 s7, 36
	s_cbranch_scc1 .LBB102_576
; %bb.574:
	v_add3_u32 v111, v117, 0, 0x118
	v_mov_b32_e32 v110, 34
	s_mov_b32 s0, 35
.LBB102_575:                            ; =>This Inner Loop Header: Depth=1
	ds_read_b64 v[120:121], v111
	v_add_nc_u32_e32 v111, 8, v111
	s_waitcnt lgkmcnt(0)
	v_cmp_lt_f64_e64 vcc_lo, |v[0:1]|, |v[120:121]|
	v_cndmask_b32_e32 v1, v1, v121, vcc_lo
	v_cndmask_b32_e32 v0, v0, v120, vcc_lo
	v_cndmask_b32_e64 v110, v110, s0, vcc_lo
	s_add_i32 s0, s0, 1
	s_cmp_lg_u32 s7, s0
	s_cbranch_scc1 .LBB102_575
.LBB102_576:
	s_mov_b32 s0, exec_lo
	s_waitcnt lgkmcnt(0)
	v_cmpx_eq_f64_e32 0, v[0:1]
	s_xor_b32 s0, exec_lo, s0
; %bb.577:
	v_cmp_ne_u32_e32 vcc_lo, 0, v113
	v_cndmask_b32_e32 v113, 35, v113, vcc_lo
; %bb.578:
	s_andn2_saveexec_b32 s0, s0
	s_cbranch_execz .LBB102_580
; %bb.579:
	v_div_scale_f64 v[111:112], null, v[0:1], v[0:1], 1.0
	v_rcp_f64_e32 v[120:121], v[111:112]
	v_fma_f64 v[122:123], -v[111:112], v[120:121], 1.0
	v_fma_f64 v[120:121], v[120:121], v[122:123], v[120:121]
	v_fma_f64 v[122:123], -v[111:112], v[120:121], 1.0
	v_fma_f64 v[120:121], v[120:121], v[122:123], v[120:121]
	v_div_scale_f64 v[122:123], vcc_lo, 1.0, v[0:1], 1.0
	v_mul_f64 v[124:125], v[122:123], v[120:121]
	v_fma_f64 v[111:112], -v[111:112], v[124:125], v[122:123]
	v_div_fmas_f64 v[111:112], v[111:112], v[120:121], v[124:125]
	v_div_fixup_f64 v[0:1], v[111:112], v[0:1], 1.0
.LBB102_580:
	s_or_b32 exec_lo, exec_lo, s0
	s_mov_b32 s0, exec_lo
	v_cmpx_ne_u32_e64 v119, v110
	s_xor_b32 s0, exec_lo, s0
	s_cbranch_execz .LBB102_586
; %bb.581:
	s_mov_b32 s1, exec_lo
	v_cmpx_eq_u32_e32 34, v119
	s_cbranch_execz .LBB102_585
; %bb.582:
	v_cmp_ne_u32_e32 vcc_lo, 34, v110
	s_xor_b32 s2, s6, -1
	s_and_b32 s3, s2, vcc_lo
	s_and_saveexec_b32 s2, s3
	s_cbranch_execz .LBB102_584
; %bb.583:
	v_ashrrev_i32_e32 v111, 31, v110
	v_lshlrev_b64 v[111:112], 2, v[110:111]
	v_add_co_u32 v111, vcc_lo, v4, v111
	v_add_co_ci_u32_e64 v112, null, v5, v112, vcc_lo
	s_clause 0x1
	global_load_dword v118, v[111:112], off
	global_load_dword v119, v[4:5], off offset:136
	s_waitcnt vmcnt(1)
	global_store_dword v[4:5], v118, off offset:136
	s_waitcnt vmcnt(0)
	global_store_dword v[111:112], v119, off
.LBB102_584:
	s_or_b32 exec_lo, exec_lo, s2
	v_mov_b32_e32 v118, v110
	v_mov_b32_e32 v119, v110
.LBB102_585:
	s_or_b32 exec_lo, exec_lo, s1
.LBB102_586:
	s_andn2_saveexec_b32 s0, s0
	s_cbranch_execz .LBB102_588
; %bb.587:
	v_mov_b32_e32 v119, 34
	ds_write2_b64 v116, v[34:35], v[36:37] offset0:35 offset1:36
	ds_write2_b64 v116, v[32:33], v[30:31] offset0:37 offset1:38
	;; [unrolled: 1-line block ×8, first 2 shown]
	ds_write_b64 v116, v[108:109] offset:408
.LBB102_588:
	s_or_b32 exec_lo, exec_lo, s0
	s_mov_b32 s0, exec_lo
	s_waitcnt lgkmcnt(0)
	s_waitcnt_vscnt null, 0x0
	s_barrier
	buffer_gl0_inv
	v_cmpx_lt_i32_e32 34, v119
	s_cbranch_execz .LBB102_590
; %bb.589:
	v_mul_f64 v[40:41], v[0:1], v[40:41]
	ds_read2_b64 v[120:123], v116 offset0:35 offset1:36
	ds_read2_b64 v[124:127], v116 offset0:37 offset1:38
	;; [unrolled: 1-line block ×8, first 2 shown]
	ds_read_b64 v[0:1], v116 offset:408
	s_waitcnt lgkmcnt(8)
	v_fma_f64 v[34:35], -v[40:41], v[120:121], v[34:35]
	v_fma_f64 v[36:37], -v[40:41], v[122:123], v[36:37]
	s_waitcnt lgkmcnt(7)
	v_fma_f64 v[32:33], -v[40:41], v[124:125], v[32:33]
	v_fma_f64 v[30:31], -v[40:41], v[126:127], v[30:31]
	;; [unrolled: 3-line block ×8, first 2 shown]
	s_waitcnt lgkmcnt(0)
	v_fma_f64 v[108:109], -v[40:41], v[0:1], v[108:109]
.LBB102_590:
	s_or_b32 exec_lo, exec_lo, s0
	v_lshl_add_u32 v0, v119, 3, v116
	s_barrier
	buffer_gl0_inv
	v_mov_b32_e32 v110, 35
	ds_write_b64 v0, v[34:35]
	s_waitcnt lgkmcnt(0)
	s_barrier
	buffer_gl0_inv
	ds_read_b64 v[0:1], v116 offset:280
	s_cmp_lt_i32 s7, 37
	s_cbranch_scc1 .LBB102_593
; %bb.591:
	v_add3_u32 v111, v117, 0, 0x120
	v_mov_b32_e32 v110, 35
	s_mov_b32 s0, 36
.LBB102_592:                            ; =>This Inner Loop Header: Depth=1
	ds_read_b64 v[120:121], v111
	v_add_nc_u32_e32 v111, 8, v111
	s_waitcnt lgkmcnt(0)
	v_cmp_lt_f64_e64 vcc_lo, |v[0:1]|, |v[120:121]|
	v_cndmask_b32_e32 v1, v1, v121, vcc_lo
	v_cndmask_b32_e32 v0, v0, v120, vcc_lo
	v_cndmask_b32_e64 v110, v110, s0, vcc_lo
	s_add_i32 s0, s0, 1
	s_cmp_lg_u32 s7, s0
	s_cbranch_scc1 .LBB102_592
.LBB102_593:
	s_mov_b32 s0, exec_lo
	s_waitcnt lgkmcnt(0)
	v_cmpx_eq_f64_e32 0, v[0:1]
	s_xor_b32 s0, exec_lo, s0
; %bb.594:
	v_cmp_ne_u32_e32 vcc_lo, 0, v113
	v_cndmask_b32_e32 v113, 36, v113, vcc_lo
; %bb.595:
	s_andn2_saveexec_b32 s0, s0
	s_cbranch_execz .LBB102_597
; %bb.596:
	v_div_scale_f64 v[111:112], null, v[0:1], v[0:1], 1.0
	v_rcp_f64_e32 v[120:121], v[111:112]
	v_fma_f64 v[122:123], -v[111:112], v[120:121], 1.0
	v_fma_f64 v[120:121], v[120:121], v[122:123], v[120:121]
	v_fma_f64 v[122:123], -v[111:112], v[120:121], 1.0
	v_fma_f64 v[120:121], v[120:121], v[122:123], v[120:121]
	v_div_scale_f64 v[122:123], vcc_lo, 1.0, v[0:1], 1.0
	v_mul_f64 v[124:125], v[122:123], v[120:121]
	v_fma_f64 v[111:112], -v[111:112], v[124:125], v[122:123]
	v_div_fmas_f64 v[111:112], v[111:112], v[120:121], v[124:125]
	v_div_fixup_f64 v[0:1], v[111:112], v[0:1], 1.0
.LBB102_597:
	s_or_b32 exec_lo, exec_lo, s0
	s_mov_b32 s0, exec_lo
	v_cmpx_ne_u32_e64 v119, v110
	s_xor_b32 s0, exec_lo, s0
	s_cbranch_execz .LBB102_603
; %bb.598:
	s_mov_b32 s1, exec_lo
	v_cmpx_eq_u32_e32 35, v119
	s_cbranch_execz .LBB102_602
; %bb.599:
	v_cmp_ne_u32_e32 vcc_lo, 35, v110
	s_xor_b32 s2, s6, -1
	s_and_b32 s3, s2, vcc_lo
	s_and_saveexec_b32 s2, s3
	s_cbranch_execz .LBB102_601
; %bb.600:
	v_ashrrev_i32_e32 v111, 31, v110
	v_lshlrev_b64 v[111:112], 2, v[110:111]
	v_add_co_u32 v111, vcc_lo, v4, v111
	v_add_co_ci_u32_e64 v112, null, v5, v112, vcc_lo
	s_clause 0x1
	global_load_dword v118, v[111:112], off
	global_load_dword v119, v[4:5], off offset:140
	s_waitcnt vmcnt(1)
	global_store_dword v[4:5], v118, off offset:140
	s_waitcnt vmcnt(0)
	global_store_dword v[111:112], v119, off
.LBB102_601:
	s_or_b32 exec_lo, exec_lo, s2
	v_mov_b32_e32 v118, v110
	v_mov_b32_e32 v119, v110
.LBB102_602:
	s_or_b32 exec_lo, exec_lo, s1
.LBB102_603:
	s_andn2_saveexec_b32 s0, s0
	s_cbranch_execz .LBB102_605
; %bb.604:
	v_mov_b32_e32 v110, v36
	v_mov_b32_e32 v111, v37
	;; [unrolled: 1-line block ×16, first 2 shown]
	ds_write2_b64 v116, v[110:111], v[119:120] offset0:36 offset1:37
	ds_write2_b64 v116, v[121:122], v[123:124] offset0:38 offset1:39
	;; [unrolled: 1-line block ×4, first 2 shown]
	v_mov_b32_e32 v110, v20
	v_mov_b32_e32 v111, v21
	;; [unrolled: 1-line block ×15, first 2 shown]
	ds_write2_b64 v116, v[110:111], v[120:121] offset0:44 offset1:45
	ds_write2_b64 v116, v[122:123], v[124:125] offset0:46 offset1:47
	;; [unrolled: 1-line block ×4, first 2 shown]
.LBB102_605:
	s_or_b32 exec_lo, exec_lo, s0
	s_mov_b32 s0, exec_lo
	s_waitcnt lgkmcnt(0)
	s_waitcnt_vscnt null, 0x0
	s_barrier
	buffer_gl0_inv
	v_cmpx_lt_i32_e32 35, v119
	s_cbranch_execz .LBB102_607
; %bb.606:
	v_mul_f64 v[34:35], v[0:1], v[34:35]
	ds_read2_b64 v[120:123], v116 offset0:36 offset1:37
	ds_read2_b64 v[124:127], v116 offset0:38 offset1:39
	;; [unrolled: 1-line block ×8, first 2 shown]
	s_waitcnt lgkmcnt(7)
	v_fma_f64 v[36:37], -v[34:35], v[120:121], v[36:37]
	v_fma_f64 v[32:33], -v[34:35], v[122:123], v[32:33]
	s_waitcnt lgkmcnt(6)
	v_fma_f64 v[30:31], -v[34:35], v[124:125], v[30:31]
	v_fma_f64 v[28:29], -v[34:35], v[126:127], v[28:29]
	;; [unrolled: 3-line block ×8, first 2 shown]
.LBB102_607:
	s_or_b32 exec_lo, exec_lo, s0
	v_lshl_add_u32 v0, v119, 3, v116
	s_barrier
	buffer_gl0_inv
	v_mov_b32_e32 v110, 36
	ds_write_b64 v0, v[36:37]
	s_waitcnt lgkmcnt(0)
	s_barrier
	buffer_gl0_inv
	ds_read_b64 v[0:1], v116 offset:288
	s_cmp_lt_i32 s7, 38
	s_cbranch_scc1 .LBB102_610
; %bb.608:
	v_add3_u32 v111, v117, 0, 0x128
	v_mov_b32_e32 v110, 36
	s_mov_b32 s0, 37
.LBB102_609:                            ; =>This Inner Loop Header: Depth=1
	ds_read_b64 v[120:121], v111
	v_add_nc_u32_e32 v111, 8, v111
	s_waitcnt lgkmcnt(0)
	v_cmp_lt_f64_e64 vcc_lo, |v[0:1]|, |v[120:121]|
	v_cndmask_b32_e32 v1, v1, v121, vcc_lo
	v_cndmask_b32_e32 v0, v0, v120, vcc_lo
	v_cndmask_b32_e64 v110, v110, s0, vcc_lo
	s_add_i32 s0, s0, 1
	s_cmp_lg_u32 s7, s0
	s_cbranch_scc1 .LBB102_609
.LBB102_610:
	s_mov_b32 s0, exec_lo
	s_waitcnt lgkmcnt(0)
	v_cmpx_eq_f64_e32 0, v[0:1]
	s_xor_b32 s0, exec_lo, s0
; %bb.611:
	v_cmp_ne_u32_e32 vcc_lo, 0, v113
	v_cndmask_b32_e32 v113, 37, v113, vcc_lo
; %bb.612:
	s_andn2_saveexec_b32 s0, s0
	s_cbranch_execz .LBB102_614
; %bb.613:
	v_div_scale_f64 v[111:112], null, v[0:1], v[0:1], 1.0
	v_rcp_f64_e32 v[120:121], v[111:112]
	v_fma_f64 v[122:123], -v[111:112], v[120:121], 1.0
	v_fma_f64 v[120:121], v[120:121], v[122:123], v[120:121]
	v_fma_f64 v[122:123], -v[111:112], v[120:121], 1.0
	v_fma_f64 v[120:121], v[120:121], v[122:123], v[120:121]
	v_div_scale_f64 v[122:123], vcc_lo, 1.0, v[0:1], 1.0
	v_mul_f64 v[124:125], v[122:123], v[120:121]
	v_fma_f64 v[111:112], -v[111:112], v[124:125], v[122:123]
	v_div_fmas_f64 v[111:112], v[111:112], v[120:121], v[124:125]
	v_div_fixup_f64 v[0:1], v[111:112], v[0:1], 1.0
.LBB102_614:
	s_or_b32 exec_lo, exec_lo, s0
	s_mov_b32 s0, exec_lo
	v_cmpx_ne_u32_e64 v119, v110
	s_xor_b32 s0, exec_lo, s0
	s_cbranch_execz .LBB102_620
; %bb.615:
	s_mov_b32 s1, exec_lo
	v_cmpx_eq_u32_e32 36, v119
	s_cbranch_execz .LBB102_619
; %bb.616:
	v_cmp_ne_u32_e32 vcc_lo, 36, v110
	s_xor_b32 s2, s6, -1
	s_and_b32 s3, s2, vcc_lo
	s_and_saveexec_b32 s2, s3
	s_cbranch_execz .LBB102_618
; %bb.617:
	v_ashrrev_i32_e32 v111, 31, v110
	v_lshlrev_b64 v[111:112], 2, v[110:111]
	v_add_co_u32 v111, vcc_lo, v4, v111
	v_add_co_ci_u32_e64 v112, null, v5, v112, vcc_lo
	s_clause 0x1
	global_load_dword v118, v[111:112], off
	global_load_dword v119, v[4:5], off offset:144
	s_waitcnt vmcnt(1)
	global_store_dword v[4:5], v118, off offset:144
	s_waitcnt vmcnt(0)
	global_store_dword v[111:112], v119, off
.LBB102_618:
	s_or_b32 exec_lo, exec_lo, s2
	v_mov_b32_e32 v118, v110
	v_mov_b32_e32 v119, v110
.LBB102_619:
	s_or_b32 exec_lo, exec_lo, s1
.LBB102_620:
	s_andn2_saveexec_b32 s0, s0
	s_cbranch_execz .LBB102_622
; %bb.621:
	v_mov_b32_e32 v119, 36
	ds_write2_b64 v116, v[32:33], v[30:31] offset0:37 offset1:38
	ds_write2_b64 v116, v[28:29], v[26:27] offset0:39 offset1:40
	ds_write2_b64 v116, v[24:25], v[22:23] offset0:41 offset1:42
	ds_write2_b64 v116, v[18:19], v[20:21] offset0:43 offset1:44
	ds_write2_b64 v116, v[16:17], v[14:15] offset0:45 offset1:46
	ds_write2_b64 v116, v[8:9], v[12:13] offset0:47 offset1:48
	ds_write2_b64 v116, v[6:7], v[10:11] offset0:49 offset1:50
	ds_write_b64 v116, v[108:109] offset:408
.LBB102_622:
	s_or_b32 exec_lo, exec_lo, s0
	s_mov_b32 s0, exec_lo
	s_waitcnt lgkmcnt(0)
	s_waitcnt_vscnt null, 0x0
	s_barrier
	buffer_gl0_inv
	v_cmpx_lt_i32_e32 36, v119
	s_cbranch_execz .LBB102_624
; %bb.623:
	v_mul_f64 v[36:37], v[0:1], v[36:37]
	ds_read2_b64 v[120:123], v116 offset0:37 offset1:38
	ds_read2_b64 v[124:127], v116 offset0:39 offset1:40
	ds_read2_b64 v[128:131], v116 offset0:41 offset1:42
	ds_read2_b64 v[132:135], v116 offset0:43 offset1:44
	ds_read2_b64 v[136:139], v116 offset0:45 offset1:46
	ds_read2_b64 v[140:143], v116 offset0:47 offset1:48
	ds_read2_b64 v[144:147], v116 offset0:49 offset1:50
	ds_read_b64 v[0:1], v116 offset:408
	s_waitcnt lgkmcnt(7)
	v_fma_f64 v[32:33], -v[36:37], v[120:121], v[32:33]
	v_fma_f64 v[30:31], -v[36:37], v[122:123], v[30:31]
	s_waitcnt lgkmcnt(6)
	v_fma_f64 v[28:29], -v[36:37], v[124:125], v[28:29]
	v_fma_f64 v[26:27], -v[36:37], v[126:127], v[26:27]
	;; [unrolled: 3-line block ×7, first 2 shown]
	s_waitcnt lgkmcnt(0)
	v_fma_f64 v[108:109], -v[36:37], v[0:1], v[108:109]
.LBB102_624:
	s_or_b32 exec_lo, exec_lo, s0
	v_lshl_add_u32 v0, v119, 3, v116
	s_barrier
	buffer_gl0_inv
	v_mov_b32_e32 v110, 37
	ds_write_b64 v0, v[32:33]
	s_waitcnt lgkmcnt(0)
	s_barrier
	buffer_gl0_inv
	ds_read_b64 v[0:1], v116 offset:296
	s_cmp_lt_i32 s7, 39
	s_cbranch_scc1 .LBB102_627
; %bb.625:
	v_add3_u32 v111, v117, 0, 0x130
	v_mov_b32_e32 v110, 37
	s_mov_b32 s0, 38
.LBB102_626:                            ; =>This Inner Loop Header: Depth=1
	ds_read_b64 v[120:121], v111
	v_add_nc_u32_e32 v111, 8, v111
	s_waitcnt lgkmcnt(0)
	v_cmp_lt_f64_e64 vcc_lo, |v[0:1]|, |v[120:121]|
	v_cndmask_b32_e32 v1, v1, v121, vcc_lo
	v_cndmask_b32_e32 v0, v0, v120, vcc_lo
	v_cndmask_b32_e64 v110, v110, s0, vcc_lo
	s_add_i32 s0, s0, 1
	s_cmp_lg_u32 s7, s0
	s_cbranch_scc1 .LBB102_626
.LBB102_627:
	s_mov_b32 s0, exec_lo
	s_waitcnt lgkmcnt(0)
	v_cmpx_eq_f64_e32 0, v[0:1]
	s_xor_b32 s0, exec_lo, s0
; %bb.628:
	v_cmp_ne_u32_e32 vcc_lo, 0, v113
	v_cndmask_b32_e32 v113, 38, v113, vcc_lo
; %bb.629:
	s_andn2_saveexec_b32 s0, s0
	s_cbranch_execz .LBB102_631
; %bb.630:
	v_div_scale_f64 v[111:112], null, v[0:1], v[0:1], 1.0
	v_rcp_f64_e32 v[120:121], v[111:112]
	v_fma_f64 v[122:123], -v[111:112], v[120:121], 1.0
	v_fma_f64 v[120:121], v[120:121], v[122:123], v[120:121]
	v_fma_f64 v[122:123], -v[111:112], v[120:121], 1.0
	v_fma_f64 v[120:121], v[120:121], v[122:123], v[120:121]
	v_div_scale_f64 v[122:123], vcc_lo, 1.0, v[0:1], 1.0
	v_mul_f64 v[124:125], v[122:123], v[120:121]
	v_fma_f64 v[111:112], -v[111:112], v[124:125], v[122:123]
	v_div_fmas_f64 v[111:112], v[111:112], v[120:121], v[124:125]
	v_div_fixup_f64 v[0:1], v[111:112], v[0:1], 1.0
.LBB102_631:
	s_or_b32 exec_lo, exec_lo, s0
	s_mov_b32 s0, exec_lo
	v_cmpx_ne_u32_e64 v119, v110
	s_xor_b32 s0, exec_lo, s0
	s_cbranch_execz .LBB102_637
; %bb.632:
	s_mov_b32 s1, exec_lo
	v_cmpx_eq_u32_e32 37, v119
	s_cbranch_execz .LBB102_636
; %bb.633:
	v_cmp_ne_u32_e32 vcc_lo, 37, v110
	s_xor_b32 s2, s6, -1
	s_and_b32 s3, s2, vcc_lo
	s_and_saveexec_b32 s2, s3
	s_cbranch_execz .LBB102_635
; %bb.634:
	v_ashrrev_i32_e32 v111, 31, v110
	v_lshlrev_b64 v[111:112], 2, v[110:111]
	v_add_co_u32 v111, vcc_lo, v4, v111
	v_add_co_ci_u32_e64 v112, null, v5, v112, vcc_lo
	s_clause 0x1
	global_load_dword v118, v[111:112], off
	global_load_dword v119, v[4:5], off offset:148
	s_waitcnt vmcnt(1)
	global_store_dword v[4:5], v118, off offset:148
	s_waitcnt vmcnt(0)
	global_store_dword v[111:112], v119, off
.LBB102_635:
	s_or_b32 exec_lo, exec_lo, s2
	v_mov_b32_e32 v118, v110
	v_mov_b32_e32 v119, v110
.LBB102_636:
	s_or_b32 exec_lo, exec_lo, s1
.LBB102_637:
	s_andn2_saveexec_b32 s0, s0
	s_cbranch_execz .LBB102_639
; %bb.638:
	v_mov_b32_e32 v110, v30
	v_mov_b32_e32 v111, v31
	;; [unrolled: 1-line block ×12, first 2 shown]
	ds_write2_b64 v116, v[110:111], v[119:120] offset0:38 offset1:39
	ds_write2_b64 v116, v[121:122], v[123:124] offset0:40 offset1:41
	;; [unrolled: 1-line block ×3, first 2 shown]
	v_mov_b32_e32 v110, v20
	v_mov_b32_e32 v111, v21
	;; [unrolled: 1-line block ×15, first 2 shown]
	ds_write2_b64 v116, v[110:111], v[120:121] offset0:44 offset1:45
	ds_write2_b64 v116, v[122:123], v[124:125] offset0:46 offset1:47
	;; [unrolled: 1-line block ×4, first 2 shown]
.LBB102_639:
	s_or_b32 exec_lo, exec_lo, s0
	s_mov_b32 s0, exec_lo
	s_waitcnt lgkmcnt(0)
	s_waitcnt_vscnt null, 0x0
	s_barrier
	buffer_gl0_inv
	v_cmpx_lt_i32_e32 37, v119
	s_cbranch_execz .LBB102_641
; %bb.640:
	v_mul_f64 v[32:33], v[0:1], v[32:33]
	ds_read2_b64 v[120:123], v116 offset0:38 offset1:39
	ds_read2_b64 v[124:127], v116 offset0:40 offset1:41
	;; [unrolled: 1-line block ×7, first 2 shown]
	s_waitcnt lgkmcnt(6)
	v_fma_f64 v[30:31], -v[32:33], v[120:121], v[30:31]
	v_fma_f64 v[28:29], -v[32:33], v[122:123], v[28:29]
	s_waitcnt lgkmcnt(5)
	v_fma_f64 v[26:27], -v[32:33], v[124:125], v[26:27]
	v_fma_f64 v[24:25], -v[32:33], v[126:127], v[24:25]
	;; [unrolled: 3-line block ×7, first 2 shown]
.LBB102_641:
	s_or_b32 exec_lo, exec_lo, s0
	v_lshl_add_u32 v0, v119, 3, v116
	s_barrier
	buffer_gl0_inv
	v_mov_b32_e32 v110, 38
	ds_write_b64 v0, v[30:31]
	s_waitcnt lgkmcnt(0)
	s_barrier
	buffer_gl0_inv
	ds_read_b64 v[0:1], v116 offset:304
	s_cmp_lt_i32 s7, 40
	s_cbranch_scc1 .LBB102_644
; %bb.642:
	v_add3_u32 v111, v117, 0, 0x138
	v_mov_b32_e32 v110, 38
	s_mov_b32 s0, 39
.LBB102_643:                            ; =>This Inner Loop Header: Depth=1
	ds_read_b64 v[120:121], v111
	v_add_nc_u32_e32 v111, 8, v111
	s_waitcnt lgkmcnt(0)
	v_cmp_lt_f64_e64 vcc_lo, |v[0:1]|, |v[120:121]|
	v_cndmask_b32_e32 v1, v1, v121, vcc_lo
	v_cndmask_b32_e32 v0, v0, v120, vcc_lo
	v_cndmask_b32_e64 v110, v110, s0, vcc_lo
	s_add_i32 s0, s0, 1
	s_cmp_lg_u32 s7, s0
	s_cbranch_scc1 .LBB102_643
.LBB102_644:
	s_mov_b32 s0, exec_lo
	s_waitcnt lgkmcnt(0)
	v_cmpx_eq_f64_e32 0, v[0:1]
	s_xor_b32 s0, exec_lo, s0
; %bb.645:
	v_cmp_ne_u32_e32 vcc_lo, 0, v113
	v_cndmask_b32_e32 v113, 39, v113, vcc_lo
; %bb.646:
	s_andn2_saveexec_b32 s0, s0
	s_cbranch_execz .LBB102_648
; %bb.647:
	v_div_scale_f64 v[111:112], null, v[0:1], v[0:1], 1.0
	v_rcp_f64_e32 v[120:121], v[111:112]
	v_fma_f64 v[122:123], -v[111:112], v[120:121], 1.0
	v_fma_f64 v[120:121], v[120:121], v[122:123], v[120:121]
	v_fma_f64 v[122:123], -v[111:112], v[120:121], 1.0
	v_fma_f64 v[120:121], v[120:121], v[122:123], v[120:121]
	v_div_scale_f64 v[122:123], vcc_lo, 1.0, v[0:1], 1.0
	v_mul_f64 v[124:125], v[122:123], v[120:121]
	v_fma_f64 v[111:112], -v[111:112], v[124:125], v[122:123]
	v_div_fmas_f64 v[111:112], v[111:112], v[120:121], v[124:125]
	v_div_fixup_f64 v[0:1], v[111:112], v[0:1], 1.0
.LBB102_648:
	s_or_b32 exec_lo, exec_lo, s0
	s_mov_b32 s0, exec_lo
	v_cmpx_ne_u32_e64 v119, v110
	s_xor_b32 s0, exec_lo, s0
	s_cbranch_execz .LBB102_654
; %bb.649:
	s_mov_b32 s1, exec_lo
	v_cmpx_eq_u32_e32 38, v119
	s_cbranch_execz .LBB102_653
; %bb.650:
	v_cmp_ne_u32_e32 vcc_lo, 38, v110
	s_xor_b32 s2, s6, -1
	s_and_b32 s3, s2, vcc_lo
	s_and_saveexec_b32 s2, s3
	s_cbranch_execz .LBB102_652
; %bb.651:
	v_ashrrev_i32_e32 v111, 31, v110
	v_lshlrev_b64 v[111:112], 2, v[110:111]
	v_add_co_u32 v111, vcc_lo, v4, v111
	v_add_co_ci_u32_e64 v112, null, v5, v112, vcc_lo
	s_clause 0x1
	global_load_dword v118, v[111:112], off
	global_load_dword v119, v[4:5], off offset:152
	s_waitcnt vmcnt(1)
	global_store_dword v[4:5], v118, off offset:152
	s_waitcnt vmcnt(0)
	global_store_dword v[111:112], v119, off
.LBB102_652:
	s_or_b32 exec_lo, exec_lo, s2
	v_mov_b32_e32 v118, v110
	v_mov_b32_e32 v119, v110
.LBB102_653:
	s_or_b32 exec_lo, exec_lo, s1
.LBB102_654:
	s_andn2_saveexec_b32 s0, s0
	s_cbranch_execz .LBB102_656
; %bb.655:
	v_mov_b32_e32 v119, 38
	ds_write2_b64 v116, v[28:29], v[26:27] offset0:39 offset1:40
	ds_write2_b64 v116, v[24:25], v[22:23] offset0:41 offset1:42
	;; [unrolled: 1-line block ×6, first 2 shown]
	ds_write_b64 v116, v[108:109] offset:408
.LBB102_656:
	s_or_b32 exec_lo, exec_lo, s0
	s_mov_b32 s0, exec_lo
	s_waitcnt lgkmcnt(0)
	s_waitcnt_vscnt null, 0x0
	s_barrier
	buffer_gl0_inv
	v_cmpx_lt_i32_e32 38, v119
	s_cbranch_execz .LBB102_658
; %bb.657:
	v_mul_f64 v[30:31], v[0:1], v[30:31]
	ds_read2_b64 v[120:123], v116 offset0:39 offset1:40
	ds_read2_b64 v[124:127], v116 offset0:41 offset1:42
	;; [unrolled: 1-line block ×6, first 2 shown]
	ds_read_b64 v[0:1], v116 offset:408
	s_waitcnt lgkmcnt(6)
	v_fma_f64 v[28:29], -v[30:31], v[120:121], v[28:29]
	v_fma_f64 v[26:27], -v[30:31], v[122:123], v[26:27]
	s_waitcnt lgkmcnt(5)
	v_fma_f64 v[24:25], -v[30:31], v[124:125], v[24:25]
	v_fma_f64 v[22:23], -v[30:31], v[126:127], v[22:23]
	;; [unrolled: 3-line block ×6, first 2 shown]
	s_waitcnt lgkmcnt(0)
	v_fma_f64 v[108:109], -v[30:31], v[0:1], v[108:109]
.LBB102_658:
	s_or_b32 exec_lo, exec_lo, s0
	v_lshl_add_u32 v0, v119, 3, v116
	s_barrier
	buffer_gl0_inv
	v_mov_b32_e32 v110, 39
	ds_write_b64 v0, v[28:29]
	s_waitcnt lgkmcnt(0)
	s_barrier
	buffer_gl0_inv
	ds_read_b64 v[0:1], v116 offset:312
	s_cmp_lt_i32 s7, 41
	s_cbranch_scc1 .LBB102_661
; %bb.659:
	v_add3_u32 v111, v117, 0, 0x140
	v_mov_b32_e32 v110, 39
	s_mov_b32 s0, 40
.LBB102_660:                            ; =>This Inner Loop Header: Depth=1
	ds_read_b64 v[120:121], v111
	v_add_nc_u32_e32 v111, 8, v111
	s_waitcnt lgkmcnt(0)
	v_cmp_lt_f64_e64 vcc_lo, |v[0:1]|, |v[120:121]|
	v_cndmask_b32_e32 v1, v1, v121, vcc_lo
	v_cndmask_b32_e32 v0, v0, v120, vcc_lo
	v_cndmask_b32_e64 v110, v110, s0, vcc_lo
	s_add_i32 s0, s0, 1
	s_cmp_lg_u32 s7, s0
	s_cbranch_scc1 .LBB102_660
.LBB102_661:
	s_mov_b32 s0, exec_lo
	s_waitcnt lgkmcnt(0)
	v_cmpx_eq_f64_e32 0, v[0:1]
	s_xor_b32 s0, exec_lo, s0
; %bb.662:
	v_cmp_ne_u32_e32 vcc_lo, 0, v113
	v_cndmask_b32_e32 v113, 40, v113, vcc_lo
; %bb.663:
	s_andn2_saveexec_b32 s0, s0
	s_cbranch_execz .LBB102_665
; %bb.664:
	v_div_scale_f64 v[111:112], null, v[0:1], v[0:1], 1.0
	v_rcp_f64_e32 v[120:121], v[111:112]
	v_fma_f64 v[122:123], -v[111:112], v[120:121], 1.0
	v_fma_f64 v[120:121], v[120:121], v[122:123], v[120:121]
	v_fma_f64 v[122:123], -v[111:112], v[120:121], 1.0
	v_fma_f64 v[120:121], v[120:121], v[122:123], v[120:121]
	v_div_scale_f64 v[122:123], vcc_lo, 1.0, v[0:1], 1.0
	v_mul_f64 v[124:125], v[122:123], v[120:121]
	v_fma_f64 v[111:112], -v[111:112], v[124:125], v[122:123]
	v_div_fmas_f64 v[111:112], v[111:112], v[120:121], v[124:125]
	v_div_fixup_f64 v[0:1], v[111:112], v[0:1], 1.0
.LBB102_665:
	s_or_b32 exec_lo, exec_lo, s0
	s_mov_b32 s0, exec_lo
	v_cmpx_ne_u32_e64 v119, v110
	s_xor_b32 s0, exec_lo, s0
	s_cbranch_execz .LBB102_671
; %bb.666:
	s_mov_b32 s1, exec_lo
	v_cmpx_eq_u32_e32 39, v119
	s_cbranch_execz .LBB102_670
; %bb.667:
	v_cmp_ne_u32_e32 vcc_lo, 39, v110
	s_xor_b32 s2, s6, -1
	s_and_b32 s3, s2, vcc_lo
	s_and_saveexec_b32 s2, s3
	s_cbranch_execz .LBB102_669
; %bb.668:
	v_ashrrev_i32_e32 v111, 31, v110
	v_lshlrev_b64 v[111:112], 2, v[110:111]
	v_add_co_u32 v111, vcc_lo, v4, v111
	v_add_co_ci_u32_e64 v112, null, v5, v112, vcc_lo
	s_clause 0x1
	global_load_dword v118, v[111:112], off
	global_load_dword v119, v[4:5], off offset:156
	s_waitcnt vmcnt(1)
	global_store_dword v[4:5], v118, off offset:156
	s_waitcnt vmcnt(0)
	global_store_dword v[111:112], v119, off
.LBB102_669:
	s_or_b32 exec_lo, exec_lo, s2
	v_mov_b32_e32 v118, v110
	v_mov_b32_e32 v119, v110
.LBB102_670:
	s_or_b32 exec_lo, exec_lo, s1
.LBB102_671:
	s_andn2_saveexec_b32 s0, s0
	s_cbranch_execz .LBB102_673
; %bb.672:
	v_mov_b32_e32 v110, v26
	v_mov_b32_e32 v111, v27
	;; [unrolled: 1-line block ×8, first 2 shown]
	ds_write2_b64 v116, v[110:111], v[119:120] offset0:40 offset1:41
	ds_write2_b64 v116, v[121:122], v[123:124] offset0:42 offset1:43
	v_mov_b32_e32 v110, v20
	v_mov_b32_e32 v111, v21
	;; [unrolled: 1-line block ×15, first 2 shown]
	ds_write2_b64 v116, v[110:111], v[120:121] offset0:44 offset1:45
	ds_write2_b64 v116, v[122:123], v[124:125] offset0:46 offset1:47
	;; [unrolled: 1-line block ×4, first 2 shown]
.LBB102_673:
	s_or_b32 exec_lo, exec_lo, s0
	s_mov_b32 s0, exec_lo
	s_waitcnt lgkmcnt(0)
	s_waitcnt_vscnt null, 0x0
	s_barrier
	buffer_gl0_inv
	v_cmpx_lt_i32_e32 39, v119
	s_cbranch_execz .LBB102_675
; %bb.674:
	v_mul_f64 v[28:29], v[0:1], v[28:29]
	ds_read2_b64 v[120:123], v116 offset0:40 offset1:41
	ds_read2_b64 v[124:127], v116 offset0:42 offset1:43
	;; [unrolled: 1-line block ×6, first 2 shown]
	s_waitcnt lgkmcnt(5)
	v_fma_f64 v[26:27], -v[28:29], v[120:121], v[26:27]
	v_fma_f64 v[24:25], -v[28:29], v[122:123], v[24:25]
	s_waitcnt lgkmcnt(4)
	v_fma_f64 v[22:23], -v[28:29], v[124:125], v[22:23]
	v_fma_f64 v[18:19], -v[28:29], v[126:127], v[18:19]
	;; [unrolled: 3-line block ×6, first 2 shown]
.LBB102_675:
	s_or_b32 exec_lo, exec_lo, s0
	v_lshl_add_u32 v0, v119, 3, v116
	s_barrier
	buffer_gl0_inv
	v_mov_b32_e32 v110, 40
	ds_write_b64 v0, v[26:27]
	s_waitcnt lgkmcnt(0)
	s_barrier
	buffer_gl0_inv
	ds_read_b64 v[0:1], v116 offset:320
	s_cmp_lt_i32 s7, 42
	s_cbranch_scc1 .LBB102_678
; %bb.676:
	v_add3_u32 v111, v117, 0, 0x148
	v_mov_b32_e32 v110, 40
	s_mov_b32 s0, 41
.LBB102_677:                            ; =>This Inner Loop Header: Depth=1
	ds_read_b64 v[120:121], v111
	v_add_nc_u32_e32 v111, 8, v111
	s_waitcnt lgkmcnt(0)
	v_cmp_lt_f64_e64 vcc_lo, |v[0:1]|, |v[120:121]|
	v_cndmask_b32_e32 v1, v1, v121, vcc_lo
	v_cndmask_b32_e32 v0, v0, v120, vcc_lo
	v_cndmask_b32_e64 v110, v110, s0, vcc_lo
	s_add_i32 s0, s0, 1
	s_cmp_lg_u32 s7, s0
	s_cbranch_scc1 .LBB102_677
.LBB102_678:
	s_mov_b32 s0, exec_lo
	s_waitcnt lgkmcnt(0)
	v_cmpx_eq_f64_e32 0, v[0:1]
	s_xor_b32 s0, exec_lo, s0
; %bb.679:
	v_cmp_ne_u32_e32 vcc_lo, 0, v113
	v_cndmask_b32_e32 v113, 41, v113, vcc_lo
; %bb.680:
	s_andn2_saveexec_b32 s0, s0
	s_cbranch_execz .LBB102_682
; %bb.681:
	v_div_scale_f64 v[111:112], null, v[0:1], v[0:1], 1.0
	v_rcp_f64_e32 v[120:121], v[111:112]
	v_fma_f64 v[122:123], -v[111:112], v[120:121], 1.0
	v_fma_f64 v[120:121], v[120:121], v[122:123], v[120:121]
	v_fma_f64 v[122:123], -v[111:112], v[120:121], 1.0
	v_fma_f64 v[120:121], v[120:121], v[122:123], v[120:121]
	v_div_scale_f64 v[122:123], vcc_lo, 1.0, v[0:1], 1.0
	v_mul_f64 v[124:125], v[122:123], v[120:121]
	v_fma_f64 v[111:112], -v[111:112], v[124:125], v[122:123]
	v_div_fmas_f64 v[111:112], v[111:112], v[120:121], v[124:125]
	v_div_fixup_f64 v[0:1], v[111:112], v[0:1], 1.0
.LBB102_682:
	s_or_b32 exec_lo, exec_lo, s0
	s_mov_b32 s0, exec_lo
	v_cmpx_ne_u32_e64 v119, v110
	s_xor_b32 s0, exec_lo, s0
	s_cbranch_execz .LBB102_688
; %bb.683:
	s_mov_b32 s1, exec_lo
	v_cmpx_eq_u32_e32 40, v119
	s_cbranch_execz .LBB102_687
; %bb.684:
	v_cmp_ne_u32_e32 vcc_lo, 40, v110
	s_xor_b32 s2, s6, -1
	s_and_b32 s3, s2, vcc_lo
	s_and_saveexec_b32 s2, s3
	s_cbranch_execz .LBB102_686
; %bb.685:
	v_ashrrev_i32_e32 v111, 31, v110
	v_lshlrev_b64 v[111:112], 2, v[110:111]
	v_add_co_u32 v111, vcc_lo, v4, v111
	v_add_co_ci_u32_e64 v112, null, v5, v112, vcc_lo
	s_clause 0x1
	global_load_dword v118, v[111:112], off
	global_load_dword v119, v[4:5], off offset:160
	s_waitcnt vmcnt(1)
	global_store_dword v[4:5], v118, off offset:160
	s_waitcnt vmcnt(0)
	global_store_dword v[111:112], v119, off
.LBB102_686:
	s_or_b32 exec_lo, exec_lo, s2
	v_mov_b32_e32 v118, v110
	v_mov_b32_e32 v119, v110
.LBB102_687:
	s_or_b32 exec_lo, exec_lo, s1
.LBB102_688:
	s_andn2_saveexec_b32 s0, s0
	s_cbranch_execz .LBB102_690
; %bb.689:
	v_mov_b32_e32 v119, 40
	ds_write2_b64 v116, v[24:25], v[22:23] offset0:41 offset1:42
	ds_write2_b64 v116, v[18:19], v[20:21] offset0:43 offset1:44
	;; [unrolled: 1-line block ×5, first 2 shown]
	ds_write_b64 v116, v[108:109] offset:408
.LBB102_690:
	s_or_b32 exec_lo, exec_lo, s0
	s_mov_b32 s0, exec_lo
	s_waitcnt lgkmcnt(0)
	s_waitcnt_vscnt null, 0x0
	s_barrier
	buffer_gl0_inv
	v_cmpx_lt_i32_e32 40, v119
	s_cbranch_execz .LBB102_692
; %bb.691:
	v_mul_f64 v[26:27], v[0:1], v[26:27]
	ds_read2_b64 v[120:123], v116 offset0:41 offset1:42
	ds_read2_b64 v[124:127], v116 offset0:43 offset1:44
	;; [unrolled: 1-line block ×5, first 2 shown]
	ds_read_b64 v[0:1], v116 offset:408
	s_waitcnt lgkmcnt(5)
	v_fma_f64 v[24:25], -v[26:27], v[120:121], v[24:25]
	v_fma_f64 v[22:23], -v[26:27], v[122:123], v[22:23]
	s_waitcnt lgkmcnt(4)
	v_fma_f64 v[18:19], -v[26:27], v[124:125], v[18:19]
	v_fma_f64 v[20:21], -v[26:27], v[126:127], v[20:21]
	s_waitcnt lgkmcnt(3)
	v_fma_f64 v[16:17], -v[26:27], v[128:129], v[16:17]
	v_fma_f64 v[14:15], -v[26:27], v[130:131], v[14:15]
	s_waitcnt lgkmcnt(2)
	v_fma_f64 v[8:9], -v[26:27], v[132:133], v[8:9]
	v_fma_f64 v[12:13], -v[26:27], v[134:135], v[12:13]
	s_waitcnt lgkmcnt(1)
	v_fma_f64 v[6:7], -v[26:27], v[136:137], v[6:7]
	v_fma_f64 v[10:11], -v[26:27], v[138:139], v[10:11]
	s_waitcnt lgkmcnt(0)
	v_fma_f64 v[108:109], -v[26:27], v[0:1], v[108:109]
.LBB102_692:
	s_or_b32 exec_lo, exec_lo, s0
	v_lshl_add_u32 v0, v119, 3, v116
	s_barrier
	buffer_gl0_inv
	v_mov_b32_e32 v110, 41
	ds_write_b64 v0, v[24:25]
	s_waitcnt lgkmcnt(0)
	s_barrier
	buffer_gl0_inv
	ds_read_b64 v[0:1], v116 offset:328
	s_cmp_lt_i32 s7, 43
	s_cbranch_scc1 .LBB102_695
; %bb.693:
	v_add3_u32 v111, v117, 0, 0x150
	v_mov_b32_e32 v110, 41
	s_mov_b32 s0, 42
.LBB102_694:                            ; =>This Inner Loop Header: Depth=1
	ds_read_b64 v[120:121], v111
	v_add_nc_u32_e32 v111, 8, v111
	s_waitcnt lgkmcnt(0)
	v_cmp_lt_f64_e64 vcc_lo, |v[0:1]|, |v[120:121]|
	v_cndmask_b32_e32 v1, v1, v121, vcc_lo
	v_cndmask_b32_e32 v0, v0, v120, vcc_lo
	v_cndmask_b32_e64 v110, v110, s0, vcc_lo
	s_add_i32 s0, s0, 1
	s_cmp_lg_u32 s7, s0
	s_cbranch_scc1 .LBB102_694
.LBB102_695:
	s_mov_b32 s0, exec_lo
	s_waitcnt lgkmcnt(0)
	v_cmpx_eq_f64_e32 0, v[0:1]
	s_xor_b32 s0, exec_lo, s0
; %bb.696:
	v_cmp_ne_u32_e32 vcc_lo, 0, v113
	v_cndmask_b32_e32 v113, 42, v113, vcc_lo
; %bb.697:
	s_andn2_saveexec_b32 s0, s0
	s_cbranch_execz .LBB102_699
; %bb.698:
	v_div_scale_f64 v[111:112], null, v[0:1], v[0:1], 1.0
	v_rcp_f64_e32 v[120:121], v[111:112]
	v_fma_f64 v[122:123], -v[111:112], v[120:121], 1.0
	v_fma_f64 v[120:121], v[120:121], v[122:123], v[120:121]
	v_fma_f64 v[122:123], -v[111:112], v[120:121], 1.0
	v_fma_f64 v[120:121], v[120:121], v[122:123], v[120:121]
	v_div_scale_f64 v[122:123], vcc_lo, 1.0, v[0:1], 1.0
	v_mul_f64 v[124:125], v[122:123], v[120:121]
	v_fma_f64 v[111:112], -v[111:112], v[124:125], v[122:123]
	v_div_fmas_f64 v[111:112], v[111:112], v[120:121], v[124:125]
	v_div_fixup_f64 v[0:1], v[111:112], v[0:1], 1.0
.LBB102_699:
	s_or_b32 exec_lo, exec_lo, s0
	s_mov_b32 s0, exec_lo
	v_cmpx_ne_u32_e64 v119, v110
	s_xor_b32 s0, exec_lo, s0
	s_cbranch_execz .LBB102_705
; %bb.700:
	s_mov_b32 s1, exec_lo
	v_cmpx_eq_u32_e32 41, v119
	s_cbranch_execz .LBB102_704
; %bb.701:
	v_cmp_ne_u32_e32 vcc_lo, 41, v110
	s_xor_b32 s2, s6, -1
	s_and_b32 s3, s2, vcc_lo
	s_and_saveexec_b32 s2, s3
	s_cbranch_execz .LBB102_703
; %bb.702:
	v_ashrrev_i32_e32 v111, 31, v110
	v_lshlrev_b64 v[111:112], 2, v[110:111]
	v_add_co_u32 v111, vcc_lo, v4, v111
	v_add_co_ci_u32_e64 v112, null, v5, v112, vcc_lo
	s_clause 0x1
	global_load_dword v118, v[111:112], off
	global_load_dword v119, v[4:5], off offset:164
	s_waitcnt vmcnt(1)
	global_store_dword v[4:5], v118, off offset:164
	s_waitcnt vmcnt(0)
	global_store_dword v[111:112], v119, off
.LBB102_703:
	s_or_b32 exec_lo, exec_lo, s2
	v_mov_b32_e32 v118, v110
	v_mov_b32_e32 v119, v110
.LBB102_704:
	s_or_b32 exec_lo, exec_lo, s1
.LBB102_705:
	s_andn2_saveexec_b32 s0, s0
	s_cbranch_execz .LBB102_707
; %bb.706:
	v_mov_b32_e32 v110, v22
	v_mov_b32_e32 v111, v23
	;; [unrolled: 1-line block ×8, first 2 shown]
	ds_write2_b64 v116, v[110:111], v[119:120] offset0:42 offset1:43
	v_mov_b32_e32 v110, v16
	v_mov_b32_e32 v111, v17
	;; [unrolled: 1-line block ×11, first 2 shown]
	ds_write2_b64 v116, v[121:122], v[110:111] offset0:44 offset1:45
	ds_write2_b64 v116, v[123:124], v[125:126] offset0:46 offset1:47
	;; [unrolled: 1-line block ×4, first 2 shown]
.LBB102_707:
	s_or_b32 exec_lo, exec_lo, s0
	s_mov_b32 s0, exec_lo
	s_waitcnt lgkmcnt(0)
	s_waitcnt_vscnt null, 0x0
	s_barrier
	buffer_gl0_inv
	v_cmpx_lt_i32_e32 41, v119
	s_cbranch_execz .LBB102_709
; %bb.708:
	v_mul_f64 v[24:25], v[0:1], v[24:25]
	ds_read2_b64 v[120:123], v116 offset0:42 offset1:43
	ds_read2_b64 v[124:127], v116 offset0:44 offset1:45
	;; [unrolled: 1-line block ×5, first 2 shown]
	s_waitcnt lgkmcnt(4)
	v_fma_f64 v[22:23], -v[24:25], v[120:121], v[22:23]
	v_fma_f64 v[18:19], -v[24:25], v[122:123], v[18:19]
	s_waitcnt lgkmcnt(3)
	v_fma_f64 v[20:21], -v[24:25], v[124:125], v[20:21]
	v_fma_f64 v[16:17], -v[24:25], v[126:127], v[16:17]
	;; [unrolled: 3-line block ×5, first 2 shown]
.LBB102_709:
	s_or_b32 exec_lo, exec_lo, s0
	v_lshl_add_u32 v0, v119, 3, v116
	s_barrier
	buffer_gl0_inv
	v_mov_b32_e32 v110, 42
	ds_write_b64 v0, v[22:23]
	s_waitcnt lgkmcnt(0)
	s_barrier
	buffer_gl0_inv
	ds_read_b64 v[0:1], v116 offset:336
	s_cmp_lt_i32 s7, 44
	s_cbranch_scc1 .LBB102_712
; %bb.710:
	v_add3_u32 v111, v117, 0, 0x158
	v_mov_b32_e32 v110, 42
	s_mov_b32 s0, 43
.LBB102_711:                            ; =>This Inner Loop Header: Depth=1
	ds_read_b64 v[120:121], v111
	v_add_nc_u32_e32 v111, 8, v111
	s_waitcnt lgkmcnt(0)
	v_cmp_lt_f64_e64 vcc_lo, |v[0:1]|, |v[120:121]|
	v_cndmask_b32_e32 v1, v1, v121, vcc_lo
	v_cndmask_b32_e32 v0, v0, v120, vcc_lo
	v_cndmask_b32_e64 v110, v110, s0, vcc_lo
	s_add_i32 s0, s0, 1
	s_cmp_lg_u32 s7, s0
	s_cbranch_scc1 .LBB102_711
.LBB102_712:
	s_mov_b32 s0, exec_lo
	s_waitcnt lgkmcnt(0)
	v_cmpx_eq_f64_e32 0, v[0:1]
	s_xor_b32 s0, exec_lo, s0
; %bb.713:
	v_cmp_ne_u32_e32 vcc_lo, 0, v113
	v_cndmask_b32_e32 v113, 43, v113, vcc_lo
; %bb.714:
	s_andn2_saveexec_b32 s0, s0
	s_cbranch_execz .LBB102_716
; %bb.715:
	v_div_scale_f64 v[111:112], null, v[0:1], v[0:1], 1.0
	v_rcp_f64_e32 v[120:121], v[111:112]
	v_fma_f64 v[122:123], -v[111:112], v[120:121], 1.0
	v_fma_f64 v[120:121], v[120:121], v[122:123], v[120:121]
	v_fma_f64 v[122:123], -v[111:112], v[120:121], 1.0
	v_fma_f64 v[120:121], v[120:121], v[122:123], v[120:121]
	v_div_scale_f64 v[122:123], vcc_lo, 1.0, v[0:1], 1.0
	v_mul_f64 v[124:125], v[122:123], v[120:121]
	v_fma_f64 v[111:112], -v[111:112], v[124:125], v[122:123]
	v_div_fmas_f64 v[111:112], v[111:112], v[120:121], v[124:125]
	v_div_fixup_f64 v[0:1], v[111:112], v[0:1], 1.0
.LBB102_716:
	s_or_b32 exec_lo, exec_lo, s0
	s_mov_b32 s0, exec_lo
	v_cmpx_ne_u32_e64 v119, v110
	s_xor_b32 s0, exec_lo, s0
	s_cbranch_execz .LBB102_722
; %bb.717:
	s_mov_b32 s1, exec_lo
	v_cmpx_eq_u32_e32 42, v119
	s_cbranch_execz .LBB102_721
; %bb.718:
	v_cmp_ne_u32_e32 vcc_lo, 42, v110
	s_xor_b32 s2, s6, -1
	s_and_b32 s3, s2, vcc_lo
	s_and_saveexec_b32 s2, s3
	s_cbranch_execz .LBB102_720
; %bb.719:
	v_ashrrev_i32_e32 v111, 31, v110
	v_lshlrev_b64 v[111:112], 2, v[110:111]
	v_add_co_u32 v111, vcc_lo, v4, v111
	v_add_co_ci_u32_e64 v112, null, v5, v112, vcc_lo
	s_clause 0x1
	global_load_dword v118, v[111:112], off
	global_load_dword v119, v[4:5], off offset:168
	s_waitcnt vmcnt(1)
	global_store_dword v[4:5], v118, off offset:168
	s_waitcnt vmcnt(0)
	global_store_dword v[111:112], v119, off
.LBB102_720:
	s_or_b32 exec_lo, exec_lo, s2
	v_mov_b32_e32 v118, v110
	v_mov_b32_e32 v119, v110
.LBB102_721:
	s_or_b32 exec_lo, exec_lo, s1
.LBB102_722:
	s_andn2_saveexec_b32 s0, s0
	s_cbranch_execz .LBB102_724
; %bb.723:
	v_mov_b32_e32 v119, 42
	ds_write2_b64 v116, v[18:19], v[20:21] offset0:43 offset1:44
	ds_write2_b64 v116, v[16:17], v[14:15] offset0:45 offset1:46
	;; [unrolled: 1-line block ×4, first 2 shown]
	ds_write_b64 v116, v[108:109] offset:408
.LBB102_724:
	s_or_b32 exec_lo, exec_lo, s0
	s_mov_b32 s0, exec_lo
	s_waitcnt lgkmcnt(0)
	s_waitcnt_vscnt null, 0x0
	s_barrier
	buffer_gl0_inv
	v_cmpx_lt_i32_e32 42, v119
	s_cbranch_execz .LBB102_726
; %bb.725:
	v_mul_f64 v[22:23], v[0:1], v[22:23]
	ds_read2_b64 v[120:123], v116 offset0:43 offset1:44
	ds_read2_b64 v[124:127], v116 offset0:45 offset1:46
	;; [unrolled: 1-line block ×4, first 2 shown]
	ds_read_b64 v[0:1], v116 offset:408
	s_waitcnt lgkmcnt(4)
	v_fma_f64 v[18:19], -v[22:23], v[120:121], v[18:19]
	v_fma_f64 v[20:21], -v[22:23], v[122:123], v[20:21]
	s_waitcnt lgkmcnt(3)
	v_fma_f64 v[16:17], -v[22:23], v[124:125], v[16:17]
	v_fma_f64 v[14:15], -v[22:23], v[126:127], v[14:15]
	;; [unrolled: 3-line block ×4, first 2 shown]
	s_waitcnt lgkmcnt(0)
	v_fma_f64 v[108:109], -v[22:23], v[0:1], v[108:109]
.LBB102_726:
	s_or_b32 exec_lo, exec_lo, s0
	v_lshl_add_u32 v0, v119, 3, v116
	s_barrier
	buffer_gl0_inv
	v_mov_b32_e32 v110, 43
	ds_write_b64 v0, v[18:19]
	s_waitcnt lgkmcnt(0)
	s_barrier
	buffer_gl0_inv
	ds_read_b64 v[0:1], v116 offset:344
	s_cmp_lt_i32 s7, 45
	s_cbranch_scc1 .LBB102_729
; %bb.727:
	v_add3_u32 v111, v117, 0, 0x160
	v_mov_b32_e32 v110, 43
	s_mov_b32 s0, 44
.LBB102_728:                            ; =>This Inner Loop Header: Depth=1
	ds_read_b64 v[120:121], v111
	v_add_nc_u32_e32 v111, 8, v111
	s_waitcnt lgkmcnt(0)
	v_cmp_lt_f64_e64 vcc_lo, |v[0:1]|, |v[120:121]|
	v_cndmask_b32_e32 v1, v1, v121, vcc_lo
	v_cndmask_b32_e32 v0, v0, v120, vcc_lo
	v_cndmask_b32_e64 v110, v110, s0, vcc_lo
	s_add_i32 s0, s0, 1
	s_cmp_lg_u32 s7, s0
	s_cbranch_scc1 .LBB102_728
.LBB102_729:
	s_mov_b32 s0, exec_lo
	s_waitcnt lgkmcnt(0)
	v_cmpx_eq_f64_e32 0, v[0:1]
	s_xor_b32 s0, exec_lo, s0
; %bb.730:
	v_cmp_ne_u32_e32 vcc_lo, 0, v113
	v_cndmask_b32_e32 v113, 44, v113, vcc_lo
; %bb.731:
	s_andn2_saveexec_b32 s0, s0
	s_cbranch_execz .LBB102_733
; %bb.732:
	v_div_scale_f64 v[111:112], null, v[0:1], v[0:1], 1.0
	v_rcp_f64_e32 v[120:121], v[111:112]
	v_fma_f64 v[122:123], -v[111:112], v[120:121], 1.0
	v_fma_f64 v[120:121], v[120:121], v[122:123], v[120:121]
	v_fma_f64 v[122:123], -v[111:112], v[120:121], 1.0
	v_fma_f64 v[120:121], v[120:121], v[122:123], v[120:121]
	v_div_scale_f64 v[122:123], vcc_lo, 1.0, v[0:1], 1.0
	v_mul_f64 v[124:125], v[122:123], v[120:121]
	v_fma_f64 v[111:112], -v[111:112], v[124:125], v[122:123]
	v_div_fmas_f64 v[111:112], v[111:112], v[120:121], v[124:125]
	v_div_fixup_f64 v[0:1], v[111:112], v[0:1], 1.0
.LBB102_733:
	s_or_b32 exec_lo, exec_lo, s0
	s_mov_b32 s0, exec_lo
	v_cmpx_ne_u32_e64 v119, v110
	s_xor_b32 s0, exec_lo, s0
	s_cbranch_execz .LBB102_739
; %bb.734:
	s_mov_b32 s1, exec_lo
	v_cmpx_eq_u32_e32 43, v119
	s_cbranch_execz .LBB102_738
; %bb.735:
	v_cmp_ne_u32_e32 vcc_lo, 43, v110
	s_xor_b32 s2, s6, -1
	s_and_b32 s3, s2, vcc_lo
	s_and_saveexec_b32 s2, s3
	s_cbranch_execz .LBB102_737
; %bb.736:
	v_ashrrev_i32_e32 v111, 31, v110
	v_lshlrev_b64 v[111:112], 2, v[110:111]
	v_add_co_u32 v111, vcc_lo, v4, v111
	v_add_co_ci_u32_e64 v112, null, v5, v112, vcc_lo
	s_clause 0x1
	global_load_dword v118, v[111:112], off
	global_load_dword v119, v[4:5], off offset:172
	s_waitcnt vmcnt(1)
	global_store_dword v[4:5], v118, off offset:172
	s_waitcnt vmcnt(0)
	global_store_dword v[111:112], v119, off
.LBB102_737:
	s_or_b32 exec_lo, exec_lo, s2
	v_mov_b32_e32 v118, v110
	v_mov_b32_e32 v119, v110
.LBB102_738:
	s_or_b32 exec_lo, exec_lo, s1
.LBB102_739:
	s_andn2_saveexec_b32 s0, s0
	s_cbranch_execz .LBB102_741
; %bb.740:
	v_mov_b32_e32 v110, v20
	v_mov_b32_e32 v111, v21
	;; [unrolled: 1-line block ×15, first 2 shown]
	ds_write2_b64 v116, v[110:111], v[120:121] offset0:44 offset1:45
	ds_write2_b64 v116, v[122:123], v[124:125] offset0:46 offset1:47
	;; [unrolled: 1-line block ×4, first 2 shown]
.LBB102_741:
	s_or_b32 exec_lo, exec_lo, s0
	s_mov_b32 s0, exec_lo
	s_waitcnt lgkmcnt(0)
	s_waitcnt_vscnt null, 0x0
	s_barrier
	buffer_gl0_inv
	v_cmpx_lt_i32_e32 43, v119
	s_cbranch_execz .LBB102_743
; %bb.742:
	v_mul_f64 v[18:19], v[0:1], v[18:19]
	ds_read2_b64 v[120:123], v116 offset0:44 offset1:45
	ds_read2_b64 v[124:127], v116 offset0:46 offset1:47
	;; [unrolled: 1-line block ×4, first 2 shown]
	s_waitcnt lgkmcnt(3)
	v_fma_f64 v[20:21], -v[18:19], v[120:121], v[20:21]
	v_fma_f64 v[16:17], -v[18:19], v[122:123], v[16:17]
	s_waitcnt lgkmcnt(2)
	v_fma_f64 v[14:15], -v[18:19], v[124:125], v[14:15]
	v_fma_f64 v[8:9], -v[18:19], v[126:127], v[8:9]
	;; [unrolled: 3-line block ×4, first 2 shown]
.LBB102_743:
	s_or_b32 exec_lo, exec_lo, s0
	v_lshl_add_u32 v0, v119, 3, v116
	s_barrier
	buffer_gl0_inv
	v_mov_b32_e32 v110, 44
	ds_write_b64 v0, v[20:21]
	s_waitcnt lgkmcnt(0)
	s_barrier
	buffer_gl0_inv
	ds_read_b64 v[0:1], v116 offset:352
	s_cmp_lt_i32 s7, 46
	s_cbranch_scc1 .LBB102_746
; %bb.744:
	v_add3_u32 v111, v117, 0, 0x168
	v_mov_b32_e32 v110, 44
	s_mov_b32 s0, 45
.LBB102_745:                            ; =>This Inner Loop Header: Depth=1
	ds_read_b64 v[120:121], v111
	v_add_nc_u32_e32 v111, 8, v111
	s_waitcnt lgkmcnt(0)
	v_cmp_lt_f64_e64 vcc_lo, |v[0:1]|, |v[120:121]|
	v_cndmask_b32_e32 v1, v1, v121, vcc_lo
	v_cndmask_b32_e32 v0, v0, v120, vcc_lo
	v_cndmask_b32_e64 v110, v110, s0, vcc_lo
	s_add_i32 s0, s0, 1
	s_cmp_lg_u32 s7, s0
	s_cbranch_scc1 .LBB102_745
.LBB102_746:
	s_mov_b32 s0, exec_lo
	s_waitcnt lgkmcnt(0)
	v_cmpx_eq_f64_e32 0, v[0:1]
	s_xor_b32 s0, exec_lo, s0
; %bb.747:
	v_cmp_ne_u32_e32 vcc_lo, 0, v113
	v_cndmask_b32_e32 v113, 45, v113, vcc_lo
; %bb.748:
	s_andn2_saveexec_b32 s0, s0
	s_cbranch_execz .LBB102_750
; %bb.749:
	v_div_scale_f64 v[111:112], null, v[0:1], v[0:1], 1.0
	v_rcp_f64_e32 v[120:121], v[111:112]
	v_fma_f64 v[122:123], -v[111:112], v[120:121], 1.0
	v_fma_f64 v[120:121], v[120:121], v[122:123], v[120:121]
	v_fma_f64 v[122:123], -v[111:112], v[120:121], 1.0
	v_fma_f64 v[120:121], v[120:121], v[122:123], v[120:121]
	v_div_scale_f64 v[122:123], vcc_lo, 1.0, v[0:1], 1.0
	v_mul_f64 v[124:125], v[122:123], v[120:121]
	v_fma_f64 v[111:112], -v[111:112], v[124:125], v[122:123]
	v_div_fmas_f64 v[111:112], v[111:112], v[120:121], v[124:125]
	v_div_fixup_f64 v[0:1], v[111:112], v[0:1], 1.0
.LBB102_750:
	s_or_b32 exec_lo, exec_lo, s0
	s_mov_b32 s0, exec_lo
	v_cmpx_ne_u32_e64 v119, v110
	s_xor_b32 s0, exec_lo, s0
	s_cbranch_execz .LBB102_756
; %bb.751:
	s_mov_b32 s1, exec_lo
	v_cmpx_eq_u32_e32 44, v119
	s_cbranch_execz .LBB102_755
; %bb.752:
	v_cmp_ne_u32_e32 vcc_lo, 44, v110
	s_xor_b32 s2, s6, -1
	s_and_b32 s3, s2, vcc_lo
	s_and_saveexec_b32 s2, s3
	s_cbranch_execz .LBB102_754
; %bb.753:
	v_ashrrev_i32_e32 v111, 31, v110
	v_lshlrev_b64 v[111:112], 2, v[110:111]
	v_add_co_u32 v111, vcc_lo, v4, v111
	v_add_co_ci_u32_e64 v112, null, v5, v112, vcc_lo
	s_clause 0x1
	global_load_dword v118, v[111:112], off
	global_load_dword v119, v[4:5], off offset:176
	s_waitcnt vmcnt(1)
	global_store_dword v[4:5], v118, off offset:176
	s_waitcnt vmcnt(0)
	global_store_dword v[111:112], v119, off
.LBB102_754:
	s_or_b32 exec_lo, exec_lo, s2
	v_mov_b32_e32 v118, v110
	v_mov_b32_e32 v119, v110
.LBB102_755:
	s_or_b32 exec_lo, exec_lo, s1
.LBB102_756:
	s_andn2_saveexec_b32 s0, s0
	s_cbranch_execz .LBB102_758
; %bb.757:
	v_mov_b32_e32 v119, 44
	ds_write2_b64 v116, v[16:17], v[14:15] offset0:45 offset1:46
	ds_write2_b64 v116, v[8:9], v[12:13] offset0:47 offset1:48
	ds_write2_b64 v116, v[6:7], v[10:11] offset0:49 offset1:50
	ds_write_b64 v116, v[108:109] offset:408
.LBB102_758:
	s_or_b32 exec_lo, exec_lo, s0
	s_mov_b32 s0, exec_lo
	s_waitcnt lgkmcnt(0)
	s_waitcnt_vscnt null, 0x0
	s_barrier
	buffer_gl0_inv
	v_cmpx_lt_i32_e32 44, v119
	s_cbranch_execz .LBB102_760
; %bb.759:
	v_mul_f64 v[20:21], v[0:1], v[20:21]
	ds_read2_b64 v[120:123], v116 offset0:45 offset1:46
	ds_read2_b64 v[124:127], v116 offset0:47 offset1:48
	;; [unrolled: 1-line block ×3, first 2 shown]
	ds_read_b64 v[0:1], v116 offset:408
	s_waitcnt lgkmcnt(3)
	v_fma_f64 v[16:17], -v[20:21], v[120:121], v[16:17]
	v_fma_f64 v[14:15], -v[20:21], v[122:123], v[14:15]
	s_waitcnt lgkmcnt(2)
	v_fma_f64 v[8:9], -v[20:21], v[124:125], v[8:9]
	v_fma_f64 v[12:13], -v[20:21], v[126:127], v[12:13]
	;; [unrolled: 3-line block ×3, first 2 shown]
	s_waitcnt lgkmcnt(0)
	v_fma_f64 v[108:109], -v[20:21], v[0:1], v[108:109]
.LBB102_760:
	s_or_b32 exec_lo, exec_lo, s0
	v_lshl_add_u32 v0, v119, 3, v116
	s_barrier
	buffer_gl0_inv
	v_mov_b32_e32 v110, 45
	ds_write_b64 v0, v[16:17]
	s_waitcnt lgkmcnt(0)
	s_barrier
	buffer_gl0_inv
	ds_read_b64 v[0:1], v116 offset:360
	s_cmp_lt_i32 s7, 47
	s_cbranch_scc1 .LBB102_763
; %bb.761:
	v_add3_u32 v111, v117, 0, 0x170
	v_mov_b32_e32 v110, 45
	s_mov_b32 s0, 46
.LBB102_762:                            ; =>This Inner Loop Header: Depth=1
	ds_read_b64 v[120:121], v111
	v_add_nc_u32_e32 v111, 8, v111
	s_waitcnt lgkmcnt(0)
	v_cmp_lt_f64_e64 vcc_lo, |v[0:1]|, |v[120:121]|
	v_cndmask_b32_e32 v1, v1, v121, vcc_lo
	v_cndmask_b32_e32 v0, v0, v120, vcc_lo
	v_cndmask_b32_e64 v110, v110, s0, vcc_lo
	s_add_i32 s0, s0, 1
	s_cmp_lg_u32 s7, s0
	s_cbranch_scc1 .LBB102_762
.LBB102_763:
	s_mov_b32 s0, exec_lo
	s_waitcnt lgkmcnt(0)
	v_cmpx_eq_f64_e32 0, v[0:1]
	s_xor_b32 s0, exec_lo, s0
; %bb.764:
	v_cmp_ne_u32_e32 vcc_lo, 0, v113
	v_cndmask_b32_e32 v113, 46, v113, vcc_lo
; %bb.765:
	s_andn2_saveexec_b32 s0, s0
	s_cbranch_execz .LBB102_767
; %bb.766:
	v_div_scale_f64 v[111:112], null, v[0:1], v[0:1], 1.0
	v_rcp_f64_e32 v[120:121], v[111:112]
	v_fma_f64 v[122:123], -v[111:112], v[120:121], 1.0
	v_fma_f64 v[120:121], v[120:121], v[122:123], v[120:121]
	v_fma_f64 v[122:123], -v[111:112], v[120:121], 1.0
	v_fma_f64 v[120:121], v[120:121], v[122:123], v[120:121]
	v_div_scale_f64 v[122:123], vcc_lo, 1.0, v[0:1], 1.0
	v_mul_f64 v[124:125], v[122:123], v[120:121]
	v_fma_f64 v[111:112], -v[111:112], v[124:125], v[122:123]
	v_div_fmas_f64 v[111:112], v[111:112], v[120:121], v[124:125]
	v_div_fixup_f64 v[0:1], v[111:112], v[0:1], 1.0
.LBB102_767:
	s_or_b32 exec_lo, exec_lo, s0
	s_mov_b32 s0, exec_lo
	v_cmpx_ne_u32_e64 v119, v110
	s_xor_b32 s0, exec_lo, s0
	s_cbranch_execz .LBB102_773
; %bb.768:
	s_mov_b32 s1, exec_lo
	v_cmpx_eq_u32_e32 45, v119
	s_cbranch_execz .LBB102_772
; %bb.769:
	v_cmp_ne_u32_e32 vcc_lo, 45, v110
	s_xor_b32 s2, s6, -1
	s_and_b32 s3, s2, vcc_lo
	s_and_saveexec_b32 s2, s3
	s_cbranch_execz .LBB102_771
; %bb.770:
	v_ashrrev_i32_e32 v111, 31, v110
	v_lshlrev_b64 v[111:112], 2, v[110:111]
	v_add_co_u32 v111, vcc_lo, v4, v111
	v_add_co_ci_u32_e64 v112, null, v5, v112, vcc_lo
	s_clause 0x1
	global_load_dword v118, v[111:112], off
	global_load_dword v119, v[4:5], off offset:180
	s_waitcnt vmcnt(1)
	global_store_dword v[4:5], v118, off offset:180
	s_waitcnt vmcnt(0)
	global_store_dword v[111:112], v119, off
.LBB102_771:
	s_or_b32 exec_lo, exec_lo, s2
	v_mov_b32_e32 v118, v110
	v_mov_b32_e32 v119, v110
.LBB102_772:
	s_or_b32 exec_lo, exec_lo, s1
.LBB102_773:
	s_andn2_saveexec_b32 s0, s0
	s_cbranch_execz .LBB102_775
; %bb.774:
	v_mov_b32_e32 v110, v14
	v_mov_b32_e32 v111, v15
	;; [unrolled: 1-line block ×11, first 2 shown]
	ds_write2_b64 v116, v[110:111], v[120:121] offset0:46 offset1:47
	ds_write2_b64 v116, v[122:123], v[124:125] offset0:48 offset1:49
	ds_write2_b64 v116, v[126:127], v[108:109] offset0:50 offset1:51
.LBB102_775:
	s_or_b32 exec_lo, exec_lo, s0
	s_mov_b32 s0, exec_lo
	s_waitcnt lgkmcnt(0)
	s_waitcnt_vscnt null, 0x0
	s_barrier
	buffer_gl0_inv
	v_cmpx_lt_i32_e32 45, v119
	s_cbranch_execz .LBB102_777
; %bb.776:
	v_mul_f64 v[16:17], v[0:1], v[16:17]
	ds_read2_b64 v[120:123], v116 offset0:46 offset1:47
	ds_read2_b64 v[124:127], v116 offset0:48 offset1:49
	;; [unrolled: 1-line block ×3, first 2 shown]
	s_waitcnt lgkmcnt(2)
	v_fma_f64 v[14:15], -v[16:17], v[120:121], v[14:15]
	v_fma_f64 v[8:9], -v[16:17], v[122:123], v[8:9]
	s_waitcnt lgkmcnt(1)
	v_fma_f64 v[12:13], -v[16:17], v[124:125], v[12:13]
	v_fma_f64 v[6:7], -v[16:17], v[126:127], v[6:7]
	;; [unrolled: 3-line block ×3, first 2 shown]
.LBB102_777:
	s_or_b32 exec_lo, exec_lo, s0
	v_lshl_add_u32 v0, v119, 3, v116
	s_barrier
	buffer_gl0_inv
	v_mov_b32_e32 v110, 46
	ds_write_b64 v0, v[14:15]
	s_waitcnt lgkmcnt(0)
	s_barrier
	buffer_gl0_inv
	ds_read_b64 v[0:1], v116 offset:368
	s_cmp_lt_i32 s7, 48
	s_cbranch_scc1 .LBB102_780
; %bb.778:
	v_add3_u32 v111, v117, 0, 0x178
	v_mov_b32_e32 v110, 46
	s_mov_b32 s0, 47
.LBB102_779:                            ; =>This Inner Loop Header: Depth=1
	ds_read_b64 v[120:121], v111
	v_add_nc_u32_e32 v111, 8, v111
	s_waitcnt lgkmcnt(0)
	v_cmp_lt_f64_e64 vcc_lo, |v[0:1]|, |v[120:121]|
	v_cndmask_b32_e32 v1, v1, v121, vcc_lo
	v_cndmask_b32_e32 v0, v0, v120, vcc_lo
	v_cndmask_b32_e64 v110, v110, s0, vcc_lo
	s_add_i32 s0, s0, 1
	s_cmp_lg_u32 s7, s0
	s_cbranch_scc1 .LBB102_779
.LBB102_780:
	s_mov_b32 s0, exec_lo
	s_waitcnt lgkmcnt(0)
	v_cmpx_eq_f64_e32 0, v[0:1]
	s_xor_b32 s0, exec_lo, s0
; %bb.781:
	v_cmp_ne_u32_e32 vcc_lo, 0, v113
	v_cndmask_b32_e32 v113, 47, v113, vcc_lo
; %bb.782:
	s_andn2_saveexec_b32 s0, s0
	s_cbranch_execz .LBB102_784
; %bb.783:
	v_div_scale_f64 v[111:112], null, v[0:1], v[0:1], 1.0
	v_rcp_f64_e32 v[120:121], v[111:112]
	v_fma_f64 v[122:123], -v[111:112], v[120:121], 1.0
	v_fma_f64 v[120:121], v[120:121], v[122:123], v[120:121]
	v_fma_f64 v[122:123], -v[111:112], v[120:121], 1.0
	v_fma_f64 v[120:121], v[120:121], v[122:123], v[120:121]
	v_div_scale_f64 v[122:123], vcc_lo, 1.0, v[0:1], 1.0
	v_mul_f64 v[124:125], v[122:123], v[120:121]
	v_fma_f64 v[111:112], -v[111:112], v[124:125], v[122:123]
	v_div_fmas_f64 v[111:112], v[111:112], v[120:121], v[124:125]
	v_div_fixup_f64 v[0:1], v[111:112], v[0:1], 1.0
.LBB102_784:
	s_or_b32 exec_lo, exec_lo, s0
	s_mov_b32 s0, exec_lo
	v_cmpx_ne_u32_e64 v119, v110
	s_xor_b32 s0, exec_lo, s0
	s_cbranch_execz .LBB102_790
; %bb.785:
	s_mov_b32 s1, exec_lo
	v_cmpx_eq_u32_e32 46, v119
	s_cbranch_execz .LBB102_789
; %bb.786:
	v_cmp_ne_u32_e32 vcc_lo, 46, v110
	s_xor_b32 s2, s6, -1
	s_and_b32 s3, s2, vcc_lo
	s_and_saveexec_b32 s2, s3
	s_cbranch_execz .LBB102_788
; %bb.787:
	v_ashrrev_i32_e32 v111, 31, v110
	v_lshlrev_b64 v[111:112], 2, v[110:111]
	v_add_co_u32 v111, vcc_lo, v4, v111
	v_add_co_ci_u32_e64 v112, null, v5, v112, vcc_lo
	s_clause 0x1
	global_load_dword v118, v[111:112], off
	global_load_dword v119, v[4:5], off offset:184
	s_waitcnt vmcnt(1)
	global_store_dword v[4:5], v118, off offset:184
	s_waitcnt vmcnt(0)
	global_store_dword v[111:112], v119, off
.LBB102_788:
	s_or_b32 exec_lo, exec_lo, s2
	v_mov_b32_e32 v118, v110
	v_mov_b32_e32 v119, v110
.LBB102_789:
	s_or_b32 exec_lo, exec_lo, s1
.LBB102_790:
	s_andn2_saveexec_b32 s0, s0
	s_cbranch_execz .LBB102_792
; %bb.791:
	v_mov_b32_e32 v119, 46
	ds_write2_b64 v116, v[8:9], v[12:13] offset0:47 offset1:48
	ds_write2_b64 v116, v[6:7], v[10:11] offset0:49 offset1:50
	ds_write_b64 v116, v[108:109] offset:408
.LBB102_792:
	s_or_b32 exec_lo, exec_lo, s0
	s_mov_b32 s0, exec_lo
	s_waitcnt lgkmcnt(0)
	s_waitcnt_vscnt null, 0x0
	s_barrier
	buffer_gl0_inv
	v_cmpx_lt_i32_e32 46, v119
	s_cbranch_execz .LBB102_794
; %bb.793:
	v_mul_f64 v[14:15], v[0:1], v[14:15]
	ds_read2_b64 v[120:123], v116 offset0:47 offset1:48
	ds_read2_b64 v[124:127], v116 offset0:49 offset1:50
	ds_read_b64 v[0:1], v116 offset:408
	s_waitcnt lgkmcnt(2)
	v_fma_f64 v[8:9], -v[14:15], v[120:121], v[8:9]
	v_fma_f64 v[12:13], -v[14:15], v[122:123], v[12:13]
	s_waitcnt lgkmcnt(1)
	v_fma_f64 v[6:7], -v[14:15], v[124:125], v[6:7]
	v_fma_f64 v[10:11], -v[14:15], v[126:127], v[10:11]
	s_waitcnt lgkmcnt(0)
	v_fma_f64 v[108:109], -v[14:15], v[0:1], v[108:109]
.LBB102_794:
	s_or_b32 exec_lo, exec_lo, s0
	v_lshl_add_u32 v0, v119, 3, v116
	s_barrier
	buffer_gl0_inv
	v_mov_b32_e32 v110, 47
	ds_write_b64 v0, v[8:9]
	s_waitcnt lgkmcnt(0)
	s_barrier
	buffer_gl0_inv
	ds_read_b64 v[0:1], v116 offset:376
	s_cmp_lt_i32 s7, 49
	s_cbranch_scc1 .LBB102_797
; %bb.795:
	v_add3_u32 v111, v117, 0, 0x180
	v_mov_b32_e32 v110, 47
	s_mov_b32 s0, 48
.LBB102_796:                            ; =>This Inner Loop Header: Depth=1
	ds_read_b64 v[120:121], v111
	v_add_nc_u32_e32 v111, 8, v111
	s_waitcnt lgkmcnt(0)
	v_cmp_lt_f64_e64 vcc_lo, |v[0:1]|, |v[120:121]|
	v_cndmask_b32_e32 v1, v1, v121, vcc_lo
	v_cndmask_b32_e32 v0, v0, v120, vcc_lo
	v_cndmask_b32_e64 v110, v110, s0, vcc_lo
	s_add_i32 s0, s0, 1
	s_cmp_lg_u32 s7, s0
	s_cbranch_scc1 .LBB102_796
.LBB102_797:
	s_mov_b32 s0, exec_lo
	s_waitcnt lgkmcnt(0)
	v_cmpx_eq_f64_e32 0, v[0:1]
	s_xor_b32 s0, exec_lo, s0
; %bb.798:
	v_cmp_ne_u32_e32 vcc_lo, 0, v113
	v_cndmask_b32_e32 v113, 48, v113, vcc_lo
; %bb.799:
	s_andn2_saveexec_b32 s0, s0
	s_cbranch_execz .LBB102_801
; %bb.800:
	v_div_scale_f64 v[111:112], null, v[0:1], v[0:1], 1.0
	v_rcp_f64_e32 v[120:121], v[111:112]
	v_fma_f64 v[122:123], -v[111:112], v[120:121], 1.0
	v_fma_f64 v[120:121], v[120:121], v[122:123], v[120:121]
	v_fma_f64 v[122:123], -v[111:112], v[120:121], 1.0
	v_fma_f64 v[120:121], v[120:121], v[122:123], v[120:121]
	v_div_scale_f64 v[122:123], vcc_lo, 1.0, v[0:1], 1.0
	v_mul_f64 v[124:125], v[122:123], v[120:121]
	v_fma_f64 v[111:112], -v[111:112], v[124:125], v[122:123]
	v_div_fmas_f64 v[111:112], v[111:112], v[120:121], v[124:125]
	v_div_fixup_f64 v[0:1], v[111:112], v[0:1], 1.0
.LBB102_801:
	s_or_b32 exec_lo, exec_lo, s0
	s_mov_b32 s0, exec_lo
	v_cmpx_ne_u32_e64 v119, v110
	s_xor_b32 s0, exec_lo, s0
	s_cbranch_execz .LBB102_807
; %bb.802:
	s_mov_b32 s1, exec_lo
	v_cmpx_eq_u32_e32 47, v119
	s_cbranch_execz .LBB102_806
; %bb.803:
	v_cmp_ne_u32_e32 vcc_lo, 47, v110
	s_xor_b32 s2, s6, -1
	s_and_b32 s3, s2, vcc_lo
	s_and_saveexec_b32 s2, s3
	s_cbranch_execz .LBB102_805
; %bb.804:
	v_ashrrev_i32_e32 v111, 31, v110
	v_lshlrev_b64 v[111:112], 2, v[110:111]
	v_add_co_u32 v111, vcc_lo, v4, v111
	v_add_co_ci_u32_e64 v112, null, v5, v112, vcc_lo
	s_clause 0x1
	global_load_dword v118, v[111:112], off
	global_load_dword v119, v[4:5], off offset:188
	s_waitcnt vmcnt(1)
	global_store_dword v[4:5], v118, off offset:188
	s_waitcnt vmcnt(0)
	global_store_dword v[111:112], v119, off
.LBB102_805:
	s_or_b32 exec_lo, exec_lo, s2
	v_mov_b32_e32 v118, v110
	v_mov_b32_e32 v119, v110
.LBB102_806:
	s_or_b32 exec_lo, exec_lo, s1
.LBB102_807:
	s_andn2_saveexec_b32 s0, s0
	s_cbranch_execz .LBB102_809
; %bb.808:
	v_mov_b32_e32 v110, v12
	v_mov_b32_e32 v111, v13
	;; [unrolled: 1-line block ×7, first 2 shown]
	ds_write2_b64 v116, v[110:111], v[120:121] offset0:48 offset1:49
	ds_write2_b64 v116, v[122:123], v[108:109] offset0:50 offset1:51
.LBB102_809:
	s_or_b32 exec_lo, exec_lo, s0
	s_mov_b32 s0, exec_lo
	s_waitcnt lgkmcnt(0)
	s_waitcnt_vscnt null, 0x0
	s_barrier
	buffer_gl0_inv
	v_cmpx_lt_i32_e32 47, v119
	s_cbranch_execz .LBB102_811
; %bb.810:
	v_mul_f64 v[8:9], v[0:1], v[8:9]
	ds_read2_b64 v[120:123], v116 offset0:48 offset1:49
	ds_read2_b64 v[124:127], v116 offset0:50 offset1:51
	s_waitcnt lgkmcnt(1)
	v_fma_f64 v[12:13], -v[8:9], v[120:121], v[12:13]
	v_fma_f64 v[6:7], -v[8:9], v[122:123], v[6:7]
	s_waitcnt lgkmcnt(0)
	v_fma_f64 v[10:11], -v[8:9], v[124:125], v[10:11]
	v_fma_f64 v[108:109], -v[8:9], v[126:127], v[108:109]
.LBB102_811:
	s_or_b32 exec_lo, exec_lo, s0
	v_lshl_add_u32 v0, v119, 3, v116
	s_barrier
	buffer_gl0_inv
	v_mov_b32_e32 v110, 48
	ds_write_b64 v0, v[12:13]
	s_waitcnt lgkmcnt(0)
	s_barrier
	buffer_gl0_inv
	ds_read_b64 v[0:1], v116 offset:384
	s_cmp_lt_i32 s7, 50
	s_cbranch_scc1 .LBB102_814
; %bb.812:
	v_add3_u32 v111, v117, 0, 0x188
	v_mov_b32_e32 v110, 48
	s_mov_b32 s0, 49
.LBB102_813:                            ; =>This Inner Loop Header: Depth=1
	ds_read_b64 v[120:121], v111
	v_add_nc_u32_e32 v111, 8, v111
	s_waitcnt lgkmcnt(0)
	v_cmp_lt_f64_e64 vcc_lo, |v[0:1]|, |v[120:121]|
	v_cndmask_b32_e32 v1, v1, v121, vcc_lo
	v_cndmask_b32_e32 v0, v0, v120, vcc_lo
	v_cndmask_b32_e64 v110, v110, s0, vcc_lo
	s_add_i32 s0, s0, 1
	s_cmp_lg_u32 s7, s0
	s_cbranch_scc1 .LBB102_813
.LBB102_814:
	s_mov_b32 s0, exec_lo
	s_waitcnt lgkmcnt(0)
	v_cmpx_eq_f64_e32 0, v[0:1]
	s_xor_b32 s0, exec_lo, s0
; %bb.815:
	v_cmp_ne_u32_e32 vcc_lo, 0, v113
	v_cndmask_b32_e32 v113, 49, v113, vcc_lo
; %bb.816:
	s_andn2_saveexec_b32 s0, s0
	s_cbranch_execz .LBB102_818
; %bb.817:
	v_div_scale_f64 v[111:112], null, v[0:1], v[0:1], 1.0
	v_rcp_f64_e32 v[120:121], v[111:112]
	v_fma_f64 v[122:123], -v[111:112], v[120:121], 1.0
	v_fma_f64 v[120:121], v[120:121], v[122:123], v[120:121]
	v_fma_f64 v[122:123], -v[111:112], v[120:121], 1.0
	v_fma_f64 v[120:121], v[120:121], v[122:123], v[120:121]
	v_div_scale_f64 v[122:123], vcc_lo, 1.0, v[0:1], 1.0
	v_mul_f64 v[124:125], v[122:123], v[120:121]
	v_fma_f64 v[111:112], -v[111:112], v[124:125], v[122:123]
	v_div_fmas_f64 v[111:112], v[111:112], v[120:121], v[124:125]
	v_div_fixup_f64 v[0:1], v[111:112], v[0:1], 1.0
.LBB102_818:
	s_or_b32 exec_lo, exec_lo, s0
	s_mov_b32 s0, exec_lo
	v_cmpx_ne_u32_e64 v119, v110
	s_xor_b32 s0, exec_lo, s0
	s_cbranch_execz .LBB102_824
; %bb.819:
	s_mov_b32 s1, exec_lo
	v_cmpx_eq_u32_e32 48, v119
	s_cbranch_execz .LBB102_823
; %bb.820:
	v_cmp_ne_u32_e32 vcc_lo, 48, v110
	s_xor_b32 s2, s6, -1
	s_and_b32 s3, s2, vcc_lo
	s_and_saveexec_b32 s2, s3
	s_cbranch_execz .LBB102_822
; %bb.821:
	v_ashrrev_i32_e32 v111, 31, v110
	v_lshlrev_b64 v[111:112], 2, v[110:111]
	v_add_co_u32 v111, vcc_lo, v4, v111
	v_add_co_ci_u32_e64 v112, null, v5, v112, vcc_lo
	s_clause 0x1
	global_load_dword v118, v[111:112], off
	global_load_dword v119, v[4:5], off offset:192
	s_waitcnt vmcnt(1)
	global_store_dword v[4:5], v118, off offset:192
	s_waitcnt vmcnt(0)
	global_store_dword v[111:112], v119, off
.LBB102_822:
	s_or_b32 exec_lo, exec_lo, s2
	v_mov_b32_e32 v118, v110
	v_mov_b32_e32 v119, v110
.LBB102_823:
	s_or_b32 exec_lo, exec_lo, s1
.LBB102_824:
	s_andn2_saveexec_b32 s0, s0
	s_cbranch_execz .LBB102_826
; %bb.825:
	v_mov_b32_e32 v119, 48
	ds_write2_b64 v116, v[6:7], v[10:11] offset0:49 offset1:50
	ds_write_b64 v116, v[108:109] offset:408
.LBB102_826:
	s_or_b32 exec_lo, exec_lo, s0
	s_mov_b32 s0, exec_lo
	s_waitcnt lgkmcnt(0)
	s_waitcnt_vscnt null, 0x0
	s_barrier
	buffer_gl0_inv
	v_cmpx_lt_i32_e32 48, v119
	s_cbranch_execz .LBB102_828
; %bb.827:
	v_mul_f64 v[12:13], v[0:1], v[12:13]
	ds_read2_b64 v[120:123], v116 offset0:49 offset1:50
	ds_read_b64 v[0:1], v116 offset:408
	s_waitcnt lgkmcnt(1)
	v_fma_f64 v[6:7], -v[12:13], v[120:121], v[6:7]
	v_fma_f64 v[10:11], -v[12:13], v[122:123], v[10:11]
	s_waitcnt lgkmcnt(0)
	v_fma_f64 v[108:109], -v[12:13], v[0:1], v[108:109]
.LBB102_828:
	s_or_b32 exec_lo, exec_lo, s0
	v_lshl_add_u32 v0, v119, 3, v116
	s_barrier
	buffer_gl0_inv
	v_mov_b32_e32 v110, 49
	ds_write_b64 v0, v[6:7]
	s_waitcnt lgkmcnt(0)
	s_barrier
	buffer_gl0_inv
	ds_read_b64 v[0:1], v116 offset:392
	s_cmp_lt_i32 s7, 51
	s_cbranch_scc1 .LBB102_831
; %bb.829:
	v_add3_u32 v111, v117, 0, 0x190
	v_mov_b32_e32 v110, 49
	s_mov_b32 s0, 50
.LBB102_830:                            ; =>This Inner Loop Header: Depth=1
	ds_read_b64 v[120:121], v111
	v_add_nc_u32_e32 v111, 8, v111
	s_waitcnt lgkmcnt(0)
	v_cmp_lt_f64_e64 vcc_lo, |v[0:1]|, |v[120:121]|
	v_cndmask_b32_e32 v1, v1, v121, vcc_lo
	v_cndmask_b32_e32 v0, v0, v120, vcc_lo
	v_cndmask_b32_e64 v110, v110, s0, vcc_lo
	s_add_i32 s0, s0, 1
	s_cmp_lg_u32 s7, s0
	s_cbranch_scc1 .LBB102_830
.LBB102_831:
	s_mov_b32 s0, exec_lo
	s_waitcnt lgkmcnt(0)
	v_cmpx_eq_f64_e32 0, v[0:1]
	s_xor_b32 s0, exec_lo, s0
; %bb.832:
	v_cmp_ne_u32_e32 vcc_lo, 0, v113
	v_cndmask_b32_e32 v113, 50, v113, vcc_lo
; %bb.833:
	s_andn2_saveexec_b32 s0, s0
	s_cbranch_execz .LBB102_835
; %bb.834:
	v_div_scale_f64 v[111:112], null, v[0:1], v[0:1], 1.0
	v_rcp_f64_e32 v[120:121], v[111:112]
	v_fma_f64 v[122:123], -v[111:112], v[120:121], 1.0
	v_fma_f64 v[120:121], v[120:121], v[122:123], v[120:121]
	v_fma_f64 v[122:123], -v[111:112], v[120:121], 1.0
	v_fma_f64 v[120:121], v[120:121], v[122:123], v[120:121]
	v_div_scale_f64 v[122:123], vcc_lo, 1.0, v[0:1], 1.0
	v_mul_f64 v[124:125], v[122:123], v[120:121]
	v_fma_f64 v[111:112], -v[111:112], v[124:125], v[122:123]
	v_div_fmas_f64 v[111:112], v[111:112], v[120:121], v[124:125]
	v_div_fixup_f64 v[0:1], v[111:112], v[0:1], 1.0
.LBB102_835:
	s_or_b32 exec_lo, exec_lo, s0
	s_mov_b32 s0, exec_lo
	v_cmpx_ne_u32_e64 v119, v110
	s_xor_b32 s0, exec_lo, s0
	s_cbranch_execz .LBB102_841
; %bb.836:
	s_mov_b32 s1, exec_lo
	v_cmpx_eq_u32_e32 49, v119
	s_cbranch_execz .LBB102_840
; %bb.837:
	v_cmp_ne_u32_e32 vcc_lo, 49, v110
	s_xor_b32 s2, s6, -1
	s_and_b32 s3, s2, vcc_lo
	s_and_saveexec_b32 s2, s3
	s_cbranch_execz .LBB102_839
; %bb.838:
	v_ashrrev_i32_e32 v111, 31, v110
	v_lshlrev_b64 v[111:112], 2, v[110:111]
	v_add_co_u32 v111, vcc_lo, v4, v111
	v_add_co_ci_u32_e64 v112, null, v5, v112, vcc_lo
	s_clause 0x1
	global_load_dword v118, v[111:112], off
	global_load_dword v119, v[4:5], off offset:196
	s_waitcnt vmcnt(1)
	global_store_dword v[4:5], v118, off offset:196
	s_waitcnt vmcnt(0)
	global_store_dword v[111:112], v119, off
.LBB102_839:
	s_or_b32 exec_lo, exec_lo, s2
	v_mov_b32_e32 v118, v110
	v_mov_b32_e32 v119, v110
.LBB102_840:
	s_or_b32 exec_lo, exec_lo, s1
.LBB102_841:
	s_andn2_saveexec_b32 s0, s0
	s_cbranch_execz .LBB102_843
; %bb.842:
	v_mov_b32_e32 v110, v10
	v_mov_b32_e32 v111, v11
	;; [unrolled: 1-line block ×3, first 2 shown]
	ds_write2_b64 v116, v[110:111], v[108:109] offset0:50 offset1:51
.LBB102_843:
	s_or_b32 exec_lo, exec_lo, s0
	s_mov_b32 s0, exec_lo
	s_waitcnt lgkmcnt(0)
	s_waitcnt_vscnt null, 0x0
	s_barrier
	buffer_gl0_inv
	v_cmpx_lt_i32_e32 49, v119
	s_cbranch_execz .LBB102_845
; %bb.844:
	v_mul_f64 v[6:7], v[0:1], v[6:7]
	ds_read2_b64 v[120:123], v116 offset0:50 offset1:51
	s_waitcnt lgkmcnt(0)
	v_fma_f64 v[10:11], -v[6:7], v[120:121], v[10:11]
	v_fma_f64 v[108:109], -v[6:7], v[122:123], v[108:109]
.LBB102_845:
	s_or_b32 exec_lo, exec_lo, s0
	v_lshl_add_u32 v0, v119, 3, v116
	s_barrier
	buffer_gl0_inv
	v_mov_b32_e32 v110, 50
	ds_write_b64 v0, v[10:11]
	s_waitcnt lgkmcnt(0)
	s_barrier
	buffer_gl0_inv
	ds_read_b64 v[0:1], v116 offset:400
	s_cmp_lt_i32 s7, 52
	s_cbranch_scc1 .LBB102_848
; %bb.846:
	v_add3_u32 v111, v117, 0, 0x198
	v_mov_b32_e32 v110, 50
	s_mov_b32 s0, 51
.LBB102_847:                            ; =>This Inner Loop Header: Depth=1
	ds_read_b64 v[120:121], v111
	v_add_nc_u32_e32 v111, 8, v111
	s_waitcnt lgkmcnt(0)
	v_cmp_lt_f64_e64 vcc_lo, |v[0:1]|, |v[120:121]|
	v_cndmask_b32_e32 v1, v1, v121, vcc_lo
	v_cndmask_b32_e32 v0, v0, v120, vcc_lo
	v_cndmask_b32_e64 v110, v110, s0, vcc_lo
	s_add_i32 s0, s0, 1
	s_cmp_lg_u32 s7, s0
	s_cbranch_scc1 .LBB102_847
.LBB102_848:
	s_mov_b32 s0, exec_lo
	s_waitcnt lgkmcnt(0)
	v_cmpx_eq_f64_e32 0, v[0:1]
	s_xor_b32 s0, exec_lo, s0
; %bb.849:
	v_cmp_ne_u32_e32 vcc_lo, 0, v113
	v_cndmask_b32_e32 v113, 51, v113, vcc_lo
; %bb.850:
	s_andn2_saveexec_b32 s0, s0
	s_cbranch_execz .LBB102_852
; %bb.851:
	v_div_scale_f64 v[111:112], null, v[0:1], v[0:1], 1.0
	v_rcp_f64_e32 v[120:121], v[111:112]
	v_fma_f64 v[122:123], -v[111:112], v[120:121], 1.0
	v_fma_f64 v[120:121], v[120:121], v[122:123], v[120:121]
	v_fma_f64 v[122:123], -v[111:112], v[120:121], 1.0
	v_fma_f64 v[120:121], v[120:121], v[122:123], v[120:121]
	v_div_scale_f64 v[122:123], vcc_lo, 1.0, v[0:1], 1.0
	v_mul_f64 v[124:125], v[122:123], v[120:121]
	v_fma_f64 v[111:112], -v[111:112], v[124:125], v[122:123]
	v_div_fmas_f64 v[111:112], v[111:112], v[120:121], v[124:125]
	v_div_fixup_f64 v[0:1], v[111:112], v[0:1], 1.0
.LBB102_852:
	s_or_b32 exec_lo, exec_lo, s0
	s_mov_b32 s0, exec_lo
	v_cmpx_ne_u32_e64 v119, v110
	s_xor_b32 s0, exec_lo, s0
	s_cbranch_execz .LBB102_858
; %bb.853:
	s_mov_b32 s1, exec_lo
	v_cmpx_eq_u32_e32 50, v119
	s_cbranch_execz .LBB102_857
; %bb.854:
	v_cmp_ne_u32_e32 vcc_lo, 50, v110
	s_xor_b32 s2, s6, -1
	s_and_b32 s3, s2, vcc_lo
	s_and_saveexec_b32 s2, s3
	s_cbranch_execz .LBB102_856
; %bb.855:
	v_ashrrev_i32_e32 v111, 31, v110
	v_lshlrev_b64 v[111:112], 2, v[110:111]
	v_add_co_u32 v111, vcc_lo, v4, v111
	v_add_co_ci_u32_e64 v112, null, v5, v112, vcc_lo
	s_clause 0x1
	global_load_dword v118, v[111:112], off
	global_load_dword v119, v[4:5], off offset:200
	s_waitcnt vmcnt(1)
	global_store_dword v[4:5], v118, off offset:200
	s_waitcnt vmcnt(0)
	global_store_dword v[111:112], v119, off
.LBB102_856:
	s_or_b32 exec_lo, exec_lo, s2
	v_mov_b32_e32 v118, v110
	v_mov_b32_e32 v119, v110
.LBB102_857:
	s_or_b32 exec_lo, exec_lo, s1
.LBB102_858:
	s_andn2_saveexec_b32 s0, s0
; %bb.859:
	v_mov_b32_e32 v119, 50
	ds_write_b64 v116, v[108:109] offset:408
; %bb.860:
	s_or_b32 exec_lo, exec_lo, s0
	s_mov_b32 s0, exec_lo
	s_waitcnt lgkmcnt(0)
	s_waitcnt_vscnt null, 0x0
	s_barrier
	buffer_gl0_inv
	v_cmpx_lt_i32_e32 50, v119
	s_cbranch_execz .LBB102_862
; %bb.861:
	v_mul_f64 v[10:11], v[0:1], v[10:11]
	ds_read_b64 v[0:1], v116 offset:408
	s_waitcnt lgkmcnt(0)
	v_fma_f64 v[108:109], -v[10:11], v[0:1], v[108:109]
.LBB102_862:
	s_or_b32 exec_lo, exec_lo, s0
	v_lshl_add_u32 v0, v119, 3, v116
	s_barrier
	buffer_gl0_inv
	v_mov_b32_e32 v110, 51
	ds_write_b64 v0, v[108:109]
	s_waitcnt lgkmcnt(0)
	s_barrier
	buffer_gl0_inv
	ds_read_b64 v[0:1], v116 offset:408
	s_cmp_lt_i32 s7, 53
	s_cbranch_scc1 .LBB102_865
; %bb.863:
	v_add3_u32 v111, v117, 0, 0x1a0
	v_mov_b32_e32 v110, 51
	s_mov_b32 s0, 52
.LBB102_864:                            ; =>This Inner Loop Header: Depth=1
	ds_read_b64 v[116:117], v111
	v_add_nc_u32_e32 v111, 8, v111
	s_waitcnt lgkmcnt(0)
	v_cmp_lt_f64_e64 vcc_lo, |v[0:1]|, |v[116:117]|
	v_cndmask_b32_e32 v1, v1, v117, vcc_lo
	v_cndmask_b32_e32 v0, v0, v116, vcc_lo
	v_cndmask_b32_e64 v110, v110, s0, vcc_lo
	s_add_i32 s0, s0, 1
	s_cmp_lg_u32 s7, s0
	s_cbranch_scc1 .LBB102_864
.LBB102_865:
	s_mov_b32 s0, exec_lo
	s_waitcnt lgkmcnt(0)
	v_cmpx_eq_f64_e32 0, v[0:1]
	s_xor_b32 s0, exec_lo, s0
; %bb.866:
	v_cmp_ne_u32_e32 vcc_lo, 0, v113
	v_cndmask_b32_e32 v113, 52, v113, vcc_lo
; %bb.867:
	s_andn2_saveexec_b32 s0, s0
	s_cbranch_execz .LBB102_869
; %bb.868:
	v_div_scale_f64 v[111:112], null, v[0:1], v[0:1], 1.0
	v_rcp_f64_e32 v[116:117], v[111:112]
	v_fma_f64 v[120:121], -v[111:112], v[116:117], 1.0
	v_fma_f64 v[116:117], v[116:117], v[120:121], v[116:117]
	v_fma_f64 v[120:121], -v[111:112], v[116:117], 1.0
	v_fma_f64 v[116:117], v[116:117], v[120:121], v[116:117]
	v_div_scale_f64 v[120:121], vcc_lo, 1.0, v[0:1], 1.0
	v_mul_f64 v[122:123], v[120:121], v[116:117]
	v_fma_f64 v[111:112], -v[111:112], v[122:123], v[120:121]
	v_div_fmas_f64 v[111:112], v[111:112], v[116:117], v[122:123]
	v_div_fixup_f64 v[0:1], v[111:112], v[0:1], 1.0
.LBB102_869:
	s_or_b32 exec_lo, exec_lo, s0
	v_mov_b32_e32 v111, 51
	s_mov_b32 s0, exec_lo
	v_cmpx_ne_u32_e64 v119, v110
	s_cbranch_execz .LBB102_875
; %bb.870:
	s_mov_b32 s1, exec_lo
	v_cmpx_eq_u32_e32 51, v119
	s_cbranch_execz .LBB102_874
; %bb.871:
	v_cmp_ne_u32_e32 vcc_lo, 51, v110
	s_xor_b32 s2, s6, -1
	s_and_b32 s3, s2, vcc_lo
	s_and_saveexec_b32 s2, s3
	s_cbranch_execz .LBB102_873
; %bb.872:
	v_ashrrev_i32_e32 v111, 31, v110
	v_lshlrev_b64 v[111:112], 2, v[110:111]
	v_add_co_u32 v111, vcc_lo, v4, v111
	v_add_co_ci_u32_e64 v112, null, v5, v112, vcc_lo
	s_clause 0x1
	global_load_dword v116, v[111:112], off
	global_load_dword v117, v[4:5], off offset:204
	s_waitcnt vmcnt(1)
	global_store_dword v[4:5], v116, off offset:204
	s_waitcnt vmcnt(0)
	global_store_dword v[111:112], v117, off
.LBB102_873:
	s_or_b32 exec_lo, exec_lo, s2
	v_mov_b32_e32 v118, v110
	v_mov_b32_e32 v119, v110
.LBB102_874:
	s_or_b32 exec_lo, exec_lo, s1
	v_mov_b32_e32 v111, v119
.LBB102_875:
	s_or_b32 exec_lo, exec_lo, s0
	s_load_dwordx8 s[0:7], s[4:5], 0x28
	v_ashrrev_i32_e32 v112, 31, v111
	s_mov_b32 s9, exec_lo
	s_waitcnt lgkmcnt(0)
	s_waitcnt_vscnt null, 0x0
	s_barrier
	buffer_gl0_inv
	s_barrier
	buffer_gl0_inv
	v_cmpx_gt_i32_e32 52, v111
	s_cbranch_execz .LBB102_877
; %bb.876:
	v_mul_lo_u32 v110, s5, v2
	v_mul_lo_u32 v116, s4, v3
	v_mad_u64_u32 v[4:5], null, s4, v2, 0
	s_lshl_b64 s[2:3], s[2:3], 2
	v_add3_u32 v5, v5, v116, v110
	v_lshlrev_b64 v[4:5], 2, v[4:5]
	v_add_co_u32 v110, vcc_lo, s0, v4
	v_add_co_ci_u32_e64 v116, null, s1, v5, vcc_lo
	v_lshlrev_b64 v[4:5], 2, v[111:112]
	v_add_co_u32 v110, vcc_lo, v110, s2
	v_add_co_ci_u32_e64 v116, null, s3, v116, vcc_lo
	v_add_co_u32 v4, vcc_lo, v110, v4
	v_add_co_ci_u32_e64 v5, null, v116, v5, vcc_lo
	v_add3_u32 v110, v118, s13, 1
	global_store_dword v[4:5], v110, off
.LBB102_877:
	s_or_b32 exec_lo, exec_lo, s9
	s_mov_b32 s1, exec_lo
	v_cmpx_eq_u32_e32 0, v111
	s_cbranch_execz .LBB102_880
; %bb.878:
	v_lshlrev_b64 v[2:3], 2, v[2:3]
	v_cmp_ne_u32_e64 s0, 0, v113
	v_add_co_u32 v2, vcc_lo, s6, v2
	v_add_co_ci_u32_e64 v3, null, s7, v3, vcc_lo
	global_load_dword v4, v[2:3], off
	s_waitcnt vmcnt(0)
	v_cmp_eq_u32_e32 vcc_lo, 0, v4
	s_and_b32 s0, vcc_lo, s0
	s_and_b32 exec_lo, exec_lo, s0
	s_cbranch_execz .LBB102_880
; %bb.879:
	v_add_nc_u32_e32 v4, s13, v113
	global_store_dword v[2:3], v4, off
.LBB102_880:
	s_or_b32 exec_lo, exec_lo, s1
	v_mul_f64 v[0:1], v[0:1], v[108:109]
	v_add3_u32 v2, s8, s8, v111
	v_lshlrev_b64 v[4:5], 3, v[111:112]
	v_cmp_lt_i32_e32 vcc_lo, 51, v111
	v_add_nc_u32_e32 v110, s8, v2
	v_ashrrev_i32_e32 v3, 31, v2
	v_add_co_u32 v4, s0, v114, v4
	v_add_co_ci_u32_e64 v5, null, v115, v5, s0
	v_add_nc_u32_e32 v112, s8, v110
	v_ashrrev_i32_e32 v111, 31, v110
	v_add_co_u32 v116, s0, v4, s10
	v_add_co_ci_u32_e64 v117, null, s11, v5, s0
	v_ashrrev_i32_e32 v113, 31, v112
	v_lshlrev_b64 v[2:3], 3, v[2:3]
	flat_store_dwordx2 v[4:5], v[106:107]
	v_lshlrev_b64 v[4:5], 3, v[110:111]
	flat_store_dwordx2 v[116:117], v[104:105]
	v_lshlrev_b64 v[104:105], 3, v[112:113]
	v_cndmask_b32_e32 v1, v109, v1, vcc_lo
	v_cndmask_b32_e32 v0, v108, v0, vcc_lo
	v_add_co_u32 v2, vcc_lo, v114, v2
	v_add_nc_u32_e32 v106, s8, v112
	v_add_co_ci_u32_e64 v3, null, v115, v3, vcc_lo
	v_add_co_u32 v4, vcc_lo, v114, v4
	v_add_co_ci_u32_e64 v5, null, v115, v5, vcc_lo
	v_add_co_u32 v104, vcc_lo, v114, v104
	v_add_nc_u32_e32 v108, s8, v106
	v_add_co_ci_u32_e64 v105, null, v115, v105, vcc_lo
	v_ashrrev_i32_e32 v107, 31, v106
	flat_store_dwordx2 v[2:3], v[102:103]
	flat_store_dwordx2 v[4:5], v[98:99]
	flat_store_dwordx2 v[104:105], v[100:101]
	v_add_nc_u32_e32 v98, s8, v108
	v_ashrrev_i32_e32 v109, 31, v108
	v_lshlrev_b64 v[2:3], 3, v[106:107]
	v_add_nc_u32_e32 v100, s8, v98
	v_lshlrev_b64 v[4:5], 3, v[108:109]
	v_ashrrev_i32_e32 v99, 31, v98
	v_add_co_u32 v2, vcc_lo, v114, v2
	v_add_nc_u32_e32 v102, s8, v100
	v_add_co_ci_u32_e64 v3, null, v115, v3, vcc_lo
	v_add_co_u32 v4, vcc_lo, v114, v4
	v_ashrrev_i32_e32 v101, 31, v100
	v_add_co_ci_u32_e64 v5, null, v115, v5, vcc_lo
	v_ashrrev_i32_e32 v103, 31, v102
	v_lshlrev_b64 v[98:99], 3, v[98:99]
	flat_store_dwordx2 v[2:3], v[94:95]
	flat_store_dwordx2 v[4:5], v[96:97]
	v_lshlrev_b64 v[2:3], 3, v[100:101]
	v_add_nc_u32_e32 v96, s8, v102
	v_lshlrev_b64 v[94:95], 3, v[102:103]
	v_add_co_u32 v4, vcc_lo, v114, v98
	v_add_co_ci_u32_e64 v5, null, v115, v99, vcc_lo
	v_add_co_u32 v2, vcc_lo, v114, v2
	v_add_co_ci_u32_e64 v3, null, v115, v3, vcc_lo
	v_add_co_u32 v94, vcc_lo, v114, v94
	v_add_nc_u32_e32 v98, s8, v96
	v_add_co_ci_u32_e64 v95, null, v115, v95, vcc_lo
	v_ashrrev_i32_e32 v97, 31, v96
	flat_store_dwordx2 v[4:5], v[92:93]
	flat_store_dwordx2 v[2:3], v[90:91]
	flat_store_dwordx2 v[94:95], v[88:89]
	v_add_nc_u32_e32 v88, s8, v98
	v_ashrrev_i32_e32 v99, 31, v98
	v_lshlrev_b64 v[4:5], 3, v[96:97]
	v_add_nc_u32_e32 v90, s8, v88
	v_lshlrev_b64 v[2:3], 3, v[98:99]
	v_ashrrev_i32_e32 v89, 31, v88
	v_add_co_u32 v4, vcc_lo, v114, v4
	v_add_nc_u32_e32 v92, s8, v90
	v_add_co_ci_u32_e64 v5, null, v115, v5, vcc_lo
	v_add_co_u32 v2, vcc_lo, v114, v2
	v_ashrrev_i32_e32 v91, 31, v90
	v_add_co_ci_u32_e64 v3, null, v115, v3, vcc_lo
	v_ashrrev_i32_e32 v93, 31, v92
	v_lshlrev_b64 v[88:89], 3, v[88:89]
	flat_store_dwordx2 v[4:5], v[86:87]
	flat_store_dwordx2 v[2:3], v[84:85]
	v_lshlrev_b64 v[2:3], 3, v[90:91]
	v_add_nc_u32_e32 v86, s8, v92
	v_lshlrev_b64 v[84:85], 3, v[92:93]
	v_add_co_u32 v4, vcc_lo, v114, v88
	;; [unrolled: 30-line block ×8, first 2 shown]
	v_add_co_ci_u32_e64 v5, null, v115, v29, vcc_lo
	v_add_co_u32 v2, vcc_lo, v114, v2
	v_add_nc_u32_e32 v28, s8, v26
	v_add_co_ci_u32_e64 v3, null, v115, v3, vcc_lo
	v_add_co_u32 v24, vcc_lo, v114, v24
	v_ashrrev_i32_e32 v27, 31, v26
	v_add_co_ci_u32_e64 v25, null, v115, v25, vcc_lo
	v_ashrrev_i32_e32 v29, 31, v28
	flat_store_dwordx2 v[4:5], v[22:23]
	v_lshlrev_b64 v[4:5], 3, v[26:27]
	flat_store_dwordx2 v[2:3], v[18:19]
	flat_store_dwordx2 v[24:25], v[20:21]
	v_add_nc_u32_e32 v18, s8, v28
	v_lshlrev_b64 v[2:3], 3, v[28:29]
	v_add_co_u32 v4, vcc_lo, v114, v4
	v_add_nc_u32_e32 v20, s8, v18
	v_add_co_ci_u32_e64 v5, null, v115, v5, vcc_lo
	v_add_co_u32 v2, vcc_lo, v114, v2
	v_add_co_ci_u32_e64 v3, null, v115, v3, vcc_lo
	v_add_nc_u32_e32 v22, s8, v20
	v_ashrrev_i32_e32 v19, 31, v18
	flat_store_dwordx2 v[4:5], v[16:17]
	flat_store_dwordx2 v[2:3], v[14:15]
	v_ashrrev_i32_e32 v21, 31, v20
	v_add_nc_u32_e32 v14, s8, v22
	v_lshlrev_b64 v[4:5], 3, v[18:19]
	v_ashrrev_i32_e32 v23, 31, v22
	v_lshlrev_b64 v[2:3], 3, v[20:21]
	v_add_nc_u32_e32 v18, s8, v14
	v_ashrrev_i32_e32 v15, 31, v14
	v_lshlrev_b64 v[16:17], 3, v[22:23]
	v_add_co_u32 v4, vcc_lo, v114, v4
	v_ashrrev_i32_e32 v19, 31, v18
	v_lshlrev_b64 v[14:15], 3, v[14:15]
	v_add_co_ci_u32_e64 v5, null, v115, v5, vcc_lo
	v_add_co_u32 v2, vcc_lo, v114, v2
	v_lshlrev_b64 v[18:19], 3, v[18:19]
	v_add_co_ci_u32_e64 v3, null, v115, v3, vcc_lo
	v_add_co_u32 v16, vcc_lo, v114, v16
	v_add_co_ci_u32_e64 v17, null, v115, v17, vcc_lo
	v_add_co_u32 v14, vcc_lo, v114, v14
	;; [unrolled: 2-line block ×3, first 2 shown]
	v_add_co_ci_u32_e64 v19, null, v115, v19, vcc_lo
	flat_store_dwordx2 v[4:5], v[8:9]
	flat_store_dwordx2 v[2:3], v[12:13]
	;; [unrolled: 1-line block ×5, first 2 shown]
.LBB102_881:
	s_endpgm
	.section	.rodata,"a",@progbits
	.p2align	6, 0x0
	.amdhsa_kernel _ZN9rocsolver6v33100L18getf2_small_kernelILi52EdiiPKPdEEvT1_T3_lS5_lPS5_llPT2_S5_S5_S7_l
		.amdhsa_group_segment_fixed_size 0
		.amdhsa_private_segment_fixed_size 0
		.amdhsa_kernarg_size 352
		.amdhsa_user_sgpr_count 6
		.amdhsa_user_sgpr_private_segment_buffer 1
		.amdhsa_user_sgpr_dispatch_ptr 0
		.amdhsa_user_sgpr_queue_ptr 0
		.amdhsa_user_sgpr_kernarg_segment_ptr 1
		.amdhsa_user_sgpr_dispatch_id 0
		.amdhsa_user_sgpr_flat_scratch_init 0
		.amdhsa_user_sgpr_private_segment_size 0
		.amdhsa_wavefront_size32 1
		.amdhsa_uses_dynamic_stack 0
		.amdhsa_system_sgpr_private_segment_wavefront_offset 0
		.amdhsa_system_sgpr_workgroup_id_x 1
		.amdhsa_system_sgpr_workgroup_id_y 1
		.amdhsa_system_sgpr_workgroup_id_z 0
		.amdhsa_system_sgpr_workgroup_info 0
		.amdhsa_system_vgpr_workitem_id 1
		.amdhsa_next_free_vgpr 216
		.amdhsa_next_free_sgpr 14
		.amdhsa_reserve_vcc 1
		.amdhsa_reserve_flat_scratch 1
		.amdhsa_float_round_mode_32 0
		.amdhsa_float_round_mode_16_64 0
		.amdhsa_float_denorm_mode_32 3
		.amdhsa_float_denorm_mode_16_64 3
		.amdhsa_dx10_clamp 1
		.amdhsa_ieee_mode 1
		.amdhsa_fp16_overflow 0
		.amdhsa_workgroup_processor_mode 1
		.amdhsa_memory_ordered 1
		.amdhsa_forward_progress 1
		.amdhsa_shared_vgpr_count 0
		.amdhsa_exception_fp_ieee_invalid_op 0
		.amdhsa_exception_fp_denorm_src 0
		.amdhsa_exception_fp_ieee_div_zero 0
		.amdhsa_exception_fp_ieee_overflow 0
		.amdhsa_exception_fp_ieee_underflow 0
		.amdhsa_exception_fp_ieee_inexact 0
		.amdhsa_exception_int_div_zero 0
	.end_amdhsa_kernel
	.section	.text._ZN9rocsolver6v33100L18getf2_small_kernelILi52EdiiPKPdEEvT1_T3_lS5_lPS5_llPT2_S5_S5_S7_l,"axG",@progbits,_ZN9rocsolver6v33100L18getf2_small_kernelILi52EdiiPKPdEEvT1_T3_lS5_lPS5_llPT2_S5_S5_S7_l,comdat
.Lfunc_end102:
	.size	_ZN9rocsolver6v33100L18getf2_small_kernelILi52EdiiPKPdEEvT1_T3_lS5_lPS5_llPT2_S5_S5_S7_l, .Lfunc_end102-_ZN9rocsolver6v33100L18getf2_small_kernelILi52EdiiPKPdEEvT1_T3_lS5_lPS5_llPT2_S5_S5_S7_l
                                        ; -- End function
	.set _ZN9rocsolver6v33100L18getf2_small_kernelILi52EdiiPKPdEEvT1_T3_lS5_lPS5_llPT2_S5_S5_S7_l.num_vgpr, 216
	.set _ZN9rocsolver6v33100L18getf2_small_kernelILi52EdiiPKPdEEvT1_T3_lS5_lPS5_llPT2_S5_S5_S7_l.num_agpr, 0
	.set _ZN9rocsolver6v33100L18getf2_small_kernelILi52EdiiPKPdEEvT1_T3_lS5_lPS5_llPT2_S5_S5_S7_l.numbered_sgpr, 14
	.set _ZN9rocsolver6v33100L18getf2_small_kernelILi52EdiiPKPdEEvT1_T3_lS5_lPS5_llPT2_S5_S5_S7_l.num_named_barrier, 0
	.set _ZN9rocsolver6v33100L18getf2_small_kernelILi52EdiiPKPdEEvT1_T3_lS5_lPS5_llPT2_S5_S5_S7_l.private_seg_size, 0
	.set _ZN9rocsolver6v33100L18getf2_small_kernelILi52EdiiPKPdEEvT1_T3_lS5_lPS5_llPT2_S5_S5_S7_l.uses_vcc, 1
	.set _ZN9rocsolver6v33100L18getf2_small_kernelILi52EdiiPKPdEEvT1_T3_lS5_lPS5_llPT2_S5_S5_S7_l.uses_flat_scratch, 1
	.set _ZN9rocsolver6v33100L18getf2_small_kernelILi52EdiiPKPdEEvT1_T3_lS5_lPS5_llPT2_S5_S5_S7_l.has_dyn_sized_stack, 0
	.set _ZN9rocsolver6v33100L18getf2_small_kernelILi52EdiiPKPdEEvT1_T3_lS5_lPS5_llPT2_S5_S5_S7_l.has_recursion, 0
	.set _ZN9rocsolver6v33100L18getf2_small_kernelILi52EdiiPKPdEEvT1_T3_lS5_lPS5_llPT2_S5_S5_S7_l.has_indirect_call, 0
	.section	.AMDGPU.csdata,"",@progbits
; Kernel info:
; codeLenInByte = 57384
; TotalNumSgprs: 16
; NumVgprs: 216
; ScratchSize: 0
; MemoryBound: 0
; FloatMode: 240
; IeeeMode: 1
; LDSByteSize: 0 bytes/workgroup (compile time only)
; SGPRBlocks: 0
; VGPRBlocks: 26
; NumSGPRsForWavesPerEU: 16
; NumVGPRsForWavesPerEU: 216
; Occupancy: 4
; WaveLimiterHint : 1
; COMPUTE_PGM_RSRC2:SCRATCH_EN: 0
; COMPUTE_PGM_RSRC2:USER_SGPR: 6
; COMPUTE_PGM_RSRC2:TRAP_HANDLER: 0
; COMPUTE_PGM_RSRC2:TGID_X_EN: 1
; COMPUTE_PGM_RSRC2:TGID_Y_EN: 1
; COMPUTE_PGM_RSRC2:TGID_Z_EN: 0
; COMPUTE_PGM_RSRC2:TIDIG_COMP_CNT: 1
	.section	.text._ZN9rocsolver6v33100L23getf2_npvt_small_kernelILi52EdiiPKPdEEvT1_T3_lS5_lPT2_S5_S5_,"axG",@progbits,_ZN9rocsolver6v33100L23getf2_npvt_small_kernelILi52EdiiPKPdEEvT1_T3_lS5_lPT2_S5_S5_,comdat
	.globl	_ZN9rocsolver6v33100L23getf2_npvt_small_kernelILi52EdiiPKPdEEvT1_T3_lS5_lPT2_S5_S5_ ; -- Begin function _ZN9rocsolver6v33100L23getf2_npvt_small_kernelILi52EdiiPKPdEEvT1_T3_lS5_lPT2_S5_S5_
	.p2align	8
	.type	_ZN9rocsolver6v33100L23getf2_npvt_small_kernelILi52EdiiPKPdEEvT1_T3_lS5_lPT2_S5_S5_,@function
_ZN9rocsolver6v33100L23getf2_npvt_small_kernelILi52EdiiPKPdEEvT1_T3_lS5_lPT2_S5_S5_: ; @_ZN9rocsolver6v33100L23getf2_npvt_small_kernelILi52EdiiPKPdEEvT1_T3_lS5_lPT2_S5_S5_
; %bb.0:
	s_mov_b64 s[14:15], s[2:3]
	s_mov_b64 s[12:13], s[0:1]
	s_add_u32 s12, s12, s8
	s_clause 0x1
	s_load_dword s0, s[4:5], 0x44
	s_load_dwordx2 s[8:9], s[4:5], 0x30
	s_addc_u32 s13, s13, 0
	s_waitcnt lgkmcnt(0)
	s_lshr_b32 s10, s0, 16
	s_mov_b32 s0, exec_lo
	v_mad_u64_u32 v[2:3], null, s7, s10, v[1:2]
	v_cmpx_gt_i32_e64 s8, v2
	s_cbranch_execz .LBB103_263
; %bb.1:
	s_clause 0x1
	s_load_dwordx4 s[0:3], s[4:5], 0x8
	s_load_dword s6, s[4:5], 0x18
	v_ashrrev_i32_e32 v3, 31, v2
	s_mulk_i32 s10, 0x1a0
	v_lshlrev_b64 v[4:5], 3, v[2:3]
	s_waitcnt lgkmcnt(0)
	v_add_co_u32 v4, vcc_lo, s0, v4
	v_add_co_ci_u32_e64 v5, null, s1, v5, vcc_lo
	v_add3_u32 v6, s6, s6, v0
	s_lshl_b64 s[0:1], s[2:3], 3
	s_ashr_i32 s7, s6, 31
	global_load_dwordx2 v[4:5], v[4:5], off
	v_add_nc_u32_e32 v8, s6, v6
	v_ashrrev_i32_e32 v7, 31, v6
	v_add_nc_u32_e32 v10, s6, v8
	v_ashrrev_i32_e32 v9, 31, v8
	v_lshlrev_b64 v[6:7], 3, v[6:7]
	v_add_nc_u32_e32 v12, s6, v10
	v_ashrrev_i32_e32 v11, 31, v10
	v_lshlrev_b64 v[8:9], 3, v[8:9]
	;; [unrolled: 3-line block ×47, first 2 shown]
	v_ashrrev_i32_e32 v103, 31, v102
	v_add_nc_u32_e32 v104, s6, v102
	v_lshlrev_b64 v[100:101], 3, v[100:101]
	s_waitcnt vmcnt(0)
	v_add_co_u32 v108, vcc_lo, v4, s0
	v_add_co_ci_u32_e64 v109, null, s1, v5, vcc_lo
	v_lshlrev_b64 v[4:5], 3, v[102:103]
	v_add_co_u32 v6, vcc_lo, v108, v6
	v_add_co_ci_u32_e64 v7, null, v109, v7, vcc_lo
	v_add_co_u32 v8, vcc_lo, v108, v8
	v_add_co_ci_u32_e64 v9, null, v109, v9, vcc_lo
	;; [unrolled: 2-line block ×10, first 2 shown]
	v_add_co_u32 v102, vcc_lo, v108, v26
	v_mov_b32_e32 v111, v7
	v_add_co_ci_u32_e64 v103, null, v109, v27, vcc_lo
	v_mov_b32_e32 v110, v6
	v_add_co_u32 v6, vcc_lo, v108, v28
	v_mov_b32_e32 v27, v9
	v_add_co_ci_u32_e64 v7, null, v109, v29, vcc_lo
	v_mov_b32_e32 v26, v8
	;; [unrolled: 4-line block ×5, first 2 shown]
	v_add_co_u32 v14, vcc_lo, v108, v36
	v_add_co_ci_u32_e64 v15, null, v109, v37, vcc_lo
	v_add_co_u32 v105, vcc_lo, v108, v38
	v_mov_b32_e32 v36, v17
	v_mov_b32_e32 v35, v16
	v_add_co_ci_u32_e64 v106, null, v109, v39, vcc_lo
	v_add_co_u32 v16, vcc_lo, v108, v40
	v_mov_b32_e32 v38, v19
	v_mov_b32_e32 v37, v18
	;; [unrolled: 4-line block ×5, first 2 shown]
	v_add_co_ci_u32_e64 v23, null, v109, v47, vcc_lo
	v_add_co_u32 v24, vcc_lo, v108, v48
	v_mov_b32_e32 v48, v7
	v_add_co_ci_u32_e64 v25, null, v109, v49, vcc_lo
	v_mov_b32_e32 v47, v6
	v_add_co_u32 v6, vcc_lo, v108, v50
	v_mov_b32_e32 v50, v9
	v_add_co_ci_u32_e64 v7, null, v109, v51, vcc_lo
	v_mov_b32_e32 v49, v8
	;; [unrolled: 4-line block ×6, first 2 shown]
	v_add_co_u32 v16, vcc_lo, v108, v60
	v_mov_b32_e32 v45, v102
	v_mov_b32_e32 v46, v103
	v_add_co_ci_u32_e64 v17, null, v109, v61, vcc_lo
	v_add_co_u32 v102, vcc_lo, v108, v62
	v_mov_b32_e32 v62, v19
	v_add_co_ci_u32_e64 v103, null, v109, v63, vcc_lo
	v_mov_b32_e32 v61, v18
	v_add_co_u32 v18, vcc_lo, v108, v64
	v_mov_b32_e32 v64, v21
	v_add_co_ci_u32_e64 v19, null, v109, v65, vcc_lo
	v_mov_b32_e32 v63, v20
	;; [unrolled: 4-line block ×10, first 2 shown]
	v_add_co_u32 v16, vcc_lo, v108, v82
	v_mov_b32_e32 v59, v105
	v_mov_b32_e32 v60, v106
	v_add_co_ci_u32_e64 v17, null, v109, v83, vcc_lo
	v_add_co_u32 v106, vcc_lo, v108, v84
	v_add_co_ci_u32_e64 v107, null, v109, v85, vcc_lo
	v_add_co_u32 v212, vcc_lo, v108, v86
	;; [unrolled: 2-line block ×7, first 2 shown]
	v_mov_b32_e32 v81, v102
	v_mov_b32_e32 v82, v103
	;; [unrolled: 1-line block ×3, first 2 shown]
	v_add_co_ci_u32_e64 v223, null, v109, v97, vcc_lo
	v_add_co_u32 v102, vcc_lo, v108, v98
	v_mov_b32_e32 v92, v6
	v_lshlrev_b32_e32 v6, 3, v0
	v_add_co_ci_u32_e64 v103, null, v109, v99, vcc_lo
	v_add_co_u32 v7, vcc_lo, v108, v100
	v_mov_b32_e32 v95, v9
	v_mov_b32_e32 v94, v8
	v_add_co_ci_u32_e64 v8, null, v109, v101, vcc_lo
	v_add_co_u32 v9, vcc_lo, v108, v4
	v_mov_b32_e32 v97, v11
	v_mov_b32_e32 v96, v10
	;; [unrolled: 4-line block ×3, first 2 shown]
	v_add_co_ci_u32_e64 v12, null, 0, v109, vcc_lo
	s_lshl_b64 s[0:1], s[6:7], 3
	v_mov_b32_e32 v101, v15
	v_add_co_u32 v13, vcc_lo, v11, s0
	v_mov_b32_e32 v100, v14
	v_add_co_ci_u32_e64 v14, null, s1, v12, vcc_lo
	buffer_store_dword v11, off, s[12:15], 0 offset:48 ; 4-byte Folded Spill
	buffer_store_dword v12, off, s[12:15], 0 offset:52 ; 4-byte Folded Spill
	v_ashrrev_i32_e32 v105, 31, v104
	v_cmp_ne_u32_e64 s1, 0, v0
	v_cmp_eq_u32_e64 s0, 0, v0
	v_lshlrev_b64 v[4:5], 3, v[104:105]
	v_add_co_u32 v104, vcc_lo, v108, v4
	v_add_co_ci_u32_e64 v105, null, v109, v5, vcc_lo
	v_lshlrev_b32_e32 v4, 3, v1
	flat_load_dwordx2 v[172:173], v[11:12]
	buffer_store_dword v13, off, s[12:15], 0 offset:56 ; 4-byte Folded Spill
	buffer_store_dword v14, off, s[12:15], 0 offset:60 ; 4-byte Folded Spill
	flat_load_dwordx2 v[190:191], v[13:14]
	buffer_store_dword v110, off, s[12:15], 0 ; 4-byte Folded Spill
	buffer_store_dword v111, off, s[12:15], 0 offset:4 ; 4-byte Folded Spill
	flat_load_dwordx2 v[208:209], v[110:111]
	buffer_store_dword v26, off, s[12:15], 0 offset:8 ; 4-byte Folded Spill
	buffer_store_dword v27, off, s[12:15], 0 offset:12 ; 4-byte Folded Spill
	flat_load_dwordx2 v[188:189], v[26:27]
	buffer_store_dword v112, off, s[12:15], 0 offset:16 ; 4-byte Folded Spill
	buffer_store_dword v113, off, s[12:15], 0 offset:20 ; 4-byte Folded Spill
	v_mov_b32_e32 v27, v8
	v_mov_b32_e32 v26, v7
	flat_load_dwordx2 v[206:207], v[112:113]
	buffer_store_dword v31, off, s[12:15], 0 offset:24 ; 4-byte Folded Spill
	buffer_store_dword v32, off, s[12:15], 0 offset:28 ; 4-byte Folded Spill
	flat_load_dwordx2 v[186:187], v[31:32]
	buffer_store_dword v33, off, s[12:15], 0 offset:32 ; 4-byte Folded Spill
	buffer_store_dword v34, off, s[12:15], 0 offset:36 ; 4-byte Folded Spill
	v_mov_b32_e32 v32, v10
	v_mov_b32_e32 v31, v9
	flat_load_dwordx2 v[204:205], v[33:34]
	buffer_store_dword v35, off, s[12:15], 0 offset:40 ; 4-byte Folded Spill
	buffer_store_dword v36, off, s[12:15], 0 offset:44 ; 4-byte Folded Spill
	flat_load_dwordx2 v[184:185], v[35:36]
	buffer_store_dword v37, off, s[12:15], 0 offset:64 ; 4-byte Folded Spill
	buffer_store_dword v38, off, s[12:15], 0 offset:68 ; 4-byte Folded Spill
	;; [unrolled: 3-line block ×27, first 2 shown]
	v_mad_u32_u24 v20, 0x1a0, v1, 0
	v_add3_u32 v1, 0, s10, v4
	flat_load_dwordx2 v[124:125], v[22:23]
	buffer_store_dword v24, off, s[12:15], 0 offset:280 ; 4-byte Folded Spill
	buffer_store_dword v25, off, s[12:15], 0 offset:284 ; 4-byte Folded Spill
	s_clause 0x5
	flat_load_dwordx2 v[156:157], v[24:25]
	flat_load_dwordx2 v[122:123], v[92:93]
	;; [unrolled: 1-line block ×6, first 2 shown]
	buffer_store_dword v16, off, s[12:15], 0 offset:248 ; 4-byte Folded Spill
	buffer_store_dword v17, off, s[12:15], 0 offset:252 ; 4-byte Folded Spill
	s_clause 0xb
	flat_load_dwordx2 v[150:151], v[16:17]
	flat_load_dwordx2 v[116:117], v[106:107]
	;; [unrolled: 1-line block ×12, first 2 shown]
	s_and_saveexec_b32 s2, s0
	s_cbranch_execz .LBB103_4
; %bb.2:
	s_waitcnt vmcnt(51) lgkmcnt(51)
	ds_write_b64 v1, v[172:173]
	s_waitcnt vmcnt(49) lgkmcnt(50)
	ds_write2_b64 v20, v[190:191], v[208:209] offset0:1 offset1:2
	s_waitcnt vmcnt(47) lgkmcnt(49)
	ds_write2_b64 v20, v[188:189], v[206:207] offset0:3 offset1:4
	;; [unrolled: 2-line block ×25, first 2 shown]
	s_waitcnt vmcnt(0) lgkmcnt(26)
	ds_write_b64 v20, v[210:211] offset:408
	ds_read_b64 v[4:5], v1
	s_waitcnt lgkmcnt(0)
	v_cmp_neq_f64_e32 vcc_lo, 0, v[4:5]
	s_and_b32 exec_lo, exec_lo, vcc_lo
	s_cbranch_execz .LBB103_4
; %bb.3:
	v_div_scale_f64 v[6:7], null, v[4:5], v[4:5], 1.0
	v_rcp_f64_e32 v[8:9], v[6:7]
	v_fma_f64 v[10:11], -v[6:7], v[8:9], 1.0
	v_fma_f64 v[8:9], v[8:9], v[10:11], v[8:9]
	v_fma_f64 v[10:11], -v[6:7], v[8:9], 1.0
	v_fma_f64 v[8:9], v[8:9], v[10:11], v[8:9]
	v_div_scale_f64 v[10:11], vcc_lo, 1.0, v[4:5], 1.0
	v_mul_f64 v[12:13], v[10:11], v[8:9]
	v_fma_f64 v[6:7], -v[6:7], v[12:13], v[10:11]
	v_div_fmas_f64 v[6:7], v[6:7], v[8:9], v[12:13]
	v_div_fixup_f64 v[4:5], v[6:7], v[4:5], 1.0
	ds_write_b64 v1, v[4:5]
.LBB103_4:
	s_or_b32 exec_lo, exec_lo, s2
	s_waitcnt vmcnt(0) lgkmcnt(0)
	s_waitcnt_vscnt null, 0x0
	s_barrier
	buffer_gl0_inv
	ds_read_b64 v[33:34], v1
	s_and_saveexec_b32 s2, s1
	s_cbranch_execz .LBB103_6
; %bb.5:
	s_waitcnt lgkmcnt(0)
	v_mul_f64 v[172:173], v[33:34], v[172:173]
	ds_read2_b64 v[4:7], v20 offset0:1 offset1:2
	s_waitcnt lgkmcnt(0)
	v_fma_f64 v[190:191], -v[172:173], v[4:5], v[190:191]
	v_fma_f64 v[208:209], -v[172:173], v[6:7], v[208:209]
	ds_read2_b64 v[4:7], v20 offset0:3 offset1:4
	s_waitcnt lgkmcnt(0)
	v_fma_f64 v[188:189], -v[172:173], v[4:5], v[188:189]
	v_fma_f64 v[206:207], -v[172:173], v[6:7], v[206:207]
	;; [unrolled: 4-line block ×24, first 2 shown]
	ds_read2_b64 v[4:7], v20 offset0:49 offset1:50
	s_waitcnt lgkmcnt(0)
	v_fma_f64 v[108:109], -v[172:173], v[4:5], v[108:109]
	ds_read_b64 v[4:5], v20 offset:408
	v_fma_f64 v[140:141], -v[172:173], v[6:7], v[140:141]
	s_waitcnt lgkmcnt(0)
	v_fma_f64 v[210:211], -v[172:173], v[4:5], v[210:211]
.LBB103_6:
	s_or_b32 exec_lo, exec_lo, s2
	s_mov_b32 s1, exec_lo
	s_waitcnt lgkmcnt(0)
	s_barrier
	buffer_gl0_inv
	v_cmpx_eq_u32_e32 1, v0
	s_cbranch_execz .LBB103_9
; %bb.7:
	v_mov_b32_e32 v4, v208
	v_mov_b32_e32 v5, v209
	;; [unrolled: 1-line block ×20, first 2 shown]
	ds_write_b64 v1, v[190:191]
	ds_write2_b64 v20, v[4:5], v[6:7] offset0:2 offset1:3
	ds_write2_b64 v20, v[8:9], v[10:11] offset0:4 offset1:5
	ds_write2_b64 v20, v[12:13], v[14:15] offset0:6 offset1:7
	ds_write2_b64 v20, v[16:17], v[18:19] offset0:8 offset1:9
	ds_write2_b64 v20, v[21:22], v[23:24] offset0:10 offset1:11
	v_mov_b32_e32 v4, v198
	v_mov_b32_e32 v5, v199
	v_mov_b32_e32 v6, v178
	v_mov_b32_e32 v7, v179
	v_mov_b32_e32 v8, v196
	v_mov_b32_e32 v9, v197
	v_mov_b32_e32 v10, v176
	v_mov_b32_e32 v11, v177
	v_mov_b32_e32 v12, v194
	v_mov_b32_e32 v13, v195
	v_mov_b32_e32 v14, v174
	v_mov_b32_e32 v15, v175
	v_mov_b32_e32 v16, v192
	v_mov_b32_e32 v17, v193
	v_mov_b32_e32 v18, v138
	v_mov_b32_e32 v19, v139
	v_mov_b32_e32 v21, v170
	v_mov_b32_e32 v22, v171
	v_mov_b32_e32 v23, v136
	v_mov_b32_e32 v24, v137
	ds_write2_b64 v20, v[4:5], v[6:7] offset0:12 offset1:13
	ds_write2_b64 v20, v[8:9], v[10:11] offset0:14 offset1:15
	ds_write2_b64 v20, v[12:13], v[14:15] offset0:16 offset1:17
	ds_write2_b64 v20, v[16:17], v[18:19] offset0:18 offset1:19
	ds_write2_b64 v20, v[21:22], v[23:24] offset0:20 offset1:21
	v_mov_b32_e32 v4, v168
	v_mov_b32_e32 v5, v169
	v_mov_b32_e32 v6, v134
	v_mov_b32_e32 v7, v135
	v_mov_b32_e32 v8, v166
	v_mov_b32_e32 v9, v167
	v_mov_b32_e32 v10, v132
	v_mov_b32_e32 v11, v133
	v_mov_b32_e32 v12, v164
	v_mov_b32_e32 v13, v165
	v_mov_b32_e32 v14, v130
	v_mov_b32_e32 v15, v131
	v_mov_b32_e32 v16, v162
	v_mov_b32_e32 v17, v163
	v_mov_b32_e32 v18, v128
	v_mov_b32_e32 v19, v129
	v_mov_b32_e32 v21, v160
	v_mov_b32_e32 v22, v161
	v_mov_b32_e32 v23, v126
	v_mov_b32_e32 v24, v127
	;; [unrolled: 25-line block ×3, first 2 shown]
	ds_write2_b64 v20, v[4:5], v[6:7] offset0:32 offset1:33
	ds_write2_b64 v20, v[8:9], v[10:11] offset0:34 offset1:35
	;; [unrolled: 1-line block ×5, first 2 shown]
	v_mov_b32_e32 v4, v148
	v_mov_b32_e32 v5, v149
	;; [unrolled: 1-line block ×18, first 2 shown]
	ds_write2_b64 v20, v[4:5], v[6:7] offset0:42 offset1:43
	ds_write2_b64 v20, v[8:9], v[10:11] offset0:44 offset1:45
	;; [unrolled: 1-line block ×5, first 2 shown]
	ds_read_b64 v[4:5], v1
	s_waitcnt lgkmcnt(0)
	v_cmp_neq_f64_e32 vcc_lo, 0, v[4:5]
	s_and_b32 exec_lo, exec_lo, vcc_lo
	s_cbranch_execz .LBB103_9
; %bb.8:
	v_div_scale_f64 v[6:7], null, v[4:5], v[4:5], 1.0
	v_rcp_f64_e32 v[8:9], v[6:7]
	v_fma_f64 v[10:11], -v[6:7], v[8:9], 1.0
	v_fma_f64 v[8:9], v[8:9], v[10:11], v[8:9]
	v_fma_f64 v[10:11], -v[6:7], v[8:9], 1.0
	v_fma_f64 v[8:9], v[8:9], v[10:11], v[8:9]
	v_div_scale_f64 v[10:11], vcc_lo, 1.0, v[4:5], 1.0
	v_mul_f64 v[12:13], v[10:11], v[8:9]
	v_fma_f64 v[6:7], -v[6:7], v[12:13], v[10:11]
	v_div_fmas_f64 v[6:7], v[6:7], v[8:9], v[12:13]
	v_div_fixup_f64 v[4:5], v[6:7], v[4:5], 1.0
	ds_write_b64 v1, v[4:5]
.LBB103_9:
	s_or_b32 exec_lo, exec_lo, s1
	s_waitcnt lgkmcnt(0)
	s_barrier
	buffer_gl0_inv
	ds_read_b64 v[35:36], v1
	s_mov_b32 s1, exec_lo
	v_cmpx_lt_u32_e32 1, v0
	s_cbranch_execz .LBB103_11
; %bb.10:
	s_waitcnt lgkmcnt(0)
	v_mul_f64 v[190:191], v[35:36], v[190:191]
	ds_read2_b64 v[4:7], v20 offset0:2 offset1:3
	s_waitcnt lgkmcnt(0)
	v_fma_f64 v[208:209], -v[190:191], v[4:5], v[208:209]
	v_fma_f64 v[188:189], -v[190:191], v[6:7], v[188:189]
	ds_read2_b64 v[4:7], v20 offset0:4 offset1:5
	s_waitcnt lgkmcnt(0)
	v_fma_f64 v[206:207], -v[190:191], v[4:5], v[206:207]
	v_fma_f64 v[186:187], -v[190:191], v[6:7], v[186:187]
	;; [unrolled: 4-line block ×25, first 2 shown]
.LBB103_11:
	s_or_b32 exec_lo, exec_lo, s1
	s_mov_b32 s1, exec_lo
	s_waitcnt lgkmcnt(0)
	s_barrier
	buffer_gl0_inv
	v_cmpx_eq_u32_e32 2, v0
	s_cbranch_execz .LBB103_14
; %bb.12:
	ds_write_b64 v1, v[208:209]
	ds_write2_b64 v20, v[188:189], v[206:207] offset0:3 offset1:4
	ds_write2_b64 v20, v[186:187], v[204:205] offset0:5 offset1:6
	;; [unrolled: 1-line block ×24, first 2 shown]
	ds_write_b64 v20, v[210:211] offset:408
	ds_read_b64 v[4:5], v1
	s_waitcnt lgkmcnt(0)
	v_cmp_neq_f64_e32 vcc_lo, 0, v[4:5]
	s_and_b32 exec_lo, exec_lo, vcc_lo
	s_cbranch_execz .LBB103_14
; %bb.13:
	v_div_scale_f64 v[6:7], null, v[4:5], v[4:5], 1.0
	v_rcp_f64_e32 v[8:9], v[6:7]
	v_fma_f64 v[10:11], -v[6:7], v[8:9], 1.0
	v_fma_f64 v[8:9], v[8:9], v[10:11], v[8:9]
	v_fma_f64 v[10:11], -v[6:7], v[8:9], 1.0
	v_fma_f64 v[8:9], v[8:9], v[10:11], v[8:9]
	v_div_scale_f64 v[10:11], vcc_lo, 1.0, v[4:5], 1.0
	v_mul_f64 v[12:13], v[10:11], v[8:9]
	v_fma_f64 v[6:7], -v[6:7], v[12:13], v[10:11]
	v_div_fmas_f64 v[6:7], v[6:7], v[8:9], v[12:13]
	v_div_fixup_f64 v[4:5], v[6:7], v[4:5], 1.0
	ds_write_b64 v1, v[4:5]
.LBB103_14:
	s_or_b32 exec_lo, exec_lo, s1
	s_waitcnt lgkmcnt(0)
	s_barrier
	buffer_gl0_inv
	ds_read_b64 v[37:38], v1
	s_mov_b32 s1, exec_lo
	v_cmpx_lt_u32_e32 2, v0
	s_cbranch_execz .LBB103_16
; %bb.15:
	s_waitcnt lgkmcnt(0)
	v_mul_f64 v[208:209], v[37:38], v[208:209]
	ds_read2_b64 v[4:7], v20 offset0:3 offset1:4
	s_waitcnt lgkmcnt(0)
	v_fma_f64 v[188:189], -v[208:209], v[4:5], v[188:189]
	v_fma_f64 v[206:207], -v[208:209], v[6:7], v[206:207]
	ds_read2_b64 v[4:7], v20 offset0:5 offset1:6
	s_waitcnt lgkmcnt(0)
	v_fma_f64 v[186:187], -v[208:209], v[4:5], v[186:187]
	v_fma_f64 v[204:205], -v[208:209], v[6:7], v[204:205]
	;; [unrolled: 4-line block ×23, first 2 shown]
	ds_read2_b64 v[4:7], v20 offset0:49 offset1:50
	s_waitcnt lgkmcnt(0)
	v_fma_f64 v[108:109], -v[208:209], v[4:5], v[108:109]
	ds_read_b64 v[4:5], v20 offset:408
	v_fma_f64 v[140:141], -v[208:209], v[6:7], v[140:141]
	s_waitcnt lgkmcnt(0)
	v_fma_f64 v[210:211], -v[208:209], v[4:5], v[210:211]
.LBB103_16:
	s_or_b32 exec_lo, exec_lo, s1
	s_mov_b32 s1, exec_lo
	s_waitcnt lgkmcnt(0)
	s_barrier
	buffer_gl0_inv
	v_cmpx_eq_u32_e32 3, v0
	s_cbranch_execz .LBB103_19
; %bb.17:
	v_mov_b32_e32 v4, v206
	v_mov_b32_e32 v5, v207
	;; [unrolled: 1-line block ×16, first 2 shown]
	ds_write_b64 v1, v[188:189]
	ds_write2_b64 v20, v[4:5], v[6:7] offset0:4 offset1:5
	ds_write2_b64 v20, v[8:9], v[10:11] offset0:6 offset1:7
	ds_write2_b64 v20, v[12:13], v[14:15] offset0:8 offset1:9
	ds_write2_b64 v20, v[16:17], v[18:19] offset0:10 offset1:11
	v_mov_b32_e32 v4, v198
	v_mov_b32_e32 v5, v199
	v_mov_b32_e32 v6, v178
	v_mov_b32_e32 v7, v179
	v_mov_b32_e32 v8, v196
	v_mov_b32_e32 v9, v197
	v_mov_b32_e32 v10, v176
	v_mov_b32_e32 v11, v177
	v_mov_b32_e32 v12, v194
	v_mov_b32_e32 v13, v195
	v_mov_b32_e32 v14, v174
	v_mov_b32_e32 v15, v175
	v_mov_b32_e32 v16, v192
	v_mov_b32_e32 v17, v193
	v_mov_b32_e32 v18, v138
	v_mov_b32_e32 v19, v139
	v_mov_b32_e32 v21, v170
	v_mov_b32_e32 v22, v171
	v_mov_b32_e32 v23, v136
	v_mov_b32_e32 v24, v137
	ds_write2_b64 v20, v[4:5], v[6:7] offset0:12 offset1:13
	ds_write2_b64 v20, v[8:9], v[10:11] offset0:14 offset1:15
	ds_write2_b64 v20, v[12:13], v[14:15] offset0:16 offset1:17
	ds_write2_b64 v20, v[16:17], v[18:19] offset0:18 offset1:19
	ds_write2_b64 v20, v[21:22], v[23:24] offset0:20 offset1:21
	v_mov_b32_e32 v4, v168
	v_mov_b32_e32 v5, v169
	v_mov_b32_e32 v6, v134
	v_mov_b32_e32 v7, v135
	v_mov_b32_e32 v8, v166
	v_mov_b32_e32 v9, v167
	v_mov_b32_e32 v10, v132
	v_mov_b32_e32 v11, v133
	v_mov_b32_e32 v12, v164
	v_mov_b32_e32 v13, v165
	v_mov_b32_e32 v14, v130
	v_mov_b32_e32 v15, v131
	v_mov_b32_e32 v16, v162
	v_mov_b32_e32 v17, v163
	v_mov_b32_e32 v18, v128
	v_mov_b32_e32 v19, v129
	v_mov_b32_e32 v21, v160
	v_mov_b32_e32 v22, v161
	v_mov_b32_e32 v23, v126
	v_mov_b32_e32 v24, v127
	ds_write2_b64 v20, v[4:5], v[6:7] offset0:22 offset1:23
	;; [unrolled: 25-line block ×3, first 2 shown]
	ds_write2_b64 v20, v[8:9], v[10:11] offset0:34 offset1:35
	ds_write2_b64 v20, v[12:13], v[14:15] offset0:36 offset1:37
	;; [unrolled: 1-line block ×4, first 2 shown]
	v_mov_b32_e32 v4, v148
	v_mov_b32_e32 v5, v149
	;; [unrolled: 1-line block ×18, first 2 shown]
	ds_write2_b64 v20, v[4:5], v[6:7] offset0:42 offset1:43
	ds_write2_b64 v20, v[8:9], v[10:11] offset0:44 offset1:45
	;; [unrolled: 1-line block ×5, first 2 shown]
	ds_read_b64 v[4:5], v1
	s_waitcnt lgkmcnt(0)
	v_cmp_neq_f64_e32 vcc_lo, 0, v[4:5]
	s_and_b32 exec_lo, exec_lo, vcc_lo
	s_cbranch_execz .LBB103_19
; %bb.18:
	v_div_scale_f64 v[6:7], null, v[4:5], v[4:5], 1.0
	v_rcp_f64_e32 v[8:9], v[6:7]
	v_fma_f64 v[10:11], -v[6:7], v[8:9], 1.0
	v_fma_f64 v[8:9], v[8:9], v[10:11], v[8:9]
	v_fma_f64 v[10:11], -v[6:7], v[8:9], 1.0
	v_fma_f64 v[8:9], v[8:9], v[10:11], v[8:9]
	v_div_scale_f64 v[10:11], vcc_lo, 1.0, v[4:5], 1.0
	v_mul_f64 v[12:13], v[10:11], v[8:9]
	v_fma_f64 v[6:7], -v[6:7], v[12:13], v[10:11]
	v_div_fmas_f64 v[6:7], v[6:7], v[8:9], v[12:13]
	v_div_fixup_f64 v[4:5], v[6:7], v[4:5], 1.0
	ds_write_b64 v1, v[4:5]
.LBB103_19:
	s_or_b32 exec_lo, exec_lo, s1
	s_waitcnt lgkmcnt(0)
	s_barrier
	buffer_gl0_inv
	ds_read_b64 v[39:40], v1
	s_mov_b32 s1, exec_lo
	v_cmpx_lt_u32_e32 3, v0
	s_cbranch_execz .LBB103_21
; %bb.20:
	s_waitcnt lgkmcnt(0)
	v_mul_f64 v[188:189], v[39:40], v[188:189]
	ds_read2_b64 v[4:7], v20 offset0:4 offset1:5
	s_waitcnt lgkmcnt(0)
	v_fma_f64 v[206:207], -v[188:189], v[4:5], v[206:207]
	v_fma_f64 v[186:187], -v[188:189], v[6:7], v[186:187]
	ds_read2_b64 v[4:7], v20 offset0:6 offset1:7
	s_waitcnt lgkmcnt(0)
	v_fma_f64 v[204:205], -v[188:189], v[4:5], v[204:205]
	v_fma_f64 v[184:185], -v[188:189], v[6:7], v[184:185]
	ds_read2_b64 v[4:7], v20 offset0:8 offset1:9
	s_waitcnt lgkmcnt(0)
	v_fma_f64 v[202:203], -v[188:189], v[4:5], v[202:203]
	v_fma_f64 v[182:183], -v[188:189], v[6:7], v[182:183]
	ds_read2_b64 v[4:7], v20 offset0:10 offset1:11
	s_waitcnt lgkmcnt(0)
	v_fma_f64 v[200:201], -v[188:189], v[4:5], v[200:201]
	v_fma_f64 v[180:181], -v[188:189], v[6:7], v[180:181]
	ds_read2_b64 v[4:7], v20 offset0:12 offset1:13
	s_waitcnt lgkmcnt(0)
	v_fma_f64 v[198:199], -v[188:189], v[4:5], v[198:199]
	v_fma_f64 v[178:179], -v[188:189], v[6:7], v[178:179]
	ds_read2_b64 v[4:7], v20 offset0:14 offset1:15
	s_waitcnt lgkmcnt(0)
	v_fma_f64 v[196:197], -v[188:189], v[4:5], v[196:197]
	v_fma_f64 v[176:177], -v[188:189], v[6:7], v[176:177]
	ds_read2_b64 v[4:7], v20 offset0:16 offset1:17
	s_waitcnt lgkmcnt(0)
	v_fma_f64 v[194:195], -v[188:189], v[4:5], v[194:195]
	v_fma_f64 v[174:175], -v[188:189], v[6:7], v[174:175]
	ds_read2_b64 v[4:7], v20 offset0:18 offset1:19
	s_waitcnt lgkmcnt(0)
	v_fma_f64 v[192:193], -v[188:189], v[4:5], v[192:193]
	v_fma_f64 v[138:139], -v[188:189], v[6:7], v[138:139]
	ds_read2_b64 v[4:7], v20 offset0:20 offset1:21
	s_waitcnt lgkmcnt(0)
	v_fma_f64 v[170:171], -v[188:189], v[4:5], v[170:171]
	v_fma_f64 v[136:137], -v[188:189], v[6:7], v[136:137]
	ds_read2_b64 v[4:7], v20 offset0:22 offset1:23
	s_waitcnt lgkmcnt(0)
	v_fma_f64 v[168:169], -v[188:189], v[4:5], v[168:169]
	v_fma_f64 v[134:135], -v[188:189], v[6:7], v[134:135]
	ds_read2_b64 v[4:7], v20 offset0:24 offset1:25
	s_waitcnt lgkmcnt(0)
	v_fma_f64 v[166:167], -v[188:189], v[4:5], v[166:167]
	v_fma_f64 v[132:133], -v[188:189], v[6:7], v[132:133]
	ds_read2_b64 v[4:7], v20 offset0:26 offset1:27
	s_waitcnt lgkmcnt(0)
	v_fma_f64 v[164:165], -v[188:189], v[4:5], v[164:165]
	v_fma_f64 v[130:131], -v[188:189], v[6:7], v[130:131]
	ds_read2_b64 v[4:7], v20 offset0:28 offset1:29
	s_waitcnt lgkmcnt(0)
	v_fma_f64 v[162:163], -v[188:189], v[4:5], v[162:163]
	v_fma_f64 v[128:129], -v[188:189], v[6:7], v[128:129]
	ds_read2_b64 v[4:7], v20 offset0:30 offset1:31
	s_waitcnt lgkmcnt(0)
	v_fma_f64 v[160:161], -v[188:189], v[4:5], v[160:161]
	v_fma_f64 v[126:127], -v[188:189], v[6:7], v[126:127]
	ds_read2_b64 v[4:7], v20 offset0:32 offset1:33
	s_waitcnt lgkmcnt(0)
	v_fma_f64 v[158:159], -v[188:189], v[4:5], v[158:159]
	v_fma_f64 v[124:125], -v[188:189], v[6:7], v[124:125]
	ds_read2_b64 v[4:7], v20 offset0:34 offset1:35
	s_waitcnt lgkmcnt(0)
	v_fma_f64 v[156:157], -v[188:189], v[4:5], v[156:157]
	v_fma_f64 v[122:123], -v[188:189], v[6:7], v[122:123]
	ds_read2_b64 v[4:7], v20 offset0:36 offset1:37
	s_waitcnt lgkmcnt(0)
	v_fma_f64 v[154:155], -v[188:189], v[4:5], v[154:155]
	v_fma_f64 v[120:121], -v[188:189], v[6:7], v[120:121]
	ds_read2_b64 v[4:7], v20 offset0:38 offset1:39
	s_waitcnt lgkmcnt(0)
	v_fma_f64 v[152:153], -v[188:189], v[4:5], v[152:153]
	v_fma_f64 v[118:119], -v[188:189], v[6:7], v[118:119]
	ds_read2_b64 v[4:7], v20 offset0:40 offset1:41
	s_waitcnt lgkmcnt(0)
	v_fma_f64 v[150:151], -v[188:189], v[4:5], v[150:151]
	v_fma_f64 v[116:117], -v[188:189], v[6:7], v[116:117]
	ds_read2_b64 v[4:7], v20 offset0:42 offset1:43
	s_waitcnt lgkmcnt(0)
	v_fma_f64 v[148:149], -v[188:189], v[4:5], v[148:149]
	v_fma_f64 v[114:115], -v[188:189], v[6:7], v[114:115]
	ds_read2_b64 v[4:7], v20 offset0:44 offset1:45
	s_waitcnt lgkmcnt(0)
	v_fma_f64 v[146:147], -v[188:189], v[4:5], v[146:147]
	v_fma_f64 v[112:113], -v[188:189], v[6:7], v[112:113]
	ds_read2_b64 v[4:7], v20 offset0:46 offset1:47
	s_waitcnt lgkmcnt(0)
	v_fma_f64 v[144:145], -v[188:189], v[4:5], v[144:145]
	v_fma_f64 v[110:111], -v[188:189], v[6:7], v[110:111]
	ds_read2_b64 v[4:7], v20 offset0:48 offset1:49
	s_waitcnt lgkmcnt(0)
	v_fma_f64 v[142:143], -v[188:189], v[4:5], v[142:143]
	v_fma_f64 v[108:109], -v[188:189], v[6:7], v[108:109]
	ds_read2_b64 v[4:7], v20 offset0:50 offset1:51
	s_waitcnt lgkmcnt(0)
	v_fma_f64 v[140:141], -v[188:189], v[4:5], v[140:141]
	v_fma_f64 v[210:211], -v[188:189], v[6:7], v[210:211]
.LBB103_21:
	s_or_b32 exec_lo, exec_lo, s1
	s_mov_b32 s1, exec_lo
	s_waitcnt lgkmcnt(0)
	s_barrier
	buffer_gl0_inv
	v_cmpx_eq_u32_e32 4, v0
	s_cbranch_execz .LBB103_24
; %bb.22:
	ds_write_b64 v1, v[206:207]
	ds_write2_b64 v20, v[186:187], v[204:205] offset0:5 offset1:6
	ds_write2_b64 v20, v[184:185], v[202:203] offset0:7 offset1:8
	;; [unrolled: 1-line block ×23, first 2 shown]
	ds_write_b64 v20, v[210:211] offset:408
	ds_read_b64 v[4:5], v1
	s_waitcnt lgkmcnt(0)
	v_cmp_neq_f64_e32 vcc_lo, 0, v[4:5]
	s_and_b32 exec_lo, exec_lo, vcc_lo
	s_cbranch_execz .LBB103_24
; %bb.23:
	v_div_scale_f64 v[6:7], null, v[4:5], v[4:5], 1.0
	v_rcp_f64_e32 v[8:9], v[6:7]
	v_fma_f64 v[10:11], -v[6:7], v[8:9], 1.0
	v_fma_f64 v[8:9], v[8:9], v[10:11], v[8:9]
	v_fma_f64 v[10:11], -v[6:7], v[8:9], 1.0
	v_fma_f64 v[8:9], v[8:9], v[10:11], v[8:9]
	v_div_scale_f64 v[10:11], vcc_lo, 1.0, v[4:5], 1.0
	v_mul_f64 v[12:13], v[10:11], v[8:9]
	v_fma_f64 v[6:7], -v[6:7], v[12:13], v[10:11]
	v_div_fmas_f64 v[6:7], v[6:7], v[8:9], v[12:13]
	v_div_fixup_f64 v[4:5], v[6:7], v[4:5], 1.0
	ds_write_b64 v1, v[4:5]
.LBB103_24:
	s_or_b32 exec_lo, exec_lo, s1
	s_waitcnt lgkmcnt(0)
	s_barrier
	buffer_gl0_inv
	ds_read_b64 v[41:42], v1
	s_mov_b32 s1, exec_lo
	v_cmpx_lt_u32_e32 4, v0
	s_cbranch_execz .LBB103_26
; %bb.25:
	s_waitcnt lgkmcnt(0)
	v_mul_f64 v[206:207], v[41:42], v[206:207]
	ds_read2_b64 v[4:7], v20 offset0:5 offset1:6
	s_waitcnt lgkmcnt(0)
	v_fma_f64 v[186:187], -v[206:207], v[4:5], v[186:187]
	v_fma_f64 v[204:205], -v[206:207], v[6:7], v[204:205]
	ds_read2_b64 v[4:7], v20 offset0:7 offset1:8
	s_waitcnt lgkmcnt(0)
	v_fma_f64 v[184:185], -v[206:207], v[4:5], v[184:185]
	v_fma_f64 v[202:203], -v[206:207], v[6:7], v[202:203]
	ds_read2_b64 v[4:7], v20 offset0:9 offset1:10
	s_waitcnt lgkmcnt(0)
	v_fma_f64 v[182:183], -v[206:207], v[4:5], v[182:183]
	v_fma_f64 v[200:201], -v[206:207], v[6:7], v[200:201]
	ds_read2_b64 v[4:7], v20 offset0:11 offset1:12
	s_waitcnt lgkmcnt(0)
	v_fma_f64 v[180:181], -v[206:207], v[4:5], v[180:181]
	v_fma_f64 v[198:199], -v[206:207], v[6:7], v[198:199]
	ds_read2_b64 v[4:7], v20 offset0:13 offset1:14
	s_waitcnt lgkmcnt(0)
	v_fma_f64 v[178:179], -v[206:207], v[4:5], v[178:179]
	v_fma_f64 v[196:197], -v[206:207], v[6:7], v[196:197]
	ds_read2_b64 v[4:7], v20 offset0:15 offset1:16
	s_waitcnt lgkmcnt(0)
	v_fma_f64 v[176:177], -v[206:207], v[4:5], v[176:177]
	v_fma_f64 v[194:195], -v[206:207], v[6:7], v[194:195]
	ds_read2_b64 v[4:7], v20 offset0:17 offset1:18
	s_waitcnt lgkmcnt(0)
	v_fma_f64 v[174:175], -v[206:207], v[4:5], v[174:175]
	v_fma_f64 v[192:193], -v[206:207], v[6:7], v[192:193]
	ds_read2_b64 v[4:7], v20 offset0:19 offset1:20
	s_waitcnt lgkmcnt(0)
	v_fma_f64 v[138:139], -v[206:207], v[4:5], v[138:139]
	v_fma_f64 v[170:171], -v[206:207], v[6:7], v[170:171]
	ds_read2_b64 v[4:7], v20 offset0:21 offset1:22
	s_waitcnt lgkmcnt(0)
	v_fma_f64 v[136:137], -v[206:207], v[4:5], v[136:137]
	v_fma_f64 v[168:169], -v[206:207], v[6:7], v[168:169]
	ds_read2_b64 v[4:7], v20 offset0:23 offset1:24
	s_waitcnt lgkmcnt(0)
	v_fma_f64 v[134:135], -v[206:207], v[4:5], v[134:135]
	v_fma_f64 v[166:167], -v[206:207], v[6:7], v[166:167]
	ds_read2_b64 v[4:7], v20 offset0:25 offset1:26
	s_waitcnt lgkmcnt(0)
	v_fma_f64 v[132:133], -v[206:207], v[4:5], v[132:133]
	v_fma_f64 v[164:165], -v[206:207], v[6:7], v[164:165]
	ds_read2_b64 v[4:7], v20 offset0:27 offset1:28
	s_waitcnt lgkmcnt(0)
	v_fma_f64 v[130:131], -v[206:207], v[4:5], v[130:131]
	v_fma_f64 v[162:163], -v[206:207], v[6:7], v[162:163]
	ds_read2_b64 v[4:7], v20 offset0:29 offset1:30
	s_waitcnt lgkmcnt(0)
	v_fma_f64 v[128:129], -v[206:207], v[4:5], v[128:129]
	v_fma_f64 v[160:161], -v[206:207], v[6:7], v[160:161]
	ds_read2_b64 v[4:7], v20 offset0:31 offset1:32
	s_waitcnt lgkmcnt(0)
	v_fma_f64 v[126:127], -v[206:207], v[4:5], v[126:127]
	v_fma_f64 v[158:159], -v[206:207], v[6:7], v[158:159]
	ds_read2_b64 v[4:7], v20 offset0:33 offset1:34
	s_waitcnt lgkmcnt(0)
	v_fma_f64 v[124:125], -v[206:207], v[4:5], v[124:125]
	v_fma_f64 v[156:157], -v[206:207], v[6:7], v[156:157]
	ds_read2_b64 v[4:7], v20 offset0:35 offset1:36
	s_waitcnt lgkmcnt(0)
	v_fma_f64 v[122:123], -v[206:207], v[4:5], v[122:123]
	v_fma_f64 v[154:155], -v[206:207], v[6:7], v[154:155]
	ds_read2_b64 v[4:7], v20 offset0:37 offset1:38
	s_waitcnt lgkmcnt(0)
	v_fma_f64 v[120:121], -v[206:207], v[4:5], v[120:121]
	v_fma_f64 v[152:153], -v[206:207], v[6:7], v[152:153]
	ds_read2_b64 v[4:7], v20 offset0:39 offset1:40
	s_waitcnt lgkmcnt(0)
	v_fma_f64 v[118:119], -v[206:207], v[4:5], v[118:119]
	v_fma_f64 v[150:151], -v[206:207], v[6:7], v[150:151]
	ds_read2_b64 v[4:7], v20 offset0:41 offset1:42
	s_waitcnt lgkmcnt(0)
	v_fma_f64 v[116:117], -v[206:207], v[4:5], v[116:117]
	v_fma_f64 v[148:149], -v[206:207], v[6:7], v[148:149]
	ds_read2_b64 v[4:7], v20 offset0:43 offset1:44
	s_waitcnt lgkmcnt(0)
	v_fma_f64 v[114:115], -v[206:207], v[4:5], v[114:115]
	v_fma_f64 v[146:147], -v[206:207], v[6:7], v[146:147]
	ds_read2_b64 v[4:7], v20 offset0:45 offset1:46
	s_waitcnt lgkmcnt(0)
	v_fma_f64 v[112:113], -v[206:207], v[4:5], v[112:113]
	v_fma_f64 v[144:145], -v[206:207], v[6:7], v[144:145]
	ds_read2_b64 v[4:7], v20 offset0:47 offset1:48
	s_waitcnt lgkmcnt(0)
	v_fma_f64 v[110:111], -v[206:207], v[4:5], v[110:111]
	v_fma_f64 v[142:143], -v[206:207], v[6:7], v[142:143]
	ds_read2_b64 v[4:7], v20 offset0:49 offset1:50
	s_waitcnt lgkmcnt(0)
	v_fma_f64 v[108:109], -v[206:207], v[4:5], v[108:109]
	ds_read_b64 v[4:5], v20 offset:408
	v_fma_f64 v[140:141], -v[206:207], v[6:7], v[140:141]
	s_waitcnt lgkmcnt(0)
	v_fma_f64 v[210:211], -v[206:207], v[4:5], v[210:211]
.LBB103_26:
	s_or_b32 exec_lo, exec_lo, s1
	s_mov_b32 s1, exec_lo
	s_waitcnt lgkmcnt(0)
	s_barrier
	buffer_gl0_inv
	v_cmpx_eq_u32_e32 5, v0
	s_cbranch_execz .LBB103_29
; %bb.27:
	v_mov_b32_e32 v4, v204
	v_mov_b32_e32 v5, v205
	;; [unrolled: 1-line block ×12, first 2 shown]
	ds_write_b64 v1, v[186:187]
	ds_write2_b64 v20, v[4:5], v[6:7] offset0:6 offset1:7
	ds_write2_b64 v20, v[8:9], v[10:11] offset0:8 offset1:9
	ds_write2_b64 v20, v[12:13], v[14:15] offset0:10 offset1:11
	v_mov_b32_e32 v4, v198
	v_mov_b32_e32 v5, v199
	v_mov_b32_e32 v6, v178
	v_mov_b32_e32 v7, v179
	v_mov_b32_e32 v8, v196
	v_mov_b32_e32 v9, v197
	v_mov_b32_e32 v10, v176
	v_mov_b32_e32 v11, v177
	v_mov_b32_e32 v12, v194
	v_mov_b32_e32 v13, v195
	v_mov_b32_e32 v14, v174
	v_mov_b32_e32 v15, v175
	v_mov_b32_e32 v16, v192
	v_mov_b32_e32 v17, v193
	v_mov_b32_e32 v18, v138
	v_mov_b32_e32 v19, v139
	v_mov_b32_e32 v21, v170
	v_mov_b32_e32 v22, v171
	v_mov_b32_e32 v23, v136
	v_mov_b32_e32 v24, v137
	ds_write2_b64 v20, v[4:5], v[6:7] offset0:12 offset1:13
	ds_write2_b64 v20, v[8:9], v[10:11] offset0:14 offset1:15
	ds_write2_b64 v20, v[12:13], v[14:15] offset0:16 offset1:17
	ds_write2_b64 v20, v[16:17], v[18:19] offset0:18 offset1:19
	ds_write2_b64 v20, v[21:22], v[23:24] offset0:20 offset1:21
	v_mov_b32_e32 v4, v168
	v_mov_b32_e32 v5, v169
	v_mov_b32_e32 v6, v134
	v_mov_b32_e32 v7, v135
	v_mov_b32_e32 v8, v166
	v_mov_b32_e32 v9, v167
	v_mov_b32_e32 v10, v132
	v_mov_b32_e32 v11, v133
	v_mov_b32_e32 v12, v164
	v_mov_b32_e32 v13, v165
	v_mov_b32_e32 v14, v130
	v_mov_b32_e32 v15, v131
	v_mov_b32_e32 v16, v162
	v_mov_b32_e32 v17, v163
	v_mov_b32_e32 v18, v128
	v_mov_b32_e32 v19, v129
	v_mov_b32_e32 v21, v160
	v_mov_b32_e32 v22, v161
	v_mov_b32_e32 v23, v126
	v_mov_b32_e32 v24, v127
	ds_write2_b64 v20, v[4:5], v[6:7] offset0:22 offset1:23
	ds_write2_b64 v20, v[8:9], v[10:11] offset0:24 offset1:25
	;; [unrolled: 25-line block ×3, first 2 shown]
	ds_write2_b64 v20, v[12:13], v[14:15] offset0:36 offset1:37
	ds_write2_b64 v20, v[16:17], v[18:19] offset0:38 offset1:39
	ds_write2_b64 v20, v[21:22], v[23:24] offset0:40 offset1:41
	v_mov_b32_e32 v4, v148
	v_mov_b32_e32 v5, v149
	;; [unrolled: 1-line block ×18, first 2 shown]
	ds_write2_b64 v20, v[4:5], v[6:7] offset0:42 offset1:43
	ds_write2_b64 v20, v[8:9], v[10:11] offset0:44 offset1:45
	;; [unrolled: 1-line block ×5, first 2 shown]
	ds_read_b64 v[4:5], v1
	s_waitcnt lgkmcnt(0)
	v_cmp_neq_f64_e32 vcc_lo, 0, v[4:5]
	s_and_b32 exec_lo, exec_lo, vcc_lo
	s_cbranch_execz .LBB103_29
; %bb.28:
	v_div_scale_f64 v[6:7], null, v[4:5], v[4:5], 1.0
	v_rcp_f64_e32 v[8:9], v[6:7]
	v_fma_f64 v[10:11], -v[6:7], v[8:9], 1.0
	v_fma_f64 v[8:9], v[8:9], v[10:11], v[8:9]
	v_fma_f64 v[10:11], -v[6:7], v[8:9], 1.0
	v_fma_f64 v[8:9], v[8:9], v[10:11], v[8:9]
	v_div_scale_f64 v[10:11], vcc_lo, 1.0, v[4:5], 1.0
	v_mul_f64 v[12:13], v[10:11], v[8:9]
	v_fma_f64 v[6:7], -v[6:7], v[12:13], v[10:11]
	v_div_fmas_f64 v[6:7], v[6:7], v[8:9], v[12:13]
	v_div_fixup_f64 v[4:5], v[6:7], v[4:5], 1.0
	ds_write_b64 v1, v[4:5]
.LBB103_29:
	s_or_b32 exec_lo, exec_lo, s1
	s_waitcnt lgkmcnt(0)
	s_barrier
	buffer_gl0_inv
	ds_read_b64 v[43:44], v1
	s_mov_b32 s1, exec_lo
	v_cmpx_lt_u32_e32 5, v0
	s_cbranch_execz .LBB103_31
; %bb.30:
	s_waitcnt lgkmcnt(0)
	v_mul_f64 v[186:187], v[43:44], v[186:187]
	ds_read2_b64 v[4:7], v20 offset0:6 offset1:7
	s_waitcnt lgkmcnt(0)
	v_fma_f64 v[204:205], -v[186:187], v[4:5], v[204:205]
	v_fma_f64 v[184:185], -v[186:187], v[6:7], v[184:185]
	ds_read2_b64 v[4:7], v20 offset0:8 offset1:9
	s_waitcnt lgkmcnt(0)
	v_fma_f64 v[202:203], -v[186:187], v[4:5], v[202:203]
	v_fma_f64 v[182:183], -v[186:187], v[6:7], v[182:183]
	;; [unrolled: 4-line block ×23, first 2 shown]
.LBB103_31:
	s_or_b32 exec_lo, exec_lo, s1
	s_mov_b32 s1, exec_lo
	s_waitcnt lgkmcnt(0)
	s_barrier
	buffer_gl0_inv
	v_cmpx_eq_u32_e32 6, v0
	s_cbranch_execz .LBB103_34
; %bb.32:
	ds_write_b64 v1, v[204:205]
	ds_write2_b64 v20, v[184:185], v[202:203] offset0:7 offset1:8
	ds_write2_b64 v20, v[182:183], v[200:201] offset0:9 offset1:10
	;; [unrolled: 1-line block ×22, first 2 shown]
	ds_write_b64 v20, v[210:211] offset:408
	ds_read_b64 v[4:5], v1
	s_waitcnt lgkmcnt(0)
	v_cmp_neq_f64_e32 vcc_lo, 0, v[4:5]
	s_and_b32 exec_lo, exec_lo, vcc_lo
	s_cbranch_execz .LBB103_34
; %bb.33:
	v_div_scale_f64 v[6:7], null, v[4:5], v[4:5], 1.0
	v_rcp_f64_e32 v[8:9], v[6:7]
	v_fma_f64 v[10:11], -v[6:7], v[8:9], 1.0
	v_fma_f64 v[8:9], v[8:9], v[10:11], v[8:9]
	v_fma_f64 v[10:11], -v[6:7], v[8:9], 1.0
	v_fma_f64 v[8:9], v[8:9], v[10:11], v[8:9]
	v_div_scale_f64 v[10:11], vcc_lo, 1.0, v[4:5], 1.0
	v_mul_f64 v[12:13], v[10:11], v[8:9]
	v_fma_f64 v[6:7], -v[6:7], v[12:13], v[10:11]
	v_div_fmas_f64 v[6:7], v[6:7], v[8:9], v[12:13]
	v_div_fixup_f64 v[4:5], v[6:7], v[4:5], 1.0
	ds_write_b64 v1, v[4:5]
.LBB103_34:
	s_or_b32 exec_lo, exec_lo, s1
	s_waitcnt lgkmcnt(0)
	s_barrier
	buffer_gl0_inv
	ds_read_b64 v[45:46], v1
	s_mov_b32 s1, exec_lo
	v_cmpx_lt_u32_e32 6, v0
	s_cbranch_execz .LBB103_36
; %bb.35:
	s_waitcnt lgkmcnt(0)
	v_mul_f64 v[204:205], v[45:46], v[204:205]
	ds_read2_b64 v[4:7], v20 offset0:7 offset1:8
	s_waitcnt lgkmcnt(0)
	v_fma_f64 v[184:185], -v[204:205], v[4:5], v[184:185]
	v_fma_f64 v[202:203], -v[204:205], v[6:7], v[202:203]
	ds_read2_b64 v[4:7], v20 offset0:9 offset1:10
	s_waitcnt lgkmcnt(0)
	v_fma_f64 v[182:183], -v[204:205], v[4:5], v[182:183]
	v_fma_f64 v[200:201], -v[204:205], v[6:7], v[200:201]
	;; [unrolled: 4-line block ×21, first 2 shown]
	ds_read2_b64 v[4:7], v20 offset0:49 offset1:50
	s_waitcnt lgkmcnt(0)
	v_fma_f64 v[108:109], -v[204:205], v[4:5], v[108:109]
	ds_read_b64 v[4:5], v20 offset:408
	v_fma_f64 v[140:141], -v[204:205], v[6:7], v[140:141]
	s_waitcnt lgkmcnt(0)
	v_fma_f64 v[210:211], -v[204:205], v[4:5], v[210:211]
.LBB103_36:
	s_or_b32 exec_lo, exec_lo, s1
	s_mov_b32 s1, exec_lo
	s_waitcnt lgkmcnt(0)
	s_barrier
	buffer_gl0_inv
	v_cmpx_eq_u32_e32 7, v0
	s_cbranch_execz .LBB103_39
; %bb.37:
	v_mov_b32_e32 v4, v202
	v_mov_b32_e32 v5, v203
	;; [unrolled: 1-line block ×8, first 2 shown]
	ds_write_b64 v1, v[184:185]
	ds_write2_b64 v20, v[4:5], v[6:7] offset0:8 offset1:9
	ds_write2_b64 v20, v[8:9], v[10:11] offset0:10 offset1:11
	v_mov_b32_e32 v4, v198
	v_mov_b32_e32 v5, v199
	v_mov_b32_e32 v6, v178
	v_mov_b32_e32 v7, v179
	v_mov_b32_e32 v8, v196
	v_mov_b32_e32 v9, v197
	v_mov_b32_e32 v10, v176
	v_mov_b32_e32 v11, v177
	v_mov_b32_e32 v12, v194
	v_mov_b32_e32 v13, v195
	v_mov_b32_e32 v14, v174
	v_mov_b32_e32 v15, v175
	v_mov_b32_e32 v16, v192
	v_mov_b32_e32 v17, v193
	v_mov_b32_e32 v18, v138
	v_mov_b32_e32 v19, v139
	v_mov_b32_e32 v21, v170
	v_mov_b32_e32 v22, v171
	v_mov_b32_e32 v23, v136
	v_mov_b32_e32 v24, v137
	ds_write2_b64 v20, v[4:5], v[6:7] offset0:12 offset1:13
	ds_write2_b64 v20, v[8:9], v[10:11] offset0:14 offset1:15
	ds_write2_b64 v20, v[12:13], v[14:15] offset0:16 offset1:17
	ds_write2_b64 v20, v[16:17], v[18:19] offset0:18 offset1:19
	ds_write2_b64 v20, v[21:22], v[23:24] offset0:20 offset1:21
	v_mov_b32_e32 v4, v168
	v_mov_b32_e32 v5, v169
	v_mov_b32_e32 v6, v134
	v_mov_b32_e32 v7, v135
	v_mov_b32_e32 v8, v166
	v_mov_b32_e32 v9, v167
	v_mov_b32_e32 v10, v132
	v_mov_b32_e32 v11, v133
	v_mov_b32_e32 v12, v164
	v_mov_b32_e32 v13, v165
	v_mov_b32_e32 v14, v130
	v_mov_b32_e32 v15, v131
	v_mov_b32_e32 v16, v162
	v_mov_b32_e32 v17, v163
	v_mov_b32_e32 v18, v128
	v_mov_b32_e32 v19, v129
	v_mov_b32_e32 v21, v160
	v_mov_b32_e32 v22, v161
	v_mov_b32_e32 v23, v126
	v_mov_b32_e32 v24, v127
	ds_write2_b64 v20, v[4:5], v[6:7] offset0:22 offset1:23
	ds_write2_b64 v20, v[8:9], v[10:11] offset0:24 offset1:25
	ds_write2_b64 v20, v[12:13], v[14:15] offset0:26 offset1:27
	ds_write2_b64 v20, v[16:17], v[18:19] offset0:28 offset1:29
	ds_write2_b64 v20, v[21:22], v[23:24] offset0:30 offset1:31
	v_mov_b32_e32 v4, v158
	v_mov_b32_e32 v5, v159
	v_mov_b32_e32 v6, v124
	v_mov_b32_e32 v7, v125
	v_mov_b32_e32 v8, v156
	v_mov_b32_e32 v9, v157
	v_mov_b32_e32 v10, v122
	v_mov_b32_e32 v11, v123
	v_mov_b32_e32 v12, v154
	v_mov_b32_e32 v13, v155
	v_mov_b32_e32 v14, v120
	v_mov_b32_e32 v15, v121
	v_mov_b32_e32 v16, v152
	v_mov_b32_e32 v17, v153
	v_mov_b32_e32 v18, v118
	v_mov_b32_e32 v19, v119
	v_mov_b32_e32 v21, v150
	v_mov_b32_e32 v22, v151
	v_mov_b32_e32 v23, v116
	v_mov_b32_e32 v24, v117
	ds_write2_b64 v20, v[4:5], v[6:7] offset0:32 offset1:33
	ds_write2_b64 v20, v[8:9], v[10:11] offset0:34 offset1:35
	ds_write2_b64 v20, v[12:13], v[14:15] offset0:36 offset1:37
	ds_write2_b64 v20, v[16:17], v[18:19] offset0:38 offset1:39
	ds_write2_b64 v20, v[21:22], v[23:24] offset0:40 offset1:41
	v_mov_b32_e32 v4, v148
	v_mov_b32_e32 v5, v149
	;; [unrolled: 1-line block ×18, first 2 shown]
	ds_write2_b64 v20, v[4:5], v[6:7] offset0:42 offset1:43
	ds_write2_b64 v20, v[8:9], v[10:11] offset0:44 offset1:45
	ds_write2_b64 v20, v[12:13], v[14:15] offset0:46 offset1:47
	ds_write2_b64 v20, v[16:17], v[18:19] offset0:48 offset1:49
	ds_write2_b64 v20, v[21:22], v[210:211] offset0:50 offset1:51
	ds_read_b64 v[4:5], v1
	s_waitcnt lgkmcnt(0)
	v_cmp_neq_f64_e32 vcc_lo, 0, v[4:5]
	s_and_b32 exec_lo, exec_lo, vcc_lo
	s_cbranch_execz .LBB103_39
; %bb.38:
	v_div_scale_f64 v[6:7], null, v[4:5], v[4:5], 1.0
	v_rcp_f64_e32 v[8:9], v[6:7]
	v_fma_f64 v[10:11], -v[6:7], v[8:9], 1.0
	v_fma_f64 v[8:9], v[8:9], v[10:11], v[8:9]
	v_fma_f64 v[10:11], -v[6:7], v[8:9], 1.0
	v_fma_f64 v[8:9], v[8:9], v[10:11], v[8:9]
	v_div_scale_f64 v[10:11], vcc_lo, 1.0, v[4:5], 1.0
	v_mul_f64 v[12:13], v[10:11], v[8:9]
	v_fma_f64 v[6:7], -v[6:7], v[12:13], v[10:11]
	v_div_fmas_f64 v[6:7], v[6:7], v[8:9], v[12:13]
	v_div_fixup_f64 v[4:5], v[6:7], v[4:5], 1.0
	ds_write_b64 v1, v[4:5]
.LBB103_39:
	s_or_b32 exec_lo, exec_lo, s1
	s_waitcnt lgkmcnt(0)
	s_barrier
	buffer_gl0_inv
	ds_read_b64 v[47:48], v1
	s_mov_b32 s1, exec_lo
	v_cmpx_lt_u32_e32 7, v0
	s_cbranch_execz .LBB103_41
; %bb.40:
	s_waitcnt lgkmcnt(0)
	v_mul_f64 v[184:185], v[47:48], v[184:185]
	ds_read2_b64 v[4:7], v20 offset0:8 offset1:9
	s_waitcnt lgkmcnt(0)
	v_fma_f64 v[202:203], -v[184:185], v[4:5], v[202:203]
	v_fma_f64 v[182:183], -v[184:185], v[6:7], v[182:183]
	ds_read2_b64 v[4:7], v20 offset0:10 offset1:11
	s_waitcnt lgkmcnt(0)
	v_fma_f64 v[200:201], -v[184:185], v[4:5], v[200:201]
	v_fma_f64 v[180:181], -v[184:185], v[6:7], v[180:181]
	;; [unrolled: 4-line block ×22, first 2 shown]
.LBB103_41:
	s_or_b32 exec_lo, exec_lo, s1
	s_mov_b32 s1, exec_lo
	s_waitcnt lgkmcnt(0)
	s_barrier
	buffer_gl0_inv
	v_cmpx_eq_u32_e32 8, v0
	s_cbranch_execz .LBB103_44
; %bb.42:
	ds_write_b64 v1, v[202:203]
	ds_write2_b64 v20, v[182:183], v[200:201] offset0:9 offset1:10
	ds_write2_b64 v20, v[180:181], v[198:199] offset0:11 offset1:12
	;; [unrolled: 1-line block ×21, first 2 shown]
	ds_write_b64 v20, v[210:211] offset:408
	ds_read_b64 v[4:5], v1
	s_waitcnt lgkmcnt(0)
	v_cmp_neq_f64_e32 vcc_lo, 0, v[4:5]
	s_and_b32 exec_lo, exec_lo, vcc_lo
	s_cbranch_execz .LBB103_44
; %bb.43:
	v_div_scale_f64 v[6:7], null, v[4:5], v[4:5], 1.0
	v_rcp_f64_e32 v[8:9], v[6:7]
	v_fma_f64 v[10:11], -v[6:7], v[8:9], 1.0
	v_fma_f64 v[8:9], v[8:9], v[10:11], v[8:9]
	v_fma_f64 v[10:11], -v[6:7], v[8:9], 1.0
	v_fma_f64 v[8:9], v[8:9], v[10:11], v[8:9]
	v_div_scale_f64 v[10:11], vcc_lo, 1.0, v[4:5], 1.0
	v_mul_f64 v[12:13], v[10:11], v[8:9]
	v_fma_f64 v[6:7], -v[6:7], v[12:13], v[10:11]
	v_div_fmas_f64 v[6:7], v[6:7], v[8:9], v[12:13]
	v_div_fixup_f64 v[4:5], v[6:7], v[4:5], 1.0
	ds_write_b64 v1, v[4:5]
.LBB103_44:
	s_or_b32 exec_lo, exec_lo, s1
	s_waitcnt lgkmcnt(0)
	s_barrier
	buffer_gl0_inv
	ds_read_b64 v[49:50], v1
	s_mov_b32 s1, exec_lo
	v_cmpx_lt_u32_e32 8, v0
	s_cbranch_execz .LBB103_46
; %bb.45:
	s_waitcnt lgkmcnt(0)
	v_mul_f64 v[202:203], v[49:50], v[202:203]
	ds_read2_b64 v[4:7], v20 offset0:9 offset1:10
	s_waitcnt lgkmcnt(0)
	v_fma_f64 v[182:183], -v[202:203], v[4:5], v[182:183]
	v_fma_f64 v[200:201], -v[202:203], v[6:7], v[200:201]
	ds_read2_b64 v[4:7], v20 offset0:11 offset1:12
	s_waitcnt lgkmcnt(0)
	v_fma_f64 v[180:181], -v[202:203], v[4:5], v[180:181]
	v_fma_f64 v[198:199], -v[202:203], v[6:7], v[198:199]
	;; [unrolled: 4-line block ×20, first 2 shown]
	ds_read2_b64 v[4:7], v20 offset0:49 offset1:50
	s_waitcnt lgkmcnt(0)
	v_fma_f64 v[108:109], -v[202:203], v[4:5], v[108:109]
	ds_read_b64 v[4:5], v20 offset:408
	v_fma_f64 v[140:141], -v[202:203], v[6:7], v[140:141]
	s_waitcnt lgkmcnt(0)
	v_fma_f64 v[210:211], -v[202:203], v[4:5], v[210:211]
.LBB103_46:
	s_or_b32 exec_lo, exec_lo, s1
	s_mov_b32 s1, exec_lo
	s_waitcnt lgkmcnt(0)
	s_barrier
	buffer_gl0_inv
	v_cmpx_eq_u32_e32 9, v0
	s_cbranch_execz .LBB103_49
; %bb.47:
	v_mov_b32_e32 v4, v200
	v_mov_b32_e32 v5, v201
	;; [unrolled: 1-line block ×4, first 2 shown]
	ds_write_b64 v1, v[182:183]
	ds_write2_b64 v20, v[4:5], v[6:7] offset0:10 offset1:11
	v_mov_b32_e32 v4, v198
	v_mov_b32_e32 v5, v199
	v_mov_b32_e32 v6, v178
	v_mov_b32_e32 v7, v179
	v_mov_b32_e32 v8, v196
	v_mov_b32_e32 v9, v197
	v_mov_b32_e32 v10, v176
	v_mov_b32_e32 v11, v177
	v_mov_b32_e32 v12, v194
	v_mov_b32_e32 v13, v195
	v_mov_b32_e32 v14, v174
	v_mov_b32_e32 v15, v175
	v_mov_b32_e32 v16, v192
	v_mov_b32_e32 v17, v193
	v_mov_b32_e32 v18, v138
	v_mov_b32_e32 v19, v139
	v_mov_b32_e32 v21, v170
	v_mov_b32_e32 v22, v171
	v_mov_b32_e32 v23, v136
	v_mov_b32_e32 v24, v137
	ds_write2_b64 v20, v[4:5], v[6:7] offset0:12 offset1:13
	ds_write2_b64 v20, v[8:9], v[10:11] offset0:14 offset1:15
	ds_write2_b64 v20, v[12:13], v[14:15] offset0:16 offset1:17
	ds_write2_b64 v20, v[16:17], v[18:19] offset0:18 offset1:19
	ds_write2_b64 v20, v[21:22], v[23:24] offset0:20 offset1:21
	v_mov_b32_e32 v4, v168
	v_mov_b32_e32 v5, v169
	v_mov_b32_e32 v6, v134
	v_mov_b32_e32 v7, v135
	v_mov_b32_e32 v8, v166
	v_mov_b32_e32 v9, v167
	v_mov_b32_e32 v10, v132
	v_mov_b32_e32 v11, v133
	v_mov_b32_e32 v12, v164
	v_mov_b32_e32 v13, v165
	v_mov_b32_e32 v14, v130
	v_mov_b32_e32 v15, v131
	v_mov_b32_e32 v16, v162
	v_mov_b32_e32 v17, v163
	v_mov_b32_e32 v18, v128
	v_mov_b32_e32 v19, v129
	v_mov_b32_e32 v21, v160
	v_mov_b32_e32 v22, v161
	v_mov_b32_e32 v23, v126
	v_mov_b32_e32 v24, v127
	ds_write2_b64 v20, v[4:5], v[6:7] offset0:22 offset1:23
	ds_write2_b64 v20, v[8:9], v[10:11] offset0:24 offset1:25
	ds_write2_b64 v20, v[12:13], v[14:15] offset0:26 offset1:27
	ds_write2_b64 v20, v[16:17], v[18:19] offset0:28 offset1:29
	;; [unrolled: 25-line block ×3, first 2 shown]
	ds_write2_b64 v20, v[21:22], v[23:24] offset0:40 offset1:41
	v_mov_b32_e32 v4, v148
	v_mov_b32_e32 v5, v149
	;; [unrolled: 1-line block ×18, first 2 shown]
	ds_write2_b64 v20, v[4:5], v[6:7] offset0:42 offset1:43
	ds_write2_b64 v20, v[8:9], v[10:11] offset0:44 offset1:45
	;; [unrolled: 1-line block ×5, first 2 shown]
	ds_read_b64 v[4:5], v1
	s_waitcnt lgkmcnt(0)
	v_cmp_neq_f64_e32 vcc_lo, 0, v[4:5]
	s_and_b32 exec_lo, exec_lo, vcc_lo
	s_cbranch_execz .LBB103_49
; %bb.48:
	v_div_scale_f64 v[6:7], null, v[4:5], v[4:5], 1.0
	v_rcp_f64_e32 v[8:9], v[6:7]
	v_fma_f64 v[10:11], -v[6:7], v[8:9], 1.0
	v_fma_f64 v[8:9], v[8:9], v[10:11], v[8:9]
	v_fma_f64 v[10:11], -v[6:7], v[8:9], 1.0
	v_fma_f64 v[8:9], v[8:9], v[10:11], v[8:9]
	v_div_scale_f64 v[10:11], vcc_lo, 1.0, v[4:5], 1.0
	v_mul_f64 v[12:13], v[10:11], v[8:9]
	v_fma_f64 v[6:7], -v[6:7], v[12:13], v[10:11]
	v_div_fmas_f64 v[6:7], v[6:7], v[8:9], v[12:13]
	v_div_fixup_f64 v[4:5], v[6:7], v[4:5], 1.0
	ds_write_b64 v1, v[4:5]
.LBB103_49:
	s_or_b32 exec_lo, exec_lo, s1
	s_waitcnt lgkmcnt(0)
	s_barrier
	buffer_gl0_inv
	ds_read_b64 v[51:52], v1
	s_mov_b32 s1, exec_lo
	v_cmpx_lt_u32_e32 9, v0
	s_cbranch_execz .LBB103_51
; %bb.50:
	s_waitcnt lgkmcnt(0)
	v_mul_f64 v[182:183], v[51:52], v[182:183]
	ds_read2_b64 v[4:7], v20 offset0:10 offset1:11
	s_waitcnt lgkmcnt(0)
	v_fma_f64 v[200:201], -v[182:183], v[4:5], v[200:201]
	v_fma_f64 v[180:181], -v[182:183], v[6:7], v[180:181]
	ds_read2_b64 v[4:7], v20 offset0:12 offset1:13
	s_waitcnt lgkmcnt(0)
	v_fma_f64 v[198:199], -v[182:183], v[4:5], v[198:199]
	v_fma_f64 v[178:179], -v[182:183], v[6:7], v[178:179]
	;; [unrolled: 4-line block ×21, first 2 shown]
.LBB103_51:
	s_or_b32 exec_lo, exec_lo, s1
	s_mov_b32 s1, exec_lo
	s_waitcnt lgkmcnt(0)
	s_barrier
	buffer_gl0_inv
	v_cmpx_eq_u32_e32 10, v0
	s_cbranch_execz .LBB103_54
; %bb.52:
	ds_write_b64 v1, v[200:201]
	ds_write2_b64 v20, v[180:181], v[198:199] offset0:11 offset1:12
	ds_write2_b64 v20, v[178:179], v[196:197] offset0:13 offset1:14
	;; [unrolled: 1-line block ×20, first 2 shown]
	ds_write_b64 v20, v[210:211] offset:408
	ds_read_b64 v[4:5], v1
	s_waitcnt lgkmcnt(0)
	v_cmp_neq_f64_e32 vcc_lo, 0, v[4:5]
	s_and_b32 exec_lo, exec_lo, vcc_lo
	s_cbranch_execz .LBB103_54
; %bb.53:
	v_div_scale_f64 v[6:7], null, v[4:5], v[4:5], 1.0
	v_rcp_f64_e32 v[8:9], v[6:7]
	v_fma_f64 v[10:11], -v[6:7], v[8:9], 1.0
	v_fma_f64 v[8:9], v[8:9], v[10:11], v[8:9]
	v_fma_f64 v[10:11], -v[6:7], v[8:9], 1.0
	v_fma_f64 v[8:9], v[8:9], v[10:11], v[8:9]
	v_div_scale_f64 v[10:11], vcc_lo, 1.0, v[4:5], 1.0
	v_mul_f64 v[12:13], v[10:11], v[8:9]
	v_fma_f64 v[6:7], -v[6:7], v[12:13], v[10:11]
	v_div_fmas_f64 v[6:7], v[6:7], v[8:9], v[12:13]
	v_div_fixup_f64 v[4:5], v[6:7], v[4:5], 1.0
	ds_write_b64 v1, v[4:5]
.LBB103_54:
	s_or_b32 exec_lo, exec_lo, s1
	s_waitcnt lgkmcnt(0)
	s_barrier
	buffer_gl0_inv
	ds_read_b64 v[53:54], v1
	s_mov_b32 s1, exec_lo
	v_cmpx_lt_u32_e32 10, v0
	s_cbranch_execz .LBB103_56
; %bb.55:
	s_waitcnt lgkmcnt(0)
	v_mul_f64 v[200:201], v[53:54], v[200:201]
	ds_read2_b64 v[4:7], v20 offset0:11 offset1:12
	s_waitcnt lgkmcnt(0)
	v_fma_f64 v[180:181], -v[200:201], v[4:5], v[180:181]
	v_fma_f64 v[198:199], -v[200:201], v[6:7], v[198:199]
	ds_read2_b64 v[4:7], v20 offset0:13 offset1:14
	s_waitcnt lgkmcnt(0)
	v_fma_f64 v[178:179], -v[200:201], v[4:5], v[178:179]
	v_fma_f64 v[196:197], -v[200:201], v[6:7], v[196:197]
	;; [unrolled: 4-line block ×19, first 2 shown]
	ds_read2_b64 v[4:7], v20 offset0:49 offset1:50
	s_waitcnt lgkmcnt(0)
	v_fma_f64 v[108:109], -v[200:201], v[4:5], v[108:109]
	ds_read_b64 v[4:5], v20 offset:408
	v_fma_f64 v[140:141], -v[200:201], v[6:7], v[140:141]
	s_waitcnt lgkmcnt(0)
	v_fma_f64 v[210:211], -v[200:201], v[4:5], v[210:211]
.LBB103_56:
	s_or_b32 exec_lo, exec_lo, s1
	s_mov_b32 s1, exec_lo
	s_waitcnt lgkmcnt(0)
	s_barrier
	buffer_gl0_inv
	v_cmpx_eq_u32_e32 11, v0
	s_cbranch_execz .LBB103_59
; %bb.57:
	v_mov_b32_e32 v4, v198
	v_mov_b32_e32 v5, v199
	;; [unrolled: 1-line block ×20, first 2 shown]
	ds_write_b64 v1, v[180:181]
	ds_write2_b64 v20, v[4:5], v[6:7] offset0:12 offset1:13
	ds_write2_b64 v20, v[8:9], v[10:11] offset0:14 offset1:15
	;; [unrolled: 1-line block ×5, first 2 shown]
	v_mov_b32_e32 v4, v168
	v_mov_b32_e32 v5, v169
	;; [unrolled: 1-line block ×20, first 2 shown]
	ds_write2_b64 v20, v[4:5], v[6:7] offset0:22 offset1:23
	ds_write2_b64 v20, v[8:9], v[10:11] offset0:24 offset1:25
	;; [unrolled: 1-line block ×5, first 2 shown]
	v_mov_b32_e32 v4, v158
	v_mov_b32_e32 v5, v159
	;; [unrolled: 1-line block ×20, first 2 shown]
	ds_write2_b64 v20, v[4:5], v[6:7] offset0:32 offset1:33
	ds_write2_b64 v20, v[8:9], v[10:11] offset0:34 offset1:35
	;; [unrolled: 1-line block ×5, first 2 shown]
	v_mov_b32_e32 v4, v148
	v_mov_b32_e32 v5, v149
	;; [unrolled: 1-line block ×18, first 2 shown]
	ds_write2_b64 v20, v[4:5], v[6:7] offset0:42 offset1:43
	ds_write2_b64 v20, v[8:9], v[10:11] offset0:44 offset1:45
	;; [unrolled: 1-line block ×5, first 2 shown]
	ds_read_b64 v[4:5], v1
	s_waitcnt lgkmcnt(0)
	v_cmp_neq_f64_e32 vcc_lo, 0, v[4:5]
	s_and_b32 exec_lo, exec_lo, vcc_lo
	s_cbranch_execz .LBB103_59
; %bb.58:
	v_div_scale_f64 v[6:7], null, v[4:5], v[4:5], 1.0
	v_rcp_f64_e32 v[8:9], v[6:7]
	v_fma_f64 v[10:11], -v[6:7], v[8:9], 1.0
	v_fma_f64 v[8:9], v[8:9], v[10:11], v[8:9]
	v_fma_f64 v[10:11], -v[6:7], v[8:9], 1.0
	v_fma_f64 v[8:9], v[8:9], v[10:11], v[8:9]
	v_div_scale_f64 v[10:11], vcc_lo, 1.0, v[4:5], 1.0
	v_mul_f64 v[12:13], v[10:11], v[8:9]
	v_fma_f64 v[6:7], -v[6:7], v[12:13], v[10:11]
	v_div_fmas_f64 v[6:7], v[6:7], v[8:9], v[12:13]
	v_div_fixup_f64 v[4:5], v[6:7], v[4:5], 1.0
	ds_write_b64 v1, v[4:5]
.LBB103_59:
	s_or_b32 exec_lo, exec_lo, s1
	s_waitcnt lgkmcnt(0)
	s_barrier
	buffer_gl0_inv
	ds_read_b64 v[55:56], v1
	s_mov_b32 s1, exec_lo
	v_cmpx_lt_u32_e32 11, v0
	s_cbranch_execz .LBB103_61
; %bb.60:
	s_waitcnt lgkmcnt(0)
	v_mul_f64 v[180:181], v[55:56], v[180:181]
	ds_read2_b64 v[4:7], v20 offset0:12 offset1:13
	s_waitcnt lgkmcnt(0)
	v_fma_f64 v[198:199], -v[180:181], v[4:5], v[198:199]
	v_fma_f64 v[178:179], -v[180:181], v[6:7], v[178:179]
	ds_read2_b64 v[4:7], v20 offset0:14 offset1:15
	s_waitcnt lgkmcnt(0)
	v_fma_f64 v[196:197], -v[180:181], v[4:5], v[196:197]
	v_fma_f64 v[176:177], -v[180:181], v[6:7], v[176:177]
	;; [unrolled: 4-line block ×20, first 2 shown]
.LBB103_61:
	s_or_b32 exec_lo, exec_lo, s1
	s_mov_b32 s1, exec_lo
	s_waitcnt lgkmcnt(0)
	s_barrier
	buffer_gl0_inv
	v_cmpx_eq_u32_e32 12, v0
	s_cbranch_execz .LBB103_64
; %bb.62:
	ds_write_b64 v1, v[198:199]
	ds_write2_b64 v20, v[178:179], v[196:197] offset0:13 offset1:14
	ds_write2_b64 v20, v[176:177], v[194:195] offset0:15 offset1:16
	;; [unrolled: 1-line block ×19, first 2 shown]
	ds_write_b64 v20, v[210:211] offset:408
	ds_read_b64 v[4:5], v1
	s_waitcnt lgkmcnt(0)
	v_cmp_neq_f64_e32 vcc_lo, 0, v[4:5]
	s_and_b32 exec_lo, exec_lo, vcc_lo
	s_cbranch_execz .LBB103_64
; %bb.63:
	v_div_scale_f64 v[6:7], null, v[4:5], v[4:5], 1.0
	v_rcp_f64_e32 v[8:9], v[6:7]
	v_fma_f64 v[10:11], -v[6:7], v[8:9], 1.0
	v_fma_f64 v[8:9], v[8:9], v[10:11], v[8:9]
	v_fma_f64 v[10:11], -v[6:7], v[8:9], 1.0
	v_fma_f64 v[8:9], v[8:9], v[10:11], v[8:9]
	v_div_scale_f64 v[10:11], vcc_lo, 1.0, v[4:5], 1.0
	v_mul_f64 v[12:13], v[10:11], v[8:9]
	v_fma_f64 v[6:7], -v[6:7], v[12:13], v[10:11]
	v_div_fmas_f64 v[6:7], v[6:7], v[8:9], v[12:13]
	v_div_fixup_f64 v[4:5], v[6:7], v[4:5], 1.0
	ds_write_b64 v1, v[4:5]
.LBB103_64:
	s_or_b32 exec_lo, exec_lo, s1
	s_waitcnt lgkmcnt(0)
	s_barrier
	buffer_gl0_inv
	ds_read_b64 v[57:58], v1
	s_mov_b32 s1, exec_lo
	v_cmpx_lt_u32_e32 12, v0
	s_cbranch_execz .LBB103_66
; %bb.65:
	s_waitcnt lgkmcnt(0)
	v_mul_f64 v[198:199], v[57:58], v[198:199]
	ds_read2_b64 v[4:7], v20 offset0:13 offset1:14
	s_waitcnt lgkmcnt(0)
	v_fma_f64 v[178:179], -v[198:199], v[4:5], v[178:179]
	v_fma_f64 v[196:197], -v[198:199], v[6:7], v[196:197]
	ds_read2_b64 v[4:7], v20 offset0:15 offset1:16
	s_waitcnt lgkmcnt(0)
	v_fma_f64 v[176:177], -v[198:199], v[4:5], v[176:177]
	v_fma_f64 v[194:195], -v[198:199], v[6:7], v[194:195]
	;; [unrolled: 4-line block ×18, first 2 shown]
	ds_read2_b64 v[4:7], v20 offset0:49 offset1:50
	s_waitcnt lgkmcnt(0)
	v_fma_f64 v[108:109], -v[198:199], v[4:5], v[108:109]
	ds_read_b64 v[4:5], v20 offset:408
	v_fma_f64 v[140:141], -v[198:199], v[6:7], v[140:141]
	s_waitcnt lgkmcnt(0)
	v_fma_f64 v[210:211], -v[198:199], v[4:5], v[210:211]
.LBB103_66:
	s_or_b32 exec_lo, exec_lo, s1
	s_mov_b32 s1, exec_lo
	s_waitcnt lgkmcnt(0)
	s_barrier
	buffer_gl0_inv
	v_cmpx_eq_u32_e32 13, v0
	s_cbranch_execz .LBB103_69
; %bb.67:
	v_mov_b32_e32 v4, v196
	v_mov_b32_e32 v5, v197
	;; [unrolled: 1-line block ×4, first 2 shown]
	ds_write_b64 v1, v[178:179]
	ds_write2_b64 v20, v[4:5], v[6:7] offset0:14 offset1:15
	v_mov_b32_e32 v4, v194
	v_mov_b32_e32 v5, v195
	v_mov_b32_e32 v6, v174
	v_mov_b32_e32 v7, v175
	ds_write2_b64 v20, v[4:5], v[6:7] offset0:16 offset1:17
	v_mov_b32_e32 v4, v192
	v_mov_b32_e32 v5, v193
	v_mov_b32_e32 v6, v138
	v_mov_b32_e32 v7, v139
	;; [unrolled: 5-line block ×17, first 2 shown]
	ds_write2_b64 v20, v[4:5], v[6:7] offset0:48 offset1:49
	v_mov_b32_e32 v4, v140
	v_mov_b32_e32 v5, v141
	ds_write2_b64 v20, v[4:5], v[210:211] offset0:50 offset1:51
	ds_read_b64 v[4:5], v1
	s_waitcnt lgkmcnt(0)
	v_cmp_neq_f64_e32 vcc_lo, 0, v[4:5]
	s_and_b32 exec_lo, exec_lo, vcc_lo
	s_cbranch_execz .LBB103_69
; %bb.68:
	v_div_scale_f64 v[6:7], null, v[4:5], v[4:5], 1.0
	v_rcp_f64_e32 v[8:9], v[6:7]
	v_fma_f64 v[10:11], -v[6:7], v[8:9], 1.0
	v_fma_f64 v[8:9], v[8:9], v[10:11], v[8:9]
	v_fma_f64 v[10:11], -v[6:7], v[8:9], 1.0
	v_fma_f64 v[8:9], v[8:9], v[10:11], v[8:9]
	v_div_scale_f64 v[10:11], vcc_lo, 1.0, v[4:5], 1.0
	v_mul_f64 v[12:13], v[10:11], v[8:9]
	v_fma_f64 v[6:7], -v[6:7], v[12:13], v[10:11]
	v_div_fmas_f64 v[6:7], v[6:7], v[8:9], v[12:13]
	v_div_fixup_f64 v[4:5], v[6:7], v[4:5], 1.0
	ds_write_b64 v1, v[4:5]
.LBB103_69:
	s_or_b32 exec_lo, exec_lo, s1
	s_waitcnt lgkmcnt(0)
	s_barrier
	buffer_gl0_inv
	ds_read_b64 v[59:60], v1
	s_mov_b32 s1, exec_lo
	v_cmpx_lt_u32_e32 13, v0
	s_cbranch_execz .LBB103_71
; %bb.70:
	s_waitcnt lgkmcnt(0)
	v_mul_f64 v[178:179], v[59:60], v[178:179]
	ds_read2_b64 v[4:7], v20 offset0:14 offset1:15
	s_waitcnt lgkmcnt(0)
	v_fma_f64 v[196:197], -v[178:179], v[4:5], v[196:197]
	v_fma_f64 v[176:177], -v[178:179], v[6:7], v[176:177]
	ds_read2_b64 v[4:7], v20 offset0:16 offset1:17
	s_waitcnt lgkmcnt(0)
	v_fma_f64 v[194:195], -v[178:179], v[4:5], v[194:195]
	v_fma_f64 v[174:175], -v[178:179], v[6:7], v[174:175]
	;; [unrolled: 4-line block ×19, first 2 shown]
.LBB103_71:
	s_or_b32 exec_lo, exec_lo, s1
	s_mov_b32 s1, exec_lo
	s_waitcnt lgkmcnt(0)
	s_barrier
	buffer_gl0_inv
	v_cmpx_eq_u32_e32 14, v0
	s_cbranch_execz .LBB103_74
; %bb.72:
	ds_write_b64 v1, v[196:197]
	ds_write2_b64 v20, v[176:177], v[194:195] offset0:15 offset1:16
	ds_write2_b64 v20, v[174:175], v[192:193] offset0:17 offset1:18
	ds_write2_b64 v20, v[138:139], v[170:171] offset0:19 offset1:20
	ds_write2_b64 v20, v[136:137], v[168:169] offset0:21 offset1:22
	ds_write2_b64 v20, v[134:135], v[166:167] offset0:23 offset1:24
	ds_write2_b64 v20, v[132:133], v[164:165] offset0:25 offset1:26
	ds_write2_b64 v20, v[130:131], v[162:163] offset0:27 offset1:28
	ds_write2_b64 v20, v[128:129], v[160:161] offset0:29 offset1:30
	ds_write2_b64 v20, v[126:127], v[158:159] offset0:31 offset1:32
	ds_write2_b64 v20, v[124:125], v[156:157] offset0:33 offset1:34
	ds_write2_b64 v20, v[122:123], v[154:155] offset0:35 offset1:36
	ds_write2_b64 v20, v[120:121], v[152:153] offset0:37 offset1:38
	ds_write2_b64 v20, v[118:119], v[150:151] offset0:39 offset1:40
	ds_write2_b64 v20, v[116:117], v[148:149] offset0:41 offset1:42
	ds_write2_b64 v20, v[114:115], v[146:147] offset0:43 offset1:44
	ds_write2_b64 v20, v[112:113], v[144:145] offset0:45 offset1:46
	ds_write2_b64 v20, v[110:111], v[142:143] offset0:47 offset1:48
	ds_write2_b64 v20, v[108:109], v[140:141] offset0:49 offset1:50
	ds_write_b64 v20, v[210:211] offset:408
	ds_read_b64 v[4:5], v1
	s_waitcnt lgkmcnt(0)
	v_cmp_neq_f64_e32 vcc_lo, 0, v[4:5]
	s_and_b32 exec_lo, exec_lo, vcc_lo
	s_cbranch_execz .LBB103_74
; %bb.73:
	v_div_scale_f64 v[6:7], null, v[4:5], v[4:5], 1.0
	v_rcp_f64_e32 v[8:9], v[6:7]
	v_fma_f64 v[10:11], -v[6:7], v[8:9], 1.0
	v_fma_f64 v[8:9], v[8:9], v[10:11], v[8:9]
	v_fma_f64 v[10:11], -v[6:7], v[8:9], 1.0
	v_fma_f64 v[8:9], v[8:9], v[10:11], v[8:9]
	v_div_scale_f64 v[10:11], vcc_lo, 1.0, v[4:5], 1.0
	v_mul_f64 v[12:13], v[10:11], v[8:9]
	v_fma_f64 v[6:7], -v[6:7], v[12:13], v[10:11]
	v_div_fmas_f64 v[6:7], v[6:7], v[8:9], v[12:13]
	v_div_fixup_f64 v[4:5], v[6:7], v[4:5], 1.0
	ds_write_b64 v1, v[4:5]
.LBB103_74:
	s_or_b32 exec_lo, exec_lo, s1
	s_waitcnt lgkmcnt(0)
	s_barrier
	buffer_gl0_inv
	ds_read_b64 v[61:62], v1
	s_mov_b32 s1, exec_lo
	v_cmpx_lt_u32_e32 14, v0
	s_cbranch_execz .LBB103_76
; %bb.75:
	s_waitcnt lgkmcnt(0)
	v_mul_f64 v[196:197], v[61:62], v[196:197]
	ds_read2_b64 v[4:7], v20 offset0:15 offset1:16
	s_waitcnt lgkmcnt(0)
	v_fma_f64 v[176:177], -v[196:197], v[4:5], v[176:177]
	v_fma_f64 v[194:195], -v[196:197], v[6:7], v[194:195]
	ds_read2_b64 v[4:7], v20 offset0:17 offset1:18
	s_waitcnt lgkmcnt(0)
	v_fma_f64 v[174:175], -v[196:197], v[4:5], v[174:175]
	v_fma_f64 v[192:193], -v[196:197], v[6:7], v[192:193]
	;; [unrolled: 4-line block ×17, first 2 shown]
	ds_read2_b64 v[4:7], v20 offset0:49 offset1:50
	s_waitcnt lgkmcnt(0)
	v_fma_f64 v[108:109], -v[196:197], v[4:5], v[108:109]
	ds_read_b64 v[4:5], v20 offset:408
	v_fma_f64 v[140:141], -v[196:197], v[6:7], v[140:141]
	s_waitcnt lgkmcnt(0)
	v_fma_f64 v[210:211], -v[196:197], v[4:5], v[210:211]
.LBB103_76:
	s_or_b32 exec_lo, exec_lo, s1
	s_mov_b32 s1, exec_lo
	s_waitcnt lgkmcnt(0)
	s_barrier
	buffer_gl0_inv
	v_cmpx_eq_u32_e32 15, v0
	s_cbranch_execz .LBB103_79
; %bb.77:
	v_mov_b32_e32 v4, v194
	v_mov_b32_e32 v5, v195
	;; [unrolled: 1-line block ×4, first 2 shown]
	ds_write_b64 v1, v[176:177]
	ds_write2_b64 v20, v[4:5], v[6:7] offset0:16 offset1:17
	v_mov_b32_e32 v4, v192
	v_mov_b32_e32 v5, v193
	v_mov_b32_e32 v6, v138
	v_mov_b32_e32 v7, v139
	ds_write2_b64 v20, v[4:5], v[6:7] offset0:18 offset1:19
	v_mov_b32_e32 v4, v170
	v_mov_b32_e32 v5, v171
	v_mov_b32_e32 v6, v136
	v_mov_b32_e32 v7, v137
	;; [unrolled: 5-line block ×16, first 2 shown]
	ds_write2_b64 v20, v[4:5], v[6:7] offset0:48 offset1:49
	v_mov_b32_e32 v4, v140
	v_mov_b32_e32 v5, v141
	ds_write2_b64 v20, v[4:5], v[210:211] offset0:50 offset1:51
	ds_read_b64 v[4:5], v1
	s_waitcnt lgkmcnt(0)
	v_cmp_neq_f64_e32 vcc_lo, 0, v[4:5]
	s_and_b32 exec_lo, exec_lo, vcc_lo
	s_cbranch_execz .LBB103_79
; %bb.78:
	v_div_scale_f64 v[6:7], null, v[4:5], v[4:5], 1.0
	v_rcp_f64_e32 v[8:9], v[6:7]
	v_fma_f64 v[10:11], -v[6:7], v[8:9], 1.0
	v_fma_f64 v[8:9], v[8:9], v[10:11], v[8:9]
	v_fma_f64 v[10:11], -v[6:7], v[8:9], 1.0
	v_fma_f64 v[8:9], v[8:9], v[10:11], v[8:9]
	v_div_scale_f64 v[10:11], vcc_lo, 1.0, v[4:5], 1.0
	v_mul_f64 v[12:13], v[10:11], v[8:9]
	v_fma_f64 v[6:7], -v[6:7], v[12:13], v[10:11]
	v_div_fmas_f64 v[6:7], v[6:7], v[8:9], v[12:13]
	v_div_fixup_f64 v[4:5], v[6:7], v[4:5], 1.0
	ds_write_b64 v1, v[4:5]
.LBB103_79:
	s_or_b32 exec_lo, exec_lo, s1
	s_waitcnt lgkmcnt(0)
	s_barrier
	buffer_gl0_inv
	ds_read_b64 v[63:64], v1
	s_mov_b32 s1, exec_lo
	v_cmpx_lt_u32_e32 15, v0
	s_cbranch_execz .LBB103_81
; %bb.80:
	s_waitcnt lgkmcnt(0)
	v_mul_f64 v[176:177], v[63:64], v[176:177]
	ds_read2_b64 v[4:7], v20 offset0:16 offset1:17
	s_waitcnt lgkmcnt(0)
	v_fma_f64 v[194:195], -v[176:177], v[4:5], v[194:195]
	v_fma_f64 v[174:175], -v[176:177], v[6:7], v[174:175]
	ds_read2_b64 v[4:7], v20 offset0:18 offset1:19
	s_waitcnt lgkmcnt(0)
	v_fma_f64 v[192:193], -v[176:177], v[4:5], v[192:193]
	v_fma_f64 v[138:139], -v[176:177], v[6:7], v[138:139]
	;; [unrolled: 4-line block ×18, first 2 shown]
.LBB103_81:
	s_or_b32 exec_lo, exec_lo, s1
	s_mov_b32 s1, exec_lo
	s_waitcnt lgkmcnt(0)
	s_barrier
	buffer_gl0_inv
	v_cmpx_eq_u32_e32 16, v0
	s_cbranch_execz .LBB103_84
; %bb.82:
	ds_write_b64 v1, v[194:195]
	ds_write2_b64 v20, v[174:175], v[192:193] offset0:17 offset1:18
	ds_write2_b64 v20, v[138:139], v[170:171] offset0:19 offset1:20
	ds_write2_b64 v20, v[136:137], v[168:169] offset0:21 offset1:22
	ds_write2_b64 v20, v[134:135], v[166:167] offset0:23 offset1:24
	ds_write2_b64 v20, v[132:133], v[164:165] offset0:25 offset1:26
	ds_write2_b64 v20, v[130:131], v[162:163] offset0:27 offset1:28
	ds_write2_b64 v20, v[128:129], v[160:161] offset0:29 offset1:30
	ds_write2_b64 v20, v[126:127], v[158:159] offset0:31 offset1:32
	ds_write2_b64 v20, v[124:125], v[156:157] offset0:33 offset1:34
	ds_write2_b64 v20, v[122:123], v[154:155] offset0:35 offset1:36
	ds_write2_b64 v20, v[120:121], v[152:153] offset0:37 offset1:38
	ds_write2_b64 v20, v[118:119], v[150:151] offset0:39 offset1:40
	ds_write2_b64 v20, v[116:117], v[148:149] offset0:41 offset1:42
	ds_write2_b64 v20, v[114:115], v[146:147] offset0:43 offset1:44
	ds_write2_b64 v20, v[112:113], v[144:145] offset0:45 offset1:46
	ds_write2_b64 v20, v[110:111], v[142:143] offset0:47 offset1:48
	ds_write2_b64 v20, v[108:109], v[140:141] offset0:49 offset1:50
	ds_write_b64 v20, v[210:211] offset:408
	ds_read_b64 v[4:5], v1
	s_waitcnt lgkmcnt(0)
	v_cmp_neq_f64_e32 vcc_lo, 0, v[4:5]
	s_and_b32 exec_lo, exec_lo, vcc_lo
	s_cbranch_execz .LBB103_84
; %bb.83:
	v_div_scale_f64 v[6:7], null, v[4:5], v[4:5], 1.0
	v_rcp_f64_e32 v[8:9], v[6:7]
	v_fma_f64 v[10:11], -v[6:7], v[8:9], 1.0
	v_fma_f64 v[8:9], v[8:9], v[10:11], v[8:9]
	v_fma_f64 v[10:11], -v[6:7], v[8:9], 1.0
	v_fma_f64 v[8:9], v[8:9], v[10:11], v[8:9]
	v_div_scale_f64 v[10:11], vcc_lo, 1.0, v[4:5], 1.0
	v_mul_f64 v[12:13], v[10:11], v[8:9]
	v_fma_f64 v[6:7], -v[6:7], v[12:13], v[10:11]
	v_div_fmas_f64 v[6:7], v[6:7], v[8:9], v[12:13]
	v_div_fixup_f64 v[4:5], v[6:7], v[4:5], 1.0
	ds_write_b64 v1, v[4:5]
.LBB103_84:
	s_or_b32 exec_lo, exec_lo, s1
	s_waitcnt lgkmcnt(0)
	s_barrier
	buffer_gl0_inv
	ds_read_b64 v[65:66], v1
	s_mov_b32 s1, exec_lo
	v_cmpx_lt_u32_e32 16, v0
	s_cbranch_execz .LBB103_86
; %bb.85:
	s_waitcnt lgkmcnt(0)
	v_mul_f64 v[194:195], v[65:66], v[194:195]
	ds_read2_b64 v[4:7], v20 offset0:17 offset1:18
	s_waitcnt lgkmcnt(0)
	v_fma_f64 v[174:175], -v[194:195], v[4:5], v[174:175]
	v_fma_f64 v[192:193], -v[194:195], v[6:7], v[192:193]
	ds_read2_b64 v[4:7], v20 offset0:19 offset1:20
	s_waitcnt lgkmcnt(0)
	v_fma_f64 v[138:139], -v[194:195], v[4:5], v[138:139]
	v_fma_f64 v[170:171], -v[194:195], v[6:7], v[170:171]
	;; [unrolled: 4-line block ×16, first 2 shown]
	ds_read2_b64 v[4:7], v20 offset0:49 offset1:50
	s_waitcnt lgkmcnt(0)
	v_fma_f64 v[108:109], -v[194:195], v[4:5], v[108:109]
	ds_read_b64 v[4:5], v20 offset:408
	v_fma_f64 v[140:141], -v[194:195], v[6:7], v[140:141]
	s_waitcnt lgkmcnt(0)
	v_fma_f64 v[210:211], -v[194:195], v[4:5], v[210:211]
.LBB103_86:
	s_or_b32 exec_lo, exec_lo, s1
	s_mov_b32 s1, exec_lo
	s_waitcnt lgkmcnt(0)
	s_barrier
	buffer_gl0_inv
	v_cmpx_eq_u32_e32 17, v0
	s_cbranch_execz .LBB103_89
; %bb.87:
	v_mov_b32_e32 v4, v192
	v_mov_b32_e32 v5, v193
	;; [unrolled: 1-line block ×4, first 2 shown]
	ds_write_b64 v1, v[174:175]
	ds_write2_b64 v20, v[4:5], v[6:7] offset0:18 offset1:19
	v_mov_b32_e32 v4, v170
	v_mov_b32_e32 v5, v171
	v_mov_b32_e32 v6, v136
	v_mov_b32_e32 v7, v137
	ds_write2_b64 v20, v[4:5], v[6:7] offset0:20 offset1:21
	v_mov_b32_e32 v4, v168
	v_mov_b32_e32 v5, v169
	v_mov_b32_e32 v6, v134
	v_mov_b32_e32 v7, v135
	;; [unrolled: 5-line block ×15, first 2 shown]
	ds_write2_b64 v20, v[4:5], v[6:7] offset0:48 offset1:49
	v_mov_b32_e32 v4, v140
	v_mov_b32_e32 v5, v141
	ds_write2_b64 v20, v[4:5], v[210:211] offset0:50 offset1:51
	ds_read_b64 v[4:5], v1
	s_waitcnt lgkmcnt(0)
	v_cmp_neq_f64_e32 vcc_lo, 0, v[4:5]
	s_and_b32 exec_lo, exec_lo, vcc_lo
	s_cbranch_execz .LBB103_89
; %bb.88:
	v_div_scale_f64 v[6:7], null, v[4:5], v[4:5], 1.0
	v_rcp_f64_e32 v[8:9], v[6:7]
	v_fma_f64 v[10:11], -v[6:7], v[8:9], 1.0
	v_fma_f64 v[8:9], v[8:9], v[10:11], v[8:9]
	v_fma_f64 v[10:11], -v[6:7], v[8:9], 1.0
	v_fma_f64 v[8:9], v[8:9], v[10:11], v[8:9]
	v_div_scale_f64 v[10:11], vcc_lo, 1.0, v[4:5], 1.0
	v_mul_f64 v[12:13], v[10:11], v[8:9]
	v_fma_f64 v[6:7], -v[6:7], v[12:13], v[10:11]
	v_div_fmas_f64 v[6:7], v[6:7], v[8:9], v[12:13]
	v_div_fixup_f64 v[4:5], v[6:7], v[4:5], 1.0
	ds_write_b64 v1, v[4:5]
.LBB103_89:
	s_or_b32 exec_lo, exec_lo, s1
	s_waitcnt lgkmcnt(0)
	s_barrier
	buffer_gl0_inv
	ds_read_b64 v[67:68], v1
	s_mov_b32 s1, exec_lo
	v_cmpx_lt_u32_e32 17, v0
	s_cbranch_execz .LBB103_91
; %bb.90:
	s_waitcnt lgkmcnt(0)
	v_mul_f64 v[174:175], v[67:68], v[174:175]
	ds_read2_b64 v[4:7], v20 offset0:18 offset1:19
	s_waitcnt lgkmcnt(0)
	v_fma_f64 v[192:193], -v[174:175], v[4:5], v[192:193]
	v_fma_f64 v[138:139], -v[174:175], v[6:7], v[138:139]
	ds_read2_b64 v[4:7], v20 offset0:20 offset1:21
	s_waitcnt lgkmcnt(0)
	v_fma_f64 v[170:171], -v[174:175], v[4:5], v[170:171]
	v_fma_f64 v[136:137], -v[174:175], v[6:7], v[136:137]
	;; [unrolled: 4-line block ×17, first 2 shown]
.LBB103_91:
	s_or_b32 exec_lo, exec_lo, s1
	s_mov_b32 s1, exec_lo
	s_waitcnt lgkmcnt(0)
	s_barrier
	buffer_gl0_inv
	v_cmpx_eq_u32_e32 18, v0
	s_cbranch_execz .LBB103_94
; %bb.92:
	ds_write_b64 v1, v[192:193]
	ds_write2_b64 v20, v[138:139], v[170:171] offset0:19 offset1:20
	ds_write2_b64 v20, v[136:137], v[168:169] offset0:21 offset1:22
	;; [unrolled: 1-line block ×16, first 2 shown]
	ds_write_b64 v20, v[210:211] offset:408
	ds_read_b64 v[4:5], v1
	s_waitcnt lgkmcnt(0)
	v_cmp_neq_f64_e32 vcc_lo, 0, v[4:5]
	s_and_b32 exec_lo, exec_lo, vcc_lo
	s_cbranch_execz .LBB103_94
; %bb.93:
	v_div_scale_f64 v[6:7], null, v[4:5], v[4:5], 1.0
	v_rcp_f64_e32 v[8:9], v[6:7]
	v_fma_f64 v[10:11], -v[6:7], v[8:9], 1.0
	v_fma_f64 v[8:9], v[8:9], v[10:11], v[8:9]
	v_fma_f64 v[10:11], -v[6:7], v[8:9], 1.0
	v_fma_f64 v[8:9], v[8:9], v[10:11], v[8:9]
	v_div_scale_f64 v[10:11], vcc_lo, 1.0, v[4:5], 1.0
	v_mul_f64 v[12:13], v[10:11], v[8:9]
	v_fma_f64 v[6:7], -v[6:7], v[12:13], v[10:11]
	v_div_fmas_f64 v[6:7], v[6:7], v[8:9], v[12:13]
	v_div_fixup_f64 v[4:5], v[6:7], v[4:5], 1.0
	ds_write_b64 v1, v[4:5]
.LBB103_94:
	s_or_b32 exec_lo, exec_lo, s1
	s_waitcnt lgkmcnt(0)
	s_barrier
	buffer_gl0_inv
	ds_read_b64 v[69:70], v1
	s_mov_b32 s1, exec_lo
	v_cmpx_lt_u32_e32 18, v0
	s_cbranch_execz .LBB103_96
; %bb.95:
	s_waitcnt lgkmcnt(0)
	v_mul_f64 v[192:193], v[69:70], v[192:193]
	ds_read2_b64 v[4:7], v20 offset0:19 offset1:20
	s_waitcnt lgkmcnt(0)
	v_fma_f64 v[138:139], -v[192:193], v[4:5], v[138:139]
	v_fma_f64 v[170:171], -v[192:193], v[6:7], v[170:171]
	ds_read2_b64 v[4:7], v20 offset0:21 offset1:22
	s_waitcnt lgkmcnt(0)
	v_fma_f64 v[136:137], -v[192:193], v[4:5], v[136:137]
	v_fma_f64 v[168:169], -v[192:193], v[6:7], v[168:169]
	;; [unrolled: 4-line block ×15, first 2 shown]
	ds_read2_b64 v[4:7], v20 offset0:49 offset1:50
	s_waitcnt lgkmcnt(0)
	v_fma_f64 v[108:109], -v[192:193], v[4:5], v[108:109]
	ds_read_b64 v[4:5], v20 offset:408
	v_fma_f64 v[140:141], -v[192:193], v[6:7], v[140:141]
	s_waitcnt lgkmcnt(0)
	v_fma_f64 v[210:211], -v[192:193], v[4:5], v[210:211]
.LBB103_96:
	s_or_b32 exec_lo, exec_lo, s1
	s_mov_b32 s1, exec_lo
	s_waitcnt lgkmcnt(0)
	s_barrier
	buffer_gl0_inv
	v_cmpx_eq_u32_e32 19, v0
	s_cbranch_execz .LBB103_99
; %bb.97:
	v_mov_b32_e32 v4, v170
	v_mov_b32_e32 v5, v171
	;; [unrolled: 1-line block ×4, first 2 shown]
	ds_write_b64 v1, v[138:139]
	ds_write2_b64 v20, v[4:5], v[6:7] offset0:20 offset1:21
	v_mov_b32_e32 v4, v168
	v_mov_b32_e32 v5, v169
	v_mov_b32_e32 v6, v134
	v_mov_b32_e32 v7, v135
	ds_write2_b64 v20, v[4:5], v[6:7] offset0:22 offset1:23
	v_mov_b32_e32 v4, v166
	v_mov_b32_e32 v5, v167
	v_mov_b32_e32 v6, v132
	v_mov_b32_e32 v7, v133
	;; [unrolled: 5-line block ×14, first 2 shown]
	ds_write2_b64 v20, v[4:5], v[6:7] offset0:48 offset1:49
	v_mov_b32_e32 v4, v140
	v_mov_b32_e32 v5, v141
	ds_write2_b64 v20, v[4:5], v[210:211] offset0:50 offset1:51
	ds_read_b64 v[4:5], v1
	s_waitcnt lgkmcnt(0)
	v_cmp_neq_f64_e32 vcc_lo, 0, v[4:5]
	s_and_b32 exec_lo, exec_lo, vcc_lo
	s_cbranch_execz .LBB103_99
; %bb.98:
	v_div_scale_f64 v[6:7], null, v[4:5], v[4:5], 1.0
	v_rcp_f64_e32 v[8:9], v[6:7]
	v_fma_f64 v[10:11], -v[6:7], v[8:9], 1.0
	v_fma_f64 v[8:9], v[8:9], v[10:11], v[8:9]
	v_fma_f64 v[10:11], -v[6:7], v[8:9], 1.0
	v_fma_f64 v[8:9], v[8:9], v[10:11], v[8:9]
	v_div_scale_f64 v[10:11], vcc_lo, 1.0, v[4:5], 1.0
	v_mul_f64 v[12:13], v[10:11], v[8:9]
	v_fma_f64 v[6:7], -v[6:7], v[12:13], v[10:11]
	v_div_fmas_f64 v[6:7], v[6:7], v[8:9], v[12:13]
	v_div_fixup_f64 v[4:5], v[6:7], v[4:5], 1.0
	ds_write_b64 v1, v[4:5]
.LBB103_99:
	s_or_b32 exec_lo, exec_lo, s1
	s_waitcnt lgkmcnt(0)
	s_barrier
	buffer_gl0_inv
	ds_read_b64 v[71:72], v1
	s_mov_b32 s1, exec_lo
	v_cmpx_lt_u32_e32 19, v0
	s_cbranch_execz .LBB103_101
; %bb.100:
	s_waitcnt lgkmcnt(0)
	v_mul_f64 v[138:139], v[71:72], v[138:139]
	ds_read2_b64 v[4:7], v20 offset0:20 offset1:21
	s_waitcnt lgkmcnt(0)
	v_fma_f64 v[170:171], -v[138:139], v[4:5], v[170:171]
	v_fma_f64 v[136:137], -v[138:139], v[6:7], v[136:137]
	ds_read2_b64 v[4:7], v20 offset0:22 offset1:23
	s_waitcnt lgkmcnt(0)
	v_fma_f64 v[168:169], -v[138:139], v[4:5], v[168:169]
	v_fma_f64 v[134:135], -v[138:139], v[6:7], v[134:135]
	;; [unrolled: 4-line block ×16, first 2 shown]
.LBB103_101:
	s_or_b32 exec_lo, exec_lo, s1
	s_mov_b32 s1, exec_lo
	s_waitcnt lgkmcnt(0)
	s_barrier
	buffer_gl0_inv
	v_cmpx_eq_u32_e32 20, v0
	s_cbranch_execz .LBB103_104
; %bb.102:
	ds_write_b64 v1, v[170:171]
	ds_write2_b64 v20, v[136:137], v[168:169] offset0:21 offset1:22
	ds_write2_b64 v20, v[134:135], v[166:167] offset0:23 offset1:24
	;; [unrolled: 1-line block ×15, first 2 shown]
	ds_write_b64 v20, v[210:211] offset:408
	ds_read_b64 v[4:5], v1
	s_waitcnt lgkmcnt(0)
	v_cmp_neq_f64_e32 vcc_lo, 0, v[4:5]
	s_and_b32 exec_lo, exec_lo, vcc_lo
	s_cbranch_execz .LBB103_104
; %bb.103:
	v_div_scale_f64 v[6:7], null, v[4:5], v[4:5], 1.0
	v_rcp_f64_e32 v[8:9], v[6:7]
	v_fma_f64 v[10:11], -v[6:7], v[8:9], 1.0
	v_fma_f64 v[8:9], v[8:9], v[10:11], v[8:9]
	v_fma_f64 v[10:11], -v[6:7], v[8:9], 1.0
	v_fma_f64 v[8:9], v[8:9], v[10:11], v[8:9]
	v_div_scale_f64 v[10:11], vcc_lo, 1.0, v[4:5], 1.0
	v_mul_f64 v[12:13], v[10:11], v[8:9]
	v_fma_f64 v[6:7], -v[6:7], v[12:13], v[10:11]
	v_div_fmas_f64 v[6:7], v[6:7], v[8:9], v[12:13]
	v_div_fixup_f64 v[4:5], v[6:7], v[4:5], 1.0
	ds_write_b64 v1, v[4:5]
.LBB103_104:
	s_or_b32 exec_lo, exec_lo, s1
	s_waitcnt lgkmcnt(0)
	s_barrier
	buffer_gl0_inv
	ds_read_b64 v[73:74], v1
	s_mov_b32 s1, exec_lo
	v_cmpx_lt_u32_e32 20, v0
	s_cbranch_execz .LBB103_106
; %bb.105:
	s_waitcnt lgkmcnt(0)
	v_mul_f64 v[170:171], v[73:74], v[170:171]
	ds_read2_b64 v[4:7], v20 offset0:21 offset1:22
	s_waitcnt lgkmcnt(0)
	v_fma_f64 v[136:137], -v[170:171], v[4:5], v[136:137]
	v_fma_f64 v[168:169], -v[170:171], v[6:7], v[168:169]
	ds_read2_b64 v[4:7], v20 offset0:23 offset1:24
	s_waitcnt lgkmcnt(0)
	v_fma_f64 v[134:135], -v[170:171], v[4:5], v[134:135]
	v_fma_f64 v[166:167], -v[170:171], v[6:7], v[166:167]
	;; [unrolled: 4-line block ×14, first 2 shown]
	ds_read2_b64 v[4:7], v20 offset0:49 offset1:50
	s_waitcnt lgkmcnt(0)
	v_fma_f64 v[108:109], -v[170:171], v[4:5], v[108:109]
	ds_read_b64 v[4:5], v20 offset:408
	v_fma_f64 v[140:141], -v[170:171], v[6:7], v[140:141]
	s_waitcnt lgkmcnt(0)
	v_fma_f64 v[210:211], -v[170:171], v[4:5], v[210:211]
.LBB103_106:
	s_or_b32 exec_lo, exec_lo, s1
	s_mov_b32 s1, exec_lo
	s_waitcnt lgkmcnt(0)
	s_barrier
	buffer_gl0_inv
	v_cmpx_eq_u32_e32 21, v0
	s_cbranch_execz .LBB103_109
; %bb.107:
	v_mov_b32_e32 v4, v168
	v_mov_b32_e32 v5, v169
	;; [unrolled: 1-line block ×4, first 2 shown]
	ds_write_b64 v1, v[136:137]
	ds_write2_b64 v20, v[4:5], v[6:7] offset0:22 offset1:23
	v_mov_b32_e32 v4, v166
	v_mov_b32_e32 v5, v167
	v_mov_b32_e32 v6, v132
	v_mov_b32_e32 v7, v133
	ds_write2_b64 v20, v[4:5], v[6:7] offset0:24 offset1:25
	v_mov_b32_e32 v4, v164
	v_mov_b32_e32 v5, v165
	v_mov_b32_e32 v6, v130
	v_mov_b32_e32 v7, v131
	;; [unrolled: 5-line block ×13, first 2 shown]
	ds_write2_b64 v20, v[4:5], v[6:7] offset0:48 offset1:49
	v_mov_b32_e32 v4, v140
	v_mov_b32_e32 v5, v141
	ds_write2_b64 v20, v[4:5], v[210:211] offset0:50 offset1:51
	ds_read_b64 v[4:5], v1
	s_waitcnt lgkmcnt(0)
	v_cmp_neq_f64_e32 vcc_lo, 0, v[4:5]
	s_and_b32 exec_lo, exec_lo, vcc_lo
	s_cbranch_execz .LBB103_109
; %bb.108:
	v_div_scale_f64 v[6:7], null, v[4:5], v[4:5], 1.0
	v_rcp_f64_e32 v[8:9], v[6:7]
	v_fma_f64 v[10:11], -v[6:7], v[8:9], 1.0
	v_fma_f64 v[8:9], v[8:9], v[10:11], v[8:9]
	v_fma_f64 v[10:11], -v[6:7], v[8:9], 1.0
	v_fma_f64 v[8:9], v[8:9], v[10:11], v[8:9]
	v_div_scale_f64 v[10:11], vcc_lo, 1.0, v[4:5], 1.0
	v_mul_f64 v[12:13], v[10:11], v[8:9]
	v_fma_f64 v[6:7], -v[6:7], v[12:13], v[10:11]
	v_div_fmas_f64 v[6:7], v[6:7], v[8:9], v[12:13]
	v_div_fixup_f64 v[4:5], v[6:7], v[4:5], 1.0
	ds_write_b64 v1, v[4:5]
.LBB103_109:
	s_or_b32 exec_lo, exec_lo, s1
	s_waitcnt lgkmcnt(0)
	s_barrier
	buffer_gl0_inv
	ds_read_b64 v[75:76], v1
	s_mov_b32 s1, exec_lo
	v_cmpx_lt_u32_e32 21, v0
	s_cbranch_execz .LBB103_111
; %bb.110:
	s_waitcnt lgkmcnt(0)
	v_mul_f64 v[136:137], v[75:76], v[136:137]
	ds_read2_b64 v[4:7], v20 offset0:22 offset1:23
	s_waitcnt lgkmcnt(0)
	v_fma_f64 v[168:169], -v[136:137], v[4:5], v[168:169]
	v_fma_f64 v[134:135], -v[136:137], v[6:7], v[134:135]
	ds_read2_b64 v[4:7], v20 offset0:24 offset1:25
	s_waitcnt lgkmcnt(0)
	v_fma_f64 v[166:167], -v[136:137], v[4:5], v[166:167]
	v_fma_f64 v[132:133], -v[136:137], v[6:7], v[132:133]
	;; [unrolled: 4-line block ×15, first 2 shown]
.LBB103_111:
	s_or_b32 exec_lo, exec_lo, s1
	s_mov_b32 s1, exec_lo
	s_waitcnt lgkmcnt(0)
	s_barrier
	buffer_gl0_inv
	v_cmpx_eq_u32_e32 22, v0
	s_cbranch_execz .LBB103_114
; %bb.112:
	ds_write_b64 v1, v[168:169]
	ds_write2_b64 v20, v[134:135], v[166:167] offset0:23 offset1:24
	ds_write2_b64 v20, v[132:133], v[164:165] offset0:25 offset1:26
	;; [unrolled: 1-line block ×14, first 2 shown]
	ds_write_b64 v20, v[210:211] offset:408
	ds_read_b64 v[4:5], v1
	s_waitcnt lgkmcnt(0)
	v_cmp_neq_f64_e32 vcc_lo, 0, v[4:5]
	s_and_b32 exec_lo, exec_lo, vcc_lo
	s_cbranch_execz .LBB103_114
; %bb.113:
	v_div_scale_f64 v[6:7], null, v[4:5], v[4:5], 1.0
	v_rcp_f64_e32 v[8:9], v[6:7]
	v_fma_f64 v[10:11], -v[6:7], v[8:9], 1.0
	v_fma_f64 v[8:9], v[8:9], v[10:11], v[8:9]
	v_fma_f64 v[10:11], -v[6:7], v[8:9], 1.0
	v_fma_f64 v[8:9], v[8:9], v[10:11], v[8:9]
	v_div_scale_f64 v[10:11], vcc_lo, 1.0, v[4:5], 1.0
	v_mul_f64 v[12:13], v[10:11], v[8:9]
	v_fma_f64 v[6:7], -v[6:7], v[12:13], v[10:11]
	v_div_fmas_f64 v[6:7], v[6:7], v[8:9], v[12:13]
	v_div_fixup_f64 v[4:5], v[6:7], v[4:5], 1.0
	ds_write_b64 v1, v[4:5]
.LBB103_114:
	s_or_b32 exec_lo, exec_lo, s1
	s_waitcnt lgkmcnt(0)
	s_barrier
	buffer_gl0_inv
	ds_read_b64 v[77:78], v1
	s_mov_b32 s1, exec_lo
	v_cmpx_lt_u32_e32 22, v0
	s_cbranch_execz .LBB103_116
; %bb.115:
	s_waitcnt lgkmcnt(0)
	v_mul_f64 v[168:169], v[77:78], v[168:169]
	ds_read2_b64 v[4:7], v20 offset0:23 offset1:24
	s_waitcnt lgkmcnt(0)
	v_fma_f64 v[134:135], -v[168:169], v[4:5], v[134:135]
	v_fma_f64 v[166:167], -v[168:169], v[6:7], v[166:167]
	ds_read2_b64 v[4:7], v20 offset0:25 offset1:26
	s_waitcnt lgkmcnt(0)
	v_fma_f64 v[132:133], -v[168:169], v[4:5], v[132:133]
	v_fma_f64 v[164:165], -v[168:169], v[6:7], v[164:165]
	;; [unrolled: 4-line block ×13, first 2 shown]
	ds_read2_b64 v[4:7], v20 offset0:49 offset1:50
	s_waitcnt lgkmcnt(0)
	v_fma_f64 v[108:109], -v[168:169], v[4:5], v[108:109]
	ds_read_b64 v[4:5], v20 offset:408
	v_fma_f64 v[140:141], -v[168:169], v[6:7], v[140:141]
	s_waitcnt lgkmcnt(0)
	v_fma_f64 v[210:211], -v[168:169], v[4:5], v[210:211]
.LBB103_116:
	s_or_b32 exec_lo, exec_lo, s1
	s_mov_b32 s1, exec_lo
	s_waitcnt lgkmcnt(0)
	s_barrier
	buffer_gl0_inv
	v_cmpx_eq_u32_e32 23, v0
	s_cbranch_execz .LBB103_119
; %bb.117:
	v_mov_b32_e32 v4, v166
	v_mov_b32_e32 v5, v167
	;; [unrolled: 1-line block ×4, first 2 shown]
	ds_write_b64 v1, v[134:135]
	ds_write2_b64 v20, v[4:5], v[6:7] offset0:24 offset1:25
	v_mov_b32_e32 v4, v164
	v_mov_b32_e32 v5, v165
	v_mov_b32_e32 v6, v130
	v_mov_b32_e32 v7, v131
	ds_write2_b64 v20, v[4:5], v[6:7] offset0:26 offset1:27
	v_mov_b32_e32 v4, v162
	v_mov_b32_e32 v5, v163
	v_mov_b32_e32 v6, v128
	v_mov_b32_e32 v7, v129
	;; [unrolled: 5-line block ×12, first 2 shown]
	ds_write2_b64 v20, v[4:5], v[6:7] offset0:48 offset1:49
	v_mov_b32_e32 v4, v140
	v_mov_b32_e32 v5, v141
	ds_write2_b64 v20, v[4:5], v[210:211] offset0:50 offset1:51
	ds_read_b64 v[4:5], v1
	s_waitcnt lgkmcnt(0)
	v_cmp_neq_f64_e32 vcc_lo, 0, v[4:5]
	s_and_b32 exec_lo, exec_lo, vcc_lo
	s_cbranch_execz .LBB103_119
; %bb.118:
	v_div_scale_f64 v[6:7], null, v[4:5], v[4:5], 1.0
	v_rcp_f64_e32 v[8:9], v[6:7]
	v_fma_f64 v[10:11], -v[6:7], v[8:9], 1.0
	v_fma_f64 v[8:9], v[8:9], v[10:11], v[8:9]
	v_fma_f64 v[10:11], -v[6:7], v[8:9], 1.0
	v_fma_f64 v[8:9], v[8:9], v[10:11], v[8:9]
	v_div_scale_f64 v[10:11], vcc_lo, 1.0, v[4:5], 1.0
	v_mul_f64 v[12:13], v[10:11], v[8:9]
	v_fma_f64 v[6:7], -v[6:7], v[12:13], v[10:11]
	v_div_fmas_f64 v[6:7], v[6:7], v[8:9], v[12:13]
	v_div_fixup_f64 v[4:5], v[6:7], v[4:5], 1.0
	ds_write_b64 v1, v[4:5]
.LBB103_119:
	s_or_b32 exec_lo, exec_lo, s1
	s_waitcnt lgkmcnt(0)
	s_barrier
	buffer_gl0_inv
	ds_read_b64 v[79:80], v1
	s_mov_b32 s1, exec_lo
	v_cmpx_lt_u32_e32 23, v0
	s_cbranch_execz .LBB103_121
; %bb.120:
	s_waitcnt lgkmcnt(0)
	v_mul_f64 v[134:135], v[79:80], v[134:135]
	ds_read2_b64 v[4:7], v20 offset0:24 offset1:25
	s_waitcnt lgkmcnt(0)
	v_fma_f64 v[166:167], -v[134:135], v[4:5], v[166:167]
	v_fma_f64 v[132:133], -v[134:135], v[6:7], v[132:133]
	ds_read2_b64 v[4:7], v20 offset0:26 offset1:27
	s_waitcnt lgkmcnt(0)
	v_fma_f64 v[164:165], -v[134:135], v[4:5], v[164:165]
	v_fma_f64 v[130:131], -v[134:135], v[6:7], v[130:131]
	;; [unrolled: 4-line block ×14, first 2 shown]
.LBB103_121:
	s_or_b32 exec_lo, exec_lo, s1
	s_mov_b32 s1, exec_lo
	s_waitcnt lgkmcnt(0)
	s_barrier
	buffer_gl0_inv
	v_cmpx_eq_u32_e32 24, v0
	s_cbranch_execz .LBB103_124
; %bb.122:
	ds_write_b64 v1, v[166:167]
	ds_write2_b64 v20, v[132:133], v[164:165] offset0:25 offset1:26
	ds_write2_b64 v20, v[130:131], v[162:163] offset0:27 offset1:28
	;; [unrolled: 1-line block ×13, first 2 shown]
	ds_write_b64 v20, v[210:211] offset:408
	ds_read_b64 v[4:5], v1
	s_waitcnt lgkmcnt(0)
	v_cmp_neq_f64_e32 vcc_lo, 0, v[4:5]
	s_and_b32 exec_lo, exec_lo, vcc_lo
	s_cbranch_execz .LBB103_124
; %bb.123:
	v_div_scale_f64 v[6:7], null, v[4:5], v[4:5], 1.0
	v_rcp_f64_e32 v[8:9], v[6:7]
	v_fma_f64 v[10:11], -v[6:7], v[8:9], 1.0
	v_fma_f64 v[8:9], v[8:9], v[10:11], v[8:9]
	v_fma_f64 v[10:11], -v[6:7], v[8:9], 1.0
	v_fma_f64 v[8:9], v[8:9], v[10:11], v[8:9]
	v_div_scale_f64 v[10:11], vcc_lo, 1.0, v[4:5], 1.0
	v_mul_f64 v[12:13], v[10:11], v[8:9]
	v_fma_f64 v[6:7], -v[6:7], v[12:13], v[10:11]
	v_div_fmas_f64 v[6:7], v[6:7], v[8:9], v[12:13]
	v_div_fixup_f64 v[4:5], v[6:7], v[4:5], 1.0
	ds_write_b64 v1, v[4:5]
.LBB103_124:
	s_or_b32 exec_lo, exec_lo, s1
	s_waitcnt lgkmcnt(0)
	s_barrier
	buffer_gl0_inv
	ds_read_b64 v[28:29], v1
	s_mov_b32 s1, exec_lo
	v_cmpx_lt_u32_e32 24, v0
	s_cbranch_execz .LBB103_126
; %bb.125:
	s_waitcnt lgkmcnt(0)
	v_mul_f64 v[166:167], v[28:29], v[166:167]
	ds_read2_b64 v[4:7], v20 offset0:25 offset1:26
	s_waitcnt lgkmcnt(0)
	v_fma_f64 v[132:133], -v[166:167], v[4:5], v[132:133]
	v_fma_f64 v[164:165], -v[166:167], v[6:7], v[164:165]
	ds_read2_b64 v[4:7], v20 offset0:27 offset1:28
	s_waitcnt lgkmcnt(0)
	v_fma_f64 v[130:131], -v[166:167], v[4:5], v[130:131]
	v_fma_f64 v[162:163], -v[166:167], v[6:7], v[162:163]
	;; [unrolled: 4-line block ×12, first 2 shown]
	ds_read2_b64 v[4:7], v20 offset0:49 offset1:50
	s_waitcnt lgkmcnt(0)
	v_fma_f64 v[108:109], -v[166:167], v[4:5], v[108:109]
	ds_read_b64 v[4:5], v20 offset:408
	v_fma_f64 v[140:141], -v[166:167], v[6:7], v[140:141]
	s_waitcnt lgkmcnt(0)
	v_fma_f64 v[210:211], -v[166:167], v[4:5], v[210:211]
.LBB103_126:
	s_or_b32 exec_lo, exec_lo, s1
	s_mov_b32 s1, exec_lo
	s_waitcnt lgkmcnt(0)
	s_barrier
	buffer_gl0_inv
	v_cmpx_eq_u32_e32 25, v0
	s_cbranch_execz .LBB103_129
; %bb.127:
	v_mov_b32_e32 v4, v164
	v_mov_b32_e32 v5, v165
	;; [unrolled: 1-line block ×4, first 2 shown]
	ds_write_b64 v1, v[132:133]
	ds_write2_b64 v20, v[4:5], v[6:7] offset0:26 offset1:27
	v_mov_b32_e32 v4, v162
	v_mov_b32_e32 v5, v163
	v_mov_b32_e32 v6, v128
	v_mov_b32_e32 v7, v129
	ds_write2_b64 v20, v[4:5], v[6:7] offset0:28 offset1:29
	v_mov_b32_e32 v4, v160
	v_mov_b32_e32 v5, v161
	v_mov_b32_e32 v6, v126
	v_mov_b32_e32 v7, v127
	;; [unrolled: 5-line block ×11, first 2 shown]
	ds_write2_b64 v20, v[4:5], v[6:7] offset0:48 offset1:49
	v_mov_b32_e32 v4, v140
	v_mov_b32_e32 v5, v141
	ds_write2_b64 v20, v[4:5], v[210:211] offset0:50 offset1:51
	ds_read_b64 v[4:5], v1
	s_waitcnt lgkmcnt(0)
	v_cmp_neq_f64_e32 vcc_lo, 0, v[4:5]
	s_and_b32 exec_lo, exec_lo, vcc_lo
	s_cbranch_execz .LBB103_129
; %bb.128:
	v_div_scale_f64 v[6:7], null, v[4:5], v[4:5], 1.0
	v_rcp_f64_e32 v[8:9], v[6:7]
	v_fma_f64 v[10:11], -v[6:7], v[8:9], 1.0
	v_fma_f64 v[8:9], v[8:9], v[10:11], v[8:9]
	v_fma_f64 v[10:11], -v[6:7], v[8:9], 1.0
	v_fma_f64 v[8:9], v[8:9], v[10:11], v[8:9]
	v_div_scale_f64 v[10:11], vcc_lo, 1.0, v[4:5], 1.0
	v_mul_f64 v[12:13], v[10:11], v[8:9]
	v_fma_f64 v[6:7], -v[6:7], v[12:13], v[10:11]
	v_div_fmas_f64 v[6:7], v[6:7], v[8:9], v[12:13]
	v_div_fixup_f64 v[4:5], v[6:7], v[4:5], 1.0
	ds_write_b64 v1, v[4:5]
.LBB103_129:
	s_or_b32 exec_lo, exec_lo, s1
	s_waitcnt lgkmcnt(0)
	s_barrier
	buffer_gl0_inv
	ds_read_b64 v[81:82], v1
	s_mov_b32 s1, exec_lo
	v_cmpx_lt_u32_e32 25, v0
	s_cbranch_execz .LBB103_131
; %bb.130:
	s_waitcnt lgkmcnt(0)
	v_mul_f64 v[132:133], v[81:82], v[132:133]
	ds_read2_b64 v[4:7], v20 offset0:26 offset1:27
	s_waitcnt lgkmcnt(0)
	v_fma_f64 v[164:165], -v[132:133], v[4:5], v[164:165]
	v_fma_f64 v[130:131], -v[132:133], v[6:7], v[130:131]
	ds_read2_b64 v[4:7], v20 offset0:28 offset1:29
	s_waitcnt lgkmcnt(0)
	v_fma_f64 v[162:163], -v[132:133], v[4:5], v[162:163]
	v_fma_f64 v[128:129], -v[132:133], v[6:7], v[128:129]
	;; [unrolled: 4-line block ×13, first 2 shown]
.LBB103_131:
	s_or_b32 exec_lo, exec_lo, s1
	s_mov_b32 s1, exec_lo
	s_waitcnt lgkmcnt(0)
	s_barrier
	buffer_gl0_inv
	v_cmpx_eq_u32_e32 26, v0
	s_cbranch_execz .LBB103_134
; %bb.132:
	ds_write_b64 v1, v[164:165]
	ds_write2_b64 v20, v[130:131], v[162:163] offset0:27 offset1:28
	ds_write2_b64 v20, v[128:129], v[160:161] offset0:29 offset1:30
	;; [unrolled: 1-line block ×12, first 2 shown]
	ds_write_b64 v20, v[210:211] offset:408
	ds_read_b64 v[4:5], v1
	s_waitcnt lgkmcnt(0)
	v_cmp_neq_f64_e32 vcc_lo, 0, v[4:5]
	s_and_b32 exec_lo, exec_lo, vcc_lo
	s_cbranch_execz .LBB103_134
; %bb.133:
	v_div_scale_f64 v[6:7], null, v[4:5], v[4:5], 1.0
	v_rcp_f64_e32 v[8:9], v[6:7]
	v_fma_f64 v[10:11], -v[6:7], v[8:9], 1.0
	v_fma_f64 v[8:9], v[8:9], v[10:11], v[8:9]
	v_fma_f64 v[10:11], -v[6:7], v[8:9], 1.0
	v_fma_f64 v[8:9], v[8:9], v[10:11], v[8:9]
	v_div_scale_f64 v[10:11], vcc_lo, 1.0, v[4:5], 1.0
	v_mul_f64 v[12:13], v[10:11], v[8:9]
	v_fma_f64 v[6:7], -v[6:7], v[12:13], v[10:11]
	v_div_fmas_f64 v[6:7], v[6:7], v[8:9], v[12:13]
	v_div_fixup_f64 v[4:5], v[6:7], v[4:5], 1.0
	ds_write_b64 v1, v[4:5]
.LBB103_134:
	s_or_b32 exec_lo, exec_lo, s1
	s_waitcnt lgkmcnt(0)
	s_barrier
	buffer_gl0_inv
	ds_read_b64 v[87:88], v1
	s_mov_b32 s1, exec_lo
	v_cmpx_lt_u32_e32 26, v0
	s_cbranch_execz .LBB103_136
; %bb.135:
	s_waitcnt lgkmcnt(0)
	v_mul_f64 v[164:165], v[87:88], v[164:165]
	ds_read2_b64 v[4:7], v20 offset0:27 offset1:28
	s_waitcnt lgkmcnt(0)
	v_fma_f64 v[130:131], -v[164:165], v[4:5], v[130:131]
	v_fma_f64 v[162:163], -v[164:165], v[6:7], v[162:163]
	ds_read2_b64 v[4:7], v20 offset0:29 offset1:30
	s_waitcnt lgkmcnt(0)
	v_fma_f64 v[128:129], -v[164:165], v[4:5], v[128:129]
	v_fma_f64 v[160:161], -v[164:165], v[6:7], v[160:161]
	;; [unrolled: 4-line block ×11, first 2 shown]
	ds_read2_b64 v[4:7], v20 offset0:49 offset1:50
	s_waitcnt lgkmcnt(0)
	v_fma_f64 v[108:109], -v[164:165], v[4:5], v[108:109]
	ds_read_b64 v[4:5], v20 offset:408
	v_fma_f64 v[140:141], -v[164:165], v[6:7], v[140:141]
	s_waitcnt lgkmcnt(0)
	v_fma_f64 v[210:211], -v[164:165], v[4:5], v[210:211]
.LBB103_136:
	s_or_b32 exec_lo, exec_lo, s1
	s_mov_b32 s1, exec_lo
	s_waitcnt lgkmcnt(0)
	s_barrier
	buffer_gl0_inv
	v_cmpx_eq_u32_e32 27, v0
	s_cbranch_execz .LBB103_139
; %bb.137:
	v_mov_b32_e32 v4, v162
	v_mov_b32_e32 v5, v163
	;; [unrolled: 1-line block ×4, first 2 shown]
	ds_write_b64 v1, v[130:131]
	ds_write2_b64 v20, v[4:5], v[6:7] offset0:28 offset1:29
	v_mov_b32_e32 v4, v160
	v_mov_b32_e32 v5, v161
	v_mov_b32_e32 v6, v126
	v_mov_b32_e32 v7, v127
	ds_write2_b64 v20, v[4:5], v[6:7] offset0:30 offset1:31
	v_mov_b32_e32 v4, v158
	v_mov_b32_e32 v5, v159
	v_mov_b32_e32 v6, v124
	v_mov_b32_e32 v7, v125
	;; [unrolled: 5-line block ×10, first 2 shown]
	ds_write2_b64 v20, v[4:5], v[6:7] offset0:48 offset1:49
	v_mov_b32_e32 v4, v140
	v_mov_b32_e32 v5, v141
	ds_write2_b64 v20, v[4:5], v[210:211] offset0:50 offset1:51
	ds_read_b64 v[4:5], v1
	s_waitcnt lgkmcnt(0)
	v_cmp_neq_f64_e32 vcc_lo, 0, v[4:5]
	s_and_b32 exec_lo, exec_lo, vcc_lo
	s_cbranch_execz .LBB103_139
; %bb.138:
	v_div_scale_f64 v[6:7], null, v[4:5], v[4:5], 1.0
	v_rcp_f64_e32 v[8:9], v[6:7]
	v_fma_f64 v[10:11], -v[6:7], v[8:9], 1.0
	v_fma_f64 v[8:9], v[8:9], v[10:11], v[8:9]
	v_fma_f64 v[10:11], -v[6:7], v[8:9], 1.0
	v_fma_f64 v[8:9], v[8:9], v[10:11], v[8:9]
	v_div_scale_f64 v[10:11], vcc_lo, 1.0, v[4:5], 1.0
	v_mul_f64 v[12:13], v[10:11], v[8:9]
	v_fma_f64 v[6:7], -v[6:7], v[12:13], v[10:11]
	v_div_fmas_f64 v[6:7], v[6:7], v[8:9], v[12:13]
	v_div_fixup_f64 v[4:5], v[6:7], v[4:5], 1.0
	ds_write_b64 v1, v[4:5]
.LBB103_139:
	s_or_b32 exec_lo, exec_lo, s1
	s_waitcnt lgkmcnt(0)
	s_barrier
	buffer_gl0_inv
	ds_read_b64 v[89:90], v1
	s_mov_b32 s1, exec_lo
	v_cmpx_lt_u32_e32 27, v0
	s_cbranch_execz .LBB103_141
; %bb.140:
	s_waitcnt lgkmcnt(0)
	v_mul_f64 v[130:131], v[89:90], v[130:131]
	ds_read2_b64 v[4:7], v20 offset0:28 offset1:29
	s_waitcnt lgkmcnt(0)
	v_fma_f64 v[162:163], -v[130:131], v[4:5], v[162:163]
	v_fma_f64 v[128:129], -v[130:131], v[6:7], v[128:129]
	ds_read2_b64 v[4:7], v20 offset0:30 offset1:31
	s_waitcnt lgkmcnt(0)
	v_fma_f64 v[160:161], -v[130:131], v[4:5], v[160:161]
	v_fma_f64 v[126:127], -v[130:131], v[6:7], v[126:127]
	;; [unrolled: 4-line block ×12, first 2 shown]
.LBB103_141:
	s_or_b32 exec_lo, exec_lo, s1
	s_mov_b32 s1, exec_lo
	s_waitcnt lgkmcnt(0)
	s_barrier
	buffer_gl0_inv
	v_cmpx_eq_u32_e32 28, v0
	s_cbranch_execz .LBB103_144
; %bb.142:
	ds_write_b64 v1, v[162:163]
	ds_write2_b64 v20, v[128:129], v[160:161] offset0:29 offset1:30
	ds_write2_b64 v20, v[126:127], v[158:159] offset0:31 offset1:32
	;; [unrolled: 1-line block ×11, first 2 shown]
	ds_write_b64 v20, v[210:211] offset:408
	ds_read_b64 v[4:5], v1
	s_waitcnt lgkmcnt(0)
	v_cmp_neq_f64_e32 vcc_lo, 0, v[4:5]
	s_and_b32 exec_lo, exec_lo, vcc_lo
	s_cbranch_execz .LBB103_144
; %bb.143:
	v_div_scale_f64 v[6:7], null, v[4:5], v[4:5], 1.0
	v_rcp_f64_e32 v[8:9], v[6:7]
	v_fma_f64 v[10:11], -v[6:7], v[8:9], 1.0
	v_fma_f64 v[8:9], v[8:9], v[10:11], v[8:9]
	v_fma_f64 v[10:11], -v[6:7], v[8:9], 1.0
	v_fma_f64 v[8:9], v[8:9], v[10:11], v[8:9]
	v_div_scale_f64 v[10:11], vcc_lo, 1.0, v[4:5], 1.0
	v_mul_f64 v[12:13], v[10:11], v[8:9]
	v_fma_f64 v[6:7], -v[6:7], v[12:13], v[10:11]
	v_div_fmas_f64 v[6:7], v[6:7], v[8:9], v[12:13]
	v_div_fixup_f64 v[4:5], v[6:7], v[4:5], 1.0
	ds_write_b64 v1, v[4:5]
.LBB103_144:
	s_or_b32 exec_lo, exec_lo, s1
	s_waitcnt lgkmcnt(0)
	s_barrier
	buffer_gl0_inv
	ds_read_b64 v[224:225], v1
	s_mov_b32 s1, exec_lo
	v_cmpx_lt_u32_e32 28, v0
	s_cbranch_execz .LBB103_146
; %bb.145:
	s_waitcnt lgkmcnt(0)
	v_mul_f64 v[162:163], v[224:225], v[162:163]
	ds_read2_b64 v[4:7], v20 offset0:29 offset1:30
	s_waitcnt lgkmcnt(0)
	v_fma_f64 v[128:129], -v[162:163], v[4:5], v[128:129]
	v_fma_f64 v[160:161], -v[162:163], v[6:7], v[160:161]
	ds_read2_b64 v[4:7], v20 offset0:31 offset1:32
	s_waitcnt lgkmcnt(0)
	v_fma_f64 v[126:127], -v[162:163], v[4:5], v[126:127]
	v_fma_f64 v[158:159], -v[162:163], v[6:7], v[158:159]
	;; [unrolled: 4-line block ×10, first 2 shown]
	ds_read2_b64 v[4:7], v20 offset0:49 offset1:50
	s_waitcnt lgkmcnt(0)
	v_fma_f64 v[108:109], -v[162:163], v[4:5], v[108:109]
	ds_read_b64 v[4:5], v20 offset:408
	v_fma_f64 v[140:141], -v[162:163], v[6:7], v[140:141]
	s_waitcnt lgkmcnt(0)
	v_fma_f64 v[210:211], -v[162:163], v[4:5], v[210:211]
.LBB103_146:
	s_or_b32 exec_lo, exec_lo, s1
	s_mov_b32 s1, exec_lo
	s_waitcnt lgkmcnt(0)
	s_barrier
	buffer_gl0_inv
	v_cmpx_eq_u32_e32 29, v0
	s_cbranch_execz .LBB103_149
; %bb.147:
	v_mov_b32_e32 v4, v160
	v_mov_b32_e32 v5, v161
	;; [unrolled: 1-line block ×4, first 2 shown]
	ds_write_b64 v1, v[128:129]
	ds_write2_b64 v20, v[4:5], v[6:7] offset0:30 offset1:31
	v_mov_b32_e32 v4, v158
	v_mov_b32_e32 v5, v159
	v_mov_b32_e32 v6, v124
	v_mov_b32_e32 v7, v125
	ds_write2_b64 v20, v[4:5], v[6:7] offset0:32 offset1:33
	v_mov_b32_e32 v4, v156
	v_mov_b32_e32 v5, v157
	v_mov_b32_e32 v6, v122
	v_mov_b32_e32 v7, v123
	;; [unrolled: 5-line block ×9, first 2 shown]
	ds_write2_b64 v20, v[4:5], v[6:7] offset0:48 offset1:49
	v_mov_b32_e32 v4, v140
	v_mov_b32_e32 v5, v141
	ds_write2_b64 v20, v[4:5], v[210:211] offset0:50 offset1:51
	ds_read_b64 v[4:5], v1
	s_waitcnt lgkmcnt(0)
	v_cmp_neq_f64_e32 vcc_lo, 0, v[4:5]
	s_and_b32 exec_lo, exec_lo, vcc_lo
	s_cbranch_execz .LBB103_149
; %bb.148:
	v_div_scale_f64 v[6:7], null, v[4:5], v[4:5], 1.0
	v_rcp_f64_e32 v[8:9], v[6:7]
	v_fma_f64 v[10:11], -v[6:7], v[8:9], 1.0
	v_fma_f64 v[8:9], v[8:9], v[10:11], v[8:9]
	v_fma_f64 v[10:11], -v[6:7], v[8:9], 1.0
	v_fma_f64 v[8:9], v[8:9], v[10:11], v[8:9]
	v_div_scale_f64 v[10:11], vcc_lo, 1.0, v[4:5], 1.0
	v_mul_f64 v[12:13], v[10:11], v[8:9]
	v_fma_f64 v[6:7], -v[6:7], v[12:13], v[10:11]
	v_div_fmas_f64 v[6:7], v[6:7], v[8:9], v[12:13]
	v_div_fixup_f64 v[4:5], v[6:7], v[4:5], 1.0
	ds_write_b64 v1, v[4:5]
.LBB103_149:
	s_or_b32 exec_lo, exec_lo, s1
	s_waitcnt lgkmcnt(0)
	s_barrier
	buffer_gl0_inv
	ds_read_b64 v[226:227], v1
	s_mov_b32 s1, exec_lo
	v_cmpx_lt_u32_e32 29, v0
	s_cbranch_execz .LBB103_151
; %bb.150:
	s_waitcnt lgkmcnt(0)
	v_mul_f64 v[128:129], v[226:227], v[128:129]
	ds_read2_b64 v[4:7], v20 offset0:30 offset1:31
	s_waitcnt lgkmcnt(0)
	v_fma_f64 v[160:161], -v[128:129], v[4:5], v[160:161]
	v_fma_f64 v[126:127], -v[128:129], v[6:7], v[126:127]
	ds_read2_b64 v[4:7], v20 offset0:32 offset1:33
	s_waitcnt lgkmcnt(0)
	v_fma_f64 v[158:159], -v[128:129], v[4:5], v[158:159]
	v_fma_f64 v[124:125], -v[128:129], v[6:7], v[124:125]
	;; [unrolled: 4-line block ×11, first 2 shown]
.LBB103_151:
	s_or_b32 exec_lo, exec_lo, s1
	s_mov_b32 s1, exec_lo
	s_waitcnt lgkmcnt(0)
	s_barrier
	buffer_gl0_inv
	v_cmpx_eq_u32_e32 30, v0
	s_cbranch_execz .LBB103_154
; %bb.152:
	ds_write_b64 v1, v[160:161]
	ds_write2_b64 v20, v[126:127], v[158:159] offset0:31 offset1:32
	ds_write2_b64 v20, v[124:125], v[156:157] offset0:33 offset1:34
	;; [unrolled: 1-line block ×10, first 2 shown]
	ds_write_b64 v20, v[210:211] offset:408
	ds_read_b64 v[4:5], v1
	s_waitcnt lgkmcnt(0)
	v_cmp_neq_f64_e32 vcc_lo, 0, v[4:5]
	s_and_b32 exec_lo, exec_lo, vcc_lo
	s_cbranch_execz .LBB103_154
; %bb.153:
	v_div_scale_f64 v[6:7], null, v[4:5], v[4:5], 1.0
	v_rcp_f64_e32 v[8:9], v[6:7]
	v_fma_f64 v[10:11], -v[6:7], v[8:9], 1.0
	v_fma_f64 v[8:9], v[8:9], v[10:11], v[8:9]
	v_fma_f64 v[10:11], -v[6:7], v[8:9], 1.0
	v_fma_f64 v[8:9], v[8:9], v[10:11], v[8:9]
	v_div_scale_f64 v[10:11], vcc_lo, 1.0, v[4:5], 1.0
	v_mul_f64 v[12:13], v[10:11], v[8:9]
	v_fma_f64 v[6:7], -v[6:7], v[12:13], v[10:11]
	v_div_fmas_f64 v[6:7], v[6:7], v[8:9], v[12:13]
	v_div_fixup_f64 v[4:5], v[6:7], v[4:5], 1.0
	ds_write_b64 v1, v[4:5]
.LBB103_154:
	s_or_b32 exec_lo, exec_lo, s1
	s_waitcnt lgkmcnt(0)
	s_barrier
	buffer_gl0_inv
	ds_read_b64 v[228:229], v1
	s_mov_b32 s1, exec_lo
	v_cmpx_lt_u32_e32 30, v0
	s_cbranch_execz .LBB103_156
; %bb.155:
	s_waitcnt lgkmcnt(0)
	v_mul_f64 v[160:161], v[228:229], v[160:161]
	ds_read2_b64 v[4:7], v20 offset0:31 offset1:32
	s_waitcnt lgkmcnt(0)
	v_fma_f64 v[126:127], -v[160:161], v[4:5], v[126:127]
	v_fma_f64 v[158:159], -v[160:161], v[6:7], v[158:159]
	ds_read2_b64 v[4:7], v20 offset0:33 offset1:34
	s_waitcnt lgkmcnt(0)
	v_fma_f64 v[124:125], -v[160:161], v[4:5], v[124:125]
	v_fma_f64 v[156:157], -v[160:161], v[6:7], v[156:157]
	;; [unrolled: 4-line block ×9, first 2 shown]
	ds_read2_b64 v[4:7], v20 offset0:49 offset1:50
	s_waitcnt lgkmcnt(0)
	v_fma_f64 v[108:109], -v[160:161], v[4:5], v[108:109]
	ds_read_b64 v[4:5], v20 offset:408
	v_fma_f64 v[140:141], -v[160:161], v[6:7], v[140:141]
	s_waitcnt lgkmcnt(0)
	v_fma_f64 v[210:211], -v[160:161], v[4:5], v[210:211]
.LBB103_156:
	s_or_b32 exec_lo, exec_lo, s1
	s_mov_b32 s1, exec_lo
	s_waitcnt lgkmcnt(0)
	s_barrier
	buffer_gl0_inv
	v_cmpx_eq_u32_e32 31, v0
	s_cbranch_execz .LBB103_159
; %bb.157:
	v_mov_b32_e32 v4, v158
	v_mov_b32_e32 v5, v159
	;; [unrolled: 1-line block ×4, first 2 shown]
	ds_write_b64 v1, v[126:127]
	ds_write2_b64 v20, v[4:5], v[6:7] offset0:32 offset1:33
	v_mov_b32_e32 v4, v156
	v_mov_b32_e32 v5, v157
	v_mov_b32_e32 v6, v122
	v_mov_b32_e32 v7, v123
	ds_write2_b64 v20, v[4:5], v[6:7] offset0:34 offset1:35
	v_mov_b32_e32 v4, v154
	v_mov_b32_e32 v5, v155
	v_mov_b32_e32 v6, v120
	v_mov_b32_e32 v7, v121
	;; [unrolled: 5-line block ×8, first 2 shown]
	ds_write2_b64 v20, v[4:5], v[6:7] offset0:48 offset1:49
	v_mov_b32_e32 v4, v140
	v_mov_b32_e32 v5, v141
	ds_write2_b64 v20, v[4:5], v[210:211] offset0:50 offset1:51
	ds_read_b64 v[4:5], v1
	s_waitcnt lgkmcnt(0)
	v_cmp_neq_f64_e32 vcc_lo, 0, v[4:5]
	s_and_b32 exec_lo, exec_lo, vcc_lo
	s_cbranch_execz .LBB103_159
; %bb.158:
	v_div_scale_f64 v[6:7], null, v[4:5], v[4:5], 1.0
	v_rcp_f64_e32 v[8:9], v[6:7]
	v_fma_f64 v[10:11], -v[6:7], v[8:9], 1.0
	v_fma_f64 v[8:9], v[8:9], v[10:11], v[8:9]
	v_fma_f64 v[10:11], -v[6:7], v[8:9], 1.0
	v_fma_f64 v[8:9], v[8:9], v[10:11], v[8:9]
	v_div_scale_f64 v[10:11], vcc_lo, 1.0, v[4:5], 1.0
	v_mul_f64 v[12:13], v[10:11], v[8:9]
	v_fma_f64 v[6:7], -v[6:7], v[12:13], v[10:11]
	v_div_fmas_f64 v[6:7], v[6:7], v[8:9], v[12:13]
	v_div_fixup_f64 v[4:5], v[6:7], v[4:5], 1.0
	ds_write_b64 v1, v[4:5]
.LBB103_159:
	s_or_b32 exec_lo, exec_lo, s1
	s_waitcnt lgkmcnt(0)
	s_barrier
	buffer_gl0_inv
	ds_read_b64 v[230:231], v1
	s_mov_b32 s1, exec_lo
	v_cmpx_lt_u32_e32 31, v0
	s_cbranch_execz .LBB103_161
; %bb.160:
	s_waitcnt lgkmcnt(0)
	v_mul_f64 v[126:127], v[230:231], v[126:127]
	ds_read2_b64 v[4:7], v20 offset0:32 offset1:33
	s_waitcnt lgkmcnt(0)
	v_fma_f64 v[158:159], -v[126:127], v[4:5], v[158:159]
	v_fma_f64 v[124:125], -v[126:127], v[6:7], v[124:125]
	ds_read2_b64 v[4:7], v20 offset0:34 offset1:35
	s_waitcnt lgkmcnt(0)
	v_fma_f64 v[156:157], -v[126:127], v[4:5], v[156:157]
	v_fma_f64 v[122:123], -v[126:127], v[6:7], v[122:123]
	;; [unrolled: 4-line block ×10, first 2 shown]
.LBB103_161:
	s_or_b32 exec_lo, exec_lo, s1
	s_mov_b32 s1, exec_lo
	s_waitcnt lgkmcnt(0)
	s_barrier
	buffer_gl0_inv
	v_cmpx_eq_u32_e32 32, v0
	s_cbranch_execz .LBB103_164
; %bb.162:
	ds_write_b64 v1, v[158:159]
	ds_write2_b64 v20, v[124:125], v[156:157] offset0:33 offset1:34
	ds_write2_b64 v20, v[122:123], v[154:155] offset0:35 offset1:36
	;; [unrolled: 1-line block ×9, first 2 shown]
	ds_write_b64 v20, v[210:211] offset:408
	ds_read_b64 v[4:5], v1
	s_waitcnt lgkmcnt(0)
	v_cmp_neq_f64_e32 vcc_lo, 0, v[4:5]
	s_and_b32 exec_lo, exec_lo, vcc_lo
	s_cbranch_execz .LBB103_164
; %bb.163:
	v_div_scale_f64 v[6:7], null, v[4:5], v[4:5], 1.0
	v_rcp_f64_e32 v[8:9], v[6:7]
	v_fma_f64 v[10:11], -v[6:7], v[8:9], 1.0
	v_fma_f64 v[8:9], v[8:9], v[10:11], v[8:9]
	v_fma_f64 v[10:11], -v[6:7], v[8:9], 1.0
	v_fma_f64 v[8:9], v[8:9], v[10:11], v[8:9]
	v_div_scale_f64 v[10:11], vcc_lo, 1.0, v[4:5], 1.0
	v_mul_f64 v[12:13], v[10:11], v[8:9]
	v_fma_f64 v[6:7], -v[6:7], v[12:13], v[10:11]
	v_div_fmas_f64 v[6:7], v[6:7], v[8:9], v[12:13]
	v_div_fixup_f64 v[4:5], v[6:7], v[4:5], 1.0
	ds_write_b64 v1, v[4:5]
.LBB103_164:
	s_or_b32 exec_lo, exec_lo, s1
	s_waitcnt lgkmcnt(0)
	s_barrier
	buffer_gl0_inv
	ds_read_b64 v[232:233], v1
	s_mov_b32 s1, exec_lo
	v_cmpx_lt_u32_e32 32, v0
	s_cbranch_execz .LBB103_166
; %bb.165:
	s_waitcnt lgkmcnt(0)
	v_mul_f64 v[158:159], v[232:233], v[158:159]
	ds_read2_b64 v[4:7], v20 offset0:33 offset1:34
	s_waitcnt lgkmcnt(0)
	v_fma_f64 v[124:125], -v[158:159], v[4:5], v[124:125]
	v_fma_f64 v[156:157], -v[158:159], v[6:7], v[156:157]
	ds_read2_b64 v[4:7], v20 offset0:35 offset1:36
	s_waitcnt lgkmcnt(0)
	v_fma_f64 v[122:123], -v[158:159], v[4:5], v[122:123]
	v_fma_f64 v[154:155], -v[158:159], v[6:7], v[154:155]
	;; [unrolled: 4-line block ×8, first 2 shown]
	ds_read2_b64 v[4:7], v20 offset0:49 offset1:50
	s_waitcnt lgkmcnt(0)
	v_fma_f64 v[108:109], -v[158:159], v[4:5], v[108:109]
	ds_read_b64 v[4:5], v20 offset:408
	v_fma_f64 v[140:141], -v[158:159], v[6:7], v[140:141]
	s_waitcnt lgkmcnt(0)
	v_fma_f64 v[210:211], -v[158:159], v[4:5], v[210:211]
.LBB103_166:
	s_or_b32 exec_lo, exec_lo, s1
	s_mov_b32 s1, exec_lo
	s_waitcnt lgkmcnt(0)
	s_barrier
	buffer_gl0_inv
	v_cmpx_eq_u32_e32 33, v0
	s_cbranch_execz .LBB103_169
; %bb.167:
	v_mov_b32_e32 v4, v156
	v_mov_b32_e32 v5, v157
	;; [unrolled: 1-line block ×4, first 2 shown]
	ds_write_b64 v1, v[124:125]
	ds_write2_b64 v20, v[4:5], v[6:7] offset0:34 offset1:35
	v_mov_b32_e32 v4, v154
	v_mov_b32_e32 v5, v155
	v_mov_b32_e32 v6, v120
	v_mov_b32_e32 v7, v121
	ds_write2_b64 v20, v[4:5], v[6:7] offset0:36 offset1:37
	v_mov_b32_e32 v4, v152
	v_mov_b32_e32 v5, v153
	v_mov_b32_e32 v6, v118
	v_mov_b32_e32 v7, v119
	ds_write2_b64 v20, v[4:5], v[6:7] offset0:38 offset1:39
	v_mov_b32_e32 v4, v150
	v_mov_b32_e32 v5, v151
	v_mov_b32_e32 v6, v116
	v_mov_b32_e32 v7, v117
	ds_write2_b64 v20, v[4:5], v[6:7] offset0:40 offset1:41
	v_mov_b32_e32 v4, v148
	v_mov_b32_e32 v5, v149
	v_mov_b32_e32 v6, v114
	v_mov_b32_e32 v7, v115
	ds_write2_b64 v20, v[4:5], v[6:7] offset0:42 offset1:43
	v_mov_b32_e32 v4, v146
	v_mov_b32_e32 v5, v147
	v_mov_b32_e32 v6, v112
	v_mov_b32_e32 v7, v113
	ds_write2_b64 v20, v[4:5], v[6:7] offset0:44 offset1:45
	v_mov_b32_e32 v4, v144
	v_mov_b32_e32 v5, v145
	v_mov_b32_e32 v6, v110
	v_mov_b32_e32 v7, v111
	ds_write2_b64 v20, v[4:5], v[6:7] offset0:46 offset1:47
	v_mov_b32_e32 v4, v142
	v_mov_b32_e32 v5, v143
	v_mov_b32_e32 v6, v108
	v_mov_b32_e32 v7, v109
	ds_write2_b64 v20, v[4:5], v[6:7] offset0:48 offset1:49
	v_mov_b32_e32 v4, v140
	v_mov_b32_e32 v5, v141
	ds_write2_b64 v20, v[4:5], v[210:211] offset0:50 offset1:51
	ds_read_b64 v[4:5], v1
	s_waitcnt lgkmcnt(0)
	v_cmp_neq_f64_e32 vcc_lo, 0, v[4:5]
	s_and_b32 exec_lo, exec_lo, vcc_lo
	s_cbranch_execz .LBB103_169
; %bb.168:
	v_div_scale_f64 v[6:7], null, v[4:5], v[4:5], 1.0
	v_rcp_f64_e32 v[8:9], v[6:7]
	v_fma_f64 v[10:11], -v[6:7], v[8:9], 1.0
	v_fma_f64 v[8:9], v[8:9], v[10:11], v[8:9]
	v_fma_f64 v[10:11], -v[6:7], v[8:9], 1.0
	v_fma_f64 v[8:9], v[8:9], v[10:11], v[8:9]
	v_div_scale_f64 v[10:11], vcc_lo, 1.0, v[4:5], 1.0
	v_mul_f64 v[12:13], v[10:11], v[8:9]
	v_fma_f64 v[6:7], -v[6:7], v[12:13], v[10:11]
	v_div_fmas_f64 v[6:7], v[6:7], v[8:9], v[12:13]
	v_div_fixup_f64 v[4:5], v[6:7], v[4:5], 1.0
	ds_write_b64 v1, v[4:5]
.LBB103_169:
	s_or_b32 exec_lo, exec_lo, s1
	s_waitcnt lgkmcnt(0)
	s_barrier
	buffer_gl0_inv
	ds_read_b64 v[234:235], v1
	s_mov_b32 s1, exec_lo
	v_cmpx_lt_u32_e32 33, v0
	s_cbranch_execz .LBB103_171
; %bb.170:
	s_waitcnt lgkmcnt(0)
	v_mul_f64 v[124:125], v[234:235], v[124:125]
	ds_read2_b64 v[4:7], v20 offset0:34 offset1:35
	s_waitcnt lgkmcnt(0)
	v_fma_f64 v[156:157], -v[124:125], v[4:5], v[156:157]
	v_fma_f64 v[122:123], -v[124:125], v[6:7], v[122:123]
	ds_read2_b64 v[4:7], v20 offset0:36 offset1:37
	s_waitcnt lgkmcnt(0)
	v_fma_f64 v[154:155], -v[124:125], v[4:5], v[154:155]
	v_fma_f64 v[120:121], -v[124:125], v[6:7], v[120:121]
	;; [unrolled: 4-line block ×9, first 2 shown]
.LBB103_171:
	s_or_b32 exec_lo, exec_lo, s1
	s_mov_b32 s1, exec_lo
	s_waitcnt lgkmcnt(0)
	s_barrier
	buffer_gl0_inv
	v_cmpx_eq_u32_e32 34, v0
	s_cbranch_execz .LBB103_174
; %bb.172:
	ds_write_b64 v1, v[156:157]
	ds_write2_b64 v20, v[122:123], v[154:155] offset0:35 offset1:36
	ds_write2_b64 v20, v[120:121], v[152:153] offset0:37 offset1:38
	;; [unrolled: 1-line block ×8, first 2 shown]
	ds_write_b64 v20, v[210:211] offset:408
	ds_read_b64 v[4:5], v1
	s_waitcnt lgkmcnt(0)
	v_cmp_neq_f64_e32 vcc_lo, 0, v[4:5]
	s_and_b32 exec_lo, exec_lo, vcc_lo
	s_cbranch_execz .LBB103_174
; %bb.173:
	v_div_scale_f64 v[6:7], null, v[4:5], v[4:5], 1.0
	v_rcp_f64_e32 v[8:9], v[6:7]
	v_fma_f64 v[10:11], -v[6:7], v[8:9], 1.0
	v_fma_f64 v[8:9], v[8:9], v[10:11], v[8:9]
	v_fma_f64 v[10:11], -v[6:7], v[8:9], 1.0
	v_fma_f64 v[8:9], v[8:9], v[10:11], v[8:9]
	v_div_scale_f64 v[10:11], vcc_lo, 1.0, v[4:5], 1.0
	v_mul_f64 v[12:13], v[10:11], v[8:9]
	v_fma_f64 v[6:7], -v[6:7], v[12:13], v[10:11]
	v_div_fmas_f64 v[6:7], v[6:7], v[8:9], v[12:13]
	v_div_fixup_f64 v[4:5], v[6:7], v[4:5], 1.0
	ds_write_b64 v1, v[4:5]
.LBB103_174:
	s_or_b32 exec_lo, exec_lo, s1
	s_waitcnt lgkmcnt(0)
	s_barrier
	buffer_gl0_inv
	ds_read_b64 v[236:237], v1
	s_mov_b32 s1, exec_lo
	v_cmpx_lt_u32_e32 34, v0
	s_cbranch_execz .LBB103_176
; %bb.175:
	s_waitcnt lgkmcnt(0)
	v_mul_f64 v[156:157], v[236:237], v[156:157]
	ds_read2_b64 v[4:7], v20 offset0:35 offset1:36
	s_waitcnt lgkmcnt(0)
	v_fma_f64 v[122:123], -v[156:157], v[4:5], v[122:123]
	v_fma_f64 v[154:155], -v[156:157], v[6:7], v[154:155]
	ds_read2_b64 v[4:7], v20 offset0:37 offset1:38
	s_waitcnt lgkmcnt(0)
	v_fma_f64 v[120:121], -v[156:157], v[4:5], v[120:121]
	v_fma_f64 v[152:153], -v[156:157], v[6:7], v[152:153]
	;; [unrolled: 4-line block ×7, first 2 shown]
	ds_read2_b64 v[4:7], v20 offset0:49 offset1:50
	s_waitcnt lgkmcnt(0)
	v_fma_f64 v[108:109], -v[156:157], v[4:5], v[108:109]
	ds_read_b64 v[4:5], v20 offset:408
	v_fma_f64 v[140:141], -v[156:157], v[6:7], v[140:141]
	s_waitcnt lgkmcnt(0)
	v_fma_f64 v[210:211], -v[156:157], v[4:5], v[210:211]
.LBB103_176:
	s_or_b32 exec_lo, exec_lo, s1
	s_mov_b32 s1, exec_lo
	s_waitcnt lgkmcnt(0)
	s_barrier
	buffer_gl0_inv
	v_cmpx_eq_u32_e32 35, v0
	s_cbranch_execz .LBB103_179
; %bb.177:
	v_mov_b32_e32 v4, v154
	v_mov_b32_e32 v5, v155
	;; [unrolled: 1-line block ×4, first 2 shown]
	ds_write_b64 v1, v[122:123]
	ds_write2_b64 v20, v[4:5], v[6:7] offset0:36 offset1:37
	v_mov_b32_e32 v4, v152
	v_mov_b32_e32 v5, v153
	v_mov_b32_e32 v6, v118
	v_mov_b32_e32 v7, v119
	ds_write2_b64 v20, v[4:5], v[6:7] offset0:38 offset1:39
	v_mov_b32_e32 v4, v150
	v_mov_b32_e32 v5, v151
	v_mov_b32_e32 v6, v116
	v_mov_b32_e32 v7, v117
	ds_write2_b64 v20, v[4:5], v[6:7] offset0:40 offset1:41
	v_mov_b32_e32 v4, v148
	v_mov_b32_e32 v5, v149
	v_mov_b32_e32 v6, v114
	v_mov_b32_e32 v7, v115
	ds_write2_b64 v20, v[4:5], v[6:7] offset0:42 offset1:43
	v_mov_b32_e32 v4, v146
	v_mov_b32_e32 v5, v147
	v_mov_b32_e32 v6, v112
	v_mov_b32_e32 v7, v113
	ds_write2_b64 v20, v[4:5], v[6:7] offset0:44 offset1:45
	v_mov_b32_e32 v4, v144
	v_mov_b32_e32 v5, v145
	v_mov_b32_e32 v6, v110
	v_mov_b32_e32 v7, v111
	ds_write2_b64 v20, v[4:5], v[6:7] offset0:46 offset1:47
	v_mov_b32_e32 v4, v142
	v_mov_b32_e32 v5, v143
	v_mov_b32_e32 v6, v108
	v_mov_b32_e32 v7, v109
	ds_write2_b64 v20, v[4:5], v[6:7] offset0:48 offset1:49
	v_mov_b32_e32 v4, v140
	v_mov_b32_e32 v5, v141
	ds_write2_b64 v20, v[4:5], v[210:211] offset0:50 offset1:51
	ds_read_b64 v[4:5], v1
	s_waitcnt lgkmcnt(0)
	v_cmp_neq_f64_e32 vcc_lo, 0, v[4:5]
	s_and_b32 exec_lo, exec_lo, vcc_lo
	s_cbranch_execz .LBB103_179
; %bb.178:
	v_div_scale_f64 v[6:7], null, v[4:5], v[4:5], 1.0
	v_rcp_f64_e32 v[8:9], v[6:7]
	v_fma_f64 v[10:11], -v[6:7], v[8:9], 1.0
	v_fma_f64 v[8:9], v[8:9], v[10:11], v[8:9]
	v_fma_f64 v[10:11], -v[6:7], v[8:9], 1.0
	v_fma_f64 v[8:9], v[8:9], v[10:11], v[8:9]
	v_div_scale_f64 v[10:11], vcc_lo, 1.0, v[4:5], 1.0
	v_mul_f64 v[12:13], v[10:11], v[8:9]
	v_fma_f64 v[6:7], -v[6:7], v[12:13], v[10:11]
	v_div_fmas_f64 v[6:7], v[6:7], v[8:9], v[12:13]
	v_div_fixup_f64 v[4:5], v[6:7], v[4:5], 1.0
	ds_write_b64 v1, v[4:5]
.LBB103_179:
	s_or_b32 exec_lo, exec_lo, s1
	s_waitcnt lgkmcnt(0)
	s_barrier
	buffer_gl0_inv
	ds_read_b64 v[238:239], v1
	s_mov_b32 s1, exec_lo
	v_cmpx_lt_u32_e32 35, v0
	s_cbranch_execz .LBB103_181
; %bb.180:
	s_waitcnt lgkmcnt(0)
	v_mul_f64 v[122:123], v[238:239], v[122:123]
	ds_read2_b64 v[4:7], v20 offset0:36 offset1:37
	s_waitcnt lgkmcnt(0)
	v_fma_f64 v[154:155], -v[122:123], v[4:5], v[154:155]
	v_fma_f64 v[120:121], -v[122:123], v[6:7], v[120:121]
	ds_read2_b64 v[4:7], v20 offset0:38 offset1:39
	s_waitcnt lgkmcnt(0)
	v_fma_f64 v[152:153], -v[122:123], v[4:5], v[152:153]
	v_fma_f64 v[118:119], -v[122:123], v[6:7], v[118:119]
	;; [unrolled: 4-line block ×8, first 2 shown]
.LBB103_181:
	s_or_b32 exec_lo, exec_lo, s1
	s_mov_b32 s1, exec_lo
	s_waitcnt lgkmcnt(0)
	s_barrier
	buffer_gl0_inv
	v_cmpx_eq_u32_e32 36, v0
	s_cbranch_execz .LBB103_184
; %bb.182:
	ds_write_b64 v1, v[154:155]
	ds_write2_b64 v20, v[120:121], v[152:153] offset0:37 offset1:38
	ds_write2_b64 v20, v[118:119], v[150:151] offset0:39 offset1:40
	;; [unrolled: 1-line block ×7, first 2 shown]
	ds_write_b64 v20, v[210:211] offset:408
	ds_read_b64 v[4:5], v1
	s_waitcnt lgkmcnt(0)
	v_cmp_neq_f64_e32 vcc_lo, 0, v[4:5]
	s_and_b32 exec_lo, exec_lo, vcc_lo
	s_cbranch_execz .LBB103_184
; %bb.183:
	v_div_scale_f64 v[6:7], null, v[4:5], v[4:5], 1.0
	v_rcp_f64_e32 v[8:9], v[6:7]
	v_fma_f64 v[10:11], -v[6:7], v[8:9], 1.0
	v_fma_f64 v[8:9], v[8:9], v[10:11], v[8:9]
	v_fma_f64 v[10:11], -v[6:7], v[8:9], 1.0
	v_fma_f64 v[8:9], v[8:9], v[10:11], v[8:9]
	v_div_scale_f64 v[10:11], vcc_lo, 1.0, v[4:5], 1.0
	v_mul_f64 v[12:13], v[10:11], v[8:9]
	v_fma_f64 v[6:7], -v[6:7], v[12:13], v[10:11]
	v_div_fmas_f64 v[6:7], v[6:7], v[8:9], v[12:13]
	v_div_fixup_f64 v[4:5], v[6:7], v[4:5], 1.0
	ds_write_b64 v1, v[4:5]
.LBB103_184:
	s_or_b32 exec_lo, exec_lo, s1
	s_waitcnt lgkmcnt(0)
	s_barrier
	buffer_gl0_inv
	ds_read_b64 v[240:241], v1
	s_mov_b32 s1, exec_lo
	v_cmpx_lt_u32_e32 36, v0
	s_cbranch_execz .LBB103_186
; %bb.185:
	s_waitcnt lgkmcnt(0)
	v_mul_f64 v[154:155], v[240:241], v[154:155]
	ds_read2_b64 v[4:7], v20 offset0:37 offset1:38
	s_waitcnt lgkmcnt(0)
	v_fma_f64 v[120:121], -v[154:155], v[4:5], v[120:121]
	v_fma_f64 v[152:153], -v[154:155], v[6:7], v[152:153]
	ds_read2_b64 v[4:7], v20 offset0:39 offset1:40
	s_waitcnt lgkmcnt(0)
	v_fma_f64 v[118:119], -v[154:155], v[4:5], v[118:119]
	v_fma_f64 v[150:151], -v[154:155], v[6:7], v[150:151]
	;; [unrolled: 4-line block ×6, first 2 shown]
	ds_read2_b64 v[4:7], v20 offset0:49 offset1:50
	s_waitcnt lgkmcnt(0)
	v_fma_f64 v[108:109], -v[154:155], v[4:5], v[108:109]
	ds_read_b64 v[4:5], v20 offset:408
	v_fma_f64 v[140:141], -v[154:155], v[6:7], v[140:141]
	s_waitcnt lgkmcnt(0)
	v_fma_f64 v[210:211], -v[154:155], v[4:5], v[210:211]
.LBB103_186:
	s_or_b32 exec_lo, exec_lo, s1
	s_mov_b32 s1, exec_lo
	s_waitcnt lgkmcnt(0)
	s_barrier
	buffer_gl0_inv
	v_cmpx_eq_u32_e32 37, v0
	s_cbranch_execz .LBB103_189
; %bb.187:
	v_mov_b32_e32 v4, v152
	v_mov_b32_e32 v5, v153
	;; [unrolled: 1-line block ×4, first 2 shown]
	ds_write_b64 v1, v[120:121]
	ds_write2_b64 v20, v[4:5], v[6:7] offset0:38 offset1:39
	v_mov_b32_e32 v4, v150
	v_mov_b32_e32 v5, v151
	v_mov_b32_e32 v6, v116
	v_mov_b32_e32 v7, v117
	ds_write2_b64 v20, v[4:5], v[6:7] offset0:40 offset1:41
	v_mov_b32_e32 v4, v148
	v_mov_b32_e32 v5, v149
	v_mov_b32_e32 v6, v114
	v_mov_b32_e32 v7, v115
	;; [unrolled: 5-line block ×5, first 2 shown]
	ds_write2_b64 v20, v[4:5], v[6:7] offset0:48 offset1:49
	v_mov_b32_e32 v4, v140
	v_mov_b32_e32 v5, v141
	ds_write2_b64 v20, v[4:5], v[210:211] offset0:50 offset1:51
	ds_read_b64 v[4:5], v1
	s_waitcnt lgkmcnt(0)
	v_cmp_neq_f64_e32 vcc_lo, 0, v[4:5]
	s_and_b32 exec_lo, exec_lo, vcc_lo
	s_cbranch_execz .LBB103_189
; %bb.188:
	v_div_scale_f64 v[6:7], null, v[4:5], v[4:5], 1.0
	v_rcp_f64_e32 v[8:9], v[6:7]
	v_fma_f64 v[10:11], -v[6:7], v[8:9], 1.0
	v_fma_f64 v[8:9], v[8:9], v[10:11], v[8:9]
	v_fma_f64 v[10:11], -v[6:7], v[8:9], 1.0
	v_fma_f64 v[8:9], v[8:9], v[10:11], v[8:9]
	v_div_scale_f64 v[10:11], vcc_lo, 1.0, v[4:5], 1.0
	v_mul_f64 v[12:13], v[10:11], v[8:9]
	v_fma_f64 v[6:7], -v[6:7], v[12:13], v[10:11]
	v_div_fmas_f64 v[6:7], v[6:7], v[8:9], v[12:13]
	v_div_fixup_f64 v[4:5], v[6:7], v[4:5], 1.0
	ds_write_b64 v1, v[4:5]
.LBB103_189:
	s_or_b32 exec_lo, exec_lo, s1
	s_waitcnt lgkmcnt(0)
	s_barrier
	buffer_gl0_inv
	ds_read_b64 v[242:243], v1
	s_mov_b32 s1, exec_lo
	v_cmpx_lt_u32_e32 37, v0
	s_cbranch_execz .LBB103_191
; %bb.190:
	s_waitcnt lgkmcnt(0)
	v_mul_f64 v[120:121], v[242:243], v[120:121]
	ds_read2_b64 v[4:7], v20 offset0:38 offset1:39
	s_waitcnt lgkmcnt(0)
	v_fma_f64 v[152:153], -v[120:121], v[4:5], v[152:153]
	v_fma_f64 v[118:119], -v[120:121], v[6:7], v[118:119]
	ds_read2_b64 v[4:7], v20 offset0:40 offset1:41
	s_waitcnt lgkmcnt(0)
	v_fma_f64 v[150:151], -v[120:121], v[4:5], v[150:151]
	v_fma_f64 v[116:117], -v[120:121], v[6:7], v[116:117]
	;; [unrolled: 4-line block ×7, first 2 shown]
.LBB103_191:
	s_or_b32 exec_lo, exec_lo, s1
	s_mov_b32 s1, exec_lo
	s_waitcnt lgkmcnt(0)
	s_barrier
	buffer_gl0_inv
	v_cmpx_eq_u32_e32 38, v0
	s_cbranch_execz .LBB103_194
; %bb.192:
	ds_write_b64 v1, v[152:153]
	ds_write2_b64 v20, v[118:119], v[150:151] offset0:39 offset1:40
	ds_write2_b64 v20, v[116:117], v[148:149] offset0:41 offset1:42
	;; [unrolled: 1-line block ×6, first 2 shown]
	ds_write_b64 v20, v[210:211] offset:408
	ds_read_b64 v[4:5], v1
	s_waitcnt lgkmcnt(0)
	v_cmp_neq_f64_e32 vcc_lo, 0, v[4:5]
	s_and_b32 exec_lo, exec_lo, vcc_lo
	s_cbranch_execz .LBB103_194
; %bb.193:
	v_div_scale_f64 v[6:7], null, v[4:5], v[4:5], 1.0
	v_rcp_f64_e32 v[8:9], v[6:7]
	v_fma_f64 v[10:11], -v[6:7], v[8:9], 1.0
	v_fma_f64 v[8:9], v[8:9], v[10:11], v[8:9]
	v_fma_f64 v[10:11], -v[6:7], v[8:9], 1.0
	v_fma_f64 v[8:9], v[8:9], v[10:11], v[8:9]
	v_div_scale_f64 v[10:11], vcc_lo, 1.0, v[4:5], 1.0
	v_mul_f64 v[12:13], v[10:11], v[8:9]
	v_fma_f64 v[6:7], -v[6:7], v[12:13], v[10:11]
	v_div_fmas_f64 v[6:7], v[6:7], v[8:9], v[12:13]
	v_div_fixup_f64 v[4:5], v[6:7], v[4:5], 1.0
	ds_write_b64 v1, v[4:5]
.LBB103_194:
	s_or_b32 exec_lo, exec_lo, s1
	s_waitcnt lgkmcnt(0)
	s_barrier
	buffer_gl0_inv
	ds_read_b64 v[244:245], v1
	s_mov_b32 s1, exec_lo
	v_cmpx_lt_u32_e32 38, v0
	s_cbranch_execz .LBB103_196
; %bb.195:
	s_waitcnt lgkmcnt(0)
	v_mul_f64 v[152:153], v[244:245], v[152:153]
	ds_read2_b64 v[4:7], v20 offset0:39 offset1:40
	s_waitcnt lgkmcnt(0)
	v_fma_f64 v[118:119], -v[152:153], v[4:5], v[118:119]
	v_fma_f64 v[150:151], -v[152:153], v[6:7], v[150:151]
	ds_read2_b64 v[4:7], v20 offset0:41 offset1:42
	s_waitcnt lgkmcnt(0)
	v_fma_f64 v[116:117], -v[152:153], v[4:5], v[116:117]
	v_fma_f64 v[148:149], -v[152:153], v[6:7], v[148:149]
	;; [unrolled: 4-line block ×5, first 2 shown]
	ds_read2_b64 v[4:7], v20 offset0:49 offset1:50
	s_waitcnt lgkmcnt(0)
	v_fma_f64 v[108:109], -v[152:153], v[4:5], v[108:109]
	ds_read_b64 v[4:5], v20 offset:408
	v_fma_f64 v[140:141], -v[152:153], v[6:7], v[140:141]
	s_waitcnt lgkmcnt(0)
	v_fma_f64 v[210:211], -v[152:153], v[4:5], v[210:211]
.LBB103_196:
	s_or_b32 exec_lo, exec_lo, s1
	s_mov_b32 s1, exec_lo
	s_waitcnt lgkmcnt(0)
	s_barrier
	buffer_gl0_inv
	v_cmpx_eq_u32_e32 39, v0
	s_cbranch_execz .LBB103_199
; %bb.197:
	v_mov_b32_e32 v4, v150
	v_mov_b32_e32 v5, v151
	;; [unrolled: 1-line block ×4, first 2 shown]
	ds_write_b64 v1, v[118:119]
	ds_write2_b64 v20, v[4:5], v[6:7] offset0:40 offset1:41
	v_mov_b32_e32 v4, v148
	v_mov_b32_e32 v5, v149
	v_mov_b32_e32 v6, v114
	v_mov_b32_e32 v7, v115
	ds_write2_b64 v20, v[4:5], v[6:7] offset0:42 offset1:43
	v_mov_b32_e32 v4, v146
	v_mov_b32_e32 v5, v147
	v_mov_b32_e32 v6, v112
	v_mov_b32_e32 v7, v113
	;; [unrolled: 5-line block ×4, first 2 shown]
	ds_write2_b64 v20, v[4:5], v[6:7] offset0:48 offset1:49
	v_mov_b32_e32 v4, v140
	v_mov_b32_e32 v5, v141
	ds_write2_b64 v20, v[4:5], v[210:211] offset0:50 offset1:51
	ds_read_b64 v[4:5], v1
	s_waitcnt lgkmcnt(0)
	v_cmp_neq_f64_e32 vcc_lo, 0, v[4:5]
	s_and_b32 exec_lo, exec_lo, vcc_lo
	s_cbranch_execz .LBB103_199
; %bb.198:
	v_div_scale_f64 v[6:7], null, v[4:5], v[4:5], 1.0
	v_rcp_f64_e32 v[8:9], v[6:7]
	v_fma_f64 v[10:11], -v[6:7], v[8:9], 1.0
	v_fma_f64 v[8:9], v[8:9], v[10:11], v[8:9]
	v_fma_f64 v[10:11], -v[6:7], v[8:9], 1.0
	v_fma_f64 v[8:9], v[8:9], v[10:11], v[8:9]
	v_div_scale_f64 v[10:11], vcc_lo, 1.0, v[4:5], 1.0
	v_mul_f64 v[12:13], v[10:11], v[8:9]
	v_fma_f64 v[6:7], -v[6:7], v[12:13], v[10:11]
	v_div_fmas_f64 v[6:7], v[6:7], v[8:9], v[12:13]
	v_div_fixup_f64 v[4:5], v[6:7], v[4:5], 1.0
	ds_write_b64 v1, v[4:5]
.LBB103_199:
	s_or_b32 exec_lo, exec_lo, s1
	s_waitcnt lgkmcnt(0)
	s_barrier
	buffer_gl0_inv
	ds_read_b64 v[246:247], v1
	s_mov_b32 s1, exec_lo
	v_cmpx_lt_u32_e32 39, v0
	s_cbranch_execz .LBB103_201
; %bb.200:
	s_waitcnt lgkmcnt(0)
	v_mul_f64 v[118:119], v[246:247], v[118:119]
	ds_read2_b64 v[4:7], v20 offset0:40 offset1:41
	s_waitcnt lgkmcnt(0)
	v_fma_f64 v[150:151], -v[118:119], v[4:5], v[150:151]
	v_fma_f64 v[116:117], -v[118:119], v[6:7], v[116:117]
	ds_read2_b64 v[4:7], v20 offset0:42 offset1:43
	s_waitcnt lgkmcnt(0)
	v_fma_f64 v[148:149], -v[118:119], v[4:5], v[148:149]
	v_fma_f64 v[114:115], -v[118:119], v[6:7], v[114:115]
	;; [unrolled: 4-line block ×6, first 2 shown]
.LBB103_201:
	s_or_b32 exec_lo, exec_lo, s1
	s_mov_b32 s1, exec_lo
	s_waitcnt lgkmcnt(0)
	s_barrier
	buffer_gl0_inv
	v_cmpx_eq_u32_e32 40, v0
	s_cbranch_execz .LBB103_204
; %bb.202:
	ds_write_b64 v1, v[150:151]
	ds_write2_b64 v20, v[116:117], v[148:149] offset0:41 offset1:42
	ds_write2_b64 v20, v[114:115], v[146:147] offset0:43 offset1:44
	;; [unrolled: 1-line block ×5, first 2 shown]
	ds_write_b64 v20, v[210:211] offset:408
	ds_read_b64 v[4:5], v1
	s_waitcnt lgkmcnt(0)
	v_cmp_neq_f64_e32 vcc_lo, 0, v[4:5]
	s_and_b32 exec_lo, exec_lo, vcc_lo
	s_cbranch_execz .LBB103_204
; %bb.203:
	v_div_scale_f64 v[6:7], null, v[4:5], v[4:5], 1.0
	v_rcp_f64_e32 v[8:9], v[6:7]
	v_fma_f64 v[10:11], -v[6:7], v[8:9], 1.0
	v_fma_f64 v[8:9], v[8:9], v[10:11], v[8:9]
	v_fma_f64 v[10:11], -v[6:7], v[8:9], 1.0
	v_fma_f64 v[8:9], v[8:9], v[10:11], v[8:9]
	v_div_scale_f64 v[10:11], vcc_lo, 1.0, v[4:5], 1.0
	v_mul_f64 v[12:13], v[10:11], v[8:9]
	v_fma_f64 v[6:7], -v[6:7], v[12:13], v[10:11]
	v_div_fmas_f64 v[6:7], v[6:7], v[8:9], v[12:13]
	v_div_fixup_f64 v[4:5], v[6:7], v[4:5], 1.0
	ds_write_b64 v1, v[4:5]
.LBB103_204:
	s_or_b32 exec_lo, exec_lo, s1
	s_waitcnt lgkmcnt(0)
	s_barrier
	buffer_gl0_inv
	ds_read_b64 v[248:249], v1
	s_mov_b32 s1, exec_lo
	v_cmpx_lt_u32_e32 40, v0
	s_cbranch_execz .LBB103_206
; %bb.205:
	s_waitcnt lgkmcnt(0)
	v_mul_f64 v[150:151], v[248:249], v[150:151]
	ds_read2_b64 v[4:7], v20 offset0:41 offset1:42
	s_waitcnt lgkmcnt(0)
	v_fma_f64 v[116:117], -v[150:151], v[4:5], v[116:117]
	v_fma_f64 v[148:149], -v[150:151], v[6:7], v[148:149]
	ds_read2_b64 v[4:7], v20 offset0:43 offset1:44
	s_waitcnt lgkmcnt(0)
	v_fma_f64 v[114:115], -v[150:151], v[4:5], v[114:115]
	v_fma_f64 v[146:147], -v[150:151], v[6:7], v[146:147]
	;; [unrolled: 4-line block ×4, first 2 shown]
	ds_read2_b64 v[4:7], v20 offset0:49 offset1:50
	s_waitcnt lgkmcnt(0)
	v_fma_f64 v[108:109], -v[150:151], v[4:5], v[108:109]
	ds_read_b64 v[4:5], v20 offset:408
	v_fma_f64 v[140:141], -v[150:151], v[6:7], v[140:141]
	s_waitcnt lgkmcnt(0)
	v_fma_f64 v[210:211], -v[150:151], v[4:5], v[210:211]
.LBB103_206:
	s_or_b32 exec_lo, exec_lo, s1
	s_mov_b32 s1, exec_lo
	s_waitcnt lgkmcnt(0)
	s_barrier
	buffer_gl0_inv
	v_cmpx_eq_u32_e32 41, v0
	s_cbranch_execz .LBB103_209
; %bb.207:
	v_mov_b32_e32 v4, v148
	v_mov_b32_e32 v5, v149
	;; [unrolled: 1-line block ×4, first 2 shown]
	ds_write_b64 v1, v[116:117]
	ds_write2_b64 v20, v[4:5], v[6:7] offset0:42 offset1:43
	v_mov_b32_e32 v4, v146
	v_mov_b32_e32 v5, v147
	v_mov_b32_e32 v6, v112
	v_mov_b32_e32 v7, v113
	ds_write2_b64 v20, v[4:5], v[6:7] offset0:44 offset1:45
	v_mov_b32_e32 v4, v144
	v_mov_b32_e32 v5, v145
	v_mov_b32_e32 v6, v110
	v_mov_b32_e32 v7, v111
	ds_write2_b64 v20, v[4:5], v[6:7] offset0:46 offset1:47
	v_mov_b32_e32 v4, v142
	v_mov_b32_e32 v5, v143
	v_mov_b32_e32 v6, v108
	v_mov_b32_e32 v7, v109
	ds_write2_b64 v20, v[4:5], v[6:7] offset0:48 offset1:49
	v_mov_b32_e32 v4, v140
	v_mov_b32_e32 v5, v141
	ds_write2_b64 v20, v[4:5], v[210:211] offset0:50 offset1:51
	ds_read_b64 v[4:5], v1
	s_waitcnt lgkmcnt(0)
	v_cmp_neq_f64_e32 vcc_lo, 0, v[4:5]
	s_and_b32 exec_lo, exec_lo, vcc_lo
	s_cbranch_execz .LBB103_209
; %bb.208:
	v_div_scale_f64 v[6:7], null, v[4:5], v[4:5], 1.0
	v_rcp_f64_e32 v[8:9], v[6:7]
	v_fma_f64 v[10:11], -v[6:7], v[8:9], 1.0
	v_fma_f64 v[8:9], v[8:9], v[10:11], v[8:9]
	v_fma_f64 v[10:11], -v[6:7], v[8:9], 1.0
	v_fma_f64 v[8:9], v[8:9], v[10:11], v[8:9]
	v_div_scale_f64 v[10:11], vcc_lo, 1.0, v[4:5], 1.0
	v_mul_f64 v[12:13], v[10:11], v[8:9]
	v_fma_f64 v[6:7], -v[6:7], v[12:13], v[10:11]
	v_div_fmas_f64 v[6:7], v[6:7], v[8:9], v[12:13]
	v_div_fixup_f64 v[4:5], v[6:7], v[4:5], 1.0
	ds_write_b64 v1, v[4:5]
.LBB103_209:
	s_or_b32 exec_lo, exec_lo, s1
	s_waitcnt lgkmcnt(0)
	s_barrier
	buffer_gl0_inv
	ds_read_b64 v[250:251], v1
	s_mov_b32 s1, exec_lo
	v_cmpx_lt_u32_e32 41, v0
	s_cbranch_execz .LBB103_211
; %bb.210:
	s_waitcnt lgkmcnt(0)
	v_mul_f64 v[116:117], v[250:251], v[116:117]
	ds_read2_b64 v[4:7], v20 offset0:42 offset1:43
	s_waitcnt lgkmcnt(0)
	v_fma_f64 v[148:149], -v[116:117], v[4:5], v[148:149]
	v_fma_f64 v[114:115], -v[116:117], v[6:7], v[114:115]
	ds_read2_b64 v[4:7], v20 offset0:44 offset1:45
	s_waitcnt lgkmcnt(0)
	v_fma_f64 v[146:147], -v[116:117], v[4:5], v[146:147]
	v_fma_f64 v[112:113], -v[116:117], v[6:7], v[112:113]
	;; [unrolled: 4-line block ×5, first 2 shown]
.LBB103_211:
	s_or_b32 exec_lo, exec_lo, s1
	s_mov_b32 s1, exec_lo
	s_waitcnt lgkmcnt(0)
	s_barrier
	buffer_gl0_inv
	v_cmpx_eq_u32_e32 42, v0
	s_cbranch_execz .LBB103_214
; %bb.212:
	ds_write_b64 v1, v[148:149]
	ds_write2_b64 v20, v[114:115], v[146:147] offset0:43 offset1:44
	ds_write2_b64 v20, v[112:113], v[144:145] offset0:45 offset1:46
	;; [unrolled: 1-line block ×4, first 2 shown]
	ds_write_b64 v20, v[210:211] offset:408
	ds_read_b64 v[4:5], v1
	s_waitcnt lgkmcnt(0)
	v_cmp_neq_f64_e32 vcc_lo, 0, v[4:5]
	s_and_b32 exec_lo, exec_lo, vcc_lo
	s_cbranch_execz .LBB103_214
; %bb.213:
	v_div_scale_f64 v[6:7], null, v[4:5], v[4:5], 1.0
	v_rcp_f64_e32 v[8:9], v[6:7]
	v_fma_f64 v[10:11], -v[6:7], v[8:9], 1.0
	v_fma_f64 v[8:9], v[8:9], v[10:11], v[8:9]
	v_fma_f64 v[10:11], -v[6:7], v[8:9], 1.0
	v_fma_f64 v[8:9], v[8:9], v[10:11], v[8:9]
	v_div_scale_f64 v[10:11], vcc_lo, 1.0, v[4:5], 1.0
	v_mul_f64 v[12:13], v[10:11], v[8:9]
	v_fma_f64 v[6:7], -v[6:7], v[12:13], v[10:11]
	v_div_fmas_f64 v[6:7], v[6:7], v[8:9], v[12:13]
	v_div_fixup_f64 v[4:5], v[6:7], v[4:5], 1.0
	ds_write_b64 v1, v[4:5]
.LBB103_214:
	s_or_b32 exec_lo, exec_lo, s1
	s_waitcnt lgkmcnt(0)
	s_barrier
	buffer_gl0_inv
	ds_read_b64 v[252:253], v1
	s_mov_b32 s1, exec_lo
	v_cmpx_lt_u32_e32 42, v0
	s_cbranch_execz .LBB103_216
; %bb.215:
	s_waitcnt lgkmcnt(0)
	v_mul_f64 v[148:149], v[252:253], v[148:149]
	ds_read2_b64 v[4:7], v20 offset0:43 offset1:44
	s_waitcnt lgkmcnt(0)
	v_fma_f64 v[114:115], -v[148:149], v[4:5], v[114:115]
	v_fma_f64 v[146:147], -v[148:149], v[6:7], v[146:147]
	ds_read2_b64 v[4:7], v20 offset0:45 offset1:46
	s_waitcnt lgkmcnt(0)
	v_fma_f64 v[112:113], -v[148:149], v[4:5], v[112:113]
	v_fma_f64 v[144:145], -v[148:149], v[6:7], v[144:145]
	;; [unrolled: 4-line block ×3, first 2 shown]
	ds_read2_b64 v[4:7], v20 offset0:49 offset1:50
	s_waitcnt lgkmcnt(0)
	v_fma_f64 v[108:109], -v[148:149], v[4:5], v[108:109]
	ds_read_b64 v[4:5], v20 offset:408
	v_fma_f64 v[140:141], -v[148:149], v[6:7], v[140:141]
	s_waitcnt lgkmcnt(0)
	v_fma_f64 v[210:211], -v[148:149], v[4:5], v[210:211]
.LBB103_216:
	s_or_b32 exec_lo, exec_lo, s1
	s_mov_b32 s1, exec_lo
	s_waitcnt lgkmcnt(0)
	s_barrier
	buffer_gl0_inv
	v_cmpx_eq_u32_e32 43, v0
	s_cbranch_execz .LBB103_219
; %bb.217:
	v_mov_b32_e32 v4, v146
	v_mov_b32_e32 v5, v147
	;; [unrolled: 1-line block ×4, first 2 shown]
	ds_write_b64 v1, v[114:115]
	ds_write2_b64 v20, v[4:5], v[6:7] offset0:44 offset1:45
	v_mov_b32_e32 v4, v144
	v_mov_b32_e32 v5, v145
	;; [unrolled: 1-line block ×4, first 2 shown]
	ds_write2_b64 v20, v[4:5], v[6:7] offset0:46 offset1:47
	v_mov_b32_e32 v4, v142
	v_mov_b32_e32 v5, v143
	;; [unrolled: 1-line block ×4, first 2 shown]
	ds_write2_b64 v20, v[4:5], v[6:7] offset0:48 offset1:49
	v_mov_b32_e32 v4, v140
	v_mov_b32_e32 v5, v141
	ds_write2_b64 v20, v[4:5], v[210:211] offset0:50 offset1:51
	ds_read_b64 v[4:5], v1
	s_waitcnt lgkmcnt(0)
	v_cmp_neq_f64_e32 vcc_lo, 0, v[4:5]
	s_and_b32 exec_lo, exec_lo, vcc_lo
	s_cbranch_execz .LBB103_219
; %bb.218:
	v_div_scale_f64 v[6:7], null, v[4:5], v[4:5], 1.0
	v_rcp_f64_e32 v[8:9], v[6:7]
	v_fma_f64 v[10:11], -v[6:7], v[8:9], 1.0
	v_fma_f64 v[8:9], v[8:9], v[10:11], v[8:9]
	v_fma_f64 v[10:11], -v[6:7], v[8:9], 1.0
	v_fma_f64 v[8:9], v[8:9], v[10:11], v[8:9]
	v_div_scale_f64 v[10:11], vcc_lo, 1.0, v[4:5], 1.0
	v_mul_f64 v[12:13], v[10:11], v[8:9]
	v_fma_f64 v[6:7], -v[6:7], v[12:13], v[10:11]
	v_div_fmas_f64 v[6:7], v[6:7], v[8:9], v[12:13]
	v_div_fixup_f64 v[4:5], v[6:7], v[4:5], 1.0
	ds_write_b64 v1, v[4:5]
.LBB103_219:
	s_or_b32 exec_lo, exec_lo, s1
	s_waitcnt lgkmcnt(0)
	s_barrier
	buffer_gl0_inv
	ds_read_b64 v[254:255], v1
	s_mov_b32 s1, exec_lo
	v_cmpx_lt_u32_e32 43, v0
	s_cbranch_execz .LBB103_221
; %bb.220:
	s_waitcnt lgkmcnt(0)
	v_mul_f64 v[114:115], v[254:255], v[114:115]
	ds_read2_b64 v[4:7], v20 offset0:44 offset1:45
	s_waitcnt lgkmcnt(0)
	v_fma_f64 v[146:147], -v[114:115], v[4:5], v[146:147]
	v_fma_f64 v[112:113], -v[114:115], v[6:7], v[112:113]
	ds_read2_b64 v[4:7], v20 offset0:46 offset1:47
	s_waitcnt lgkmcnt(0)
	v_fma_f64 v[144:145], -v[114:115], v[4:5], v[144:145]
	v_fma_f64 v[110:111], -v[114:115], v[6:7], v[110:111]
	ds_read2_b64 v[4:7], v20 offset0:48 offset1:49
	s_waitcnt lgkmcnt(0)
	v_fma_f64 v[142:143], -v[114:115], v[4:5], v[142:143]
	v_fma_f64 v[108:109], -v[114:115], v[6:7], v[108:109]
	ds_read2_b64 v[4:7], v20 offset0:50 offset1:51
	s_waitcnt lgkmcnt(0)
	v_fma_f64 v[140:141], -v[114:115], v[4:5], v[140:141]
	v_fma_f64 v[210:211], -v[114:115], v[6:7], v[210:211]
.LBB103_221:
	s_or_b32 exec_lo, exec_lo, s1
	s_mov_b32 s1, exec_lo
	s_waitcnt lgkmcnt(0)
	s_barrier
	buffer_gl0_inv
	v_cmpx_eq_u32_e32 44, v0
	s_cbranch_execz .LBB103_224
; %bb.222:
	ds_write_b64 v1, v[146:147]
	ds_write2_b64 v20, v[112:113], v[144:145] offset0:45 offset1:46
	ds_write2_b64 v20, v[110:111], v[142:143] offset0:47 offset1:48
	;; [unrolled: 1-line block ×3, first 2 shown]
	ds_write_b64 v20, v[210:211] offset:408
	ds_read_b64 v[4:5], v1
	s_waitcnt lgkmcnt(0)
	v_cmp_neq_f64_e32 vcc_lo, 0, v[4:5]
	s_and_b32 exec_lo, exec_lo, vcc_lo
	s_cbranch_execz .LBB103_224
; %bb.223:
	v_div_scale_f64 v[6:7], null, v[4:5], v[4:5], 1.0
	v_rcp_f64_e32 v[8:9], v[6:7]
	v_fma_f64 v[10:11], -v[6:7], v[8:9], 1.0
	v_fma_f64 v[8:9], v[8:9], v[10:11], v[8:9]
	v_fma_f64 v[10:11], -v[6:7], v[8:9], 1.0
	v_fma_f64 v[8:9], v[8:9], v[10:11], v[8:9]
	v_div_scale_f64 v[10:11], vcc_lo, 1.0, v[4:5], 1.0
	v_mul_f64 v[12:13], v[10:11], v[8:9]
	v_fma_f64 v[6:7], -v[6:7], v[12:13], v[10:11]
	v_div_fmas_f64 v[6:7], v[6:7], v[8:9], v[12:13]
	v_div_fixup_f64 v[4:5], v[6:7], v[4:5], 1.0
	ds_write_b64 v1, v[4:5]
.LBB103_224:
	s_or_b32 exec_lo, exec_lo, s1
	s_waitcnt lgkmcnt(0)
	s_barrier
	buffer_gl0_inv
	ds_read_b64 v[6:7], v1
	s_mov_b32 s1, exec_lo
	v_cmpx_lt_u32_e32 44, v0
	s_cbranch_execz .LBB103_226
; %bb.225:
	s_waitcnt lgkmcnt(0)
	v_mul_f64 v[146:147], v[6:7], v[146:147]
	ds_read2_b64 v[8:11], v20 offset0:45 offset1:46
	ds_read_b64 v[4:5], v20 offset:408
	s_waitcnt lgkmcnt(1)
	v_fma_f64 v[112:113], -v[146:147], v[8:9], v[112:113]
	v_fma_f64 v[144:145], -v[146:147], v[10:11], v[144:145]
	ds_read2_b64 v[8:11], v20 offset0:47 offset1:48
	s_waitcnt lgkmcnt(1)
	v_fma_f64 v[210:211], -v[146:147], v[4:5], v[210:211]
	s_waitcnt lgkmcnt(0)
	v_fma_f64 v[110:111], -v[146:147], v[8:9], v[110:111]
	v_fma_f64 v[142:143], -v[146:147], v[10:11], v[142:143]
	ds_read2_b64 v[8:11], v20 offset0:49 offset1:50
	s_waitcnt lgkmcnt(0)
	v_fma_f64 v[108:109], -v[146:147], v[8:9], v[108:109]
	v_fma_f64 v[140:141], -v[146:147], v[10:11], v[140:141]
.LBB103_226:
	s_or_b32 exec_lo, exec_lo, s1
	s_mov_b32 s1, exec_lo
	s_waitcnt lgkmcnt(0)
	s_barrier
	buffer_gl0_inv
	v_cmpx_eq_u32_e32 45, v0
	s_cbranch_execz .LBB103_229
; %bb.227:
	v_mov_b32_e32 v4, v144
	v_mov_b32_e32 v5, v145
	v_mov_b32_e32 v8, v110
	v_mov_b32_e32 v9, v111
	ds_write_b64 v1, v[112:113]
	ds_write2_b64 v20, v[4:5], v[8:9] offset0:46 offset1:47
	v_mov_b32_e32 v4, v142
	v_mov_b32_e32 v5, v143
	;; [unrolled: 1-line block ×4, first 2 shown]
	ds_write2_b64 v20, v[4:5], v[8:9] offset0:48 offset1:49
	v_mov_b32_e32 v4, v140
	v_mov_b32_e32 v5, v141
	ds_write2_b64 v20, v[4:5], v[210:211] offset0:50 offset1:51
	ds_read_b64 v[4:5], v1
	s_waitcnt lgkmcnt(0)
	v_cmp_neq_f64_e32 vcc_lo, 0, v[4:5]
	s_and_b32 exec_lo, exec_lo, vcc_lo
	s_cbranch_execz .LBB103_229
; %bb.228:
	v_div_scale_f64 v[8:9], null, v[4:5], v[4:5], 1.0
	v_rcp_f64_e32 v[10:11], v[8:9]
	v_fma_f64 v[12:13], -v[8:9], v[10:11], 1.0
	v_fma_f64 v[10:11], v[10:11], v[12:13], v[10:11]
	v_fma_f64 v[12:13], -v[8:9], v[10:11], 1.0
	v_fma_f64 v[10:11], v[10:11], v[12:13], v[10:11]
	v_div_scale_f64 v[12:13], vcc_lo, 1.0, v[4:5], 1.0
	v_mul_f64 v[14:15], v[12:13], v[10:11]
	v_fma_f64 v[8:9], -v[8:9], v[14:15], v[12:13]
	v_div_fmas_f64 v[8:9], v[8:9], v[10:11], v[14:15]
	v_div_fixup_f64 v[4:5], v[8:9], v[4:5], 1.0
	ds_write_b64 v1, v[4:5]
.LBB103_229:
	s_or_b32 exec_lo, exec_lo, s1
	s_waitcnt lgkmcnt(0)
	s_barrier
	buffer_gl0_inv
	ds_read_b64 v[8:9], v1
	s_mov_b32 s1, exec_lo
	v_cmpx_lt_u32_e32 45, v0
	s_cbranch_execz .LBB103_231
; %bb.230:
	s_waitcnt lgkmcnt(0)
	v_mul_f64 v[112:113], v[8:9], v[112:113]
	ds_read2_b64 v[10:13], v20 offset0:46 offset1:47
	s_waitcnt lgkmcnt(0)
	v_fma_f64 v[144:145], -v[112:113], v[10:11], v[144:145]
	v_fma_f64 v[110:111], -v[112:113], v[12:13], v[110:111]
	ds_read2_b64 v[10:13], v20 offset0:48 offset1:49
	s_waitcnt lgkmcnt(0)
	v_fma_f64 v[142:143], -v[112:113], v[10:11], v[142:143]
	v_fma_f64 v[108:109], -v[112:113], v[12:13], v[108:109]
	;; [unrolled: 4-line block ×3, first 2 shown]
.LBB103_231:
	s_or_b32 exec_lo, exec_lo, s1
	s_mov_b32 s1, exec_lo
	s_waitcnt lgkmcnt(0)
	s_barrier
	buffer_gl0_inv
	v_cmpx_eq_u32_e32 46, v0
	s_cbranch_execz .LBB103_234
; %bb.232:
	ds_write_b64 v1, v[144:145]
	ds_write2_b64 v20, v[110:111], v[142:143] offset0:47 offset1:48
	ds_write2_b64 v20, v[108:109], v[140:141] offset0:49 offset1:50
	ds_write_b64 v20, v[210:211] offset:408
	ds_read_b64 v[4:5], v1
	s_waitcnt lgkmcnt(0)
	v_cmp_neq_f64_e32 vcc_lo, 0, v[4:5]
	s_and_b32 exec_lo, exec_lo, vcc_lo
	s_cbranch_execz .LBB103_234
; %bb.233:
	v_div_scale_f64 v[10:11], null, v[4:5], v[4:5], 1.0
	v_rcp_f64_e32 v[12:13], v[10:11]
	v_fma_f64 v[14:15], -v[10:11], v[12:13], 1.0
	v_fma_f64 v[12:13], v[12:13], v[14:15], v[12:13]
	v_fma_f64 v[14:15], -v[10:11], v[12:13], 1.0
	v_fma_f64 v[12:13], v[12:13], v[14:15], v[12:13]
	v_div_scale_f64 v[14:15], vcc_lo, 1.0, v[4:5], 1.0
	v_mul_f64 v[16:17], v[14:15], v[12:13]
	v_fma_f64 v[10:11], -v[10:11], v[16:17], v[14:15]
	v_div_fmas_f64 v[10:11], v[10:11], v[12:13], v[16:17]
	v_div_fixup_f64 v[4:5], v[10:11], v[4:5], 1.0
	ds_write_b64 v1, v[4:5]
.LBB103_234:
	s_or_b32 exec_lo, exec_lo, s1
	s_waitcnt lgkmcnt(0)
	s_barrier
	buffer_gl0_inv
	ds_read_b64 v[10:11], v1
	s_mov_b32 s1, exec_lo
	v_cmpx_lt_u32_e32 46, v0
	s_cbranch_execz .LBB103_236
; %bb.235:
	s_waitcnt lgkmcnt(0)
	v_mul_f64 v[144:145], v[10:11], v[144:145]
	ds_read2_b64 v[12:15], v20 offset0:47 offset1:48
	ds_read_b64 v[4:5], v20 offset:408
	s_waitcnt lgkmcnt(1)
	v_fma_f64 v[110:111], -v[144:145], v[12:13], v[110:111]
	v_fma_f64 v[142:143], -v[144:145], v[14:15], v[142:143]
	ds_read2_b64 v[12:15], v20 offset0:49 offset1:50
	s_waitcnt lgkmcnt(1)
	v_fma_f64 v[210:211], -v[144:145], v[4:5], v[210:211]
	s_waitcnt lgkmcnt(0)
	v_fma_f64 v[108:109], -v[144:145], v[12:13], v[108:109]
	v_fma_f64 v[140:141], -v[144:145], v[14:15], v[140:141]
.LBB103_236:
	s_or_b32 exec_lo, exec_lo, s1
	s_mov_b32 s1, exec_lo
	s_waitcnt lgkmcnt(0)
	s_barrier
	buffer_gl0_inv
	v_cmpx_eq_u32_e32 47, v0
	s_cbranch_execz .LBB103_239
; %bb.237:
	v_mov_b32_e32 v4, v142
	v_mov_b32_e32 v5, v143
	;; [unrolled: 1-line block ×4, first 2 shown]
	ds_write_b64 v1, v[110:111]
	ds_write2_b64 v20, v[4:5], v[12:13] offset0:48 offset1:49
	v_mov_b32_e32 v4, v140
	v_mov_b32_e32 v5, v141
	ds_write2_b64 v20, v[4:5], v[210:211] offset0:50 offset1:51
	ds_read_b64 v[4:5], v1
	s_waitcnt lgkmcnt(0)
	v_cmp_neq_f64_e32 vcc_lo, 0, v[4:5]
	s_and_b32 exec_lo, exec_lo, vcc_lo
	s_cbranch_execz .LBB103_239
; %bb.238:
	v_div_scale_f64 v[12:13], null, v[4:5], v[4:5], 1.0
	v_rcp_f64_e32 v[14:15], v[12:13]
	v_fma_f64 v[16:17], -v[12:13], v[14:15], 1.0
	v_fma_f64 v[14:15], v[14:15], v[16:17], v[14:15]
	v_fma_f64 v[16:17], -v[12:13], v[14:15], 1.0
	v_fma_f64 v[14:15], v[14:15], v[16:17], v[14:15]
	v_div_scale_f64 v[16:17], vcc_lo, 1.0, v[4:5], 1.0
	v_mul_f64 v[18:19], v[16:17], v[14:15]
	v_fma_f64 v[12:13], -v[12:13], v[18:19], v[16:17]
	v_div_fmas_f64 v[12:13], v[12:13], v[14:15], v[18:19]
	v_div_fixup_f64 v[4:5], v[12:13], v[4:5], 1.0
	ds_write_b64 v1, v[4:5]
.LBB103_239:
	s_or_b32 exec_lo, exec_lo, s1
	s_waitcnt lgkmcnt(0)
	s_barrier
	buffer_gl0_inv
	ds_read_b64 v[12:13], v1
	s_mov_b32 s1, exec_lo
	v_cmpx_lt_u32_e32 47, v0
	s_cbranch_execz .LBB103_241
; %bb.240:
	s_waitcnt lgkmcnt(0)
	v_mul_f64 v[110:111], v[12:13], v[110:111]
	ds_read2_b64 v[14:17], v20 offset0:48 offset1:49
	s_waitcnt lgkmcnt(0)
	v_fma_f64 v[142:143], -v[110:111], v[14:15], v[142:143]
	v_fma_f64 v[108:109], -v[110:111], v[16:17], v[108:109]
	ds_read2_b64 v[14:17], v20 offset0:50 offset1:51
	s_waitcnt lgkmcnt(0)
	v_fma_f64 v[140:141], -v[110:111], v[14:15], v[140:141]
	v_fma_f64 v[210:211], -v[110:111], v[16:17], v[210:211]
.LBB103_241:
	s_or_b32 exec_lo, exec_lo, s1
	s_mov_b32 s1, exec_lo
	s_waitcnt lgkmcnt(0)
	s_barrier
	buffer_gl0_inv
	v_cmpx_eq_u32_e32 48, v0
	s_cbranch_execz .LBB103_244
; %bb.242:
	ds_write_b64 v1, v[142:143]
	ds_write2_b64 v20, v[108:109], v[140:141] offset0:49 offset1:50
	ds_write_b64 v20, v[210:211] offset:408
	ds_read_b64 v[4:5], v1
	s_waitcnt lgkmcnt(0)
	v_cmp_neq_f64_e32 vcc_lo, 0, v[4:5]
	s_and_b32 exec_lo, exec_lo, vcc_lo
	s_cbranch_execz .LBB103_244
; %bb.243:
	v_div_scale_f64 v[14:15], null, v[4:5], v[4:5], 1.0
	v_rcp_f64_e32 v[16:17], v[14:15]
	v_fma_f64 v[18:19], -v[14:15], v[16:17], 1.0
	v_fma_f64 v[16:17], v[16:17], v[18:19], v[16:17]
	v_fma_f64 v[18:19], -v[14:15], v[16:17], 1.0
	v_fma_f64 v[16:17], v[16:17], v[18:19], v[16:17]
	v_div_scale_f64 v[18:19], vcc_lo, 1.0, v[4:5], 1.0
	v_mul_f64 v[21:22], v[18:19], v[16:17]
	v_fma_f64 v[14:15], -v[14:15], v[21:22], v[18:19]
	v_div_fmas_f64 v[14:15], v[14:15], v[16:17], v[21:22]
	v_div_fixup_f64 v[4:5], v[14:15], v[4:5], 1.0
	ds_write_b64 v1, v[4:5]
.LBB103_244:
	s_or_b32 exec_lo, exec_lo, s1
	s_waitcnt lgkmcnt(0)
	s_barrier
	buffer_gl0_inv
	ds_read_b64 v[14:15], v1
	s_mov_b32 s1, exec_lo
	v_cmpx_lt_u32_e32 48, v0
	s_cbranch_execz .LBB103_246
; %bb.245:
	s_waitcnt lgkmcnt(0)
	v_mul_f64 v[142:143], v[14:15], v[142:143]
	ds_read2_b64 v[16:19], v20 offset0:49 offset1:50
	ds_read_b64 v[4:5], v20 offset:408
	s_waitcnt lgkmcnt(1)
	v_fma_f64 v[108:109], -v[142:143], v[16:17], v[108:109]
	v_fma_f64 v[140:141], -v[142:143], v[18:19], v[140:141]
	s_waitcnt lgkmcnt(0)
	v_fma_f64 v[210:211], -v[142:143], v[4:5], v[210:211]
.LBB103_246:
	s_or_b32 exec_lo, exec_lo, s1
	s_mov_b32 s1, exec_lo
	s_waitcnt lgkmcnt(0)
	s_barrier
	buffer_gl0_inv
	v_cmpx_eq_u32_e32 49, v0
	s_cbranch_execz .LBB103_249
; %bb.247:
	v_mov_b32_e32 v4, v140
	v_mov_b32_e32 v5, v141
	ds_write_b64 v1, v[108:109]
	ds_write2_b64 v20, v[4:5], v[210:211] offset0:50 offset1:51
	ds_read_b64 v[4:5], v1
	s_waitcnt lgkmcnt(0)
	v_cmp_neq_f64_e32 vcc_lo, 0, v[4:5]
	s_and_b32 exec_lo, exec_lo, vcc_lo
	s_cbranch_execz .LBB103_249
; %bb.248:
	v_div_scale_f64 v[16:17], null, v[4:5], v[4:5], 1.0
	v_rcp_f64_e32 v[18:19], v[16:17]
	v_fma_f64 v[21:22], -v[16:17], v[18:19], 1.0
	v_fma_f64 v[18:19], v[18:19], v[21:22], v[18:19]
	v_fma_f64 v[21:22], -v[16:17], v[18:19], 1.0
	v_fma_f64 v[18:19], v[18:19], v[21:22], v[18:19]
	v_div_scale_f64 v[21:22], vcc_lo, 1.0, v[4:5], 1.0
	v_mul_f64 v[23:24], v[21:22], v[18:19]
	v_fma_f64 v[16:17], -v[16:17], v[23:24], v[21:22]
	v_div_fmas_f64 v[16:17], v[16:17], v[18:19], v[23:24]
	v_div_fixup_f64 v[4:5], v[16:17], v[4:5], 1.0
	ds_write_b64 v1, v[4:5]
.LBB103_249:
	s_or_b32 exec_lo, exec_lo, s1
	s_waitcnt lgkmcnt(0)
	s_barrier
	buffer_gl0_inv
	ds_read_b64 v[16:17], v1
	s_mov_b32 s1, exec_lo
	v_cmpx_lt_u32_e32 49, v0
	s_cbranch_execz .LBB103_251
; %bb.250:
	s_waitcnt lgkmcnt(0)
	v_mul_f64 v[108:109], v[16:17], v[108:109]
	ds_read2_b64 v[21:24], v20 offset0:50 offset1:51
	s_waitcnt lgkmcnt(0)
	v_fma_f64 v[140:141], -v[108:109], v[21:22], v[140:141]
	v_fma_f64 v[210:211], -v[108:109], v[23:24], v[210:211]
.LBB103_251:
	s_or_b32 exec_lo, exec_lo, s1
	s_mov_b32 s1, exec_lo
	s_waitcnt lgkmcnt(0)
	s_barrier
	buffer_gl0_inv
	v_cmpx_eq_u32_e32 50, v0
	s_cbranch_execz .LBB103_254
; %bb.252:
	ds_write_b64 v1, v[140:141]
	ds_write_b64 v20, v[210:211] offset:408
	ds_read_b64 v[4:5], v1
	s_waitcnt lgkmcnt(0)
	v_cmp_neq_f64_e32 vcc_lo, 0, v[4:5]
	s_and_b32 exec_lo, exec_lo, vcc_lo
	s_cbranch_execz .LBB103_254
; %bb.253:
	v_div_scale_f64 v[18:19], null, v[4:5], v[4:5], 1.0
	v_mov_b32_e32 v86, v82
	v_mov_b32_e32 v85, v81
	;; [unrolled: 1-line block ×20, first 2 shown]
	v_rcp_f64_e32 v[21:22], v[18:19]
	v_mov_b32_e32 v46, v42
	v_mov_b32_e32 v45, v41
	;; [unrolled: 1-line block ×23, first 2 shown]
	v_fma_f64 v[23:24], -v[18:19], v[21:22], 1.0
	v_mov_b32_e32 v63, v59
	v_mov_b32_e32 v60, v56
	;; [unrolled: 1-line block ×21, first 2 shown]
	v_fma_f64 v[21:22], v[21:22], v[23:24], v[21:22]
	v_mov_b32_e32 v101, v100
	v_mov_b32_e32 v100, v99
	;; [unrolled: 1-line block ×18, first 2 shown]
	v_fma_f64 v[23:24], -v[18:19], v[21:22], 1.0
	v_mov_b32_e32 v93, v94
	v_mov_b32_e32 v94, v95
	;; [unrolled: 1-line block ×21, first 2 shown]
	v_fma_f64 v[21:22], v[21:22], v[23:24], v[21:22]
	v_div_scale_f64 v[23:24], vcc_lo, 1.0, v[4:5], 1.0
	v_mov_b32_e32 v104, v35
	v_mov_b32_e32 v35, v39
	;; [unrolled: 1-line block ×20, first 2 shown]
	v_mul_f64 v[25:26], v[23:24], v[21:22]
	v_mov_b32_e32 v72, v76
	v_mov_b32_e32 v75, v79
	;; [unrolled: 1-line block ×7, first 2 shown]
	v_fma_f64 v[18:19], -v[18:19], v[25:26], v[23:24]
	v_div_fmas_f64 v[18:19], v[18:19], v[21:22], v[25:26]
	v_mov_b32_e32 v26, v31
	v_mov_b32_e32 v27, v32
	;; [unrolled: 1-line block ×21, first 2 shown]
	v_div_fixup_f64 v[4:5], v[18:19], v[4:5], 1.0
	v_mov_b32_e32 v66, v70
	v_mov_b32_e32 v69, v73
	;; [unrolled: 1-line block ×9, first 2 shown]
	ds_write_b64 v1, v[4:5]
.LBB103_254:
	s_or_b32 exec_lo, exec_lo, s1
	s_waitcnt lgkmcnt(0)
	s_barrier
	buffer_gl0_inv
	ds_read_b64 v[18:19], v1
	s_mov_b32 s1, exec_lo
	v_cmpx_lt_u32_e32 50, v0
	s_cbranch_execz .LBB103_256
; %bb.255:
	s_waitcnt lgkmcnt(0)
	v_mul_f64 v[140:141], v[18:19], v[140:141]
	ds_read_b64 v[4:5], v20 offset:408
	s_waitcnt lgkmcnt(0)
	v_fma_f64 v[210:211], -v[140:141], v[4:5], v[210:211]
.LBB103_256:
	s_or_b32 exec_lo, exec_lo, s1
	s_mov_b32 s1, exec_lo
	s_waitcnt lgkmcnt(0)
	s_barrier
	buffer_gl0_inv
	v_cmpx_eq_u32_e32 51, v0
	s_cbranch_execz .LBB103_259
; %bb.257:
	v_cmp_neq_f64_e32 vcc_lo, 0, v[210:211]
	ds_write_b64 v1, v[210:211]
	s_and_b32 exec_lo, exec_lo, vcc_lo
	s_cbranch_execz .LBB103_259
; %bb.258:
	v_div_scale_f64 v[4:5], null, v[210:211], v[210:211], 1.0
	v_rcp_f64_e32 v[20:21], v[4:5]
	v_fma_f64 v[22:23], -v[4:5], v[20:21], 1.0
	v_fma_f64 v[20:21], v[20:21], v[22:23], v[20:21]
	v_fma_f64 v[22:23], -v[4:5], v[20:21], 1.0
	v_fma_f64 v[20:21], v[20:21], v[22:23], v[20:21]
	v_div_scale_f64 v[22:23], vcc_lo, 1.0, v[210:211], 1.0
	v_mul_f64 v[24:25], v[22:23], v[20:21]
	v_fma_f64 v[4:5], -v[4:5], v[24:25], v[22:23]
	v_div_fmas_f64 v[4:5], v[4:5], v[20:21], v[24:25]
	v_div_fixup_f64 v[4:5], v[4:5], v[210:211], 1.0
	ds_write_b64 v1, v[4:5]
.LBB103_259:
	s_or_b32 exec_lo, exec_lo, s1
	s_waitcnt lgkmcnt(0)
	s_barrier
	buffer_gl0_inv
	ds_read_b64 v[4:5], v1
	s_waitcnt lgkmcnt(0)
	s_barrier
	buffer_gl0_inv
	s_and_saveexec_b32 s1, s0
	s_cbranch_execz .LBB103_262
; %bb.260:
	v_cmp_eq_f64_e32 vcc_lo, 0, v[33:34]
	v_cmp_neq_f64_e64 s0, 0, v[35:36]
	s_load_dwordx2 s[2:3], s[4:5], 0x28
	v_cndmask_b32_e64 v1, 0, 1, vcc_lo
	s_or_b32 vcc_lo, s0, vcc_lo
	v_cndmask_b32_e32 v1, 2, v1, vcc_lo
	v_cmp_eq_f64_e32 vcc_lo, 0, v[37:38]
	v_cmp_eq_u32_e64 s0, 0, v1
	s_and_b32 s0, vcc_lo, s0
	v_cmp_eq_f64_e32 vcc_lo, 0, v[39:40]
	v_cndmask_b32_e64 v1, v1, 3, s0
	v_cmp_eq_u32_e64 s0, 0, v1
	s_and_b32 s0, vcc_lo, s0
	v_cmp_eq_f64_e32 vcc_lo, 0, v[41:42]
	v_cndmask_b32_e64 v1, v1, 4, s0
	;; [unrolled: 4-line block ×49, first 2 shown]
	v_cmp_eq_u32_e64 s0, 0, v1
	s_and_b32 s0, vcc_lo, s0
	v_cndmask_b32_e64 v6, v1, 52, s0
	v_lshlrev_b64 v[1:2], 2, v[2:3]
	v_cmp_ne_u32_e64 s0, 0, v6
	s_waitcnt lgkmcnt(0)
	v_add_co_u32 v1, vcc_lo, s2, v1
	v_add_co_ci_u32_e64 v2, null, s3, v2, vcc_lo
	global_load_dword v3, v[1:2], off
	s_waitcnt vmcnt(0)
	v_cmp_eq_u32_e32 vcc_lo, 0, v3
	s_and_b32 s0, vcc_lo, s0
	s_and_b32 exec_lo, exec_lo, s0
	s_cbranch_execz .LBB103_262
; %bb.261:
	v_add_nc_u32_e32 v3, s9, v6
	global_store_dword v[1:2], v3, off
.LBB103_262:
	s_or_b32 exec_lo, exec_lo, s1
	v_mul_f64 v[1:2], v[4:5], v[210:211]
	s_clause 0x1
	buffer_load_dword v3, off, s[12:15], 0 offset:48
	buffer_load_dword v4, off, s[12:15], 0 offset:52
	v_cmp_lt_u32_e32 vcc_lo, 51, v0
	v_cndmask_b32_e32 v2, v211, v2, vcc_lo
	v_cndmask_b32_e32 v1, v210, v1, vcc_lo
	s_waitcnt vmcnt(0)
	flat_store_dwordx2 v[3:4], v[172:173]
	s_clause 0x1
	buffer_load_dword v3, off, s[12:15], 0 offset:56
	buffer_load_dword v4, off, s[12:15], 0 offset:60
	s_waitcnt vmcnt(0)
	flat_store_dwordx2 v[3:4], v[190:191]
	s_clause 0x1
	buffer_load_dword v3, off, s[12:15], 0
	buffer_load_dword v4, off, s[12:15], 0 offset:4
	s_waitcnt vmcnt(0)
	flat_store_dwordx2 v[3:4], v[208:209]
	s_clause 0x1
	buffer_load_dword v3, off, s[12:15], 0 offset:8
	buffer_load_dword v4, off, s[12:15], 0 offset:12
	s_waitcnt vmcnt(0)
	flat_store_dwordx2 v[3:4], v[188:189]
	s_clause 0x1
	buffer_load_dword v3, off, s[12:15], 0 offset:16
	;; [unrolled: 5-line block ×32, first 2 shown]
	buffer_load_dword v4, off, s[12:15], 0 offset:284
	s_waitcnt vmcnt(0)
	flat_store_dwordx2 v[3:4], v[156:157]
	flat_store_dwordx2 v[92:93], v[122:123]
	;; [unrolled: 1-line block ×6, first 2 shown]
	s_clause 0x1
	buffer_load_dword v3, off, s[12:15], 0 offset:248
	buffer_load_dword v4, off, s[12:15], 0 offset:252
	s_waitcnt vmcnt(0)
	flat_store_dwordx2 v[3:4], v[150:151]
	flat_store_dwordx2 v[106:107], v[116:117]
	;; [unrolled: 1-line block ×12, first 2 shown]
.LBB103_263:
	s_endpgm
	.section	.rodata,"a",@progbits
	.p2align	6, 0x0
	.amdhsa_kernel _ZN9rocsolver6v33100L23getf2_npvt_small_kernelILi52EdiiPKPdEEvT1_T3_lS5_lPT2_S5_S5_
		.amdhsa_group_segment_fixed_size 0
		.amdhsa_private_segment_fixed_size 292
		.amdhsa_kernarg_size 312
		.amdhsa_user_sgpr_count 6
		.amdhsa_user_sgpr_private_segment_buffer 1
		.amdhsa_user_sgpr_dispatch_ptr 0
		.amdhsa_user_sgpr_queue_ptr 0
		.amdhsa_user_sgpr_kernarg_segment_ptr 1
		.amdhsa_user_sgpr_dispatch_id 0
		.amdhsa_user_sgpr_flat_scratch_init 0
		.amdhsa_user_sgpr_private_segment_size 0
		.amdhsa_wavefront_size32 1
		.amdhsa_uses_dynamic_stack 0
		.amdhsa_system_sgpr_private_segment_wavefront_offset 1
		.amdhsa_system_sgpr_workgroup_id_x 1
		.amdhsa_system_sgpr_workgroup_id_y 1
		.amdhsa_system_sgpr_workgroup_id_z 0
		.amdhsa_system_sgpr_workgroup_info 0
		.amdhsa_system_vgpr_workitem_id 1
		.amdhsa_next_free_vgpr 256
		.amdhsa_next_free_sgpr 16
		.amdhsa_reserve_vcc 1
		.amdhsa_reserve_flat_scratch 1
		.amdhsa_float_round_mode_32 0
		.amdhsa_float_round_mode_16_64 0
		.amdhsa_float_denorm_mode_32 3
		.amdhsa_float_denorm_mode_16_64 3
		.amdhsa_dx10_clamp 1
		.amdhsa_ieee_mode 1
		.amdhsa_fp16_overflow 0
		.amdhsa_workgroup_processor_mode 1
		.amdhsa_memory_ordered 1
		.amdhsa_forward_progress 1
		.amdhsa_shared_vgpr_count 0
		.amdhsa_exception_fp_ieee_invalid_op 0
		.amdhsa_exception_fp_denorm_src 0
		.amdhsa_exception_fp_ieee_div_zero 0
		.amdhsa_exception_fp_ieee_overflow 0
		.amdhsa_exception_fp_ieee_underflow 0
		.amdhsa_exception_fp_ieee_inexact 0
		.amdhsa_exception_int_div_zero 0
	.end_amdhsa_kernel
	.section	.text._ZN9rocsolver6v33100L23getf2_npvt_small_kernelILi52EdiiPKPdEEvT1_T3_lS5_lPT2_S5_S5_,"axG",@progbits,_ZN9rocsolver6v33100L23getf2_npvt_small_kernelILi52EdiiPKPdEEvT1_T3_lS5_lPT2_S5_S5_,comdat
.Lfunc_end103:
	.size	_ZN9rocsolver6v33100L23getf2_npvt_small_kernelILi52EdiiPKPdEEvT1_T3_lS5_lPT2_S5_S5_, .Lfunc_end103-_ZN9rocsolver6v33100L23getf2_npvt_small_kernelILi52EdiiPKPdEEvT1_T3_lS5_lPT2_S5_S5_
                                        ; -- End function
	.set _ZN9rocsolver6v33100L23getf2_npvt_small_kernelILi52EdiiPKPdEEvT1_T3_lS5_lPT2_S5_S5_.num_vgpr, 256
	.set _ZN9rocsolver6v33100L23getf2_npvt_small_kernelILi52EdiiPKPdEEvT1_T3_lS5_lPT2_S5_S5_.num_agpr, 0
	.set _ZN9rocsolver6v33100L23getf2_npvt_small_kernelILi52EdiiPKPdEEvT1_T3_lS5_lPT2_S5_S5_.numbered_sgpr, 16
	.set _ZN9rocsolver6v33100L23getf2_npvt_small_kernelILi52EdiiPKPdEEvT1_T3_lS5_lPT2_S5_S5_.num_named_barrier, 0
	.set _ZN9rocsolver6v33100L23getf2_npvt_small_kernelILi52EdiiPKPdEEvT1_T3_lS5_lPT2_S5_S5_.private_seg_size, 292
	.set _ZN9rocsolver6v33100L23getf2_npvt_small_kernelILi52EdiiPKPdEEvT1_T3_lS5_lPT2_S5_S5_.uses_vcc, 1
	.set _ZN9rocsolver6v33100L23getf2_npvt_small_kernelILi52EdiiPKPdEEvT1_T3_lS5_lPT2_S5_S5_.uses_flat_scratch, 1
	.set _ZN9rocsolver6v33100L23getf2_npvt_small_kernelILi52EdiiPKPdEEvT1_T3_lS5_lPT2_S5_S5_.has_dyn_sized_stack, 0
	.set _ZN9rocsolver6v33100L23getf2_npvt_small_kernelILi52EdiiPKPdEEvT1_T3_lS5_lPT2_S5_S5_.has_recursion, 0
	.set _ZN9rocsolver6v33100L23getf2_npvt_small_kernelILi52EdiiPKPdEEvT1_T3_lS5_lPT2_S5_S5_.has_indirect_call, 0
	.section	.AMDGPU.csdata,"",@progbits
; Kernel info:
; codeLenInByte = 46408
; TotalNumSgprs: 18
; NumVgprs: 256
; ScratchSize: 292
; MemoryBound: 0
; FloatMode: 240
; IeeeMode: 1
; LDSByteSize: 0 bytes/workgroup (compile time only)
; SGPRBlocks: 0
; VGPRBlocks: 31
; NumSGPRsForWavesPerEU: 18
; NumVGPRsForWavesPerEU: 256
; Occupancy: 4
; WaveLimiterHint : 1
; COMPUTE_PGM_RSRC2:SCRATCH_EN: 1
; COMPUTE_PGM_RSRC2:USER_SGPR: 6
; COMPUTE_PGM_RSRC2:TRAP_HANDLER: 0
; COMPUTE_PGM_RSRC2:TGID_X_EN: 1
; COMPUTE_PGM_RSRC2:TGID_Y_EN: 1
; COMPUTE_PGM_RSRC2:TGID_Z_EN: 0
; COMPUTE_PGM_RSRC2:TIDIG_COMP_CNT: 1
	.section	.text._ZN9rocsolver6v33100L18getf2_small_kernelILi53EdiiPKPdEEvT1_T3_lS5_lPS5_llPT2_S5_S5_S7_l,"axG",@progbits,_ZN9rocsolver6v33100L18getf2_small_kernelILi53EdiiPKPdEEvT1_T3_lS5_lPS5_llPT2_S5_S5_S7_l,comdat
	.globl	_ZN9rocsolver6v33100L18getf2_small_kernelILi53EdiiPKPdEEvT1_T3_lS5_lPS5_llPT2_S5_S5_S7_l ; -- Begin function _ZN9rocsolver6v33100L18getf2_small_kernelILi53EdiiPKPdEEvT1_T3_lS5_lPS5_llPT2_S5_S5_S7_l
	.p2align	8
	.type	_ZN9rocsolver6v33100L18getf2_small_kernelILi53EdiiPKPdEEvT1_T3_lS5_lPS5_llPT2_S5_S5_S7_l,@function
_ZN9rocsolver6v33100L18getf2_small_kernelILi53EdiiPKPdEEvT1_T3_lS5_lPS5_llPT2_S5_S5_S7_l: ; @_ZN9rocsolver6v33100L18getf2_small_kernelILi53EdiiPKPdEEvT1_T3_lS5_lPS5_llPT2_S5_S5_S7_l
; %bb.0:
	s_clause 0x1
	s_load_dword s0, s[4:5], 0x6c
	s_load_dwordx2 s[12:13], s[4:5], 0x48
	s_waitcnt lgkmcnt(0)
	s_lshr_b32 s0, s0, 16
	v_mad_u64_u32 v[2:3], null, s7, s0, v[1:2]
	s_mov_b32 s0, exec_lo
	v_cmpx_gt_i32_e64 s12, v2
	s_cbranch_execz .LBB104_898
; %bb.1:
	s_clause 0x1
	s_load_dwordx4 s[0:3], s[4:5], 0x8
	s_load_dwordx4 s[8:11], s[4:5], 0x50
	v_ashrrev_i32_e32 v3, 31, v2
	v_lshlrev_b64 v[4:5], 3, v[2:3]
	s_waitcnt lgkmcnt(0)
	v_add_co_u32 v4, vcc_lo, s0, v4
	v_add_co_ci_u32_e64 v5, null, s1, v5, vcc_lo
	s_cmp_eq_u64 s[8:9], 0
	s_cselect_b32 s6, -1, 0
	global_load_dwordx2 v[6:7], v[4:5], off
	v_mov_b32_e32 v4, 0
	v_mov_b32_e32 v5, 0
	s_and_b32 vcc_lo, exec_lo, s6
	s_cbranch_vccnz .LBB104_3
; %bb.2:
	v_mul_lo_u32 v8, s11, v2
	v_mul_lo_u32 v9, s10, v3
	v_mad_u64_u32 v[4:5], null, s10, v2, 0
	v_add3_u32 v5, v5, v9, v8
	v_lshlrev_b64 v[4:5], 2, v[4:5]
	v_add_co_u32 v4, vcc_lo, s8, v4
	v_add_co_ci_u32_e64 v5, null, s9, v5, vcc_lo
.LBB104_3:
	s_clause 0x1
	s_load_dword s8, s[4:5], 0x18
	s_load_dword s7, s[4:5], 0x0
	s_lshl_b64 s[0:1], s[2:3], 3
	v_lshlrev_b32_e32 v164, 3, v0
	s_waitcnt vmcnt(0)
	v_add_co_u32 v116, vcc_lo, v6, s0
	v_add_co_ci_u32_e64 v117, null, s1, v7, vcc_lo
	s_waitcnt lgkmcnt(0)
	v_add3_u32 v8, s8, s8, v0
	s_ashr_i32 s9, s8, 31
	s_max_i32 s0, s7, 53
	s_lshl_b64 s[10:11], s[8:9], 3
	v_mul_lo_u32 v1, s0, v1
	v_add_nc_u32_e32 v10, s8, v8
	v_ashrrev_i32_e32 v9, 31, v8
	s_cmp_lt_i32 s7, 2
	v_ashrrev_i32_e32 v11, 31, v10
	v_add_nc_u32_e32 v12, s8, v10
	v_lshlrev_b64 v[8:9], 3, v[8:9]
	v_lshlrev_b64 v[6:7], 3, v[10:11]
	v_add_nc_u32_e32 v10, s8, v12
	v_ashrrev_i32_e32 v13, 31, v12
	v_add_co_u32 v8, vcc_lo, v116, v8
	v_add_co_ci_u32_e64 v9, null, v117, v9, vcc_lo
	v_add_nc_u32_e32 v14, s8, v10
	v_ashrrev_i32_e32 v11, 31, v10
	v_lshlrev_b64 v[12:13], 3, v[12:13]
	v_add_co_u32 v6, vcc_lo, v116, v6
	v_add_nc_u32_e32 v16, s8, v14
	v_ashrrev_i32_e32 v15, 31, v14
	v_lshlrev_b64 v[10:11], 3, v[10:11]
	v_add_co_ci_u32_e64 v7, null, v117, v7, vcc_lo
	v_add_nc_u32_e32 v18, s8, v16
	v_ashrrev_i32_e32 v17, 31, v16
	v_lshlrev_b64 v[14:15], 3, v[14:15]
	v_add_co_u32 v12, vcc_lo, v116, v12
	v_add_nc_u32_e32 v20, s8, v18
	v_ashrrev_i32_e32 v19, 31, v18
	v_lshlrev_b64 v[16:17], 3, v[16:17]
	v_add_co_ci_u32_e64 v13, null, v117, v13, vcc_lo
	v_add_nc_u32_e32 v22, s8, v20
	v_ashrrev_i32_e32 v21, 31, v20
	v_add_co_u32 v10, vcc_lo, v116, v10
	v_lshlrev_b64 v[18:19], 3, v[18:19]
	v_add_nc_u32_e32 v24, s8, v22
	v_ashrrev_i32_e32 v23, 31, v22
	v_add_co_ci_u32_e64 v11, null, v117, v11, vcc_lo
	v_add_co_u32 v14, vcc_lo, v116, v14
	v_add_nc_u32_e32 v26, s8, v24
	v_ashrrev_i32_e32 v25, 31, v24
	v_lshlrev_b64 v[20:21], 3, v[20:21]
	v_add_co_ci_u32_e64 v15, null, v117, v15, vcc_lo
	v_add_nc_u32_e32 v28, s8, v26
	v_ashrrev_i32_e32 v27, 31, v26
	v_add_co_u32 v16, vcc_lo, v116, v16
	v_lshlrev_b64 v[22:23], 3, v[22:23]
	v_add_nc_u32_e32 v30, s8, v28
	v_ashrrev_i32_e32 v29, 31, v28
	v_add_co_ci_u32_e64 v17, null, v117, v17, vcc_lo
	v_add_co_u32 v18, vcc_lo, v116, v18
	v_add_nc_u32_e32 v32, s8, v30
	v_lshlrev_b64 v[24:25], 3, v[24:25]
	v_ashrrev_i32_e32 v31, 31, v30
	v_add_co_ci_u32_e64 v19, null, v117, v19, vcc_lo
	v_add_nc_u32_e32 v34, s8, v32
	v_add_co_u32 v20, vcc_lo, v116, v20
	v_lshlrev_b64 v[26:27], 3, v[26:27]
	v_ashrrev_i32_e32 v33, 31, v32
	v_add_nc_u32_e32 v36, s8, v34
	v_add_co_ci_u32_e64 v21, null, v117, v21, vcc_lo
	v_add_co_u32 v22, vcc_lo, v116, v22
	v_add_nc_u32_e32 v38, s8, v36
	v_lshlrev_b64 v[28:29], 3, v[28:29]
	v_ashrrev_i32_e32 v35, 31, v34
	v_add_co_ci_u32_e64 v23, null, v117, v23, vcc_lo
	v_add_nc_u32_e32 v40, s8, v38
	v_add_co_u32 v24, vcc_lo, v116, v24
	v_lshlrev_b64 v[30:31], 3, v[30:31]
	v_ashrrev_i32_e32 v37, 31, v36
	v_add_nc_u32_e32 v42, s8, v40
	;; [unrolled: 11-line block ×4, first 2 shown]
	v_add_co_ci_u32_e64 v33, null, v117, v33, vcc_lo
	v_add_co_u32 v34, vcc_lo, v116, v34
	v_lshlrev_b64 v[40:41], 3, v[40:41]
	v_ashrrev_i32_e32 v47, 31, v46
	v_add_co_ci_u32_e64 v35, null, v117, v35, vcc_lo
	v_add_co_u32 v36, vcc_lo, v116, v36
	v_lshlrev_b64 v[42:43], 3, v[42:43]
	v_ashrrev_i32_e32 v49, 31, v48
	v_add_co_ci_u32_e64 v37, null, v117, v37, vcc_lo
	v_add_co_u32 v38, vcc_lo, v116, v38
	v_lshlrev_b64 v[44:45], 3, v[44:45]
	v_add_nc_u32_e32 v56, s8, v54
	v_ashrrev_i32_e32 v51, 31, v50
	v_add_co_ci_u32_e64 v39, null, v117, v39, vcc_lo
	v_add_co_u32 v40, vcc_lo, v116, v40
	v_lshlrev_b64 v[46:47], 3, v[46:47]
	v_ashrrev_i32_e32 v53, 31, v52
	v_add_co_ci_u32_e64 v41, null, v117, v41, vcc_lo
	v_add_co_u32 v42, vcc_lo, v116, v42
	v_lshlrev_b64 v[48:49], 3, v[48:49]
	v_ashrrev_i32_e32 v55, 31, v54
	v_add_nc_u32_e32 v58, s8, v56
	v_add_co_ci_u32_e64 v43, null, v117, v43, vcc_lo
	v_add_co_u32 v44, vcc_lo, v116, v44
	v_lshlrev_b64 v[50:51], 3, v[50:51]
	v_ashrrev_i32_e32 v57, 31, v56
	v_add_co_ci_u32_e64 v45, null, v117, v45, vcc_lo
	v_add_co_u32 v46, vcc_lo, v116, v46
	v_lshlrev_b64 v[52:53], 3, v[52:53]
	v_add_co_ci_u32_e64 v47, null, v117, v47, vcc_lo
	v_add_co_u32 v48, vcc_lo, v116, v48
	v_lshlrev_b64 v[54:55], 3, v[54:55]
	v_add_nc_u32_e32 v60, s8, v58
	v_add_co_ci_u32_e64 v49, null, v117, v49, vcc_lo
	v_add_co_u32 v50, vcc_lo, v116, v50
	v_lshlrev_b64 v[56:57], 3, v[56:57]
	v_ashrrev_i32_e32 v59, 31, v58
	v_add_co_ci_u32_e64 v51, null, v117, v51, vcc_lo
	v_add_co_u32 v52, vcc_lo, v116, v52
	v_ashrrev_i32_e32 v61, 31, v60
	v_add_nc_u32_e32 v62, s8, v60
	v_add_co_ci_u32_e64 v53, null, v117, v53, vcc_lo
	v_add_co_u32 v54, vcc_lo, v116, v54
	v_lshlrev_b64 v[58:59], 3, v[58:59]
	v_add_co_ci_u32_e64 v55, null, v117, v55, vcc_lo
	v_add_co_u32 v110, vcc_lo, v116, v56
	v_add_co_ci_u32_e64 v111, null, v117, v57, vcc_lo
	v_lshlrev_b64 v[56:57], 3, v[60:61]
	v_ashrrev_i32_e32 v63, 31, v62
	v_add_nc_u32_e32 v60, s8, v62
	v_add_co_u32 v112, vcc_lo, v116, v58
	v_add_co_ci_u32_e64 v113, null, v117, v59, vcc_lo
	v_lshlrev_b64 v[58:59], 3, v[62:63]
	v_ashrrev_i32_e32 v61, 31, v60
	v_add_nc_u32_e32 v62, s8, v60
	;; [unrolled: 5-line block ×20, first 2 shown]
	v_add_co_u32 v152, vcc_lo, v116, v56
	v_add_co_ci_u32_e64 v153, null, v117, v57, vcc_lo
	v_lshlrev_b64 v[56:57], 3, v[60:61]
	v_add_nc_u32_e32 v60, s8, v62
	v_ashrrev_i32_e32 v63, 31, v62
	v_add_co_u32 v154, vcc_lo, v116, v58
	v_add_co_ci_u32_e64 v155, null, v117, v59, vcc_lo
	v_ashrrev_i32_e32 v61, 31, v60
	v_lshlrev_b64 v[58:59], 3, v[62:63]
	v_add_co_u32 v156, vcc_lo, v116, v56
	v_add_co_ci_u32_e64 v157, null, v117, v57, vcc_lo
	v_lshlrev_b64 v[56:57], 3, v[60:61]
	v_add_nc_u32_e32 v60, s8, v60
	v_add_co_u32 v158, vcc_lo, v116, v58
	v_add_co_ci_u32_e64 v159, null, v117, v59, vcc_lo
	v_ashrrev_i32_e32 v61, 31, v60
	v_add_co_u32 v160, vcc_lo, v116, v56
	v_add_co_ci_u32_e64 v161, null, v117, v57, vcc_lo
	v_add_co_u32 v58, vcc_lo, v116, v164
	v_add_co_ci_u32_e64 v59, null, 0, v117, vcc_lo
	v_lshlrev_b64 v[56:57], 3, v[60:61]
	v_add_co_u32 v60, vcc_lo, v58, s10
	v_add_co_ci_u32_e64 v61, null, s11, v59, vcc_lo
	v_add_co_u32 v162, vcc_lo, v116, v56
	v_add_co_ci_u32_e64 v163, null, v117, v57, vcc_lo
	s_clause 0x34
	flat_load_dwordx2 v[108:109], v[58:59]
	flat_load_dwordx2 v[104:105], v[60:61]
	;; [unrolled: 1-line block ×53, first 2 shown]
	v_lshl_add_u32 v118, v1, 3, 0
	v_lshlrev_b32_e32 v119, 3, v1
	v_mov_b32_e32 v114, 0
	v_add_nc_u32_e32 v112, v118, v164
	s_waitcnt vmcnt(52) lgkmcnt(52)
	ds_write_b64 v112, v[108:109]
	s_waitcnt vmcnt(0) lgkmcnt(0)
	s_barrier
	buffer_gl0_inv
	ds_read_b64 v[112:113], v118
	s_cbranch_scc1 .LBB104_6
; %bb.4:
	v_add3_u32 v1, v119, 0, 8
	v_mov_b32_e32 v114, 0
	s_mov_b32 s0, 1
.LBB104_5:                              ; =>This Inner Loop Header: Depth=1
	ds_read_b64 v[120:121], v1
	v_add_nc_u32_e32 v1, 8, v1
	s_waitcnt lgkmcnt(0)
	v_cmp_lt_f64_e64 vcc_lo, |v[112:113]|, |v[120:121]|
	v_cndmask_b32_e32 v113, v113, v121, vcc_lo
	v_cndmask_b32_e32 v112, v112, v120, vcc_lo
	v_cndmask_b32_e64 v114, v114, s0, vcc_lo
	s_add_i32 s0, s0, 1
	s_cmp_eq_u32 s7, s0
	s_cbranch_scc0 .LBB104_5
.LBB104_6:
	s_mov_b32 s0, exec_lo
                                        ; implicit-def: $vgpr121
	v_cmpx_ne_u32_e64 v0, v114
	s_xor_b32 s0, exec_lo, s0
	s_cbranch_execz .LBB104_12
; %bb.7:
	s_mov_b32 s1, exec_lo
	v_cmpx_eq_u32_e32 0, v0
	s_cbranch_execz .LBB104_11
; %bb.8:
	v_cmp_ne_u32_e32 vcc_lo, 0, v114
	s_xor_b32 s2, s6, -1
	s_and_b32 s3, s2, vcc_lo
	s_and_saveexec_b32 s2, s3
	s_cbranch_execz .LBB104_10
; %bb.9:
	v_ashrrev_i32_e32 v115, 31, v114
	v_lshlrev_b64 v[0:1], 2, v[114:115]
	v_add_co_u32 v0, vcc_lo, v4, v0
	v_add_co_ci_u32_e64 v1, null, v5, v1, vcc_lo
	s_clause 0x1
	global_load_dword v115, v[0:1], off
	global_load_dword v120, v[4:5], off
	s_waitcnt vmcnt(1)
	global_store_dword v[4:5], v115, off
	s_waitcnt vmcnt(0)
	global_store_dword v[0:1], v120, off
.LBB104_10:
	s_or_b32 exec_lo, exec_lo, s2
	v_mov_b32_e32 v0, v114
.LBB104_11:
	s_or_b32 exec_lo, exec_lo, s1
	v_mov_b32_e32 v121, v0
                                        ; implicit-def: $vgpr0
.LBB104_12:
	s_or_saveexec_b32 s0, s0
	v_mov_b32_e32 v120, v121
	s_xor_b32 exec_lo, exec_lo, s0
	s_cbranch_execz .LBB104_14
; %bb.13:
	v_mov_b32_e32 v121, 0
	v_mov_b32_e32 v120, v0
	ds_write2_b64 v118, v[104:105], v[106:107] offset0:1 offset1:2
	ds_write2_b64 v118, v[102:103], v[100:101] offset0:3 offset1:4
	;; [unrolled: 1-line block ×26, first 2 shown]
.LBB104_14:
	s_or_b32 exec_lo, exec_lo, s0
	s_waitcnt lgkmcnt(0)
	v_cmp_eq_f64_e64 s0, 0, v[112:113]
	s_mov_b32 s1, exec_lo
	s_waitcnt_vscnt null, 0x0
	s_barrier
	buffer_gl0_inv
	v_cmpx_lt_i32_e32 0, v121
	s_cbranch_execz .LBB104_16
; %bb.15:
	v_div_scale_f64 v[0:1], null, v[112:113], v[112:113], 1.0
	v_div_scale_f64 v[124:125], vcc_lo, 1.0, v[112:113], 1.0
	v_rcp_f64_e32 v[114:115], v[0:1]
	v_fma_f64 v[122:123], -v[0:1], v[114:115], 1.0
	v_fma_f64 v[114:115], v[114:115], v[122:123], v[114:115]
	v_fma_f64 v[122:123], -v[0:1], v[114:115], 1.0
	v_fma_f64 v[114:115], v[114:115], v[122:123], v[114:115]
	v_mul_f64 v[122:123], v[124:125], v[114:115]
	v_fma_f64 v[0:1], -v[0:1], v[122:123], v[124:125]
	v_div_fmas_f64 v[0:1], v[0:1], v[114:115], v[122:123]
	v_div_fixup_f64 v[0:1], v[0:1], v[112:113], 1.0
	v_cndmask_b32_e64 v1, v1, v113, s0
	v_cndmask_b32_e64 v0, v0, v112, s0
	ds_read2_b64 v[112:115], v118 offset0:1 offset1:2
	ds_read2_b64 v[122:125], v118 offset0:3 offset1:4
	;; [unrolled: 1-line block ×20, first 2 shown]
	v_mul_f64 v[108:109], v[0:1], v[108:109]
	s_waitcnt lgkmcnt(19)
	v_fma_f64 v[104:105], -v[108:109], v[112:113], v[104:105]
	v_fma_f64 v[106:107], -v[108:109], v[114:115], v[106:107]
	s_waitcnt lgkmcnt(18)
	v_fma_f64 v[102:103], -v[108:109], v[122:123], v[102:103]
	v_fma_f64 v[100:101], -v[108:109], v[124:125], v[100:101]
	ds_read2_b64 v[112:115], v118 offset0:41 offset1:42
	ds_read2_b64 v[122:125], v118 offset0:43 offset1:44
	s_waitcnt lgkmcnt(19)
	v_fma_f64 v[98:99], -v[108:109], v[126:127], v[98:99]
	v_fma_f64 v[96:97], -v[108:109], v[128:129], v[96:97]
	s_waitcnt lgkmcnt(18)
	v_fma_f64 v[94:95], -v[108:109], v[130:131], v[94:95]
	v_fma_f64 v[92:93], -v[108:109], v[132:133], v[92:93]
	ds_read2_b64 v[126:129], v118 offset0:45 offset1:46
	ds_read2_b64 v[130:133], v118 offset0:47 offset1:48
	;; [unrolled: 8-line block ×3, first 2 shown]
	s_waitcnt lgkmcnt(19)
	v_fma_f64 v[82:83], -v[108:109], v[142:143], v[82:83]
	v_fma_f64 v[80:81], -v[108:109], v[144:145], v[80:81]
	s_waitcnt lgkmcnt(18)
	v_fma_f64 v[78:79], -v[108:109], v[146:147], v[78:79]
	v_fma_f64 v[76:77], -v[108:109], v[148:149], v[76:77]
	;; [unrolled: 3-line block ×20, first 2 shown]
.LBB104_16:
	s_or_b32 exec_lo, exec_lo, s1
	v_lshl_add_u32 v0, v121, 3, v118
	s_barrier
	buffer_gl0_inv
	v_mov_b32_e32 v112, 1
	ds_write_b64 v0, v[104:105]
	s_waitcnt lgkmcnt(0)
	s_barrier
	buffer_gl0_inv
	ds_read_b64 v[0:1], v118 offset:8
	s_cmp_lt_i32 s7, 3
	s_cbranch_scc1 .LBB104_19
; %bb.17:
	v_add3_u32 v113, v119, 0, 16
	v_mov_b32_e32 v112, 1
	s_mov_b32 s1, 2
.LBB104_18:                             ; =>This Inner Loop Header: Depth=1
	ds_read_b64 v[114:115], v113
	v_add_nc_u32_e32 v113, 8, v113
	s_waitcnt lgkmcnt(0)
	v_cmp_lt_f64_e64 vcc_lo, |v[0:1]|, |v[114:115]|
	v_cndmask_b32_e32 v1, v1, v115, vcc_lo
	v_cndmask_b32_e32 v0, v0, v114, vcc_lo
	v_cndmask_b32_e64 v112, v112, s1, vcc_lo
	s_add_i32 s1, s1, 1
	s_cmp_lg_u32 s7, s1
	s_cbranch_scc1 .LBB104_18
.LBB104_19:
	s_mov_b32 s1, exec_lo
	v_cmpx_ne_u32_e64 v121, v112
	s_xor_b32 s1, exec_lo, s1
	s_cbranch_execz .LBB104_25
; %bb.20:
	s_mov_b32 s2, exec_lo
	v_cmpx_eq_u32_e32 1, v121
	s_cbranch_execz .LBB104_24
; %bb.21:
	v_cmp_ne_u32_e32 vcc_lo, 1, v112
	s_xor_b32 s3, s6, -1
	s_and_b32 s9, s3, vcc_lo
	s_and_saveexec_b32 s3, s9
	s_cbranch_execz .LBB104_23
; %bb.22:
	v_ashrrev_i32_e32 v113, 31, v112
	v_lshlrev_b64 v[113:114], 2, v[112:113]
	v_add_co_u32 v113, vcc_lo, v4, v113
	v_add_co_ci_u32_e64 v114, null, v5, v114, vcc_lo
	s_clause 0x1
	global_load_dword v115, v[113:114], off
	global_load_dword v120, v[4:5], off offset:4
	s_waitcnt vmcnt(1)
	global_store_dword v[4:5], v115, off offset:4
	s_waitcnt vmcnt(0)
	global_store_dword v[113:114], v120, off
.LBB104_23:
	s_or_b32 exec_lo, exec_lo, s3
	v_mov_b32_e32 v120, v112
	v_mov_b32_e32 v121, v112
.LBB104_24:
	s_or_b32 exec_lo, exec_lo, s2
.LBB104_25:
	s_andn2_saveexec_b32 s1, s1
	s_cbranch_execz .LBB104_27
; %bb.26:
	v_mov_b32_e32 v112, v106
	v_mov_b32_e32 v113, v107
	;; [unrolled: 1-line block ×8, first 2 shown]
	ds_write2_b64 v118, v[112:113], v[114:115] offset0:2 offset1:3
	v_mov_b32_e32 v112, v98
	v_mov_b32_e32 v113, v99
	v_mov_b32_e32 v114, v96
	v_mov_b32_e32 v115, v97
	v_mov_b32_e32 v125, v92
	v_mov_b32_e32 v126, v93
	v_mov_b32_e32 v127, v88
	v_mov_b32_e32 v128, v89
	v_mov_b32_e32 v129, v90
	v_mov_b32_e32 v130, v91
	v_mov_b32_e32 v131, v84
	v_mov_b32_e32 v132, v85
	v_mov_b32_e32 v133, v86
	v_mov_b32_e32 v134, v87
	v_mov_b32_e32 v135, v82
	v_mov_b32_e32 v136, v83
	ds_write2_b64 v118, v[121:122], v[112:113] offset0:4 offset1:5
	ds_write2_b64 v118, v[114:115], v[123:124] offset0:6 offset1:7
	ds_write2_b64 v118, v[125:126], v[127:128] offset0:8 offset1:9
	ds_write2_b64 v118, v[129:130], v[131:132] offset0:10 offset1:11
	ds_write2_b64 v118, v[133:134], v[135:136] offset0:12 offset1:13
	v_mov_b32_e32 v112, v80
	v_mov_b32_e32 v113, v81
	v_mov_b32_e32 v114, v78
	v_mov_b32_e32 v115, v79
	v_mov_b32_e32 v121, v76
	v_mov_b32_e32 v122, v77
	v_mov_b32_e32 v123, v74
	v_mov_b32_e32 v124, v75
	v_mov_b32_e32 v125, v72
	v_mov_b32_e32 v126, v73
	v_mov_b32_e32 v127, v68
	v_mov_b32_e32 v128, v69
	v_mov_b32_e32 v129, v70
	v_mov_b32_e32 v130, v71
	v_mov_b32_e32 v131, v64
	v_mov_b32_e32 v132, v65
	v_mov_b32_e32 v133, v66
	v_mov_b32_e32 v134, v67
	v_mov_b32_e32 v135, v62
	v_mov_b32_e32 v136, v63
	ds_write2_b64 v118, v[112:113], v[114:115] offset0:14 offset1:15
	ds_write2_b64 v118, v[121:122], v[123:124] offset0:16 offset1:17
	ds_write2_b64 v118, v[125:126], v[127:128] offset0:18 offset1:19
	ds_write2_b64 v118, v[129:130], v[131:132] offset0:20 offset1:21
	ds_write2_b64 v118, v[133:134], v[135:136] offset0:22 offset1:23
	v_mov_b32_e32 v112, v60
	v_mov_b32_e32 v113, v61
	v_mov_b32_e32 v114, v58
	v_mov_b32_e32 v115, v59
	;; [unrolled: 25-line block ×4, first 2 shown]
	v_mov_b32_e32 v122, v16
	v_mov_b32_e32 v123, v17
	;; [unrolled: 1-line block ×13, first 2 shown]
	ds_write2_b64 v118, v[112:113], v[114:115] offset0:44 offset1:45
	ds_write2_b64 v118, v[122:123], v[124:125] offset0:46 offset1:47
	;; [unrolled: 1-line block ×4, first 2 shown]
	ds_write_b64 v118, v[110:111] offset:416
.LBB104_27:
	s_or_b32 exec_lo, exec_lo, s1
	s_waitcnt lgkmcnt(0)
	v_cmp_neq_f64_e64 s1, 0, v[0:1]
	s_mov_b32 s2, exec_lo
	s_waitcnt_vscnt null, 0x0
	s_barrier
	buffer_gl0_inv
	v_cmpx_lt_i32_e32 1, v121
	s_cbranch_execz .LBB104_29
; %bb.28:
	v_div_scale_f64 v[112:113], null, v[0:1], v[0:1], 1.0
	v_div_scale_f64 v[124:125], vcc_lo, 1.0, v[0:1], 1.0
	v_rcp_f64_e32 v[114:115], v[112:113]
	v_fma_f64 v[122:123], -v[112:113], v[114:115], 1.0
	v_fma_f64 v[114:115], v[114:115], v[122:123], v[114:115]
	v_fma_f64 v[122:123], -v[112:113], v[114:115], 1.0
	v_fma_f64 v[114:115], v[114:115], v[122:123], v[114:115]
	v_mul_f64 v[122:123], v[124:125], v[114:115]
	v_fma_f64 v[112:113], -v[112:113], v[122:123], v[124:125]
	v_div_fmas_f64 v[112:113], v[112:113], v[114:115], v[122:123]
	v_div_fixup_f64 v[112:113], v[112:113], v[0:1], 1.0
	v_cndmask_b32_e64 v1, v1, v113, s1
	v_cndmask_b32_e64 v0, v0, v112, s1
	ds_read2_b64 v[112:115], v118 offset0:2 offset1:3
	ds_read2_b64 v[122:125], v118 offset0:4 offset1:5
	ds_read2_b64 v[126:129], v118 offset0:6 offset1:7
	ds_read2_b64 v[130:133], v118 offset0:8 offset1:9
	v_mul_f64 v[104:105], v[0:1], v[104:105]
	ds_read2_b64 v[134:137], v118 offset0:10 offset1:11
	ds_read2_b64 v[138:141], v118 offset0:12 offset1:13
	;; [unrolled: 1-line block ×21, first 2 shown]
	ds_read_b64 v[0:1], v118 offset:416
	s_waitcnt lgkmcnt(25)
	v_fma_f64 v[106:107], -v[104:105], v[112:113], v[106:107]
	v_fma_f64 v[102:103], -v[104:105], v[114:115], v[102:103]
	s_waitcnt lgkmcnt(24)
	v_fma_f64 v[100:101], -v[104:105], v[122:123], v[100:101]
	v_fma_f64 v[98:99], -v[104:105], v[124:125], v[98:99]
	;; [unrolled: 3-line block ×25, first 2 shown]
	s_waitcnt lgkmcnt(0)
	v_fma_f64 v[110:111], -v[104:105], v[0:1], v[110:111]
.LBB104_29:
	s_or_b32 exec_lo, exec_lo, s2
	v_lshl_add_u32 v0, v121, 3, v118
	s_barrier
	buffer_gl0_inv
	v_mov_b32_e32 v112, 2
	ds_write_b64 v0, v[106:107]
	s_waitcnt lgkmcnt(0)
	s_barrier
	buffer_gl0_inv
	ds_read_b64 v[0:1], v118 offset:16
	s_cmp_lt_i32 s7, 4
	s_mov_b32 s2, 3
	s_cbranch_scc1 .LBB104_32
; %bb.30:
	v_add3_u32 v113, v119, 0, 24
	v_mov_b32_e32 v112, 2
.LBB104_31:                             ; =>This Inner Loop Header: Depth=1
	ds_read_b64 v[114:115], v113
	v_add_nc_u32_e32 v113, 8, v113
	s_waitcnt lgkmcnt(0)
	v_cmp_lt_f64_e64 vcc_lo, |v[0:1]|, |v[114:115]|
	v_cndmask_b32_e32 v1, v1, v115, vcc_lo
	v_cndmask_b32_e32 v0, v0, v114, vcc_lo
	v_cndmask_b32_e64 v112, v112, s2, vcc_lo
	s_add_i32 s2, s2, 1
	s_cmp_lg_u32 s7, s2
	s_cbranch_scc1 .LBB104_31
.LBB104_32:
	v_cndmask_b32_e64 v113, 2, 1, s0
	v_cndmask_b32_e64 v114, 0, 1, s0
	s_mov_b32 s0, exec_lo
	v_cndmask_b32_e64 v115, v113, v114, s1
	s_waitcnt lgkmcnt(0)
	v_cmpx_eq_f64_e32 0, v[0:1]
	s_xor_b32 s0, exec_lo, s0
; %bb.33:
	v_cmp_ne_u32_e32 vcc_lo, 0, v115
	v_cndmask_b32_e32 v115, 3, v115, vcc_lo
; %bb.34:
	s_andn2_saveexec_b32 s0, s0
	s_cbranch_execz .LBB104_36
; %bb.35:
	v_div_scale_f64 v[113:114], null, v[0:1], v[0:1], 1.0
	v_rcp_f64_e32 v[122:123], v[113:114]
	v_fma_f64 v[124:125], -v[113:114], v[122:123], 1.0
	v_fma_f64 v[122:123], v[122:123], v[124:125], v[122:123]
	v_fma_f64 v[124:125], -v[113:114], v[122:123], 1.0
	v_fma_f64 v[122:123], v[122:123], v[124:125], v[122:123]
	v_div_scale_f64 v[124:125], vcc_lo, 1.0, v[0:1], 1.0
	v_mul_f64 v[126:127], v[124:125], v[122:123]
	v_fma_f64 v[113:114], -v[113:114], v[126:127], v[124:125]
	v_div_fmas_f64 v[113:114], v[113:114], v[122:123], v[126:127]
	v_div_fixup_f64 v[0:1], v[113:114], v[0:1], 1.0
.LBB104_36:
	s_or_b32 exec_lo, exec_lo, s0
	s_mov_b32 s0, exec_lo
	v_cmpx_ne_u32_e64 v121, v112
	s_xor_b32 s0, exec_lo, s0
	s_cbranch_execz .LBB104_42
; %bb.37:
	s_mov_b32 s1, exec_lo
	v_cmpx_eq_u32_e32 2, v121
	s_cbranch_execz .LBB104_41
; %bb.38:
	v_cmp_ne_u32_e32 vcc_lo, 2, v112
	s_xor_b32 s2, s6, -1
	s_and_b32 s3, s2, vcc_lo
	s_and_saveexec_b32 s2, s3
	s_cbranch_execz .LBB104_40
; %bb.39:
	v_ashrrev_i32_e32 v113, 31, v112
	v_lshlrev_b64 v[113:114], 2, v[112:113]
	v_add_co_u32 v113, vcc_lo, v4, v113
	v_add_co_ci_u32_e64 v114, null, v5, v114, vcc_lo
	s_clause 0x1
	global_load_dword v120, v[113:114], off
	global_load_dword v121, v[4:5], off offset:8
	s_waitcnt vmcnt(1)
	global_store_dword v[4:5], v120, off offset:8
	s_waitcnt vmcnt(0)
	global_store_dword v[113:114], v121, off
.LBB104_40:
	s_or_b32 exec_lo, exec_lo, s2
	v_mov_b32_e32 v120, v112
	v_mov_b32_e32 v121, v112
.LBB104_41:
	s_or_b32 exec_lo, exec_lo, s1
.LBB104_42:
	s_andn2_saveexec_b32 s0, s0
	s_cbranch_execz .LBB104_44
; %bb.43:
	v_mov_b32_e32 v121, 2
	ds_write2_b64 v118, v[102:103], v[100:101] offset0:3 offset1:4
	ds_write2_b64 v118, v[98:99], v[96:97] offset0:5 offset1:6
	;; [unrolled: 1-line block ×25, first 2 shown]
.LBB104_44:
	s_or_b32 exec_lo, exec_lo, s0
	s_mov_b32 s0, exec_lo
	s_waitcnt lgkmcnt(0)
	s_waitcnt_vscnt null, 0x0
	s_barrier
	buffer_gl0_inv
	v_cmpx_lt_i32_e32 2, v121
	s_cbranch_execz .LBB104_46
; %bb.45:
	v_mul_f64 v[106:107], v[0:1], v[106:107]
	ds_read2_b64 v[122:125], v118 offset0:3 offset1:4
	ds_read2_b64 v[126:129], v118 offset0:5 offset1:6
	;; [unrolled: 1-line block ×12, first 2 shown]
	s_waitcnt lgkmcnt(11)
	v_fma_f64 v[102:103], -v[106:107], v[122:123], v[102:103]
	v_fma_f64 v[100:101], -v[106:107], v[124:125], v[100:101]
	s_waitcnt lgkmcnt(10)
	v_fma_f64 v[98:99], -v[106:107], v[126:127], v[98:99]
	v_fma_f64 v[96:97], -v[106:107], v[128:129], v[96:97]
	ds_read2_b64 v[122:125], v118 offset0:27 offset1:28
	ds_read2_b64 v[126:129], v118 offset0:29 offset1:30
	s_waitcnt lgkmcnt(11)
	v_fma_f64 v[94:95], -v[106:107], v[130:131], v[94:95]
	v_fma_f64 v[92:93], -v[106:107], v[132:133], v[92:93]
	s_waitcnt lgkmcnt(10)
	v_fma_f64 v[88:89], -v[106:107], v[134:135], v[88:89]
	v_fma_f64 v[90:91], -v[106:107], v[136:137], v[90:91]
	;; [unrolled: 3-line block ×7, first 2 shown]
	ds_read2_b64 v[130:133], v118 offset0:31 offset1:32
	ds_read2_b64 v[134:137], v118 offset0:33 offset1:34
	s_waitcnt lgkmcnt(6)
	v_fma_f64 v[64:65], -v[106:107], v[158:159], v[64:65]
	v_fma_f64 v[66:67], -v[106:107], v[160:161], v[66:67]
	s_waitcnt lgkmcnt(5)
	v_fma_f64 v[62:63], -v[106:107], v[162:163], v[62:63]
	ds_read2_b64 v[138:141], v118 offset0:35 offset1:36
	ds_read2_b64 v[142:145], v118 offset0:37 offset1:38
	v_fma_f64 v[60:61], -v[106:107], v[164:165], v[60:61]
	ds_read2_b64 v[146:149], v118 offset0:39 offset1:40
	ds_read2_b64 v[150:153], v118 offset0:41 offset1:42
	s_waitcnt lgkmcnt(7)
	v_fma_f64 v[54:55], -v[106:107], v[122:123], v[54:55]
	ds_read2_b64 v[154:157], v118 offset0:43 offset1:44
	v_fma_f64 v[52:53], -v[106:107], v[124:125], v[52:53]
	ds_read2_b64 v[122:125], v118 offset0:45 offset1:46
	s_waitcnt lgkmcnt(8)
	v_fma_f64 v[48:49], -v[106:107], v[126:127], v[48:49]
	ds_read2_b64 v[158:161], v118 offset0:47 offset1:48
	v_fma_f64 v[50:51], -v[106:107], v[128:129], v[50:51]
	ds_read2_b64 v[126:129], v118 offset0:49 offset1:50
	ds_read2_b64 v[162:165], v118 offset0:51 offset1:52
	v_fma_f64 v[58:59], -v[106:107], v[166:167], v[58:59]
	v_fma_f64 v[56:57], -v[106:107], v[168:169], v[56:57]
	s_waitcnt lgkmcnt(10)
	v_fma_f64 v[44:45], -v[106:107], v[130:131], v[44:45]
	v_fma_f64 v[46:47], -v[106:107], v[132:133], v[46:47]
	s_waitcnt lgkmcnt(9)
	;; [unrolled: 3-line block ×11, first 2 shown]
	v_fma_f64 v[6:7], -v[106:107], v[162:163], v[6:7]
	v_fma_f64 v[110:111], -v[106:107], v[164:165], v[110:111]
.LBB104_46:
	s_or_b32 exec_lo, exec_lo, s0
	v_lshl_add_u32 v0, v121, 3, v118
	s_barrier
	buffer_gl0_inv
	v_mov_b32_e32 v112, 3
	ds_write_b64 v0, v[102:103]
	s_waitcnt lgkmcnt(0)
	s_barrier
	buffer_gl0_inv
	ds_read_b64 v[0:1], v118 offset:24
	s_cmp_lt_i32 s7, 5
	s_cbranch_scc1 .LBB104_49
; %bb.47:
	v_mov_b32_e32 v112, 3
	v_add3_u32 v113, v119, 0, 32
	s_mov_b32 s0, 4
.LBB104_48:                             ; =>This Inner Loop Header: Depth=1
	ds_read_b64 v[122:123], v113
	v_add_nc_u32_e32 v113, 8, v113
	s_waitcnt lgkmcnt(0)
	v_cmp_lt_f64_e64 vcc_lo, |v[0:1]|, |v[122:123]|
	v_cndmask_b32_e32 v1, v1, v123, vcc_lo
	v_cndmask_b32_e32 v0, v0, v122, vcc_lo
	v_cndmask_b32_e64 v112, v112, s0, vcc_lo
	s_add_i32 s0, s0, 1
	s_cmp_lg_u32 s7, s0
	s_cbranch_scc1 .LBB104_48
.LBB104_49:
	s_mov_b32 s0, exec_lo
	s_waitcnt lgkmcnt(0)
	v_cmpx_eq_f64_e32 0, v[0:1]
	s_xor_b32 s0, exec_lo, s0
; %bb.50:
	v_cmp_ne_u32_e32 vcc_lo, 0, v115
	v_cndmask_b32_e32 v115, 4, v115, vcc_lo
; %bb.51:
	s_andn2_saveexec_b32 s0, s0
	s_cbranch_execz .LBB104_53
; %bb.52:
	v_div_scale_f64 v[113:114], null, v[0:1], v[0:1], 1.0
	v_rcp_f64_e32 v[122:123], v[113:114]
	v_fma_f64 v[124:125], -v[113:114], v[122:123], 1.0
	v_fma_f64 v[122:123], v[122:123], v[124:125], v[122:123]
	v_fma_f64 v[124:125], -v[113:114], v[122:123], 1.0
	v_fma_f64 v[122:123], v[122:123], v[124:125], v[122:123]
	v_div_scale_f64 v[124:125], vcc_lo, 1.0, v[0:1], 1.0
	v_mul_f64 v[126:127], v[124:125], v[122:123]
	v_fma_f64 v[113:114], -v[113:114], v[126:127], v[124:125]
	v_div_fmas_f64 v[113:114], v[113:114], v[122:123], v[126:127]
	v_div_fixup_f64 v[0:1], v[113:114], v[0:1], 1.0
.LBB104_53:
	s_or_b32 exec_lo, exec_lo, s0
	s_mov_b32 s0, exec_lo
	v_cmpx_ne_u32_e64 v121, v112
	s_xor_b32 s0, exec_lo, s0
	s_cbranch_execz .LBB104_59
; %bb.54:
	s_mov_b32 s1, exec_lo
	v_cmpx_eq_u32_e32 3, v121
	s_cbranch_execz .LBB104_58
; %bb.55:
	v_cmp_ne_u32_e32 vcc_lo, 3, v112
	s_xor_b32 s2, s6, -1
	s_and_b32 s3, s2, vcc_lo
	s_and_saveexec_b32 s2, s3
	s_cbranch_execz .LBB104_57
; %bb.56:
	v_ashrrev_i32_e32 v113, 31, v112
	v_lshlrev_b64 v[113:114], 2, v[112:113]
	v_add_co_u32 v113, vcc_lo, v4, v113
	v_add_co_ci_u32_e64 v114, null, v5, v114, vcc_lo
	s_clause 0x1
	global_load_dword v120, v[113:114], off
	global_load_dword v121, v[4:5], off offset:12
	s_waitcnt vmcnt(1)
	global_store_dword v[4:5], v120, off offset:12
	s_waitcnt vmcnt(0)
	global_store_dword v[113:114], v121, off
.LBB104_57:
	s_or_b32 exec_lo, exec_lo, s2
	v_mov_b32_e32 v120, v112
	v_mov_b32_e32 v121, v112
.LBB104_58:
	s_or_b32 exec_lo, exec_lo, s1
.LBB104_59:
	s_andn2_saveexec_b32 s0, s0
	s_cbranch_execz .LBB104_61
; %bb.60:
	v_mov_b32_e32 v112, v100
	v_mov_b32_e32 v113, v101
	v_mov_b32_e32 v121, v98
	v_mov_b32_e32 v122, v99
	v_mov_b32_e32 v123, v96
	v_mov_b32_e32 v124, v97
	v_mov_b32_e32 v125, v94
	v_mov_b32_e32 v126, v95
	v_mov_b32_e32 v127, v92
	v_mov_b32_e32 v128, v93
	v_mov_b32_e32 v129, v88
	v_mov_b32_e32 v130, v89
	v_mov_b32_e32 v131, v90
	v_mov_b32_e32 v132, v91
	v_mov_b32_e32 v133, v84
	v_mov_b32_e32 v134, v85
	v_mov_b32_e32 v135, v86
	v_mov_b32_e32 v136, v87
	v_mov_b32_e32 v137, v82
	v_mov_b32_e32 v138, v83
	ds_write2_b64 v118, v[112:113], v[121:122] offset0:4 offset1:5
	ds_write2_b64 v118, v[123:124], v[125:126] offset0:6 offset1:7
	ds_write2_b64 v118, v[127:128], v[129:130] offset0:8 offset1:9
	ds_write2_b64 v118, v[131:132], v[133:134] offset0:10 offset1:11
	ds_write2_b64 v118, v[135:136], v[137:138] offset0:12 offset1:13
	v_mov_b32_e32 v112, v80
	v_mov_b32_e32 v113, v81
	v_mov_b32_e32 v121, v78
	v_mov_b32_e32 v122, v79
	v_mov_b32_e32 v123, v76
	v_mov_b32_e32 v124, v77
	v_mov_b32_e32 v125, v74
	v_mov_b32_e32 v126, v75
	v_mov_b32_e32 v127, v72
	v_mov_b32_e32 v128, v73
	v_mov_b32_e32 v129, v68
	v_mov_b32_e32 v130, v69
	v_mov_b32_e32 v131, v70
	v_mov_b32_e32 v132, v71
	v_mov_b32_e32 v133, v64
	v_mov_b32_e32 v134, v65
	v_mov_b32_e32 v135, v66
	v_mov_b32_e32 v136, v67
	v_mov_b32_e32 v137, v62
	v_mov_b32_e32 v138, v63
	ds_write2_b64 v118, v[112:113], v[121:122] offset0:14 offset1:15
	ds_write2_b64 v118, v[123:124], v[125:126] offset0:16 offset1:17
	ds_write2_b64 v118, v[127:128], v[129:130] offset0:18 offset1:19
	ds_write2_b64 v118, v[131:132], v[133:134] offset0:20 offset1:21
	ds_write2_b64 v118, v[135:136], v[137:138] offset0:22 offset1:23
	;; [unrolled: 25-line block ×4, first 2 shown]
	v_mov_b32_e32 v112, v20
	v_mov_b32_e32 v113, v21
	;; [unrolled: 1-line block ×8, first 2 shown]
	ds_write2_b64 v118, v[112:113], v[121:122] offset0:44 offset1:45
	v_mov_b32_e32 v121, 3
	v_mov_b32_e32 v127, v12
	;; [unrolled: 1-line block ×9, first 2 shown]
	ds_write2_b64 v118, v[123:124], v[125:126] offset0:46 offset1:47
	ds_write2_b64 v118, v[127:128], v[129:130] offset0:48 offset1:49
	;; [unrolled: 1-line block ×3, first 2 shown]
	ds_write_b64 v118, v[110:111] offset:416
.LBB104_61:
	s_or_b32 exec_lo, exec_lo, s0
	s_mov_b32 s0, exec_lo
	s_waitcnt lgkmcnt(0)
	s_waitcnt_vscnt null, 0x0
	s_barrier
	buffer_gl0_inv
	v_cmpx_lt_i32_e32 3, v121
	s_cbranch_execz .LBB104_63
; %bb.62:
	v_mul_f64 v[102:103], v[0:1], v[102:103]
	ds_read2_b64 v[122:125], v118 offset0:4 offset1:5
	ds_read2_b64 v[126:129], v118 offset0:6 offset1:7
	;; [unrolled: 1-line block ×12, first 2 shown]
	ds_read_b64 v[0:1], v118 offset:416
	s_waitcnt lgkmcnt(12)
	v_fma_f64 v[100:101], -v[102:103], v[122:123], v[100:101]
	v_fma_f64 v[98:99], -v[102:103], v[124:125], v[98:99]
	s_waitcnt lgkmcnt(11)
	v_fma_f64 v[96:97], -v[102:103], v[126:127], v[96:97]
	v_fma_f64 v[94:95], -v[102:103], v[128:129], v[94:95]
	ds_read2_b64 v[122:125], v118 offset0:28 offset1:29
	ds_read2_b64 v[126:129], v118 offset0:30 offset1:31
	s_waitcnt lgkmcnt(12)
	v_fma_f64 v[92:93], -v[102:103], v[130:131], v[92:93]
	v_fma_f64 v[88:89], -v[102:103], v[132:133], v[88:89]
	s_waitcnt lgkmcnt(11)
	v_fma_f64 v[90:91], -v[102:103], v[134:135], v[90:91]
	v_fma_f64 v[84:85], -v[102:103], v[136:137], v[84:85]
	;; [unrolled: 3-line block ×7, first 2 shown]
	ds_read2_b64 v[130:133], v118 offset0:32 offset1:33
	ds_read2_b64 v[134:137], v118 offset0:34 offset1:35
	s_waitcnt lgkmcnt(7)
	v_fma_f64 v[66:67], -v[102:103], v[158:159], v[66:67]
	v_fma_f64 v[62:63], -v[102:103], v[160:161], v[62:63]
	ds_read2_b64 v[138:141], v118 offset0:36 offset1:37
	ds_read2_b64 v[142:145], v118 offset0:38 offset1:39
	;; [unrolled: 1-line block ×4, first 2 shown]
	s_waitcnt lgkmcnt(7)
	v_fma_f64 v[52:53], -v[102:103], v[122:123], v[52:53]
	ds_read2_b64 v[154:157], v118 offset0:44 offset1:45
	v_fma_f64 v[48:49], -v[102:103], v[124:125], v[48:49]
	ds_read2_b64 v[122:125], v118 offset0:46 offset1:47
	s_waitcnt lgkmcnt(8)
	v_fma_f64 v[50:51], -v[102:103], v[126:127], v[50:51]
	ds_read2_b64 v[158:161], v118 offset0:48 offset1:49
	v_fma_f64 v[44:45], -v[102:103], v[128:129], v[44:45]
	ds_read2_b64 v[126:129], v118 offset0:50 offset1:51
	v_fma_f64 v[60:61], -v[102:103], v[162:163], v[60:61]
	v_fma_f64 v[58:59], -v[102:103], v[164:165], v[58:59]
	;; [unrolled: 1-line block ×4, first 2 shown]
	s_waitcnt lgkmcnt(9)
	v_fma_f64 v[46:47], -v[102:103], v[130:131], v[46:47]
	v_fma_f64 v[42:43], -v[102:103], v[132:133], v[42:43]
	s_waitcnt lgkmcnt(8)
	v_fma_f64 v[40:41], -v[102:103], v[134:135], v[40:41]
	v_fma_f64 v[38:39], -v[102:103], v[136:137], v[38:39]
	;; [unrolled: 3-line block ×10, first 2 shown]
	v_fma_f64 v[110:111], -v[102:103], v[0:1], v[110:111]
.LBB104_63:
	s_or_b32 exec_lo, exec_lo, s0
	v_lshl_add_u32 v0, v121, 3, v118
	s_barrier
	buffer_gl0_inv
	v_mov_b32_e32 v112, 4
	ds_write_b64 v0, v[100:101]
	s_waitcnt lgkmcnt(0)
	s_barrier
	buffer_gl0_inv
	ds_read_b64 v[0:1], v118 offset:32
	s_cmp_lt_i32 s7, 6
	s_cbranch_scc1 .LBB104_66
; %bb.64:
	v_add3_u32 v113, v119, 0, 40
	v_mov_b32_e32 v112, 4
	s_mov_b32 s0, 5
.LBB104_65:                             ; =>This Inner Loop Header: Depth=1
	ds_read_b64 v[122:123], v113
	v_add_nc_u32_e32 v113, 8, v113
	s_waitcnt lgkmcnt(0)
	v_cmp_lt_f64_e64 vcc_lo, |v[0:1]|, |v[122:123]|
	v_cndmask_b32_e32 v1, v1, v123, vcc_lo
	v_cndmask_b32_e32 v0, v0, v122, vcc_lo
	v_cndmask_b32_e64 v112, v112, s0, vcc_lo
	s_add_i32 s0, s0, 1
	s_cmp_lg_u32 s7, s0
	s_cbranch_scc1 .LBB104_65
.LBB104_66:
	s_mov_b32 s0, exec_lo
	s_waitcnt lgkmcnt(0)
	v_cmpx_eq_f64_e32 0, v[0:1]
	s_xor_b32 s0, exec_lo, s0
; %bb.67:
	v_cmp_ne_u32_e32 vcc_lo, 0, v115
	v_cndmask_b32_e32 v115, 5, v115, vcc_lo
; %bb.68:
	s_andn2_saveexec_b32 s0, s0
	s_cbranch_execz .LBB104_70
; %bb.69:
	v_div_scale_f64 v[113:114], null, v[0:1], v[0:1], 1.0
	v_rcp_f64_e32 v[122:123], v[113:114]
	v_fma_f64 v[124:125], -v[113:114], v[122:123], 1.0
	v_fma_f64 v[122:123], v[122:123], v[124:125], v[122:123]
	v_fma_f64 v[124:125], -v[113:114], v[122:123], 1.0
	v_fma_f64 v[122:123], v[122:123], v[124:125], v[122:123]
	v_div_scale_f64 v[124:125], vcc_lo, 1.0, v[0:1], 1.0
	v_mul_f64 v[126:127], v[124:125], v[122:123]
	v_fma_f64 v[113:114], -v[113:114], v[126:127], v[124:125]
	v_div_fmas_f64 v[113:114], v[113:114], v[122:123], v[126:127]
	v_div_fixup_f64 v[0:1], v[113:114], v[0:1], 1.0
.LBB104_70:
	s_or_b32 exec_lo, exec_lo, s0
	s_mov_b32 s0, exec_lo
	v_cmpx_ne_u32_e64 v121, v112
	s_xor_b32 s0, exec_lo, s0
	s_cbranch_execz .LBB104_76
; %bb.71:
	s_mov_b32 s1, exec_lo
	v_cmpx_eq_u32_e32 4, v121
	s_cbranch_execz .LBB104_75
; %bb.72:
	v_cmp_ne_u32_e32 vcc_lo, 4, v112
	s_xor_b32 s2, s6, -1
	s_and_b32 s3, s2, vcc_lo
	s_and_saveexec_b32 s2, s3
	s_cbranch_execz .LBB104_74
; %bb.73:
	v_ashrrev_i32_e32 v113, 31, v112
	v_lshlrev_b64 v[113:114], 2, v[112:113]
	v_add_co_u32 v113, vcc_lo, v4, v113
	v_add_co_ci_u32_e64 v114, null, v5, v114, vcc_lo
	s_clause 0x1
	global_load_dword v120, v[113:114], off
	global_load_dword v121, v[4:5], off offset:16
	s_waitcnt vmcnt(1)
	global_store_dword v[4:5], v120, off offset:16
	s_waitcnt vmcnt(0)
	global_store_dword v[113:114], v121, off
.LBB104_74:
	s_or_b32 exec_lo, exec_lo, s2
	v_mov_b32_e32 v120, v112
	v_mov_b32_e32 v121, v112
.LBB104_75:
	s_or_b32 exec_lo, exec_lo, s1
.LBB104_76:
	s_andn2_saveexec_b32 s0, s0
	s_cbranch_execz .LBB104_78
; %bb.77:
	v_mov_b32_e32 v121, 4
	ds_write2_b64 v118, v[98:99], v[96:97] offset0:5 offset1:6
	ds_write2_b64 v118, v[94:95], v[92:93] offset0:7 offset1:8
	;; [unrolled: 1-line block ×24, first 2 shown]
.LBB104_78:
	s_or_b32 exec_lo, exec_lo, s0
	s_mov_b32 s0, exec_lo
	s_waitcnt lgkmcnt(0)
	s_waitcnt_vscnt null, 0x0
	s_barrier
	buffer_gl0_inv
	v_cmpx_lt_i32_e32 4, v121
	s_cbranch_execz .LBB104_80
; %bb.79:
	v_mul_f64 v[100:101], v[0:1], v[100:101]
	ds_read2_b64 v[122:125], v118 offset0:5 offset1:6
	ds_read2_b64 v[126:129], v118 offset0:7 offset1:8
	;; [unrolled: 1-line block ×12, first 2 shown]
	s_waitcnt lgkmcnt(11)
	v_fma_f64 v[98:99], -v[100:101], v[122:123], v[98:99]
	v_fma_f64 v[96:97], -v[100:101], v[124:125], v[96:97]
	ds_read2_b64 v[122:125], v118 offset0:29 offset1:30
	s_waitcnt lgkmcnt(11)
	v_fma_f64 v[94:95], -v[100:101], v[126:127], v[94:95]
	v_fma_f64 v[92:93], -v[100:101], v[128:129], v[92:93]
	s_waitcnt lgkmcnt(10)
	v_fma_f64 v[88:89], -v[100:101], v[130:131], v[88:89]
	v_fma_f64 v[90:91], -v[100:101], v[132:133], v[90:91]
	;; [unrolled: 3-line block ×7, first 2 shown]
	ds_read2_b64 v[126:129], v118 offset0:31 offset1:32
	s_waitcnt lgkmcnt(5)
	v_fma_f64 v[64:65], -v[100:101], v[154:155], v[64:65]
	v_fma_f64 v[66:67], -v[100:101], v[156:157], v[66:67]
	ds_read2_b64 v[130:133], v118 offset0:33 offset1:34
	ds_read2_b64 v[134:137], v118 offset0:35 offset1:36
	s_waitcnt lgkmcnt(6)
	v_fma_f64 v[62:63], -v[100:101], v[158:159], v[62:63]
	v_fma_f64 v[60:61], -v[100:101], v[160:161], v[60:61]
	ds_read2_b64 v[138:141], v118 offset0:37 offset1:38
	ds_read2_b64 v[142:145], v118 offset0:39 offset1:40
	s_waitcnt lgkmcnt(7)
	v_fma_f64 v[58:59], -v[100:101], v[162:163], v[58:59]
	v_fma_f64 v[56:57], -v[100:101], v[164:165], v[56:57]
	ds_read2_b64 v[146:149], v118 offset0:41 offset1:42
	ds_read2_b64 v[150:153], v118 offset0:43 offset1:44
	ds_read2_b64 v[154:157], v118 offset0:45 offset1:46
	;; [unrolled: 1-line block ×3, first 2 shown]
	s_waitcnt lgkmcnt(9)
	v_fma_f64 v[48:49], -v[100:101], v[122:123], v[48:49]
	v_fma_f64 v[50:51], -v[100:101], v[124:125], v[50:51]
	ds_read2_b64 v[122:125], v118 offset0:49 offset1:50
	ds_read2_b64 v[162:165], v118 offset0:51 offset1:52
	v_fma_f64 v[54:55], -v[100:101], v[166:167], v[54:55]
	v_fma_f64 v[52:53], -v[100:101], v[168:169], v[52:53]
	s_waitcnt lgkmcnt(10)
	v_fma_f64 v[44:45], -v[100:101], v[126:127], v[44:45]
	v_fma_f64 v[46:47], -v[100:101], v[128:129], v[46:47]
	s_waitcnt lgkmcnt(9)
	;; [unrolled: 3-line block ×11, first 2 shown]
	v_fma_f64 v[6:7], -v[100:101], v[162:163], v[6:7]
	v_fma_f64 v[110:111], -v[100:101], v[164:165], v[110:111]
.LBB104_80:
	s_or_b32 exec_lo, exec_lo, s0
	v_lshl_add_u32 v0, v121, 3, v118
	s_barrier
	buffer_gl0_inv
	v_mov_b32_e32 v112, 5
	ds_write_b64 v0, v[98:99]
	s_waitcnt lgkmcnt(0)
	s_barrier
	buffer_gl0_inv
	ds_read_b64 v[0:1], v118 offset:40
	s_cmp_lt_i32 s7, 7
	s_cbranch_scc1 .LBB104_83
; %bb.81:
	v_add3_u32 v113, v119, 0, 48
	v_mov_b32_e32 v112, 5
	s_mov_b32 s0, 6
.LBB104_82:                             ; =>This Inner Loop Header: Depth=1
	ds_read_b64 v[122:123], v113
	v_add_nc_u32_e32 v113, 8, v113
	s_waitcnt lgkmcnt(0)
	v_cmp_lt_f64_e64 vcc_lo, |v[0:1]|, |v[122:123]|
	v_cndmask_b32_e32 v1, v1, v123, vcc_lo
	v_cndmask_b32_e32 v0, v0, v122, vcc_lo
	v_cndmask_b32_e64 v112, v112, s0, vcc_lo
	s_add_i32 s0, s0, 1
	s_cmp_lg_u32 s7, s0
	s_cbranch_scc1 .LBB104_82
.LBB104_83:
	s_mov_b32 s0, exec_lo
	s_waitcnt lgkmcnt(0)
	v_cmpx_eq_f64_e32 0, v[0:1]
	s_xor_b32 s0, exec_lo, s0
; %bb.84:
	v_cmp_ne_u32_e32 vcc_lo, 0, v115
	v_cndmask_b32_e32 v115, 6, v115, vcc_lo
; %bb.85:
	s_andn2_saveexec_b32 s0, s0
	s_cbranch_execz .LBB104_87
; %bb.86:
	v_div_scale_f64 v[113:114], null, v[0:1], v[0:1], 1.0
	v_rcp_f64_e32 v[122:123], v[113:114]
	v_fma_f64 v[124:125], -v[113:114], v[122:123], 1.0
	v_fma_f64 v[122:123], v[122:123], v[124:125], v[122:123]
	v_fma_f64 v[124:125], -v[113:114], v[122:123], 1.0
	v_fma_f64 v[122:123], v[122:123], v[124:125], v[122:123]
	v_div_scale_f64 v[124:125], vcc_lo, 1.0, v[0:1], 1.0
	v_mul_f64 v[126:127], v[124:125], v[122:123]
	v_fma_f64 v[113:114], -v[113:114], v[126:127], v[124:125]
	v_div_fmas_f64 v[113:114], v[113:114], v[122:123], v[126:127]
	v_div_fixup_f64 v[0:1], v[113:114], v[0:1], 1.0
.LBB104_87:
	s_or_b32 exec_lo, exec_lo, s0
	s_mov_b32 s0, exec_lo
	v_cmpx_ne_u32_e64 v121, v112
	s_xor_b32 s0, exec_lo, s0
	s_cbranch_execz .LBB104_93
; %bb.88:
	s_mov_b32 s1, exec_lo
	v_cmpx_eq_u32_e32 5, v121
	s_cbranch_execz .LBB104_92
; %bb.89:
	v_cmp_ne_u32_e32 vcc_lo, 5, v112
	s_xor_b32 s2, s6, -1
	s_and_b32 s3, s2, vcc_lo
	s_and_saveexec_b32 s2, s3
	s_cbranch_execz .LBB104_91
; %bb.90:
	v_ashrrev_i32_e32 v113, 31, v112
	v_lshlrev_b64 v[113:114], 2, v[112:113]
	v_add_co_u32 v113, vcc_lo, v4, v113
	v_add_co_ci_u32_e64 v114, null, v5, v114, vcc_lo
	s_clause 0x1
	global_load_dword v120, v[113:114], off
	global_load_dword v121, v[4:5], off offset:20
	s_waitcnt vmcnt(1)
	global_store_dword v[4:5], v120, off offset:20
	s_waitcnt vmcnt(0)
	global_store_dword v[113:114], v121, off
.LBB104_91:
	s_or_b32 exec_lo, exec_lo, s2
	v_mov_b32_e32 v120, v112
	v_mov_b32_e32 v121, v112
.LBB104_92:
	s_or_b32 exec_lo, exec_lo, s1
.LBB104_93:
	s_andn2_saveexec_b32 s0, s0
	s_cbranch_execz .LBB104_95
; %bb.94:
	v_mov_b32_e32 v112, v96
	v_mov_b32_e32 v113, v97
	;; [unrolled: 1-line block ×16, first 2 shown]
	ds_write2_b64 v118, v[112:113], v[121:122] offset0:6 offset1:7
	ds_write2_b64 v118, v[123:124], v[125:126] offset0:8 offset1:9
	ds_write2_b64 v118, v[127:128], v[129:130] offset0:10 offset1:11
	ds_write2_b64 v118, v[131:132], v[133:134] offset0:12 offset1:13
	v_mov_b32_e32 v112, v80
	v_mov_b32_e32 v113, v81
	v_mov_b32_e32 v121, v78
	v_mov_b32_e32 v122, v79
	v_mov_b32_e32 v123, v76
	v_mov_b32_e32 v124, v77
	v_mov_b32_e32 v125, v74
	v_mov_b32_e32 v126, v75
	v_mov_b32_e32 v127, v72
	v_mov_b32_e32 v128, v73
	v_mov_b32_e32 v129, v68
	v_mov_b32_e32 v130, v69
	v_mov_b32_e32 v131, v70
	v_mov_b32_e32 v132, v71
	v_mov_b32_e32 v133, v64
	v_mov_b32_e32 v134, v65
	v_mov_b32_e32 v135, v66
	v_mov_b32_e32 v136, v67
	v_mov_b32_e32 v137, v62
	v_mov_b32_e32 v138, v63
	ds_write2_b64 v118, v[112:113], v[121:122] offset0:14 offset1:15
	ds_write2_b64 v118, v[123:124], v[125:126] offset0:16 offset1:17
	ds_write2_b64 v118, v[127:128], v[129:130] offset0:18 offset1:19
	ds_write2_b64 v118, v[131:132], v[133:134] offset0:20 offset1:21
	ds_write2_b64 v118, v[135:136], v[137:138] offset0:22 offset1:23
	v_mov_b32_e32 v112, v60
	v_mov_b32_e32 v113, v61
	v_mov_b32_e32 v121, v58
	v_mov_b32_e32 v122, v59
	v_mov_b32_e32 v123, v56
	v_mov_b32_e32 v124, v57
	v_mov_b32_e32 v125, v54
	v_mov_b32_e32 v126, v55
	v_mov_b32_e32 v127, v52
	v_mov_b32_e32 v128, v53
	v_mov_b32_e32 v129, v48
	v_mov_b32_e32 v130, v49
	v_mov_b32_e32 v131, v50
	v_mov_b32_e32 v132, v51
	v_mov_b32_e32 v133, v44
	v_mov_b32_e32 v134, v45
	v_mov_b32_e32 v135, v46
	v_mov_b32_e32 v136, v47
	v_mov_b32_e32 v137, v42
	v_mov_b32_e32 v138, v43
	ds_write2_b64 v118, v[112:113], v[121:122] offset0:24 offset1:25
	ds_write2_b64 v118, v[123:124], v[125:126] offset0:26 offset1:27
	ds_write2_b64 v118, v[127:128], v[129:130] offset0:28 offset1:29
	ds_write2_b64 v118, v[131:132], v[133:134] offset0:30 offset1:31
	ds_write2_b64 v118, v[135:136], v[137:138] offset0:32 offset1:33
	v_mov_b32_e32 v112, v40
	v_mov_b32_e32 v113, v41
	v_mov_b32_e32 v121, v38
	v_mov_b32_e32 v122, v39
	v_mov_b32_e32 v123, v36
	v_mov_b32_e32 v124, v37
	v_mov_b32_e32 v125, v34
	v_mov_b32_e32 v126, v35
	v_mov_b32_e32 v127, v32
	v_mov_b32_e32 v128, v33
	v_mov_b32_e32 v129, v28
	v_mov_b32_e32 v130, v29
	v_mov_b32_e32 v131, v30
	v_mov_b32_e32 v132, v31
	v_mov_b32_e32 v133, v24
	v_mov_b32_e32 v134, v25
	v_mov_b32_e32 v135, v26
	v_mov_b32_e32 v136, v27
	v_mov_b32_e32 v137, v22
	v_mov_b32_e32 v138, v23
	ds_write2_b64 v118, v[112:113], v[121:122] offset0:34 offset1:35
	ds_write2_b64 v118, v[123:124], v[125:126] offset0:36 offset1:37
	ds_write2_b64 v118, v[127:128], v[129:130] offset0:38 offset1:39
	;; [unrolled: 1-line block ×4, first 2 shown]
	v_mov_b32_e32 v112, v20
	v_mov_b32_e32 v113, v21
	;; [unrolled: 1-line block ×8, first 2 shown]
	ds_write2_b64 v118, v[112:113], v[121:122] offset0:44 offset1:45
	v_mov_b32_e32 v121, 5
	v_mov_b32_e32 v127, v12
	;; [unrolled: 1-line block ×9, first 2 shown]
	ds_write2_b64 v118, v[123:124], v[125:126] offset0:46 offset1:47
	ds_write2_b64 v118, v[127:128], v[129:130] offset0:48 offset1:49
	;; [unrolled: 1-line block ×3, first 2 shown]
	ds_write_b64 v118, v[110:111] offset:416
.LBB104_95:
	s_or_b32 exec_lo, exec_lo, s0
	s_mov_b32 s0, exec_lo
	s_waitcnt lgkmcnt(0)
	s_waitcnt_vscnt null, 0x0
	s_barrier
	buffer_gl0_inv
	v_cmpx_lt_i32_e32 5, v121
	s_cbranch_execz .LBB104_97
; %bb.96:
	v_mul_f64 v[98:99], v[0:1], v[98:99]
	ds_read2_b64 v[122:125], v118 offset0:6 offset1:7
	ds_read2_b64 v[126:129], v118 offset0:8 offset1:9
	;; [unrolled: 1-line block ×12, first 2 shown]
	ds_read_b64 v[0:1], v118 offset:416
	s_waitcnt lgkmcnt(12)
	v_fma_f64 v[96:97], -v[98:99], v[122:123], v[96:97]
	v_fma_f64 v[94:95], -v[98:99], v[124:125], v[94:95]
	ds_read2_b64 v[122:125], v118 offset0:30 offset1:31
	s_waitcnt lgkmcnt(12)
	v_fma_f64 v[92:93], -v[98:99], v[126:127], v[92:93]
	v_fma_f64 v[88:89], -v[98:99], v[128:129], v[88:89]
	s_waitcnt lgkmcnt(11)
	v_fma_f64 v[90:91], -v[98:99], v[130:131], v[90:91]
	v_fma_f64 v[84:85], -v[98:99], v[132:133], v[84:85]
	;; [unrolled: 3-line block ×7, first 2 shown]
	ds_read2_b64 v[126:129], v118 offset0:32 offset1:33
	s_waitcnt lgkmcnt(6)
	v_fma_f64 v[66:67], -v[98:99], v[154:155], v[66:67]
	v_fma_f64 v[62:63], -v[98:99], v[156:157], v[62:63]
	ds_read2_b64 v[130:133], v118 offset0:34 offset1:35
	ds_read2_b64 v[134:137], v118 offset0:36 offset1:37
	s_waitcnt lgkmcnt(7)
	v_fma_f64 v[60:61], -v[98:99], v[158:159], v[60:61]
	v_fma_f64 v[58:59], -v[98:99], v[160:161], v[58:59]
	ds_read2_b64 v[138:141], v118 offset0:38 offset1:39
	ds_read2_b64 v[142:145], v118 offset0:40 offset1:41
	;; [unrolled: 1-line block ×6, first 2 shown]
	s_waitcnt lgkmcnt(9)
	v_fma_f64 v[50:51], -v[98:99], v[122:123], v[50:51]
	v_fma_f64 v[44:45], -v[98:99], v[124:125], v[44:45]
	ds_read2_b64 v[122:125], v118 offset0:50 offset1:51
	v_fma_f64 v[56:57], -v[98:99], v[162:163], v[56:57]
	v_fma_f64 v[54:55], -v[98:99], v[164:165], v[54:55]
	;; [unrolled: 1-line block ×4, first 2 shown]
	s_waitcnt lgkmcnt(9)
	v_fma_f64 v[46:47], -v[98:99], v[126:127], v[46:47]
	v_fma_f64 v[42:43], -v[98:99], v[128:129], v[42:43]
	;; [unrolled: 1-line block ×3, first 2 shown]
	s_waitcnt lgkmcnt(8)
	v_fma_f64 v[40:41], -v[98:99], v[130:131], v[40:41]
	v_fma_f64 v[38:39], -v[98:99], v[132:133], v[38:39]
	s_waitcnt lgkmcnt(7)
	v_fma_f64 v[36:37], -v[98:99], v[134:135], v[36:37]
	v_fma_f64 v[34:35], -v[98:99], v[136:137], v[34:35]
	;; [unrolled: 3-line block ×9, first 2 shown]
.LBB104_97:
	s_or_b32 exec_lo, exec_lo, s0
	v_lshl_add_u32 v0, v121, 3, v118
	s_barrier
	buffer_gl0_inv
	v_mov_b32_e32 v112, 6
	ds_write_b64 v0, v[96:97]
	s_waitcnt lgkmcnt(0)
	s_barrier
	buffer_gl0_inv
	ds_read_b64 v[0:1], v118 offset:48
	s_cmp_lt_i32 s7, 8
	s_cbranch_scc1 .LBB104_100
; %bb.98:
	v_add3_u32 v113, v119, 0, 56
	v_mov_b32_e32 v112, 6
	s_mov_b32 s0, 7
.LBB104_99:                             ; =>This Inner Loop Header: Depth=1
	ds_read_b64 v[122:123], v113
	v_add_nc_u32_e32 v113, 8, v113
	s_waitcnt lgkmcnt(0)
	v_cmp_lt_f64_e64 vcc_lo, |v[0:1]|, |v[122:123]|
	v_cndmask_b32_e32 v1, v1, v123, vcc_lo
	v_cndmask_b32_e32 v0, v0, v122, vcc_lo
	v_cndmask_b32_e64 v112, v112, s0, vcc_lo
	s_add_i32 s0, s0, 1
	s_cmp_lg_u32 s7, s0
	s_cbranch_scc1 .LBB104_99
.LBB104_100:
	s_mov_b32 s0, exec_lo
	s_waitcnt lgkmcnt(0)
	v_cmpx_eq_f64_e32 0, v[0:1]
	s_xor_b32 s0, exec_lo, s0
; %bb.101:
	v_cmp_ne_u32_e32 vcc_lo, 0, v115
	v_cndmask_b32_e32 v115, 7, v115, vcc_lo
; %bb.102:
	s_andn2_saveexec_b32 s0, s0
	s_cbranch_execz .LBB104_104
; %bb.103:
	v_div_scale_f64 v[113:114], null, v[0:1], v[0:1], 1.0
	v_rcp_f64_e32 v[122:123], v[113:114]
	v_fma_f64 v[124:125], -v[113:114], v[122:123], 1.0
	v_fma_f64 v[122:123], v[122:123], v[124:125], v[122:123]
	v_fma_f64 v[124:125], -v[113:114], v[122:123], 1.0
	v_fma_f64 v[122:123], v[122:123], v[124:125], v[122:123]
	v_div_scale_f64 v[124:125], vcc_lo, 1.0, v[0:1], 1.0
	v_mul_f64 v[126:127], v[124:125], v[122:123]
	v_fma_f64 v[113:114], -v[113:114], v[126:127], v[124:125]
	v_div_fmas_f64 v[113:114], v[113:114], v[122:123], v[126:127]
	v_div_fixup_f64 v[0:1], v[113:114], v[0:1], 1.0
.LBB104_104:
	s_or_b32 exec_lo, exec_lo, s0
	s_mov_b32 s0, exec_lo
	v_cmpx_ne_u32_e64 v121, v112
	s_xor_b32 s0, exec_lo, s0
	s_cbranch_execz .LBB104_110
; %bb.105:
	s_mov_b32 s1, exec_lo
	v_cmpx_eq_u32_e32 6, v121
	s_cbranch_execz .LBB104_109
; %bb.106:
	v_cmp_ne_u32_e32 vcc_lo, 6, v112
	s_xor_b32 s2, s6, -1
	s_and_b32 s3, s2, vcc_lo
	s_and_saveexec_b32 s2, s3
	s_cbranch_execz .LBB104_108
; %bb.107:
	v_ashrrev_i32_e32 v113, 31, v112
	v_lshlrev_b64 v[113:114], 2, v[112:113]
	v_add_co_u32 v113, vcc_lo, v4, v113
	v_add_co_ci_u32_e64 v114, null, v5, v114, vcc_lo
	s_clause 0x1
	global_load_dword v120, v[113:114], off
	global_load_dword v121, v[4:5], off offset:24
	s_waitcnt vmcnt(1)
	global_store_dword v[4:5], v120, off offset:24
	s_waitcnt vmcnt(0)
	global_store_dword v[113:114], v121, off
.LBB104_108:
	s_or_b32 exec_lo, exec_lo, s2
	v_mov_b32_e32 v120, v112
	v_mov_b32_e32 v121, v112
.LBB104_109:
	s_or_b32 exec_lo, exec_lo, s1
.LBB104_110:
	s_andn2_saveexec_b32 s0, s0
	s_cbranch_execz .LBB104_112
; %bb.111:
	v_mov_b32_e32 v121, 6
	ds_write2_b64 v118, v[94:95], v[92:93] offset0:7 offset1:8
	ds_write2_b64 v118, v[88:89], v[90:91] offset0:9 offset1:10
	;; [unrolled: 1-line block ×23, first 2 shown]
.LBB104_112:
	s_or_b32 exec_lo, exec_lo, s0
	s_mov_b32 s0, exec_lo
	s_waitcnt lgkmcnt(0)
	s_waitcnt_vscnt null, 0x0
	s_barrier
	buffer_gl0_inv
	v_cmpx_lt_i32_e32 6, v121
	s_cbranch_execz .LBB104_114
; %bb.113:
	v_mul_f64 v[96:97], v[0:1], v[96:97]
	ds_read2_b64 v[122:125], v118 offset0:7 offset1:8
	ds_read2_b64 v[126:129], v118 offset0:9 offset1:10
	;; [unrolled: 1-line block ×11, first 2 shown]
	s_waitcnt lgkmcnt(10)
	v_fma_f64 v[94:95], -v[96:97], v[122:123], v[94:95]
	v_fma_f64 v[92:93], -v[96:97], v[124:125], v[92:93]
	ds_read2_b64 v[122:125], v118 offset0:29 offset1:30
	s_waitcnt lgkmcnt(10)
	v_fma_f64 v[88:89], -v[96:97], v[126:127], v[88:89]
	v_fma_f64 v[90:91], -v[96:97], v[128:129], v[90:91]
	s_waitcnt lgkmcnt(9)
	v_fma_f64 v[84:85], -v[96:97], v[130:131], v[84:85]
	v_fma_f64 v[86:87], -v[96:97], v[132:133], v[86:87]
	;; [unrolled: 3-line block ×6, first 2 shown]
	ds_read2_b64 v[126:129], v118 offset0:31 offset1:32
	s_waitcnt lgkmcnt(5)
	v_fma_f64 v[64:65], -v[96:97], v[150:151], v[64:65]
	v_fma_f64 v[66:67], -v[96:97], v[152:153], v[66:67]
	ds_read2_b64 v[130:133], v118 offset0:33 offset1:34
	ds_read2_b64 v[134:137], v118 offset0:35 offset1:36
	s_waitcnt lgkmcnt(6)
	v_fma_f64 v[62:63], -v[96:97], v[154:155], v[62:63]
	v_fma_f64 v[60:61], -v[96:97], v[156:157], v[60:61]
	ds_read2_b64 v[138:141], v118 offset0:37 offset1:38
	;; [unrolled: 5-line block ×5, first 2 shown]
	ds_read2_b64 v[162:165], v118 offset0:51 offset1:52
	s_waitcnt lgkmcnt(10)
	v_fma_f64 v[44:45], -v[96:97], v[126:127], v[44:45]
	v_fma_f64 v[46:47], -v[96:97], v[128:129], v[46:47]
	s_waitcnt lgkmcnt(9)
	v_fma_f64 v[42:43], -v[96:97], v[130:131], v[42:43]
	v_fma_f64 v[40:41], -v[96:97], v[132:133], v[40:41]
	;; [unrolled: 3-line block ×11, first 2 shown]
.LBB104_114:
	s_or_b32 exec_lo, exec_lo, s0
	v_lshl_add_u32 v0, v121, 3, v118
	s_barrier
	buffer_gl0_inv
	v_mov_b32_e32 v112, 7
	ds_write_b64 v0, v[94:95]
	s_waitcnt lgkmcnt(0)
	s_barrier
	buffer_gl0_inv
	ds_read_b64 v[0:1], v118 offset:56
	s_cmp_lt_i32 s7, 9
	s_cbranch_scc1 .LBB104_117
; %bb.115:
	v_add3_u32 v113, v119, 0, 64
	v_mov_b32_e32 v112, 7
	s_mov_b32 s0, 8
.LBB104_116:                            ; =>This Inner Loop Header: Depth=1
	ds_read_b64 v[122:123], v113
	v_add_nc_u32_e32 v113, 8, v113
	s_waitcnt lgkmcnt(0)
	v_cmp_lt_f64_e64 vcc_lo, |v[0:1]|, |v[122:123]|
	v_cndmask_b32_e32 v1, v1, v123, vcc_lo
	v_cndmask_b32_e32 v0, v0, v122, vcc_lo
	v_cndmask_b32_e64 v112, v112, s0, vcc_lo
	s_add_i32 s0, s0, 1
	s_cmp_lg_u32 s7, s0
	s_cbranch_scc1 .LBB104_116
.LBB104_117:
	s_mov_b32 s0, exec_lo
	s_waitcnt lgkmcnt(0)
	v_cmpx_eq_f64_e32 0, v[0:1]
	s_xor_b32 s0, exec_lo, s0
; %bb.118:
	v_cmp_ne_u32_e32 vcc_lo, 0, v115
	v_cndmask_b32_e32 v115, 8, v115, vcc_lo
; %bb.119:
	s_andn2_saveexec_b32 s0, s0
	s_cbranch_execz .LBB104_121
; %bb.120:
	v_div_scale_f64 v[113:114], null, v[0:1], v[0:1], 1.0
	v_rcp_f64_e32 v[122:123], v[113:114]
	v_fma_f64 v[124:125], -v[113:114], v[122:123], 1.0
	v_fma_f64 v[122:123], v[122:123], v[124:125], v[122:123]
	v_fma_f64 v[124:125], -v[113:114], v[122:123], 1.0
	v_fma_f64 v[122:123], v[122:123], v[124:125], v[122:123]
	v_div_scale_f64 v[124:125], vcc_lo, 1.0, v[0:1], 1.0
	v_mul_f64 v[126:127], v[124:125], v[122:123]
	v_fma_f64 v[113:114], -v[113:114], v[126:127], v[124:125]
	v_div_fmas_f64 v[113:114], v[113:114], v[122:123], v[126:127]
	v_div_fixup_f64 v[0:1], v[113:114], v[0:1], 1.0
.LBB104_121:
	s_or_b32 exec_lo, exec_lo, s0
	s_mov_b32 s0, exec_lo
	v_cmpx_ne_u32_e64 v121, v112
	s_xor_b32 s0, exec_lo, s0
	s_cbranch_execz .LBB104_127
; %bb.122:
	s_mov_b32 s1, exec_lo
	v_cmpx_eq_u32_e32 7, v121
	s_cbranch_execz .LBB104_126
; %bb.123:
	v_cmp_ne_u32_e32 vcc_lo, 7, v112
	s_xor_b32 s2, s6, -1
	s_and_b32 s3, s2, vcc_lo
	s_and_saveexec_b32 s2, s3
	s_cbranch_execz .LBB104_125
; %bb.124:
	v_ashrrev_i32_e32 v113, 31, v112
	v_lshlrev_b64 v[113:114], 2, v[112:113]
	v_add_co_u32 v113, vcc_lo, v4, v113
	v_add_co_ci_u32_e64 v114, null, v5, v114, vcc_lo
	s_clause 0x1
	global_load_dword v120, v[113:114], off
	global_load_dword v121, v[4:5], off offset:28
	s_waitcnt vmcnt(1)
	global_store_dword v[4:5], v120, off offset:28
	s_waitcnt vmcnt(0)
	global_store_dword v[113:114], v121, off
.LBB104_125:
	s_or_b32 exec_lo, exec_lo, s2
	v_mov_b32_e32 v120, v112
	v_mov_b32_e32 v121, v112
.LBB104_126:
	s_or_b32 exec_lo, exec_lo, s1
.LBB104_127:
	s_andn2_saveexec_b32 s0, s0
	s_cbranch_execz .LBB104_129
; %bb.128:
	v_mov_b32_e32 v112, v92
	v_mov_b32_e32 v113, v93
	;; [unrolled: 1-line block ×12, first 2 shown]
	ds_write2_b64 v118, v[112:113], v[121:122] offset0:8 offset1:9
	ds_write2_b64 v118, v[123:124], v[125:126] offset0:10 offset1:11
	ds_write2_b64 v118, v[127:128], v[129:130] offset0:12 offset1:13
	v_mov_b32_e32 v112, v80
	v_mov_b32_e32 v113, v81
	v_mov_b32_e32 v121, v78
	v_mov_b32_e32 v122, v79
	v_mov_b32_e32 v123, v76
	v_mov_b32_e32 v124, v77
	v_mov_b32_e32 v125, v74
	v_mov_b32_e32 v126, v75
	v_mov_b32_e32 v127, v72
	v_mov_b32_e32 v128, v73
	v_mov_b32_e32 v129, v68
	v_mov_b32_e32 v130, v69
	v_mov_b32_e32 v131, v70
	v_mov_b32_e32 v132, v71
	v_mov_b32_e32 v133, v64
	v_mov_b32_e32 v134, v65
	v_mov_b32_e32 v135, v66
	v_mov_b32_e32 v136, v67
	v_mov_b32_e32 v137, v62
	v_mov_b32_e32 v138, v63
	ds_write2_b64 v118, v[112:113], v[121:122] offset0:14 offset1:15
	ds_write2_b64 v118, v[123:124], v[125:126] offset0:16 offset1:17
	ds_write2_b64 v118, v[127:128], v[129:130] offset0:18 offset1:19
	ds_write2_b64 v118, v[131:132], v[133:134] offset0:20 offset1:21
	ds_write2_b64 v118, v[135:136], v[137:138] offset0:22 offset1:23
	v_mov_b32_e32 v112, v60
	v_mov_b32_e32 v113, v61
	v_mov_b32_e32 v121, v58
	v_mov_b32_e32 v122, v59
	v_mov_b32_e32 v123, v56
	v_mov_b32_e32 v124, v57
	v_mov_b32_e32 v125, v54
	v_mov_b32_e32 v126, v55
	v_mov_b32_e32 v127, v52
	v_mov_b32_e32 v128, v53
	v_mov_b32_e32 v129, v48
	v_mov_b32_e32 v130, v49
	v_mov_b32_e32 v131, v50
	v_mov_b32_e32 v132, v51
	v_mov_b32_e32 v133, v44
	v_mov_b32_e32 v134, v45
	v_mov_b32_e32 v135, v46
	v_mov_b32_e32 v136, v47
	v_mov_b32_e32 v137, v42
	v_mov_b32_e32 v138, v43
	ds_write2_b64 v118, v[112:113], v[121:122] offset0:24 offset1:25
	ds_write2_b64 v118, v[123:124], v[125:126] offset0:26 offset1:27
	;; [unrolled: 25-line block ×3, first 2 shown]
	ds_write2_b64 v118, v[127:128], v[129:130] offset0:38 offset1:39
	ds_write2_b64 v118, v[131:132], v[133:134] offset0:40 offset1:41
	;; [unrolled: 1-line block ×3, first 2 shown]
	v_mov_b32_e32 v112, v20
	v_mov_b32_e32 v113, v21
	;; [unrolled: 1-line block ×8, first 2 shown]
	ds_write2_b64 v118, v[112:113], v[121:122] offset0:44 offset1:45
	v_mov_b32_e32 v121, 7
	v_mov_b32_e32 v127, v12
	v_mov_b32_e32 v128, v13
	v_mov_b32_e32 v129, v8
	v_mov_b32_e32 v130, v9
	v_mov_b32_e32 v131, v10
	v_mov_b32_e32 v132, v11
	v_mov_b32_e32 v133, v6
	v_mov_b32_e32 v134, v7
	ds_write2_b64 v118, v[123:124], v[125:126] offset0:46 offset1:47
	ds_write2_b64 v118, v[127:128], v[129:130] offset0:48 offset1:49
	;; [unrolled: 1-line block ×3, first 2 shown]
	ds_write_b64 v118, v[110:111] offset:416
.LBB104_129:
	s_or_b32 exec_lo, exec_lo, s0
	s_mov_b32 s0, exec_lo
	s_waitcnt lgkmcnt(0)
	s_waitcnt_vscnt null, 0x0
	s_barrier
	buffer_gl0_inv
	v_cmpx_lt_i32_e32 7, v121
	s_cbranch_execz .LBB104_131
; %bb.130:
	v_mul_f64 v[94:95], v[0:1], v[94:95]
	ds_read2_b64 v[122:125], v118 offset0:8 offset1:9
	ds_read2_b64 v[126:129], v118 offset0:10 offset1:11
	;; [unrolled: 1-line block ×11, first 2 shown]
	ds_read_b64 v[0:1], v118 offset:416
	s_waitcnt lgkmcnt(11)
	v_fma_f64 v[92:93], -v[94:95], v[122:123], v[92:93]
	v_fma_f64 v[88:89], -v[94:95], v[124:125], v[88:89]
	ds_read2_b64 v[122:125], v118 offset0:30 offset1:31
	s_waitcnt lgkmcnt(11)
	v_fma_f64 v[90:91], -v[94:95], v[126:127], v[90:91]
	v_fma_f64 v[84:85], -v[94:95], v[128:129], v[84:85]
	s_waitcnt lgkmcnt(10)
	v_fma_f64 v[86:87], -v[94:95], v[130:131], v[86:87]
	v_fma_f64 v[82:83], -v[94:95], v[132:133], v[82:83]
	;; [unrolled: 3-line block ×6, first 2 shown]
	ds_read2_b64 v[126:129], v118 offset0:32 offset1:33
	s_waitcnt lgkmcnt(6)
	v_fma_f64 v[66:67], -v[94:95], v[150:151], v[66:67]
	v_fma_f64 v[62:63], -v[94:95], v[152:153], v[62:63]
	ds_read2_b64 v[130:133], v118 offset0:34 offset1:35
	ds_read2_b64 v[134:137], v118 offset0:36 offset1:37
	s_waitcnt lgkmcnt(7)
	v_fma_f64 v[60:61], -v[94:95], v[154:155], v[60:61]
	v_fma_f64 v[58:59], -v[94:95], v[156:157], v[58:59]
	ds_read2_b64 v[138:141], v118 offset0:38 offset1:39
	;; [unrolled: 5-line block ×3, first 2 shown]
	ds_read2_b64 v[150:153], v118 offset0:44 offset1:45
	ds_read2_b64 v[154:157], v118 offset0:46 offset1:47
	ds_read2_b64 v[158:161], v118 offset0:48 offset1:49
	s_waitcnt lgkmcnt(9)
	v_fma_f64 v[50:51], -v[94:95], v[122:123], v[50:51]
	v_fma_f64 v[44:45], -v[94:95], v[124:125], v[44:45]
	ds_read2_b64 v[122:125], v118 offset0:50 offset1:51
	v_fma_f64 v[52:53], -v[94:95], v[162:163], v[52:53]
	v_fma_f64 v[48:49], -v[94:95], v[164:165], v[48:49]
	s_waitcnt lgkmcnt(9)
	v_fma_f64 v[46:47], -v[94:95], v[126:127], v[46:47]
	v_fma_f64 v[42:43], -v[94:95], v[128:129], v[42:43]
	;; [unrolled: 1-line block ×3, first 2 shown]
	s_waitcnt lgkmcnt(8)
	v_fma_f64 v[40:41], -v[94:95], v[130:131], v[40:41]
	v_fma_f64 v[38:39], -v[94:95], v[132:133], v[38:39]
	s_waitcnt lgkmcnt(7)
	v_fma_f64 v[36:37], -v[94:95], v[134:135], v[36:37]
	v_fma_f64 v[34:35], -v[94:95], v[136:137], v[34:35]
	;; [unrolled: 3-line block ×9, first 2 shown]
.LBB104_131:
	s_or_b32 exec_lo, exec_lo, s0
	v_lshl_add_u32 v0, v121, 3, v118
	s_barrier
	buffer_gl0_inv
	v_mov_b32_e32 v112, 8
	ds_write_b64 v0, v[92:93]
	s_waitcnt lgkmcnt(0)
	s_barrier
	buffer_gl0_inv
	ds_read_b64 v[0:1], v118 offset:64
	s_cmp_lt_i32 s7, 10
	s_cbranch_scc1 .LBB104_134
; %bb.132:
	v_add3_u32 v113, v119, 0, 0x48
	v_mov_b32_e32 v112, 8
	s_mov_b32 s0, 9
.LBB104_133:                            ; =>This Inner Loop Header: Depth=1
	ds_read_b64 v[122:123], v113
	v_add_nc_u32_e32 v113, 8, v113
	s_waitcnt lgkmcnt(0)
	v_cmp_lt_f64_e64 vcc_lo, |v[0:1]|, |v[122:123]|
	v_cndmask_b32_e32 v1, v1, v123, vcc_lo
	v_cndmask_b32_e32 v0, v0, v122, vcc_lo
	v_cndmask_b32_e64 v112, v112, s0, vcc_lo
	s_add_i32 s0, s0, 1
	s_cmp_lg_u32 s7, s0
	s_cbranch_scc1 .LBB104_133
.LBB104_134:
	s_mov_b32 s0, exec_lo
	s_waitcnt lgkmcnt(0)
	v_cmpx_eq_f64_e32 0, v[0:1]
	s_xor_b32 s0, exec_lo, s0
; %bb.135:
	v_cmp_ne_u32_e32 vcc_lo, 0, v115
	v_cndmask_b32_e32 v115, 9, v115, vcc_lo
; %bb.136:
	s_andn2_saveexec_b32 s0, s0
	s_cbranch_execz .LBB104_138
; %bb.137:
	v_div_scale_f64 v[113:114], null, v[0:1], v[0:1], 1.0
	v_rcp_f64_e32 v[122:123], v[113:114]
	v_fma_f64 v[124:125], -v[113:114], v[122:123], 1.0
	v_fma_f64 v[122:123], v[122:123], v[124:125], v[122:123]
	v_fma_f64 v[124:125], -v[113:114], v[122:123], 1.0
	v_fma_f64 v[122:123], v[122:123], v[124:125], v[122:123]
	v_div_scale_f64 v[124:125], vcc_lo, 1.0, v[0:1], 1.0
	v_mul_f64 v[126:127], v[124:125], v[122:123]
	v_fma_f64 v[113:114], -v[113:114], v[126:127], v[124:125]
	v_div_fmas_f64 v[113:114], v[113:114], v[122:123], v[126:127]
	v_div_fixup_f64 v[0:1], v[113:114], v[0:1], 1.0
.LBB104_138:
	s_or_b32 exec_lo, exec_lo, s0
	s_mov_b32 s0, exec_lo
	v_cmpx_ne_u32_e64 v121, v112
	s_xor_b32 s0, exec_lo, s0
	s_cbranch_execz .LBB104_144
; %bb.139:
	s_mov_b32 s1, exec_lo
	v_cmpx_eq_u32_e32 8, v121
	s_cbranch_execz .LBB104_143
; %bb.140:
	v_cmp_ne_u32_e32 vcc_lo, 8, v112
	s_xor_b32 s2, s6, -1
	s_and_b32 s3, s2, vcc_lo
	s_and_saveexec_b32 s2, s3
	s_cbranch_execz .LBB104_142
; %bb.141:
	v_ashrrev_i32_e32 v113, 31, v112
	v_lshlrev_b64 v[113:114], 2, v[112:113]
	v_add_co_u32 v113, vcc_lo, v4, v113
	v_add_co_ci_u32_e64 v114, null, v5, v114, vcc_lo
	s_clause 0x1
	global_load_dword v120, v[113:114], off
	global_load_dword v121, v[4:5], off offset:32
	s_waitcnt vmcnt(1)
	global_store_dword v[4:5], v120, off offset:32
	s_waitcnt vmcnt(0)
	global_store_dword v[113:114], v121, off
.LBB104_142:
	s_or_b32 exec_lo, exec_lo, s2
	v_mov_b32_e32 v120, v112
	v_mov_b32_e32 v121, v112
.LBB104_143:
	s_or_b32 exec_lo, exec_lo, s1
.LBB104_144:
	s_andn2_saveexec_b32 s0, s0
	s_cbranch_execz .LBB104_146
; %bb.145:
	v_mov_b32_e32 v121, 8
	ds_write2_b64 v118, v[88:89], v[90:91] offset0:9 offset1:10
	ds_write2_b64 v118, v[84:85], v[86:87] offset0:11 offset1:12
	;; [unrolled: 1-line block ×22, first 2 shown]
.LBB104_146:
	s_or_b32 exec_lo, exec_lo, s0
	s_mov_b32 s0, exec_lo
	s_waitcnt lgkmcnt(0)
	s_waitcnt_vscnt null, 0x0
	s_barrier
	buffer_gl0_inv
	v_cmpx_lt_i32_e32 8, v121
	s_cbranch_execz .LBB104_148
; %bb.147:
	v_mul_f64 v[92:93], v[0:1], v[92:93]
	ds_read2_b64 v[122:125], v118 offset0:9 offset1:10
	ds_read2_b64 v[126:129], v118 offset0:11 offset1:12
	;; [unrolled: 1-line block ×11, first 2 shown]
	s_waitcnt lgkmcnt(10)
	v_fma_f64 v[88:89], -v[92:93], v[122:123], v[88:89]
	v_fma_f64 v[90:91], -v[92:93], v[124:125], v[90:91]
	s_waitcnt lgkmcnt(9)
	v_fma_f64 v[84:85], -v[92:93], v[126:127], v[84:85]
	v_fma_f64 v[86:87], -v[92:93], v[128:129], v[86:87]
	;; [unrolled: 3-line block ×6, first 2 shown]
	ds_read2_b64 v[122:125], v118 offset0:31 offset1:32
	ds_read2_b64 v[126:129], v118 offset0:33 offset1:34
	s_waitcnt lgkmcnt(6)
	v_fma_f64 v[64:65], -v[92:93], v[146:147], v[64:65]
	v_fma_f64 v[66:67], -v[92:93], v[148:149], v[66:67]
	s_waitcnt lgkmcnt(5)
	v_fma_f64 v[62:63], -v[92:93], v[150:151], v[62:63]
	ds_read2_b64 v[130:133], v118 offset0:35 offset1:36
	ds_read2_b64 v[134:137], v118 offset0:37 offset1:38
	v_fma_f64 v[60:61], -v[92:93], v[152:153], v[60:61]
	s_waitcnt lgkmcnt(6)
	v_fma_f64 v[58:59], -v[92:93], v[154:155], v[58:59]
	ds_read2_b64 v[138:141], v118 offset0:39 offset1:40
	ds_read2_b64 v[142:145], v118 offset0:41 offset1:42
	;; [unrolled: 5-line block ×4, first 2 shown]
	v_fma_f64 v[50:51], -v[92:93], v[164:165], v[50:51]
	ds_read2_b64 v[162:165], v118 offset0:51 offset1:52
	s_waitcnt lgkmcnt(10)
	v_fma_f64 v[44:45], -v[92:93], v[122:123], v[44:45]
	v_fma_f64 v[46:47], -v[92:93], v[124:125], v[46:47]
	s_waitcnt lgkmcnt(9)
	v_fma_f64 v[42:43], -v[92:93], v[126:127], v[42:43]
	v_fma_f64 v[40:41], -v[92:93], v[128:129], v[40:41]
	;; [unrolled: 3-line block ×11, first 2 shown]
.LBB104_148:
	s_or_b32 exec_lo, exec_lo, s0
	v_lshl_add_u32 v0, v121, 3, v118
	s_barrier
	buffer_gl0_inv
	v_mov_b32_e32 v112, 9
	ds_write_b64 v0, v[88:89]
	s_waitcnt lgkmcnt(0)
	s_barrier
	buffer_gl0_inv
	ds_read_b64 v[0:1], v118 offset:72
	s_cmp_lt_i32 s7, 11
	s_cbranch_scc1 .LBB104_151
; %bb.149:
	v_add3_u32 v113, v119, 0, 0x50
	v_mov_b32_e32 v112, 9
	s_mov_b32 s0, 10
.LBB104_150:                            ; =>This Inner Loop Header: Depth=1
	ds_read_b64 v[122:123], v113
	v_add_nc_u32_e32 v113, 8, v113
	s_waitcnt lgkmcnt(0)
	v_cmp_lt_f64_e64 vcc_lo, |v[0:1]|, |v[122:123]|
	v_cndmask_b32_e32 v1, v1, v123, vcc_lo
	v_cndmask_b32_e32 v0, v0, v122, vcc_lo
	v_cndmask_b32_e64 v112, v112, s0, vcc_lo
	s_add_i32 s0, s0, 1
	s_cmp_lg_u32 s7, s0
	s_cbranch_scc1 .LBB104_150
.LBB104_151:
	s_mov_b32 s0, exec_lo
	s_waitcnt lgkmcnt(0)
	v_cmpx_eq_f64_e32 0, v[0:1]
	s_xor_b32 s0, exec_lo, s0
; %bb.152:
	v_cmp_ne_u32_e32 vcc_lo, 0, v115
	v_cndmask_b32_e32 v115, 10, v115, vcc_lo
; %bb.153:
	s_andn2_saveexec_b32 s0, s0
	s_cbranch_execz .LBB104_155
; %bb.154:
	v_div_scale_f64 v[113:114], null, v[0:1], v[0:1], 1.0
	v_rcp_f64_e32 v[122:123], v[113:114]
	v_fma_f64 v[124:125], -v[113:114], v[122:123], 1.0
	v_fma_f64 v[122:123], v[122:123], v[124:125], v[122:123]
	v_fma_f64 v[124:125], -v[113:114], v[122:123], 1.0
	v_fma_f64 v[122:123], v[122:123], v[124:125], v[122:123]
	v_div_scale_f64 v[124:125], vcc_lo, 1.0, v[0:1], 1.0
	v_mul_f64 v[126:127], v[124:125], v[122:123]
	v_fma_f64 v[113:114], -v[113:114], v[126:127], v[124:125]
	v_div_fmas_f64 v[113:114], v[113:114], v[122:123], v[126:127]
	v_div_fixup_f64 v[0:1], v[113:114], v[0:1], 1.0
.LBB104_155:
	s_or_b32 exec_lo, exec_lo, s0
	s_mov_b32 s0, exec_lo
	v_cmpx_ne_u32_e64 v121, v112
	s_xor_b32 s0, exec_lo, s0
	s_cbranch_execz .LBB104_161
; %bb.156:
	s_mov_b32 s1, exec_lo
	v_cmpx_eq_u32_e32 9, v121
	s_cbranch_execz .LBB104_160
; %bb.157:
	v_cmp_ne_u32_e32 vcc_lo, 9, v112
	s_xor_b32 s2, s6, -1
	s_and_b32 s3, s2, vcc_lo
	s_and_saveexec_b32 s2, s3
	s_cbranch_execz .LBB104_159
; %bb.158:
	v_ashrrev_i32_e32 v113, 31, v112
	v_lshlrev_b64 v[113:114], 2, v[112:113]
	v_add_co_u32 v113, vcc_lo, v4, v113
	v_add_co_ci_u32_e64 v114, null, v5, v114, vcc_lo
	s_clause 0x1
	global_load_dword v120, v[113:114], off
	global_load_dword v121, v[4:5], off offset:36
	s_waitcnt vmcnt(1)
	global_store_dword v[4:5], v120, off offset:36
	s_waitcnt vmcnt(0)
	global_store_dword v[113:114], v121, off
.LBB104_159:
	s_or_b32 exec_lo, exec_lo, s2
	v_mov_b32_e32 v120, v112
	v_mov_b32_e32 v121, v112
.LBB104_160:
	s_or_b32 exec_lo, exec_lo, s1
.LBB104_161:
	s_andn2_saveexec_b32 s0, s0
	s_cbranch_execz .LBB104_163
; %bb.162:
	v_mov_b32_e32 v112, v90
	v_mov_b32_e32 v113, v91
	v_mov_b32_e32 v121, v84
	v_mov_b32_e32 v122, v85
	v_mov_b32_e32 v123, v86
	v_mov_b32_e32 v124, v87
	v_mov_b32_e32 v125, v82
	v_mov_b32_e32 v126, v83
	ds_write2_b64 v118, v[112:113], v[121:122] offset0:10 offset1:11
	ds_write2_b64 v118, v[123:124], v[125:126] offset0:12 offset1:13
	v_mov_b32_e32 v112, v80
	v_mov_b32_e32 v113, v81
	v_mov_b32_e32 v121, v78
	v_mov_b32_e32 v122, v79
	v_mov_b32_e32 v123, v76
	v_mov_b32_e32 v124, v77
	v_mov_b32_e32 v125, v74
	v_mov_b32_e32 v126, v75
	v_mov_b32_e32 v127, v72
	v_mov_b32_e32 v128, v73
	v_mov_b32_e32 v129, v68
	v_mov_b32_e32 v130, v69
	v_mov_b32_e32 v131, v70
	v_mov_b32_e32 v132, v71
	v_mov_b32_e32 v133, v64
	v_mov_b32_e32 v134, v65
	v_mov_b32_e32 v135, v66
	v_mov_b32_e32 v136, v67
	v_mov_b32_e32 v137, v62
	v_mov_b32_e32 v138, v63
	ds_write2_b64 v118, v[112:113], v[121:122] offset0:14 offset1:15
	ds_write2_b64 v118, v[123:124], v[125:126] offset0:16 offset1:17
	ds_write2_b64 v118, v[127:128], v[129:130] offset0:18 offset1:19
	ds_write2_b64 v118, v[131:132], v[133:134] offset0:20 offset1:21
	ds_write2_b64 v118, v[135:136], v[137:138] offset0:22 offset1:23
	v_mov_b32_e32 v112, v60
	v_mov_b32_e32 v113, v61
	v_mov_b32_e32 v121, v58
	v_mov_b32_e32 v122, v59
	v_mov_b32_e32 v123, v56
	v_mov_b32_e32 v124, v57
	v_mov_b32_e32 v125, v54
	v_mov_b32_e32 v126, v55
	v_mov_b32_e32 v127, v52
	v_mov_b32_e32 v128, v53
	v_mov_b32_e32 v129, v48
	v_mov_b32_e32 v130, v49
	v_mov_b32_e32 v131, v50
	v_mov_b32_e32 v132, v51
	v_mov_b32_e32 v133, v44
	v_mov_b32_e32 v134, v45
	v_mov_b32_e32 v135, v46
	v_mov_b32_e32 v136, v47
	v_mov_b32_e32 v137, v42
	v_mov_b32_e32 v138, v43
	ds_write2_b64 v118, v[112:113], v[121:122] offset0:24 offset1:25
	ds_write2_b64 v118, v[123:124], v[125:126] offset0:26 offset1:27
	ds_write2_b64 v118, v[127:128], v[129:130] offset0:28 offset1:29
	;; [unrolled: 25-line block ×3, first 2 shown]
	ds_write2_b64 v118, v[131:132], v[133:134] offset0:40 offset1:41
	ds_write2_b64 v118, v[135:136], v[137:138] offset0:42 offset1:43
	v_mov_b32_e32 v112, v20
	v_mov_b32_e32 v113, v21
	;; [unrolled: 1-line block ×8, first 2 shown]
	ds_write2_b64 v118, v[112:113], v[121:122] offset0:44 offset1:45
	v_mov_b32_e32 v121, 9
	v_mov_b32_e32 v127, v12
	;; [unrolled: 1-line block ×9, first 2 shown]
	ds_write2_b64 v118, v[123:124], v[125:126] offset0:46 offset1:47
	ds_write2_b64 v118, v[127:128], v[129:130] offset0:48 offset1:49
	;; [unrolled: 1-line block ×3, first 2 shown]
	ds_write_b64 v118, v[110:111] offset:416
.LBB104_163:
	s_or_b32 exec_lo, exec_lo, s0
	s_mov_b32 s0, exec_lo
	s_waitcnt lgkmcnt(0)
	s_waitcnt_vscnt null, 0x0
	s_barrier
	buffer_gl0_inv
	v_cmpx_lt_i32_e32 9, v121
	s_cbranch_execz .LBB104_165
; %bb.164:
	v_mul_f64 v[88:89], v[0:1], v[88:89]
	ds_read2_b64 v[122:125], v118 offset0:10 offset1:11
	ds_read2_b64 v[126:129], v118 offset0:12 offset1:13
	;; [unrolled: 1-line block ×11, first 2 shown]
	ds_read_b64 v[0:1], v118 offset:416
	s_waitcnt lgkmcnt(11)
	v_fma_f64 v[90:91], -v[88:89], v[122:123], v[90:91]
	v_fma_f64 v[84:85], -v[88:89], v[124:125], v[84:85]
	s_waitcnt lgkmcnt(10)
	v_fma_f64 v[86:87], -v[88:89], v[126:127], v[86:87]
	v_fma_f64 v[82:83], -v[88:89], v[128:129], v[82:83]
	;; [unrolled: 3-line block ×6, first 2 shown]
	ds_read2_b64 v[122:125], v118 offset0:32 offset1:33
	ds_read2_b64 v[126:129], v118 offset0:34 offset1:35
	s_waitcnt lgkmcnt(7)
	v_fma_f64 v[66:67], -v[88:89], v[146:147], v[66:67]
	v_fma_f64 v[62:63], -v[88:89], v[148:149], v[62:63]
	s_waitcnt lgkmcnt(6)
	v_fma_f64 v[60:61], -v[88:89], v[150:151], v[60:61]
	ds_read2_b64 v[130:133], v118 offset0:36 offset1:37
	ds_read2_b64 v[134:137], v118 offset0:38 offset1:39
	v_fma_f64 v[58:59], -v[88:89], v[152:153], v[58:59]
	s_waitcnt lgkmcnt(7)
	v_fma_f64 v[56:57], -v[88:89], v[154:155], v[56:57]
	ds_read2_b64 v[138:141], v118 offset0:40 offset1:41
	ds_read2_b64 v[142:145], v118 offset0:42 offset1:43
	;; [unrolled: 5-line block ×3, first 2 shown]
	v_fma_f64 v[48:49], -v[88:89], v[160:161], v[48:49]
	ds_read2_b64 v[154:157], v118 offset0:48 offset1:49
	ds_read2_b64 v[158:161], v118 offset0:50 offset1:51
	s_waitcnt lgkmcnt(11)
	v_fma_f64 v[50:51], -v[88:89], v[162:163], v[50:51]
	v_fma_f64 v[44:45], -v[88:89], v[164:165], v[44:45]
	s_waitcnt lgkmcnt(9)
	v_fma_f64 v[46:47], -v[88:89], v[122:123], v[46:47]
	v_fma_f64 v[42:43], -v[88:89], v[124:125], v[42:43]
	;; [unrolled: 3-line block ×3, first 2 shown]
	v_fma_f64 v[110:111], -v[88:89], v[0:1], v[110:111]
	s_waitcnt lgkmcnt(7)
	v_fma_f64 v[36:37], -v[88:89], v[130:131], v[36:37]
	v_fma_f64 v[34:35], -v[88:89], v[132:133], v[34:35]
	s_waitcnt lgkmcnt(6)
	v_fma_f64 v[32:33], -v[88:89], v[134:135], v[32:33]
	v_fma_f64 v[28:29], -v[88:89], v[136:137], v[28:29]
	s_waitcnt lgkmcnt(5)
	v_fma_f64 v[30:31], -v[88:89], v[138:139], v[30:31]
	v_fma_f64 v[24:25], -v[88:89], v[140:141], v[24:25]
	s_waitcnt lgkmcnt(4)
	v_fma_f64 v[26:27], -v[88:89], v[142:143], v[26:27]
	v_fma_f64 v[22:23], -v[88:89], v[144:145], v[22:23]
	s_waitcnt lgkmcnt(3)
	v_fma_f64 v[20:21], -v[88:89], v[146:147], v[20:21]
	v_fma_f64 v[18:19], -v[88:89], v[148:149], v[18:19]
	s_waitcnt lgkmcnt(2)
	v_fma_f64 v[16:17], -v[88:89], v[150:151], v[16:17]
	v_fma_f64 v[14:15], -v[88:89], v[152:153], v[14:15]
	s_waitcnt lgkmcnt(1)
	v_fma_f64 v[12:13], -v[88:89], v[154:155], v[12:13]
	v_fma_f64 v[8:9], -v[88:89], v[156:157], v[8:9]
	s_waitcnt lgkmcnt(0)
	v_fma_f64 v[10:11], -v[88:89], v[158:159], v[10:11]
	v_fma_f64 v[6:7], -v[88:89], v[160:161], v[6:7]
.LBB104_165:
	s_or_b32 exec_lo, exec_lo, s0
	v_lshl_add_u32 v0, v121, 3, v118
	s_barrier
	buffer_gl0_inv
	v_mov_b32_e32 v112, 10
	ds_write_b64 v0, v[90:91]
	s_waitcnt lgkmcnt(0)
	s_barrier
	buffer_gl0_inv
	ds_read_b64 v[0:1], v118 offset:80
	s_cmp_lt_i32 s7, 12
	s_cbranch_scc1 .LBB104_168
; %bb.166:
	v_add3_u32 v113, v119, 0, 0x58
	v_mov_b32_e32 v112, 10
	s_mov_b32 s0, 11
.LBB104_167:                            ; =>This Inner Loop Header: Depth=1
	ds_read_b64 v[122:123], v113
	v_add_nc_u32_e32 v113, 8, v113
	s_waitcnt lgkmcnt(0)
	v_cmp_lt_f64_e64 vcc_lo, |v[0:1]|, |v[122:123]|
	v_cndmask_b32_e32 v1, v1, v123, vcc_lo
	v_cndmask_b32_e32 v0, v0, v122, vcc_lo
	v_cndmask_b32_e64 v112, v112, s0, vcc_lo
	s_add_i32 s0, s0, 1
	s_cmp_lg_u32 s7, s0
	s_cbranch_scc1 .LBB104_167
.LBB104_168:
	s_mov_b32 s0, exec_lo
	s_waitcnt lgkmcnt(0)
	v_cmpx_eq_f64_e32 0, v[0:1]
	s_xor_b32 s0, exec_lo, s0
; %bb.169:
	v_cmp_ne_u32_e32 vcc_lo, 0, v115
	v_cndmask_b32_e32 v115, 11, v115, vcc_lo
; %bb.170:
	s_andn2_saveexec_b32 s0, s0
	s_cbranch_execz .LBB104_172
; %bb.171:
	v_div_scale_f64 v[113:114], null, v[0:1], v[0:1], 1.0
	v_rcp_f64_e32 v[122:123], v[113:114]
	v_fma_f64 v[124:125], -v[113:114], v[122:123], 1.0
	v_fma_f64 v[122:123], v[122:123], v[124:125], v[122:123]
	v_fma_f64 v[124:125], -v[113:114], v[122:123], 1.0
	v_fma_f64 v[122:123], v[122:123], v[124:125], v[122:123]
	v_div_scale_f64 v[124:125], vcc_lo, 1.0, v[0:1], 1.0
	v_mul_f64 v[126:127], v[124:125], v[122:123]
	v_fma_f64 v[113:114], -v[113:114], v[126:127], v[124:125]
	v_div_fmas_f64 v[113:114], v[113:114], v[122:123], v[126:127]
	v_div_fixup_f64 v[0:1], v[113:114], v[0:1], 1.0
.LBB104_172:
	s_or_b32 exec_lo, exec_lo, s0
	s_mov_b32 s0, exec_lo
	v_cmpx_ne_u32_e64 v121, v112
	s_xor_b32 s0, exec_lo, s0
	s_cbranch_execz .LBB104_178
; %bb.173:
	s_mov_b32 s1, exec_lo
	v_cmpx_eq_u32_e32 10, v121
	s_cbranch_execz .LBB104_177
; %bb.174:
	v_cmp_ne_u32_e32 vcc_lo, 10, v112
	s_xor_b32 s2, s6, -1
	s_and_b32 s3, s2, vcc_lo
	s_and_saveexec_b32 s2, s3
	s_cbranch_execz .LBB104_176
; %bb.175:
	v_ashrrev_i32_e32 v113, 31, v112
	v_lshlrev_b64 v[113:114], 2, v[112:113]
	v_add_co_u32 v113, vcc_lo, v4, v113
	v_add_co_ci_u32_e64 v114, null, v5, v114, vcc_lo
	s_clause 0x1
	global_load_dword v120, v[113:114], off
	global_load_dword v121, v[4:5], off offset:40
	s_waitcnt vmcnt(1)
	global_store_dword v[4:5], v120, off offset:40
	s_waitcnt vmcnt(0)
	global_store_dword v[113:114], v121, off
.LBB104_176:
	s_or_b32 exec_lo, exec_lo, s2
	v_mov_b32_e32 v120, v112
	v_mov_b32_e32 v121, v112
.LBB104_177:
	s_or_b32 exec_lo, exec_lo, s1
.LBB104_178:
	s_andn2_saveexec_b32 s0, s0
	s_cbranch_execz .LBB104_180
; %bb.179:
	v_mov_b32_e32 v121, 10
	ds_write2_b64 v118, v[84:85], v[86:87] offset0:11 offset1:12
	ds_write2_b64 v118, v[82:83], v[80:81] offset0:13 offset1:14
	;; [unrolled: 1-line block ×21, first 2 shown]
.LBB104_180:
	s_or_b32 exec_lo, exec_lo, s0
	s_mov_b32 s0, exec_lo
	s_waitcnt lgkmcnt(0)
	s_waitcnt_vscnt null, 0x0
	s_barrier
	buffer_gl0_inv
	v_cmpx_lt_i32_e32 10, v121
	s_cbranch_execz .LBB104_182
; %bb.181:
	v_mul_f64 v[90:91], v[0:1], v[90:91]
	ds_read2_b64 v[122:125], v118 offset0:11 offset1:12
	ds_read2_b64 v[126:129], v118 offset0:13 offset1:14
	;; [unrolled: 1-line block ×11, first 2 shown]
	s_waitcnt lgkmcnt(10)
	v_fma_f64 v[84:85], -v[90:91], v[122:123], v[84:85]
	v_fma_f64 v[86:87], -v[90:91], v[124:125], v[86:87]
	s_waitcnt lgkmcnt(9)
	v_fma_f64 v[82:83], -v[90:91], v[126:127], v[82:83]
	v_fma_f64 v[80:81], -v[90:91], v[128:129], v[80:81]
	;; [unrolled: 3-line block ×6, first 2 shown]
	ds_read2_b64 v[122:125], v118 offset0:33 offset1:34
	ds_read2_b64 v[126:129], v118 offset0:35 offset1:36
	s_waitcnt lgkmcnt(6)
	v_fma_f64 v[62:63], -v[90:91], v[146:147], v[62:63]
	v_fma_f64 v[60:61], -v[90:91], v[148:149], v[60:61]
	ds_read2_b64 v[130:133], v118 offset0:37 offset1:38
	ds_read2_b64 v[134:137], v118 offset0:39 offset1:40
	s_waitcnt lgkmcnt(7)
	v_fma_f64 v[58:59], -v[90:91], v[150:151], v[58:59]
	v_fma_f64 v[56:57], -v[90:91], v[152:153], v[56:57]
	;; [unrolled: 5-line block ×5, first 2 shown]
	s_waitcnt lgkmcnt(9)
	v_fma_f64 v[42:43], -v[90:91], v[122:123], v[42:43]
	v_fma_f64 v[40:41], -v[90:91], v[124:125], v[40:41]
	s_waitcnt lgkmcnt(8)
	v_fma_f64 v[38:39], -v[90:91], v[126:127], v[38:39]
	v_fma_f64 v[36:37], -v[90:91], v[128:129], v[36:37]
	;; [unrolled: 3-line block ×10, first 2 shown]
.LBB104_182:
	s_or_b32 exec_lo, exec_lo, s0
	v_lshl_add_u32 v0, v121, 3, v118
	s_barrier
	buffer_gl0_inv
	v_mov_b32_e32 v112, 11
	ds_write_b64 v0, v[84:85]
	s_waitcnt lgkmcnt(0)
	s_barrier
	buffer_gl0_inv
	ds_read_b64 v[0:1], v118 offset:88
	s_cmp_lt_i32 s7, 13
	s_cbranch_scc1 .LBB104_185
; %bb.183:
	v_add3_u32 v113, v119, 0, 0x60
	v_mov_b32_e32 v112, 11
	s_mov_b32 s0, 12
.LBB104_184:                            ; =>This Inner Loop Header: Depth=1
	ds_read_b64 v[122:123], v113
	v_add_nc_u32_e32 v113, 8, v113
	s_waitcnt lgkmcnt(0)
	v_cmp_lt_f64_e64 vcc_lo, |v[0:1]|, |v[122:123]|
	v_cndmask_b32_e32 v1, v1, v123, vcc_lo
	v_cndmask_b32_e32 v0, v0, v122, vcc_lo
	v_cndmask_b32_e64 v112, v112, s0, vcc_lo
	s_add_i32 s0, s0, 1
	s_cmp_lg_u32 s7, s0
	s_cbranch_scc1 .LBB104_184
.LBB104_185:
	s_mov_b32 s0, exec_lo
	s_waitcnt lgkmcnt(0)
	v_cmpx_eq_f64_e32 0, v[0:1]
	s_xor_b32 s0, exec_lo, s0
; %bb.186:
	v_cmp_ne_u32_e32 vcc_lo, 0, v115
	v_cndmask_b32_e32 v115, 12, v115, vcc_lo
; %bb.187:
	s_andn2_saveexec_b32 s0, s0
	s_cbranch_execz .LBB104_189
; %bb.188:
	v_div_scale_f64 v[113:114], null, v[0:1], v[0:1], 1.0
	v_rcp_f64_e32 v[122:123], v[113:114]
	v_fma_f64 v[124:125], -v[113:114], v[122:123], 1.0
	v_fma_f64 v[122:123], v[122:123], v[124:125], v[122:123]
	v_fma_f64 v[124:125], -v[113:114], v[122:123], 1.0
	v_fma_f64 v[122:123], v[122:123], v[124:125], v[122:123]
	v_div_scale_f64 v[124:125], vcc_lo, 1.0, v[0:1], 1.0
	v_mul_f64 v[126:127], v[124:125], v[122:123]
	v_fma_f64 v[113:114], -v[113:114], v[126:127], v[124:125]
	v_div_fmas_f64 v[113:114], v[113:114], v[122:123], v[126:127]
	v_div_fixup_f64 v[0:1], v[113:114], v[0:1], 1.0
.LBB104_189:
	s_or_b32 exec_lo, exec_lo, s0
	s_mov_b32 s0, exec_lo
	v_cmpx_ne_u32_e64 v121, v112
	s_xor_b32 s0, exec_lo, s0
	s_cbranch_execz .LBB104_195
; %bb.190:
	s_mov_b32 s1, exec_lo
	v_cmpx_eq_u32_e32 11, v121
	s_cbranch_execz .LBB104_194
; %bb.191:
	v_cmp_ne_u32_e32 vcc_lo, 11, v112
	s_xor_b32 s2, s6, -1
	s_and_b32 s3, s2, vcc_lo
	s_and_saveexec_b32 s2, s3
	s_cbranch_execz .LBB104_193
; %bb.192:
	v_ashrrev_i32_e32 v113, 31, v112
	v_lshlrev_b64 v[113:114], 2, v[112:113]
	v_add_co_u32 v113, vcc_lo, v4, v113
	v_add_co_ci_u32_e64 v114, null, v5, v114, vcc_lo
	s_clause 0x1
	global_load_dword v120, v[113:114], off
	global_load_dword v121, v[4:5], off offset:44
	s_waitcnt vmcnt(1)
	global_store_dword v[4:5], v120, off offset:44
	s_waitcnt vmcnt(0)
	global_store_dword v[113:114], v121, off
.LBB104_193:
	s_or_b32 exec_lo, exec_lo, s2
	v_mov_b32_e32 v120, v112
	v_mov_b32_e32 v121, v112
.LBB104_194:
	s_or_b32 exec_lo, exec_lo, s1
.LBB104_195:
	s_andn2_saveexec_b32 s0, s0
	s_cbranch_execz .LBB104_197
; %bb.196:
	v_mov_b32_e32 v112, v86
	v_mov_b32_e32 v113, v87
	;; [unrolled: 1-line block ×8, first 2 shown]
	ds_write2_b64 v118, v[112:113], v[121:122] offset0:12 offset1:13
	v_mov_b32_e32 v112, v78
	v_mov_b32_e32 v113, v79
	v_mov_b32_e32 v121, v76
	v_mov_b32_e32 v122, v77
	v_mov_b32_e32 v127, v72
	v_mov_b32_e32 v128, v73
	v_mov_b32_e32 v129, v68
	v_mov_b32_e32 v130, v69
	v_mov_b32_e32 v131, v70
	v_mov_b32_e32 v132, v71
	v_mov_b32_e32 v133, v64
	v_mov_b32_e32 v134, v65
	v_mov_b32_e32 v135, v66
	v_mov_b32_e32 v136, v67
	v_mov_b32_e32 v137, v62
	v_mov_b32_e32 v138, v63
	ds_write2_b64 v118, v[123:124], v[112:113] offset0:14 offset1:15
	ds_write2_b64 v118, v[121:122], v[125:126] offset0:16 offset1:17
	ds_write2_b64 v118, v[127:128], v[129:130] offset0:18 offset1:19
	ds_write2_b64 v118, v[131:132], v[133:134] offset0:20 offset1:21
	ds_write2_b64 v118, v[135:136], v[137:138] offset0:22 offset1:23
	v_mov_b32_e32 v112, v60
	v_mov_b32_e32 v113, v61
	v_mov_b32_e32 v121, v58
	v_mov_b32_e32 v122, v59
	v_mov_b32_e32 v123, v56
	v_mov_b32_e32 v124, v57
	v_mov_b32_e32 v125, v54
	v_mov_b32_e32 v126, v55
	v_mov_b32_e32 v127, v52
	v_mov_b32_e32 v128, v53
	v_mov_b32_e32 v129, v48
	v_mov_b32_e32 v130, v49
	v_mov_b32_e32 v131, v50
	v_mov_b32_e32 v132, v51
	v_mov_b32_e32 v133, v44
	v_mov_b32_e32 v134, v45
	v_mov_b32_e32 v135, v46
	v_mov_b32_e32 v136, v47
	v_mov_b32_e32 v137, v42
	v_mov_b32_e32 v138, v43
	ds_write2_b64 v118, v[112:113], v[121:122] offset0:24 offset1:25
	ds_write2_b64 v118, v[123:124], v[125:126] offset0:26 offset1:27
	ds_write2_b64 v118, v[127:128], v[129:130] offset0:28 offset1:29
	ds_write2_b64 v118, v[131:132], v[133:134] offset0:30 offset1:31
	ds_write2_b64 v118, v[135:136], v[137:138] offset0:32 offset1:33
	v_mov_b32_e32 v112, v40
	v_mov_b32_e32 v113, v41
	v_mov_b32_e32 v121, v38
	v_mov_b32_e32 v122, v39
	;; [unrolled: 25-line block ×3, first 2 shown]
	v_mov_b32_e32 v123, v16
	v_mov_b32_e32 v124, v17
	;; [unrolled: 1-line block ×4, first 2 shown]
	ds_write2_b64 v118, v[112:113], v[121:122] offset0:44 offset1:45
	v_mov_b32_e32 v121, 11
	v_mov_b32_e32 v127, v12
	;; [unrolled: 1-line block ×9, first 2 shown]
	ds_write2_b64 v118, v[123:124], v[125:126] offset0:46 offset1:47
	ds_write2_b64 v118, v[127:128], v[129:130] offset0:48 offset1:49
	;; [unrolled: 1-line block ×3, first 2 shown]
	ds_write_b64 v118, v[110:111] offset:416
.LBB104_197:
	s_or_b32 exec_lo, exec_lo, s0
	s_mov_b32 s0, exec_lo
	s_waitcnt lgkmcnt(0)
	s_waitcnt_vscnt null, 0x0
	s_barrier
	buffer_gl0_inv
	v_cmpx_lt_i32_e32 11, v121
	s_cbranch_execz .LBB104_199
; %bb.198:
	v_mul_f64 v[84:85], v[0:1], v[84:85]
	ds_read2_b64 v[122:125], v118 offset0:12 offset1:13
	ds_read2_b64 v[126:129], v118 offset0:14 offset1:15
	;; [unrolled: 1-line block ×11, first 2 shown]
	ds_read_b64 v[0:1], v118 offset:416
	s_waitcnt lgkmcnt(11)
	v_fma_f64 v[86:87], -v[84:85], v[122:123], v[86:87]
	v_fma_f64 v[82:83], -v[84:85], v[124:125], v[82:83]
	s_waitcnt lgkmcnt(10)
	v_fma_f64 v[80:81], -v[84:85], v[126:127], v[80:81]
	v_fma_f64 v[78:79], -v[84:85], v[128:129], v[78:79]
	;; [unrolled: 3-line block ×6, first 2 shown]
	ds_read2_b64 v[122:125], v118 offset0:34 offset1:35
	ds_read2_b64 v[126:129], v118 offset0:36 offset1:37
	s_waitcnt lgkmcnt(7)
	v_fma_f64 v[60:61], -v[84:85], v[146:147], v[60:61]
	v_fma_f64 v[58:59], -v[84:85], v[148:149], v[58:59]
	ds_read2_b64 v[130:133], v118 offset0:38 offset1:39
	ds_read2_b64 v[134:137], v118 offset0:40 offset1:41
	s_waitcnt lgkmcnt(8)
	v_fma_f64 v[56:57], -v[84:85], v[150:151], v[56:57]
	v_fma_f64 v[54:55], -v[84:85], v[152:153], v[54:55]
	;; [unrolled: 5-line block ×3, first 2 shown]
	ds_read2_b64 v[146:149], v118 offset0:46 offset1:47
	ds_read2_b64 v[150:153], v118 offset0:48 offset1:49
	;; [unrolled: 1-line block ×3, first 2 shown]
	s_waitcnt lgkmcnt(11)
	v_fma_f64 v[50:51], -v[84:85], v[158:159], v[50:51]
	v_fma_f64 v[44:45], -v[84:85], v[160:161], v[44:45]
	s_waitcnt lgkmcnt(10)
	v_fma_f64 v[46:47], -v[84:85], v[162:163], v[46:47]
	v_fma_f64 v[42:43], -v[84:85], v[164:165], v[42:43]
	s_waitcnt lgkmcnt(9)
	v_fma_f64 v[110:111], -v[84:85], v[0:1], v[110:111]
	s_waitcnt lgkmcnt(8)
	v_fma_f64 v[40:41], -v[84:85], v[122:123], v[40:41]
	v_fma_f64 v[38:39], -v[84:85], v[124:125], v[38:39]
	s_waitcnt lgkmcnt(7)
	v_fma_f64 v[36:37], -v[84:85], v[126:127], v[36:37]
	;; [unrolled: 3-line block ×9, first 2 shown]
	v_fma_f64 v[6:7], -v[84:85], v[156:157], v[6:7]
.LBB104_199:
	s_or_b32 exec_lo, exec_lo, s0
	v_lshl_add_u32 v0, v121, 3, v118
	s_barrier
	buffer_gl0_inv
	v_mov_b32_e32 v112, 12
	ds_write_b64 v0, v[86:87]
	s_waitcnt lgkmcnt(0)
	s_barrier
	buffer_gl0_inv
	ds_read_b64 v[0:1], v118 offset:96
	s_cmp_lt_i32 s7, 14
	s_cbranch_scc1 .LBB104_202
; %bb.200:
	v_add3_u32 v113, v119, 0, 0x68
	v_mov_b32_e32 v112, 12
	s_mov_b32 s0, 13
.LBB104_201:                            ; =>This Inner Loop Header: Depth=1
	ds_read_b64 v[122:123], v113
	v_add_nc_u32_e32 v113, 8, v113
	s_waitcnt lgkmcnt(0)
	v_cmp_lt_f64_e64 vcc_lo, |v[0:1]|, |v[122:123]|
	v_cndmask_b32_e32 v1, v1, v123, vcc_lo
	v_cndmask_b32_e32 v0, v0, v122, vcc_lo
	v_cndmask_b32_e64 v112, v112, s0, vcc_lo
	s_add_i32 s0, s0, 1
	s_cmp_lg_u32 s7, s0
	s_cbranch_scc1 .LBB104_201
.LBB104_202:
	s_mov_b32 s0, exec_lo
	s_waitcnt lgkmcnt(0)
	v_cmpx_eq_f64_e32 0, v[0:1]
	s_xor_b32 s0, exec_lo, s0
; %bb.203:
	v_cmp_ne_u32_e32 vcc_lo, 0, v115
	v_cndmask_b32_e32 v115, 13, v115, vcc_lo
; %bb.204:
	s_andn2_saveexec_b32 s0, s0
	s_cbranch_execz .LBB104_206
; %bb.205:
	v_div_scale_f64 v[113:114], null, v[0:1], v[0:1], 1.0
	v_rcp_f64_e32 v[122:123], v[113:114]
	v_fma_f64 v[124:125], -v[113:114], v[122:123], 1.0
	v_fma_f64 v[122:123], v[122:123], v[124:125], v[122:123]
	v_fma_f64 v[124:125], -v[113:114], v[122:123], 1.0
	v_fma_f64 v[122:123], v[122:123], v[124:125], v[122:123]
	v_div_scale_f64 v[124:125], vcc_lo, 1.0, v[0:1], 1.0
	v_mul_f64 v[126:127], v[124:125], v[122:123]
	v_fma_f64 v[113:114], -v[113:114], v[126:127], v[124:125]
	v_div_fmas_f64 v[113:114], v[113:114], v[122:123], v[126:127]
	v_div_fixup_f64 v[0:1], v[113:114], v[0:1], 1.0
.LBB104_206:
	s_or_b32 exec_lo, exec_lo, s0
	s_mov_b32 s0, exec_lo
	v_cmpx_ne_u32_e64 v121, v112
	s_xor_b32 s0, exec_lo, s0
	s_cbranch_execz .LBB104_212
; %bb.207:
	s_mov_b32 s1, exec_lo
	v_cmpx_eq_u32_e32 12, v121
	s_cbranch_execz .LBB104_211
; %bb.208:
	v_cmp_ne_u32_e32 vcc_lo, 12, v112
	s_xor_b32 s2, s6, -1
	s_and_b32 s3, s2, vcc_lo
	s_and_saveexec_b32 s2, s3
	s_cbranch_execz .LBB104_210
; %bb.209:
	v_ashrrev_i32_e32 v113, 31, v112
	v_lshlrev_b64 v[113:114], 2, v[112:113]
	v_add_co_u32 v113, vcc_lo, v4, v113
	v_add_co_ci_u32_e64 v114, null, v5, v114, vcc_lo
	s_clause 0x1
	global_load_dword v120, v[113:114], off
	global_load_dword v121, v[4:5], off offset:48
	s_waitcnt vmcnt(1)
	global_store_dword v[4:5], v120, off offset:48
	s_waitcnt vmcnt(0)
	global_store_dword v[113:114], v121, off
.LBB104_210:
	s_or_b32 exec_lo, exec_lo, s2
	v_mov_b32_e32 v120, v112
	v_mov_b32_e32 v121, v112
.LBB104_211:
	s_or_b32 exec_lo, exec_lo, s1
.LBB104_212:
	s_andn2_saveexec_b32 s0, s0
	s_cbranch_execz .LBB104_214
; %bb.213:
	v_mov_b32_e32 v121, 12
	ds_write2_b64 v118, v[82:83], v[80:81] offset0:13 offset1:14
	ds_write2_b64 v118, v[78:79], v[76:77] offset0:15 offset1:16
	;; [unrolled: 1-line block ×20, first 2 shown]
.LBB104_214:
	s_or_b32 exec_lo, exec_lo, s0
	s_mov_b32 s0, exec_lo
	s_waitcnt lgkmcnt(0)
	s_waitcnt_vscnt null, 0x0
	s_barrier
	buffer_gl0_inv
	v_cmpx_lt_i32_e32 12, v121
	s_cbranch_execz .LBB104_216
; %bb.215:
	v_mul_f64 v[86:87], v[0:1], v[86:87]
	ds_read2_b64 v[122:125], v118 offset0:13 offset1:14
	ds_read2_b64 v[126:129], v118 offset0:15 offset1:16
	;; [unrolled: 1-line block ×11, first 2 shown]
	s_waitcnt lgkmcnt(10)
	v_fma_f64 v[82:83], -v[86:87], v[122:123], v[82:83]
	v_fma_f64 v[80:81], -v[86:87], v[124:125], v[80:81]
	s_waitcnt lgkmcnt(9)
	v_fma_f64 v[78:79], -v[86:87], v[126:127], v[78:79]
	v_fma_f64 v[76:77], -v[86:87], v[128:129], v[76:77]
	;; [unrolled: 3-line block ×5, first 2 shown]
	s_waitcnt lgkmcnt(5)
	v_fma_f64 v[62:63], -v[86:87], v[142:143], v[62:63]
	ds_read2_b64 v[122:125], v118 offset0:35 offset1:36
	ds_read2_b64 v[126:129], v118 offset0:37 offset1:38
	v_fma_f64 v[60:61], -v[86:87], v[144:145], v[60:61]
	s_waitcnt lgkmcnt(6)
	v_fma_f64 v[58:59], -v[86:87], v[146:147], v[58:59]
	ds_read2_b64 v[130:133], v118 offset0:39 offset1:40
	ds_read2_b64 v[134:137], v118 offset0:41 offset1:42
	v_fma_f64 v[56:57], -v[86:87], v[148:149], v[56:57]
	;; [unrolled: 5-line block ×4, first 2 shown]
	ds_read2_b64 v[154:157], v118 offset0:51 offset1:52
	s_waitcnt lgkmcnt(10)
	v_fma_f64 v[44:45], -v[86:87], v[158:159], v[44:45]
	v_fma_f64 v[46:47], -v[86:87], v[160:161], v[46:47]
	s_waitcnt lgkmcnt(9)
	v_fma_f64 v[42:43], -v[86:87], v[162:163], v[42:43]
	v_fma_f64 v[40:41], -v[86:87], v[164:165], v[40:41]
	;; [unrolled: 3-line block ×11, first 2 shown]
.LBB104_216:
	s_or_b32 exec_lo, exec_lo, s0
	v_lshl_add_u32 v0, v121, 3, v118
	s_barrier
	buffer_gl0_inv
	v_mov_b32_e32 v112, 13
	ds_write_b64 v0, v[82:83]
	s_waitcnt lgkmcnt(0)
	s_barrier
	buffer_gl0_inv
	ds_read_b64 v[0:1], v118 offset:104
	s_cmp_lt_i32 s7, 15
	s_cbranch_scc1 .LBB104_219
; %bb.217:
	v_add3_u32 v113, v119, 0, 0x70
	v_mov_b32_e32 v112, 13
	s_mov_b32 s0, 14
.LBB104_218:                            ; =>This Inner Loop Header: Depth=1
	ds_read_b64 v[122:123], v113
	v_add_nc_u32_e32 v113, 8, v113
	s_waitcnt lgkmcnt(0)
	v_cmp_lt_f64_e64 vcc_lo, |v[0:1]|, |v[122:123]|
	v_cndmask_b32_e32 v1, v1, v123, vcc_lo
	v_cndmask_b32_e32 v0, v0, v122, vcc_lo
	v_cndmask_b32_e64 v112, v112, s0, vcc_lo
	s_add_i32 s0, s0, 1
	s_cmp_lg_u32 s7, s0
	s_cbranch_scc1 .LBB104_218
.LBB104_219:
	s_mov_b32 s0, exec_lo
	s_waitcnt lgkmcnt(0)
	v_cmpx_eq_f64_e32 0, v[0:1]
	s_xor_b32 s0, exec_lo, s0
; %bb.220:
	v_cmp_ne_u32_e32 vcc_lo, 0, v115
	v_cndmask_b32_e32 v115, 14, v115, vcc_lo
; %bb.221:
	s_andn2_saveexec_b32 s0, s0
	s_cbranch_execz .LBB104_223
; %bb.222:
	v_div_scale_f64 v[113:114], null, v[0:1], v[0:1], 1.0
	v_rcp_f64_e32 v[122:123], v[113:114]
	v_fma_f64 v[124:125], -v[113:114], v[122:123], 1.0
	v_fma_f64 v[122:123], v[122:123], v[124:125], v[122:123]
	v_fma_f64 v[124:125], -v[113:114], v[122:123], 1.0
	v_fma_f64 v[122:123], v[122:123], v[124:125], v[122:123]
	v_div_scale_f64 v[124:125], vcc_lo, 1.0, v[0:1], 1.0
	v_mul_f64 v[126:127], v[124:125], v[122:123]
	v_fma_f64 v[113:114], -v[113:114], v[126:127], v[124:125]
	v_div_fmas_f64 v[113:114], v[113:114], v[122:123], v[126:127]
	v_div_fixup_f64 v[0:1], v[113:114], v[0:1], 1.0
.LBB104_223:
	s_or_b32 exec_lo, exec_lo, s0
	s_mov_b32 s0, exec_lo
	v_cmpx_ne_u32_e64 v121, v112
	s_xor_b32 s0, exec_lo, s0
	s_cbranch_execz .LBB104_229
; %bb.224:
	s_mov_b32 s1, exec_lo
	v_cmpx_eq_u32_e32 13, v121
	s_cbranch_execz .LBB104_228
; %bb.225:
	v_cmp_ne_u32_e32 vcc_lo, 13, v112
	s_xor_b32 s2, s6, -1
	s_and_b32 s3, s2, vcc_lo
	s_and_saveexec_b32 s2, s3
	s_cbranch_execz .LBB104_227
; %bb.226:
	v_ashrrev_i32_e32 v113, 31, v112
	v_lshlrev_b64 v[113:114], 2, v[112:113]
	v_add_co_u32 v113, vcc_lo, v4, v113
	v_add_co_ci_u32_e64 v114, null, v5, v114, vcc_lo
	s_clause 0x1
	global_load_dword v120, v[113:114], off
	global_load_dword v121, v[4:5], off offset:52
	s_waitcnt vmcnt(1)
	global_store_dword v[4:5], v120, off offset:52
	s_waitcnt vmcnt(0)
	global_store_dword v[113:114], v121, off
.LBB104_227:
	s_or_b32 exec_lo, exec_lo, s2
	v_mov_b32_e32 v120, v112
	v_mov_b32_e32 v121, v112
.LBB104_228:
	s_or_b32 exec_lo, exec_lo, s1
.LBB104_229:
	s_andn2_saveexec_b32 s0, s0
	s_cbranch_execz .LBB104_231
; %bb.230:
	v_mov_b32_e32 v112, v80
	v_mov_b32_e32 v113, v81
	v_mov_b32_e32 v121, v78
	v_mov_b32_e32 v122, v79
	v_mov_b32_e32 v123, v76
	v_mov_b32_e32 v124, v77
	v_mov_b32_e32 v125, v74
	v_mov_b32_e32 v126, v75
	v_mov_b32_e32 v127, v72
	v_mov_b32_e32 v128, v73
	v_mov_b32_e32 v129, v68
	v_mov_b32_e32 v130, v69
	v_mov_b32_e32 v131, v70
	v_mov_b32_e32 v132, v71
	v_mov_b32_e32 v133, v64
	v_mov_b32_e32 v134, v65
	v_mov_b32_e32 v135, v66
	v_mov_b32_e32 v136, v67
	v_mov_b32_e32 v137, v62
	v_mov_b32_e32 v138, v63
	ds_write2_b64 v118, v[112:113], v[121:122] offset0:14 offset1:15
	ds_write2_b64 v118, v[123:124], v[125:126] offset0:16 offset1:17
	ds_write2_b64 v118, v[127:128], v[129:130] offset0:18 offset1:19
	ds_write2_b64 v118, v[131:132], v[133:134] offset0:20 offset1:21
	ds_write2_b64 v118, v[135:136], v[137:138] offset0:22 offset1:23
	v_mov_b32_e32 v112, v60
	v_mov_b32_e32 v113, v61
	v_mov_b32_e32 v121, v58
	v_mov_b32_e32 v122, v59
	v_mov_b32_e32 v123, v56
	v_mov_b32_e32 v124, v57
	v_mov_b32_e32 v125, v54
	v_mov_b32_e32 v126, v55
	v_mov_b32_e32 v127, v52
	v_mov_b32_e32 v128, v53
	v_mov_b32_e32 v129, v48
	v_mov_b32_e32 v130, v49
	v_mov_b32_e32 v131, v50
	v_mov_b32_e32 v132, v51
	v_mov_b32_e32 v133, v44
	v_mov_b32_e32 v134, v45
	v_mov_b32_e32 v135, v46
	v_mov_b32_e32 v136, v47
	v_mov_b32_e32 v137, v42
	v_mov_b32_e32 v138, v43
	ds_write2_b64 v118, v[112:113], v[121:122] offset0:24 offset1:25
	ds_write2_b64 v118, v[123:124], v[125:126] offset0:26 offset1:27
	ds_write2_b64 v118, v[127:128], v[129:130] offset0:28 offset1:29
	ds_write2_b64 v118, v[131:132], v[133:134] offset0:30 offset1:31
	ds_write2_b64 v118, v[135:136], v[137:138] offset0:32 offset1:33
	;; [unrolled: 25-line block ×3, first 2 shown]
	v_mov_b32_e32 v112, v20
	v_mov_b32_e32 v113, v21
	;; [unrolled: 1-line block ×8, first 2 shown]
	ds_write2_b64 v118, v[112:113], v[121:122] offset0:44 offset1:45
	v_mov_b32_e32 v121, 13
	v_mov_b32_e32 v127, v12
	;; [unrolled: 1-line block ×9, first 2 shown]
	ds_write2_b64 v118, v[123:124], v[125:126] offset0:46 offset1:47
	ds_write2_b64 v118, v[127:128], v[129:130] offset0:48 offset1:49
	;; [unrolled: 1-line block ×3, first 2 shown]
	ds_write_b64 v118, v[110:111] offset:416
.LBB104_231:
	s_or_b32 exec_lo, exec_lo, s0
	s_mov_b32 s0, exec_lo
	s_waitcnt lgkmcnt(0)
	s_waitcnt_vscnt null, 0x0
	s_barrier
	buffer_gl0_inv
	v_cmpx_lt_i32_e32 13, v121
	s_cbranch_execz .LBB104_233
; %bb.232:
	v_mul_f64 v[82:83], v[0:1], v[82:83]
	ds_read2_b64 v[122:125], v118 offset0:14 offset1:15
	ds_read2_b64 v[126:129], v118 offset0:16 offset1:17
	;; [unrolled: 1-line block ×11, first 2 shown]
	ds_read_b64 v[0:1], v118 offset:416
	s_waitcnt lgkmcnt(11)
	v_fma_f64 v[80:81], -v[82:83], v[122:123], v[80:81]
	v_fma_f64 v[78:79], -v[82:83], v[124:125], v[78:79]
	s_waitcnt lgkmcnt(10)
	v_fma_f64 v[76:77], -v[82:83], v[126:127], v[76:77]
	v_fma_f64 v[74:75], -v[82:83], v[128:129], v[74:75]
	;; [unrolled: 3-line block ×5, first 2 shown]
	s_waitcnt lgkmcnt(6)
	v_fma_f64 v[60:61], -v[82:83], v[142:143], v[60:61]
	ds_read2_b64 v[122:125], v118 offset0:36 offset1:37
	ds_read2_b64 v[126:129], v118 offset0:38 offset1:39
	v_fma_f64 v[58:59], -v[82:83], v[144:145], v[58:59]
	s_waitcnt lgkmcnt(7)
	v_fma_f64 v[56:57], -v[82:83], v[146:147], v[56:57]
	ds_read2_b64 v[130:133], v118 offset0:40 offset1:41
	ds_read2_b64 v[134:137], v118 offset0:42 offset1:43
	v_fma_f64 v[54:55], -v[82:83], v[148:149], v[54:55]
	;; [unrolled: 5-line block ×3, first 2 shown]
	ds_read2_b64 v[146:149], v118 offset0:48 offset1:49
	ds_read2_b64 v[150:153], v118 offset0:50 offset1:51
	s_waitcnt lgkmcnt(11)
	v_fma_f64 v[50:51], -v[82:83], v[154:155], v[50:51]
	v_fma_f64 v[44:45], -v[82:83], v[156:157], v[44:45]
	s_waitcnt lgkmcnt(10)
	v_fma_f64 v[46:47], -v[82:83], v[158:159], v[46:47]
	v_fma_f64 v[42:43], -v[82:83], v[160:161], v[42:43]
	;; [unrolled: 3-line block ×3, first 2 shown]
	s_waitcnt lgkmcnt(8)
	v_fma_f64 v[110:111], -v[82:83], v[0:1], v[110:111]
	s_waitcnt lgkmcnt(7)
	v_fma_f64 v[36:37], -v[82:83], v[122:123], v[36:37]
	v_fma_f64 v[34:35], -v[82:83], v[124:125], v[34:35]
	s_waitcnt lgkmcnt(6)
	v_fma_f64 v[32:33], -v[82:83], v[126:127], v[32:33]
	;; [unrolled: 3-line block ×8, first 2 shown]
	v_fma_f64 v[6:7], -v[82:83], v[152:153], v[6:7]
.LBB104_233:
	s_or_b32 exec_lo, exec_lo, s0
	v_lshl_add_u32 v0, v121, 3, v118
	s_barrier
	buffer_gl0_inv
	v_mov_b32_e32 v112, 14
	ds_write_b64 v0, v[80:81]
	s_waitcnt lgkmcnt(0)
	s_barrier
	buffer_gl0_inv
	ds_read_b64 v[0:1], v118 offset:112
	s_cmp_lt_i32 s7, 16
	s_cbranch_scc1 .LBB104_236
; %bb.234:
	v_add3_u32 v113, v119, 0, 0x78
	v_mov_b32_e32 v112, 14
	s_mov_b32 s0, 15
.LBB104_235:                            ; =>This Inner Loop Header: Depth=1
	ds_read_b64 v[122:123], v113
	v_add_nc_u32_e32 v113, 8, v113
	s_waitcnt lgkmcnt(0)
	v_cmp_lt_f64_e64 vcc_lo, |v[0:1]|, |v[122:123]|
	v_cndmask_b32_e32 v1, v1, v123, vcc_lo
	v_cndmask_b32_e32 v0, v0, v122, vcc_lo
	v_cndmask_b32_e64 v112, v112, s0, vcc_lo
	s_add_i32 s0, s0, 1
	s_cmp_lg_u32 s7, s0
	s_cbranch_scc1 .LBB104_235
.LBB104_236:
	s_mov_b32 s0, exec_lo
	s_waitcnt lgkmcnt(0)
	v_cmpx_eq_f64_e32 0, v[0:1]
	s_xor_b32 s0, exec_lo, s0
; %bb.237:
	v_cmp_ne_u32_e32 vcc_lo, 0, v115
	v_cndmask_b32_e32 v115, 15, v115, vcc_lo
; %bb.238:
	s_andn2_saveexec_b32 s0, s0
	s_cbranch_execz .LBB104_240
; %bb.239:
	v_div_scale_f64 v[113:114], null, v[0:1], v[0:1], 1.0
	v_rcp_f64_e32 v[122:123], v[113:114]
	v_fma_f64 v[124:125], -v[113:114], v[122:123], 1.0
	v_fma_f64 v[122:123], v[122:123], v[124:125], v[122:123]
	v_fma_f64 v[124:125], -v[113:114], v[122:123], 1.0
	v_fma_f64 v[122:123], v[122:123], v[124:125], v[122:123]
	v_div_scale_f64 v[124:125], vcc_lo, 1.0, v[0:1], 1.0
	v_mul_f64 v[126:127], v[124:125], v[122:123]
	v_fma_f64 v[113:114], -v[113:114], v[126:127], v[124:125]
	v_div_fmas_f64 v[113:114], v[113:114], v[122:123], v[126:127]
	v_div_fixup_f64 v[0:1], v[113:114], v[0:1], 1.0
.LBB104_240:
	s_or_b32 exec_lo, exec_lo, s0
	s_mov_b32 s0, exec_lo
	v_cmpx_ne_u32_e64 v121, v112
	s_xor_b32 s0, exec_lo, s0
	s_cbranch_execz .LBB104_246
; %bb.241:
	s_mov_b32 s1, exec_lo
	v_cmpx_eq_u32_e32 14, v121
	s_cbranch_execz .LBB104_245
; %bb.242:
	v_cmp_ne_u32_e32 vcc_lo, 14, v112
	s_xor_b32 s2, s6, -1
	s_and_b32 s3, s2, vcc_lo
	s_and_saveexec_b32 s2, s3
	s_cbranch_execz .LBB104_244
; %bb.243:
	v_ashrrev_i32_e32 v113, 31, v112
	v_lshlrev_b64 v[113:114], 2, v[112:113]
	v_add_co_u32 v113, vcc_lo, v4, v113
	v_add_co_ci_u32_e64 v114, null, v5, v114, vcc_lo
	s_clause 0x1
	global_load_dword v120, v[113:114], off
	global_load_dword v121, v[4:5], off offset:56
	s_waitcnt vmcnt(1)
	global_store_dword v[4:5], v120, off offset:56
	s_waitcnt vmcnt(0)
	global_store_dword v[113:114], v121, off
.LBB104_244:
	s_or_b32 exec_lo, exec_lo, s2
	v_mov_b32_e32 v120, v112
	v_mov_b32_e32 v121, v112
.LBB104_245:
	s_or_b32 exec_lo, exec_lo, s1
.LBB104_246:
	s_andn2_saveexec_b32 s0, s0
	s_cbranch_execz .LBB104_248
; %bb.247:
	v_mov_b32_e32 v121, 14
	ds_write2_b64 v118, v[78:79], v[76:77] offset0:15 offset1:16
	ds_write2_b64 v118, v[74:75], v[72:73] offset0:17 offset1:18
	;; [unrolled: 1-line block ×19, first 2 shown]
.LBB104_248:
	s_or_b32 exec_lo, exec_lo, s0
	s_mov_b32 s0, exec_lo
	s_waitcnt lgkmcnt(0)
	s_waitcnt_vscnt null, 0x0
	s_barrier
	buffer_gl0_inv
	v_cmpx_lt_i32_e32 14, v121
	s_cbranch_execz .LBB104_250
; %bb.249:
	v_mul_f64 v[80:81], v[0:1], v[80:81]
	ds_read2_b64 v[122:125], v118 offset0:15 offset1:16
	ds_read2_b64 v[126:129], v118 offset0:17 offset1:18
	;; [unrolled: 1-line block ×12, first 2 shown]
	s_waitcnt lgkmcnt(11)
	v_fma_f64 v[78:79], -v[80:81], v[122:123], v[78:79]
	v_fma_f64 v[76:77], -v[80:81], v[124:125], v[76:77]
	s_waitcnt lgkmcnt(10)
	v_fma_f64 v[74:75], -v[80:81], v[126:127], v[74:75]
	v_fma_f64 v[72:73], -v[80:81], v[128:129], v[72:73]
	s_waitcnt lgkmcnt(9)
	v_fma_f64 v[68:69], -v[80:81], v[130:131], v[68:69]
	v_fma_f64 v[70:71], -v[80:81], v[132:133], v[70:71]
	s_waitcnt lgkmcnt(8)
	v_fma_f64 v[64:65], -v[80:81], v[134:135], v[64:65]
	v_fma_f64 v[66:67], -v[80:81], v[136:137], v[66:67]
	s_waitcnt lgkmcnt(7)
	v_fma_f64 v[62:63], -v[80:81], v[138:139], v[62:63]
	v_fma_f64 v[60:61], -v[80:81], v[140:141], v[60:61]
	s_waitcnt lgkmcnt(6)
	v_fma_f64 v[58:59], -v[80:81], v[142:143], v[58:59]
	ds_read2_b64 v[122:125], v118 offset0:39 offset1:40
	ds_read2_b64 v[126:129], v118 offset0:41 offset1:42
	v_fma_f64 v[56:57], -v[80:81], v[144:145], v[56:57]
	s_waitcnt lgkmcnt(7)
	v_fma_f64 v[54:55], -v[80:81], v[146:147], v[54:55]
	ds_read2_b64 v[130:133], v118 offset0:43 offset1:44
	ds_read2_b64 v[134:137], v118 offset0:45 offset1:46
	v_fma_f64 v[52:53], -v[80:81], v[148:149], v[52:53]
	ds_read2_b64 v[138:141], v118 offset0:47 offset1:48
	ds_read2_b64 v[142:145], v118 offset0:49 offset1:50
	;; [unrolled: 1-line block ×3, first 2 shown]
	s_waitcnt lgkmcnt(11)
	v_fma_f64 v[48:49], -v[80:81], v[150:151], v[48:49]
	v_fma_f64 v[50:51], -v[80:81], v[152:153], v[50:51]
	s_waitcnt lgkmcnt(10)
	v_fma_f64 v[44:45], -v[80:81], v[154:155], v[44:45]
	v_fma_f64 v[46:47], -v[80:81], v[156:157], v[46:47]
	;; [unrolled: 3-line block ×12, first 2 shown]
.LBB104_250:
	s_or_b32 exec_lo, exec_lo, s0
	v_lshl_add_u32 v0, v121, 3, v118
	s_barrier
	buffer_gl0_inv
	v_mov_b32_e32 v112, 15
	ds_write_b64 v0, v[78:79]
	s_waitcnt lgkmcnt(0)
	s_barrier
	buffer_gl0_inv
	ds_read_b64 v[0:1], v118 offset:120
	s_cmp_lt_i32 s7, 17
	s_cbranch_scc1 .LBB104_253
; %bb.251:
	v_add3_u32 v113, v119, 0, 0x80
	v_mov_b32_e32 v112, 15
	s_mov_b32 s0, 16
.LBB104_252:                            ; =>This Inner Loop Header: Depth=1
	ds_read_b64 v[122:123], v113
	v_add_nc_u32_e32 v113, 8, v113
	s_waitcnt lgkmcnt(0)
	v_cmp_lt_f64_e64 vcc_lo, |v[0:1]|, |v[122:123]|
	v_cndmask_b32_e32 v1, v1, v123, vcc_lo
	v_cndmask_b32_e32 v0, v0, v122, vcc_lo
	v_cndmask_b32_e64 v112, v112, s0, vcc_lo
	s_add_i32 s0, s0, 1
	s_cmp_lg_u32 s7, s0
	s_cbranch_scc1 .LBB104_252
.LBB104_253:
	s_mov_b32 s0, exec_lo
	s_waitcnt lgkmcnt(0)
	v_cmpx_eq_f64_e32 0, v[0:1]
	s_xor_b32 s0, exec_lo, s0
; %bb.254:
	v_cmp_ne_u32_e32 vcc_lo, 0, v115
	v_cndmask_b32_e32 v115, 16, v115, vcc_lo
; %bb.255:
	s_andn2_saveexec_b32 s0, s0
	s_cbranch_execz .LBB104_257
; %bb.256:
	v_div_scale_f64 v[113:114], null, v[0:1], v[0:1], 1.0
	v_rcp_f64_e32 v[122:123], v[113:114]
	v_fma_f64 v[124:125], -v[113:114], v[122:123], 1.0
	v_fma_f64 v[122:123], v[122:123], v[124:125], v[122:123]
	v_fma_f64 v[124:125], -v[113:114], v[122:123], 1.0
	v_fma_f64 v[122:123], v[122:123], v[124:125], v[122:123]
	v_div_scale_f64 v[124:125], vcc_lo, 1.0, v[0:1], 1.0
	v_mul_f64 v[126:127], v[124:125], v[122:123]
	v_fma_f64 v[113:114], -v[113:114], v[126:127], v[124:125]
	v_div_fmas_f64 v[113:114], v[113:114], v[122:123], v[126:127]
	v_div_fixup_f64 v[0:1], v[113:114], v[0:1], 1.0
.LBB104_257:
	s_or_b32 exec_lo, exec_lo, s0
	s_mov_b32 s0, exec_lo
	v_cmpx_ne_u32_e64 v121, v112
	s_xor_b32 s0, exec_lo, s0
	s_cbranch_execz .LBB104_263
; %bb.258:
	s_mov_b32 s1, exec_lo
	v_cmpx_eq_u32_e32 15, v121
	s_cbranch_execz .LBB104_262
; %bb.259:
	v_cmp_ne_u32_e32 vcc_lo, 15, v112
	s_xor_b32 s2, s6, -1
	s_and_b32 s3, s2, vcc_lo
	s_and_saveexec_b32 s2, s3
	s_cbranch_execz .LBB104_261
; %bb.260:
	v_ashrrev_i32_e32 v113, 31, v112
	v_lshlrev_b64 v[113:114], 2, v[112:113]
	v_add_co_u32 v113, vcc_lo, v4, v113
	v_add_co_ci_u32_e64 v114, null, v5, v114, vcc_lo
	s_clause 0x1
	global_load_dword v120, v[113:114], off
	global_load_dword v121, v[4:5], off offset:60
	s_waitcnt vmcnt(1)
	global_store_dword v[4:5], v120, off offset:60
	s_waitcnt vmcnt(0)
	global_store_dword v[113:114], v121, off
.LBB104_261:
	s_or_b32 exec_lo, exec_lo, s2
	v_mov_b32_e32 v120, v112
	v_mov_b32_e32 v121, v112
.LBB104_262:
	s_or_b32 exec_lo, exec_lo, s1
.LBB104_263:
	s_andn2_saveexec_b32 s0, s0
	s_cbranch_execz .LBB104_265
; %bb.264:
	v_mov_b32_e32 v112, v76
	v_mov_b32_e32 v113, v77
	;; [unrolled: 1-line block ×16, first 2 shown]
	ds_write2_b64 v118, v[112:113], v[121:122] offset0:16 offset1:17
	ds_write2_b64 v118, v[123:124], v[125:126] offset0:18 offset1:19
	;; [unrolled: 1-line block ×4, first 2 shown]
	v_mov_b32_e32 v112, v60
	v_mov_b32_e32 v113, v61
	;; [unrolled: 1-line block ×20, first 2 shown]
	ds_write2_b64 v118, v[112:113], v[121:122] offset0:24 offset1:25
	ds_write2_b64 v118, v[123:124], v[125:126] offset0:26 offset1:27
	;; [unrolled: 1-line block ×5, first 2 shown]
	v_mov_b32_e32 v112, v40
	v_mov_b32_e32 v113, v41
	v_mov_b32_e32 v121, v38
	v_mov_b32_e32 v122, v39
	v_mov_b32_e32 v123, v36
	v_mov_b32_e32 v124, v37
	v_mov_b32_e32 v125, v34
	v_mov_b32_e32 v126, v35
	v_mov_b32_e32 v127, v32
	v_mov_b32_e32 v128, v33
	v_mov_b32_e32 v129, v28
	v_mov_b32_e32 v130, v29
	v_mov_b32_e32 v131, v30
	v_mov_b32_e32 v132, v31
	v_mov_b32_e32 v133, v24
	v_mov_b32_e32 v134, v25
	v_mov_b32_e32 v135, v26
	v_mov_b32_e32 v136, v27
	v_mov_b32_e32 v137, v22
	v_mov_b32_e32 v138, v23
	ds_write2_b64 v118, v[112:113], v[121:122] offset0:34 offset1:35
	ds_write2_b64 v118, v[123:124], v[125:126] offset0:36 offset1:37
	;; [unrolled: 1-line block ×5, first 2 shown]
	v_mov_b32_e32 v112, v20
	v_mov_b32_e32 v113, v21
	;; [unrolled: 1-line block ×8, first 2 shown]
	ds_write2_b64 v118, v[112:113], v[121:122] offset0:44 offset1:45
	v_mov_b32_e32 v121, 15
	v_mov_b32_e32 v127, v12
	;; [unrolled: 1-line block ×9, first 2 shown]
	ds_write2_b64 v118, v[123:124], v[125:126] offset0:46 offset1:47
	ds_write2_b64 v118, v[127:128], v[129:130] offset0:48 offset1:49
	;; [unrolled: 1-line block ×3, first 2 shown]
	ds_write_b64 v118, v[110:111] offset:416
.LBB104_265:
	s_or_b32 exec_lo, exec_lo, s0
	s_mov_b32 s0, exec_lo
	s_waitcnt lgkmcnt(0)
	s_waitcnt_vscnt null, 0x0
	s_barrier
	buffer_gl0_inv
	v_cmpx_lt_i32_e32 15, v121
	s_cbranch_execz .LBB104_267
; %bb.266:
	v_mul_f64 v[78:79], v[0:1], v[78:79]
	ds_read2_b64 v[122:125], v118 offset0:16 offset1:17
	ds_read2_b64 v[126:129], v118 offset0:18 offset1:19
	;; [unrolled: 1-line block ×12, first 2 shown]
	ds_read_b64 v[0:1], v118 offset:416
	s_waitcnt lgkmcnt(12)
	v_fma_f64 v[76:77], -v[78:79], v[122:123], v[76:77]
	v_fma_f64 v[74:75], -v[78:79], v[124:125], v[74:75]
	s_waitcnt lgkmcnt(11)
	v_fma_f64 v[72:73], -v[78:79], v[126:127], v[72:73]
	v_fma_f64 v[68:69], -v[78:79], v[128:129], v[68:69]
	;; [unrolled: 3-line block ×5, first 2 shown]
	s_waitcnt lgkmcnt(7)
	v_fma_f64 v[56:57], -v[78:79], v[142:143], v[56:57]
	ds_read2_b64 v[122:125], v118 offset0:40 offset1:41
	ds_read2_b64 v[126:129], v118 offset0:42 offset1:43
	v_fma_f64 v[54:55], -v[78:79], v[144:145], v[54:55]
	ds_read2_b64 v[130:133], v118 offset0:44 offset1:45
	ds_read2_b64 v[134:137], v118 offset0:46 offset1:47
	;; [unrolled: 1-line block ×4, first 2 shown]
	s_waitcnt lgkmcnt(12)
	v_fma_f64 v[52:53], -v[78:79], v[146:147], v[52:53]
	v_fma_f64 v[48:49], -v[78:79], v[148:149], v[48:49]
	s_waitcnt lgkmcnt(11)
	v_fma_f64 v[50:51], -v[78:79], v[150:151], v[50:51]
	v_fma_f64 v[44:45], -v[78:79], v[152:153], v[44:45]
	;; [unrolled: 3-line block ×6, first 2 shown]
	s_waitcnt lgkmcnt(6)
	v_fma_f64 v[110:111], -v[78:79], v[0:1], v[110:111]
	s_waitcnt lgkmcnt(5)
	v_fma_f64 v[30:31], -v[78:79], v[122:123], v[30:31]
	v_fma_f64 v[24:25], -v[78:79], v[124:125], v[24:25]
	s_waitcnt lgkmcnt(4)
	v_fma_f64 v[26:27], -v[78:79], v[126:127], v[26:27]
	;; [unrolled: 3-line block ×6, first 2 shown]
	v_fma_f64 v[6:7], -v[78:79], v[144:145], v[6:7]
.LBB104_267:
	s_or_b32 exec_lo, exec_lo, s0
	v_lshl_add_u32 v0, v121, 3, v118
	s_barrier
	buffer_gl0_inv
	v_mov_b32_e32 v112, 16
	ds_write_b64 v0, v[76:77]
	s_waitcnt lgkmcnt(0)
	s_barrier
	buffer_gl0_inv
	ds_read_b64 v[0:1], v118 offset:128
	s_cmp_lt_i32 s7, 18
	s_cbranch_scc1 .LBB104_270
; %bb.268:
	v_add3_u32 v113, v119, 0, 0x88
	v_mov_b32_e32 v112, 16
	s_mov_b32 s0, 17
.LBB104_269:                            ; =>This Inner Loop Header: Depth=1
	ds_read_b64 v[122:123], v113
	v_add_nc_u32_e32 v113, 8, v113
	s_waitcnt lgkmcnt(0)
	v_cmp_lt_f64_e64 vcc_lo, |v[0:1]|, |v[122:123]|
	v_cndmask_b32_e32 v1, v1, v123, vcc_lo
	v_cndmask_b32_e32 v0, v0, v122, vcc_lo
	v_cndmask_b32_e64 v112, v112, s0, vcc_lo
	s_add_i32 s0, s0, 1
	s_cmp_lg_u32 s7, s0
	s_cbranch_scc1 .LBB104_269
.LBB104_270:
	s_mov_b32 s0, exec_lo
	s_waitcnt lgkmcnt(0)
	v_cmpx_eq_f64_e32 0, v[0:1]
	s_xor_b32 s0, exec_lo, s0
; %bb.271:
	v_cmp_ne_u32_e32 vcc_lo, 0, v115
	v_cndmask_b32_e32 v115, 17, v115, vcc_lo
; %bb.272:
	s_andn2_saveexec_b32 s0, s0
	s_cbranch_execz .LBB104_274
; %bb.273:
	v_div_scale_f64 v[113:114], null, v[0:1], v[0:1], 1.0
	v_rcp_f64_e32 v[122:123], v[113:114]
	v_fma_f64 v[124:125], -v[113:114], v[122:123], 1.0
	v_fma_f64 v[122:123], v[122:123], v[124:125], v[122:123]
	v_fma_f64 v[124:125], -v[113:114], v[122:123], 1.0
	v_fma_f64 v[122:123], v[122:123], v[124:125], v[122:123]
	v_div_scale_f64 v[124:125], vcc_lo, 1.0, v[0:1], 1.0
	v_mul_f64 v[126:127], v[124:125], v[122:123]
	v_fma_f64 v[113:114], -v[113:114], v[126:127], v[124:125]
	v_div_fmas_f64 v[113:114], v[113:114], v[122:123], v[126:127]
	v_div_fixup_f64 v[0:1], v[113:114], v[0:1], 1.0
.LBB104_274:
	s_or_b32 exec_lo, exec_lo, s0
	s_mov_b32 s0, exec_lo
	v_cmpx_ne_u32_e64 v121, v112
	s_xor_b32 s0, exec_lo, s0
	s_cbranch_execz .LBB104_280
; %bb.275:
	s_mov_b32 s1, exec_lo
	v_cmpx_eq_u32_e32 16, v121
	s_cbranch_execz .LBB104_279
; %bb.276:
	v_cmp_ne_u32_e32 vcc_lo, 16, v112
	s_xor_b32 s2, s6, -1
	s_and_b32 s3, s2, vcc_lo
	s_and_saveexec_b32 s2, s3
	s_cbranch_execz .LBB104_278
; %bb.277:
	v_ashrrev_i32_e32 v113, 31, v112
	v_lshlrev_b64 v[113:114], 2, v[112:113]
	v_add_co_u32 v113, vcc_lo, v4, v113
	v_add_co_ci_u32_e64 v114, null, v5, v114, vcc_lo
	s_clause 0x1
	global_load_dword v120, v[113:114], off
	global_load_dword v121, v[4:5], off offset:64
	s_waitcnt vmcnt(1)
	global_store_dword v[4:5], v120, off offset:64
	s_waitcnt vmcnt(0)
	global_store_dword v[113:114], v121, off
.LBB104_278:
	s_or_b32 exec_lo, exec_lo, s2
	v_mov_b32_e32 v120, v112
	v_mov_b32_e32 v121, v112
.LBB104_279:
	s_or_b32 exec_lo, exec_lo, s1
.LBB104_280:
	s_andn2_saveexec_b32 s0, s0
	s_cbranch_execz .LBB104_282
; %bb.281:
	v_mov_b32_e32 v121, 16
	ds_write2_b64 v118, v[74:75], v[72:73] offset0:17 offset1:18
	ds_write2_b64 v118, v[68:69], v[70:71] offset0:19 offset1:20
	ds_write2_b64 v118, v[64:65], v[66:67] offset0:21 offset1:22
	ds_write2_b64 v118, v[62:63], v[60:61] offset0:23 offset1:24
	ds_write2_b64 v118, v[58:59], v[56:57] offset0:25 offset1:26
	ds_write2_b64 v118, v[54:55], v[52:53] offset0:27 offset1:28
	ds_write2_b64 v118, v[48:49], v[50:51] offset0:29 offset1:30
	ds_write2_b64 v118, v[44:45], v[46:47] offset0:31 offset1:32
	ds_write2_b64 v118, v[42:43], v[40:41] offset0:33 offset1:34
	ds_write2_b64 v118, v[38:39], v[36:37] offset0:35 offset1:36
	ds_write2_b64 v118, v[34:35], v[32:33] offset0:37 offset1:38
	ds_write2_b64 v118, v[28:29], v[30:31] offset0:39 offset1:40
	ds_write2_b64 v118, v[24:25], v[26:27] offset0:41 offset1:42
	ds_write2_b64 v118, v[22:23], v[20:21] offset0:43 offset1:44
	ds_write2_b64 v118, v[18:19], v[16:17] offset0:45 offset1:46
	ds_write2_b64 v118, v[14:15], v[12:13] offset0:47 offset1:48
	ds_write2_b64 v118, v[8:9], v[10:11] offset0:49 offset1:50
	ds_write2_b64 v118, v[6:7], v[110:111] offset0:51 offset1:52
.LBB104_282:
	s_or_b32 exec_lo, exec_lo, s0
	s_mov_b32 s0, exec_lo
	s_waitcnt lgkmcnt(0)
	s_waitcnt_vscnt null, 0x0
	s_barrier
	buffer_gl0_inv
	v_cmpx_lt_i32_e32 16, v121
	s_cbranch_execz .LBB104_284
; %bb.283:
	v_mul_f64 v[76:77], v[0:1], v[76:77]
	ds_read2_b64 v[122:125], v118 offset0:17 offset1:18
	ds_read2_b64 v[126:129], v118 offset0:19 offset1:20
	;; [unrolled: 1-line block ×12, first 2 shown]
	s_waitcnt lgkmcnt(11)
	v_fma_f64 v[74:75], -v[76:77], v[122:123], v[74:75]
	v_fma_f64 v[72:73], -v[76:77], v[124:125], v[72:73]
	s_waitcnt lgkmcnt(10)
	v_fma_f64 v[68:69], -v[76:77], v[126:127], v[68:69]
	v_fma_f64 v[70:71], -v[76:77], v[128:129], v[70:71]
	;; [unrolled: 3-line block ×5, first 2 shown]
	ds_read2_b64 v[122:125], v118 offset0:41 offset1:42
	ds_read2_b64 v[126:129], v118 offset0:43 offset1:44
	s_waitcnt lgkmcnt(8)
	v_fma_f64 v[54:55], -v[76:77], v[142:143], v[54:55]
	v_fma_f64 v[52:53], -v[76:77], v[144:145], v[52:53]
	ds_read2_b64 v[130:133], v118 offset0:45 offset1:46
	ds_read2_b64 v[134:137], v118 offset0:47 offset1:48
	;; [unrolled: 1-line block ×4, first 2 shown]
	s_waitcnt lgkmcnt(11)
	v_fma_f64 v[48:49], -v[76:77], v[146:147], v[48:49]
	v_fma_f64 v[50:51], -v[76:77], v[148:149], v[50:51]
	s_waitcnt lgkmcnt(10)
	v_fma_f64 v[44:45], -v[76:77], v[150:151], v[44:45]
	v_fma_f64 v[46:47], -v[76:77], v[152:153], v[46:47]
	;; [unrolled: 3-line block ×12, first 2 shown]
.LBB104_284:
	s_or_b32 exec_lo, exec_lo, s0
	v_lshl_add_u32 v0, v121, 3, v118
	s_barrier
	buffer_gl0_inv
	v_mov_b32_e32 v112, 17
	ds_write_b64 v0, v[74:75]
	s_waitcnt lgkmcnt(0)
	s_barrier
	buffer_gl0_inv
	ds_read_b64 v[0:1], v118 offset:136
	s_cmp_lt_i32 s7, 19
	s_cbranch_scc1 .LBB104_287
; %bb.285:
	v_add3_u32 v113, v119, 0, 0x90
	v_mov_b32_e32 v112, 17
	s_mov_b32 s0, 18
.LBB104_286:                            ; =>This Inner Loop Header: Depth=1
	ds_read_b64 v[122:123], v113
	v_add_nc_u32_e32 v113, 8, v113
	s_waitcnt lgkmcnt(0)
	v_cmp_lt_f64_e64 vcc_lo, |v[0:1]|, |v[122:123]|
	v_cndmask_b32_e32 v1, v1, v123, vcc_lo
	v_cndmask_b32_e32 v0, v0, v122, vcc_lo
	v_cndmask_b32_e64 v112, v112, s0, vcc_lo
	s_add_i32 s0, s0, 1
	s_cmp_lg_u32 s7, s0
	s_cbranch_scc1 .LBB104_286
.LBB104_287:
	s_mov_b32 s0, exec_lo
	s_waitcnt lgkmcnt(0)
	v_cmpx_eq_f64_e32 0, v[0:1]
	s_xor_b32 s0, exec_lo, s0
; %bb.288:
	v_cmp_ne_u32_e32 vcc_lo, 0, v115
	v_cndmask_b32_e32 v115, 18, v115, vcc_lo
; %bb.289:
	s_andn2_saveexec_b32 s0, s0
	s_cbranch_execz .LBB104_291
; %bb.290:
	v_div_scale_f64 v[113:114], null, v[0:1], v[0:1], 1.0
	v_rcp_f64_e32 v[122:123], v[113:114]
	v_fma_f64 v[124:125], -v[113:114], v[122:123], 1.0
	v_fma_f64 v[122:123], v[122:123], v[124:125], v[122:123]
	v_fma_f64 v[124:125], -v[113:114], v[122:123], 1.0
	v_fma_f64 v[122:123], v[122:123], v[124:125], v[122:123]
	v_div_scale_f64 v[124:125], vcc_lo, 1.0, v[0:1], 1.0
	v_mul_f64 v[126:127], v[124:125], v[122:123]
	v_fma_f64 v[113:114], -v[113:114], v[126:127], v[124:125]
	v_div_fmas_f64 v[113:114], v[113:114], v[122:123], v[126:127]
	v_div_fixup_f64 v[0:1], v[113:114], v[0:1], 1.0
.LBB104_291:
	s_or_b32 exec_lo, exec_lo, s0
	s_mov_b32 s0, exec_lo
	v_cmpx_ne_u32_e64 v121, v112
	s_xor_b32 s0, exec_lo, s0
	s_cbranch_execz .LBB104_297
; %bb.292:
	s_mov_b32 s1, exec_lo
	v_cmpx_eq_u32_e32 17, v121
	s_cbranch_execz .LBB104_296
; %bb.293:
	v_cmp_ne_u32_e32 vcc_lo, 17, v112
	s_xor_b32 s2, s6, -1
	s_and_b32 s3, s2, vcc_lo
	s_and_saveexec_b32 s2, s3
	s_cbranch_execz .LBB104_295
; %bb.294:
	v_ashrrev_i32_e32 v113, 31, v112
	v_lshlrev_b64 v[113:114], 2, v[112:113]
	v_add_co_u32 v113, vcc_lo, v4, v113
	v_add_co_ci_u32_e64 v114, null, v5, v114, vcc_lo
	s_clause 0x1
	global_load_dword v120, v[113:114], off
	global_load_dword v121, v[4:5], off offset:68
	s_waitcnt vmcnt(1)
	global_store_dword v[4:5], v120, off offset:68
	s_waitcnt vmcnt(0)
	global_store_dword v[113:114], v121, off
.LBB104_295:
	s_or_b32 exec_lo, exec_lo, s2
	v_mov_b32_e32 v120, v112
	v_mov_b32_e32 v121, v112
.LBB104_296:
	s_or_b32 exec_lo, exec_lo, s1
.LBB104_297:
	s_andn2_saveexec_b32 s0, s0
	s_cbranch_execz .LBB104_299
; %bb.298:
	v_mov_b32_e32 v112, v72
	v_mov_b32_e32 v113, v73
	;; [unrolled: 1-line block ×12, first 2 shown]
	ds_write2_b64 v118, v[112:113], v[121:122] offset0:18 offset1:19
	ds_write2_b64 v118, v[123:124], v[125:126] offset0:20 offset1:21
	;; [unrolled: 1-line block ×3, first 2 shown]
	v_mov_b32_e32 v112, v60
	v_mov_b32_e32 v113, v61
	v_mov_b32_e32 v121, v58
	v_mov_b32_e32 v122, v59
	v_mov_b32_e32 v123, v56
	v_mov_b32_e32 v124, v57
	v_mov_b32_e32 v125, v54
	v_mov_b32_e32 v126, v55
	v_mov_b32_e32 v127, v52
	v_mov_b32_e32 v128, v53
	v_mov_b32_e32 v129, v48
	v_mov_b32_e32 v130, v49
	v_mov_b32_e32 v131, v50
	v_mov_b32_e32 v132, v51
	v_mov_b32_e32 v133, v44
	v_mov_b32_e32 v134, v45
	v_mov_b32_e32 v135, v46
	v_mov_b32_e32 v136, v47
	v_mov_b32_e32 v137, v42
	v_mov_b32_e32 v138, v43
	ds_write2_b64 v118, v[112:113], v[121:122] offset0:24 offset1:25
	ds_write2_b64 v118, v[123:124], v[125:126] offset0:26 offset1:27
	;; [unrolled: 1-line block ×5, first 2 shown]
	v_mov_b32_e32 v112, v40
	v_mov_b32_e32 v113, v41
	;; [unrolled: 1-line block ×20, first 2 shown]
	ds_write2_b64 v118, v[112:113], v[121:122] offset0:34 offset1:35
	ds_write2_b64 v118, v[123:124], v[125:126] offset0:36 offset1:37
	;; [unrolled: 1-line block ×5, first 2 shown]
	v_mov_b32_e32 v112, v20
	v_mov_b32_e32 v113, v21
	;; [unrolled: 1-line block ×8, first 2 shown]
	ds_write2_b64 v118, v[112:113], v[121:122] offset0:44 offset1:45
	v_mov_b32_e32 v121, 17
	v_mov_b32_e32 v127, v12
	;; [unrolled: 1-line block ×9, first 2 shown]
	ds_write2_b64 v118, v[123:124], v[125:126] offset0:46 offset1:47
	ds_write2_b64 v118, v[127:128], v[129:130] offset0:48 offset1:49
	;; [unrolled: 1-line block ×3, first 2 shown]
	ds_write_b64 v118, v[110:111] offset:416
.LBB104_299:
	s_or_b32 exec_lo, exec_lo, s0
	s_mov_b32 s0, exec_lo
	s_waitcnt lgkmcnt(0)
	s_waitcnt_vscnt null, 0x0
	s_barrier
	buffer_gl0_inv
	v_cmpx_lt_i32_e32 17, v121
	s_cbranch_execz .LBB104_301
; %bb.300:
	v_mul_f64 v[74:75], v[0:1], v[74:75]
	ds_read2_b64 v[122:125], v118 offset0:18 offset1:19
	ds_read2_b64 v[126:129], v118 offset0:20 offset1:21
	;; [unrolled: 1-line block ×12, first 2 shown]
	ds_read_b64 v[0:1], v118 offset:416
	s_waitcnt lgkmcnt(12)
	v_fma_f64 v[72:73], -v[74:75], v[122:123], v[72:73]
	v_fma_f64 v[68:69], -v[74:75], v[124:125], v[68:69]
	s_waitcnt lgkmcnt(11)
	v_fma_f64 v[70:71], -v[74:75], v[126:127], v[70:71]
	v_fma_f64 v[64:65], -v[74:75], v[128:129], v[64:65]
	;; [unrolled: 3-line block ×5, first 2 shown]
	ds_read2_b64 v[122:125], v118 offset0:42 offset1:43
	ds_read2_b64 v[126:129], v118 offset0:44 offset1:45
	;; [unrolled: 1-line block ×5, first 2 shown]
	s_waitcnt lgkmcnt(12)
	v_fma_f64 v[52:53], -v[74:75], v[142:143], v[52:53]
	v_fma_f64 v[48:49], -v[74:75], v[144:145], v[48:49]
	s_waitcnt lgkmcnt(11)
	v_fma_f64 v[50:51], -v[74:75], v[146:147], v[50:51]
	v_fma_f64 v[44:45], -v[74:75], v[148:149], v[44:45]
	;; [unrolled: 3-line block ×7, first 2 shown]
	s_waitcnt lgkmcnt(5)
	v_fma_f64 v[110:111], -v[74:75], v[0:1], v[110:111]
	s_waitcnt lgkmcnt(4)
	v_fma_f64 v[26:27], -v[74:75], v[122:123], v[26:27]
	v_fma_f64 v[22:23], -v[74:75], v[124:125], v[22:23]
	s_waitcnt lgkmcnt(3)
	v_fma_f64 v[20:21], -v[74:75], v[126:127], v[20:21]
	;; [unrolled: 3-line block ×5, first 2 shown]
	v_fma_f64 v[6:7], -v[74:75], v[140:141], v[6:7]
.LBB104_301:
	s_or_b32 exec_lo, exec_lo, s0
	v_lshl_add_u32 v0, v121, 3, v118
	s_barrier
	buffer_gl0_inv
	v_mov_b32_e32 v112, 18
	ds_write_b64 v0, v[72:73]
	s_waitcnt lgkmcnt(0)
	s_barrier
	buffer_gl0_inv
	ds_read_b64 v[0:1], v118 offset:144
	s_cmp_lt_i32 s7, 20
	s_cbranch_scc1 .LBB104_304
; %bb.302:
	v_add3_u32 v113, v119, 0, 0x98
	v_mov_b32_e32 v112, 18
	s_mov_b32 s0, 19
.LBB104_303:                            ; =>This Inner Loop Header: Depth=1
	ds_read_b64 v[122:123], v113
	v_add_nc_u32_e32 v113, 8, v113
	s_waitcnt lgkmcnt(0)
	v_cmp_lt_f64_e64 vcc_lo, |v[0:1]|, |v[122:123]|
	v_cndmask_b32_e32 v1, v1, v123, vcc_lo
	v_cndmask_b32_e32 v0, v0, v122, vcc_lo
	v_cndmask_b32_e64 v112, v112, s0, vcc_lo
	s_add_i32 s0, s0, 1
	s_cmp_lg_u32 s7, s0
	s_cbranch_scc1 .LBB104_303
.LBB104_304:
	s_mov_b32 s0, exec_lo
	s_waitcnt lgkmcnt(0)
	v_cmpx_eq_f64_e32 0, v[0:1]
	s_xor_b32 s0, exec_lo, s0
; %bb.305:
	v_cmp_ne_u32_e32 vcc_lo, 0, v115
	v_cndmask_b32_e32 v115, 19, v115, vcc_lo
; %bb.306:
	s_andn2_saveexec_b32 s0, s0
	s_cbranch_execz .LBB104_308
; %bb.307:
	v_div_scale_f64 v[113:114], null, v[0:1], v[0:1], 1.0
	v_rcp_f64_e32 v[122:123], v[113:114]
	v_fma_f64 v[124:125], -v[113:114], v[122:123], 1.0
	v_fma_f64 v[122:123], v[122:123], v[124:125], v[122:123]
	v_fma_f64 v[124:125], -v[113:114], v[122:123], 1.0
	v_fma_f64 v[122:123], v[122:123], v[124:125], v[122:123]
	v_div_scale_f64 v[124:125], vcc_lo, 1.0, v[0:1], 1.0
	v_mul_f64 v[126:127], v[124:125], v[122:123]
	v_fma_f64 v[113:114], -v[113:114], v[126:127], v[124:125]
	v_div_fmas_f64 v[113:114], v[113:114], v[122:123], v[126:127]
	v_div_fixup_f64 v[0:1], v[113:114], v[0:1], 1.0
.LBB104_308:
	s_or_b32 exec_lo, exec_lo, s0
	s_mov_b32 s0, exec_lo
	v_cmpx_ne_u32_e64 v121, v112
	s_xor_b32 s0, exec_lo, s0
	s_cbranch_execz .LBB104_314
; %bb.309:
	s_mov_b32 s1, exec_lo
	v_cmpx_eq_u32_e32 18, v121
	s_cbranch_execz .LBB104_313
; %bb.310:
	v_cmp_ne_u32_e32 vcc_lo, 18, v112
	s_xor_b32 s2, s6, -1
	s_and_b32 s3, s2, vcc_lo
	s_and_saveexec_b32 s2, s3
	s_cbranch_execz .LBB104_312
; %bb.311:
	v_ashrrev_i32_e32 v113, 31, v112
	v_lshlrev_b64 v[113:114], 2, v[112:113]
	v_add_co_u32 v113, vcc_lo, v4, v113
	v_add_co_ci_u32_e64 v114, null, v5, v114, vcc_lo
	s_clause 0x1
	global_load_dword v120, v[113:114], off
	global_load_dword v121, v[4:5], off offset:72
	s_waitcnt vmcnt(1)
	global_store_dword v[4:5], v120, off offset:72
	s_waitcnt vmcnt(0)
	global_store_dword v[113:114], v121, off
.LBB104_312:
	s_or_b32 exec_lo, exec_lo, s2
	v_mov_b32_e32 v120, v112
	v_mov_b32_e32 v121, v112
.LBB104_313:
	s_or_b32 exec_lo, exec_lo, s1
.LBB104_314:
	s_andn2_saveexec_b32 s0, s0
	s_cbranch_execz .LBB104_316
; %bb.315:
	v_mov_b32_e32 v121, 18
	ds_write2_b64 v118, v[68:69], v[70:71] offset0:19 offset1:20
	ds_write2_b64 v118, v[64:65], v[66:67] offset0:21 offset1:22
	ds_write2_b64 v118, v[62:63], v[60:61] offset0:23 offset1:24
	ds_write2_b64 v118, v[58:59], v[56:57] offset0:25 offset1:26
	ds_write2_b64 v118, v[54:55], v[52:53] offset0:27 offset1:28
	ds_write2_b64 v118, v[48:49], v[50:51] offset0:29 offset1:30
	ds_write2_b64 v118, v[44:45], v[46:47] offset0:31 offset1:32
	ds_write2_b64 v118, v[42:43], v[40:41] offset0:33 offset1:34
	ds_write2_b64 v118, v[38:39], v[36:37] offset0:35 offset1:36
	ds_write2_b64 v118, v[34:35], v[32:33] offset0:37 offset1:38
	ds_write2_b64 v118, v[28:29], v[30:31] offset0:39 offset1:40
	ds_write2_b64 v118, v[24:25], v[26:27] offset0:41 offset1:42
	ds_write2_b64 v118, v[22:23], v[20:21] offset0:43 offset1:44
	ds_write2_b64 v118, v[18:19], v[16:17] offset0:45 offset1:46
	ds_write2_b64 v118, v[14:15], v[12:13] offset0:47 offset1:48
	ds_write2_b64 v118, v[8:9], v[10:11] offset0:49 offset1:50
	ds_write2_b64 v118, v[6:7], v[110:111] offset0:51 offset1:52
.LBB104_316:
	s_or_b32 exec_lo, exec_lo, s0
	s_mov_b32 s0, exec_lo
	s_waitcnt lgkmcnt(0)
	s_waitcnt_vscnt null, 0x0
	s_barrier
	buffer_gl0_inv
	v_cmpx_lt_i32_e32 18, v121
	s_cbranch_execz .LBB104_318
; %bb.317:
	v_mul_f64 v[72:73], v[0:1], v[72:73]
	ds_read2_b64 v[122:125], v118 offset0:19 offset1:20
	ds_read2_b64 v[126:129], v118 offset0:21 offset1:22
	;; [unrolled: 1-line block ×13, first 2 shown]
	s_waitcnt lgkmcnt(12)
	v_fma_f64 v[68:69], -v[72:73], v[122:123], v[68:69]
	v_fma_f64 v[70:71], -v[72:73], v[124:125], v[70:71]
	s_waitcnt lgkmcnt(11)
	v_fma_f64 v[64:65], -v[72:73], v[126:127], v[64:65]
	v_fma_f64 v[66:67], -v[72:73], v[128:129], v[66:67]
	;; [unrolled: 3-line block ×4, first 2 shown]
	ds_read2_b64 v[122:125], v118 offset0:45 offset1:46
	ds_read2_b64 v[126:129], v118 offset0:47 offset1:48
	ds_read2_b64 v[130:133], v118 offset0:49 offset1:50
	ds_read2_b64 v[134:137], v118 offset0:51 offset1:52
	s_waitcnt lgkmcnt(12)
	v_fma_f64 v[54:55], -v[72:73], v[138:139], v[54:55]
	v_fma_f64 v[52:53], -v[72:73], v[140:141], v[52:53]
	s_waitcnt lgkmcnt(11)
	v_fma_f64 v[48:49], -v[72:73], v[142:143], v[48:49]
	v_fma_f64 v[50:51], -v[72:73], v[144:145], v[50:51]
	;; [unrolled: 3-line block ×13, first 2 shown]
.LBB104_318:
	s_or_b32 exec_lo, exec_lo, s0
	v_lshl_add_u32 v0, v121, 3, v118
	s_barrier
	buffer_gl0_inv
	v_mov_b32_e32 v112, 19
	ds_write_b64 v0, v[68:69]
	s_waitcnt lgkmcnt(0)
	s_barrier
	buffer_gl0_inv
	ds_read_b64 v[0:1], v118 offset:152
	s_cmp_lt_i32 s7, 21
	s_cbranch_scc1 .LBB104_321
; %bb.319:
	v_add3_u32 v113, v119, 0, 0xa0
	v_mov_b32_e32 v112, 19
	s_mov_b32 s0, 20
.LBB104_320:                            ; =>This Inner Loop Header: Depth=1
	ds_read_b64 v[122:123], v113
	v_add_nc_u32_e32 v113, 8, v113
	s_waitcnt lgkmcnt(0)
	v_cmp_lt_f64_e64 vcc_lo, |v[0:1]|, |v[122:123]|
	v_cndmask_b32_e32 v1, v1, v123, vcc_lo
	v_cndmask_b32_e32 v0, v0, v122, vcc_lo
	v_cndmask_b32_e64 v112, v112, s0, vcc_lo
	s_add_i32 s0, s0, 1
	s_cmp_lg_u32 s7, s0
	s_cbranch_scc1 .LBB104_320
.LBB104_321:
	s_mov_b32 s0, exec_lo
	s_waitcnt lgkmcnt(0)
	v_cmpx_eq_f64_e32 0, v[0:1]
	s_xor_b32 s0, exec_lo, s0
; %bb.322:
	v_cmp_ne_u32_e32 vcc_lo, 0, v115
	v_cndmask_b32_e32 v115, 20, v115, vcc_lo
; %bb.323:
	s_andn2_saveexec_b32 s0, s0
	s_cbranch_execz .LBB104_325
; %bb.324:
	v_div_scale_f64 v[113:114], null, v[0:1], v[0:1], 1.0
	v_rcp_f64_e32 v[122:123], v[113:114]
	v_fma_f64 v[124:125], -v[113:114], v[122:123], 1.0
	v_fma_f64 v[122:123], v[122:123], v[124:125], v[122:123]
	v_fma_f64 v[124:125], -v[113:114], v[122:123], 1.0
	v_fma_f64 v[122:123], v[122:123], v[124:125], v[122:123]
	v_div_scale_f64 v[124:125], vcc_lo, 1.0, v[0:1], 1.0
	v_mul_f64 v[126:127], v[124:125], v[122:123]
	v_fma_f64 v[113:114], -v[113:114], v[126:127], v[124:125]
	v_div_fmas_f64 v[113:114], v[113:114], v[122:123], v[126:127]
	v_div_fixup_f64 v[0:1], v[113:114], v[0:1], 1.0
.LBB104_325:
	s_or_b32 exec_lo, exec_lo, s0
	s_mov_b32 s0, exec_lo
	v_cmpx_ne_u32_e64 v121, v112
	s_xor_b32 s0, exec_lo, s0
	s_cbranch_execz .LBB104_331
; %bb.326:
	s_mov_b32 s1, exec_lo
	v_cmpx_eq_u32_e32 19, v121
	s_cbranch_execz .LBB104_330
; %bb.327:
	v_cmp_ne_u32_e32 vcc_lo, 19, v112
	s_xor_b32 s2, s6, -1
	s_and_b32 s3, s2, vcc_lo
	s_and_saveexec_b32 s2, s3
	s_cbranch_execz .LBB104_329
; %bb.328:
	v_ashrrev_i32_e32 v113, 31, v112
	v_lshlrev_b64 v[113:114], 2, v[112:113]
	v_add_co_u32 v113, vcc_lo, v4, v113
	v_add_co_ci_u32_e64 v114, null, v5, v114, vcc_lo
	s_clause 0x1
	global_load_dword v120, v[113:114], off
	global_load_dword v121, v[4:5], off offset:76
	s_waitcnt vmcnt(1)
	global_store_dword v[4:5], v120, off offset:76
	s_waitcnt vmcnt(0)
	global_store_dword v[113:114], v121, off
.LBB104_329:
	s_or_b32 exec_lo, exec_lo, s2
	v_mov_b32_e32 v120, v112
	v_mov_b32_e32 v121, v112
.LBB104_330:
	s_or_b32 exec_lo, exec_lo, s1
.LBB104_331:
	s_andn2_saveexec_b32 s0, s0
	s_cbranch_execz .LBB104_333
; %bb.332:
	v_mov_b32_e32 v112, v70
	v_mov_b32_e32 v113, v71
	v_mov_b32_e32 v121, v64
	v_mov_b32_e32 v122, v65
	v_mov_b32_e32 v123, v66
	v_mov_b32_e32 v124, v67
	v_mov_b32_e32 v125, v62
	v_mov_b32_e32 v126, v63
	ds_write2_b64 v118, v[112:113], v[121:122] offset0:20 offset1:21
	ds_write2_b64 v118, v[123:124], v[125:126] offset0:22 offset1:23
	v_mov_b32_e32 v112, v60
	v_mov_b32_e32 v113, v61
	;; [unrolled: 1-line block ×20, first 2 shown]
	ds_write2_b64 v118, v[112:113], v[121:122] offset0:24 offset1:25
	ds_write2_b64 v118, v[123:124], v[125:126] offset0:26 offset1:27
	;; [unrolled: 1-line block ×5, first 2 shown]
	v_mov_b32_e32 v112, v40
	v_mov_b32_e32 v113, v41
	;; [unrolled: 1-line block ×20, first 2 shown]
	ds_write2_b64 v118, v[112:113], v[121:122] offset0:34 offset1:35
	ds_write2_b64 v118, v[123:124], v[125:126] offset0:36 offset1:37
	;; [unrolled: 1-line block ×5, first 2 shown]
	v_mov_b32_e32 v112, v20
	v_mov_b32_e32 v113, v21
	;; [unrolled: 1-line block ×8, first 2 shown]
	ds_write2_b64 v118, v[112:113], v[121:122] offset0:44 offset1:45
	v_mov_b32_e32 v121, 19
	v_mov_b32_e32 v127, v12
	;; [unrolled: 1-line block ×9, first 2 shown]
	ds_write2_b64 v118, v[123:124], v[125:126] offset0:46 offset1:47
	ds_write2_b64 v118, v[127:128], v[129:130] offset0:48 offset1:49
	;; [unrolled: 1-line block ×3, first 2 shown]
	ds_write_b64 v118, v[110:111] offset:416
.LBB104_333:
	s_or_b32 exec_lo, exec_lo, s0
	s_mov_b32 s0, exec_lo
	s_waitcnt lgkmcnt(0)
	s_waitcnt_vscnt null, 0x0
	s_barrier
	buffer_gl0_inv
	v_cmpx_lt_i32_e32 19, v121
	s_cbranch_execz .LBB104_335
; %bb.334:
	v_mul_f64 v[68:69], v[0:1], v[68:69]
	ds_read2_b64 v[122:125], v118 offset0:20 offset1:21
	ds_read2_b64 v[126:129], v118 offset0:22 offset1:23
	ds_read2_b64 v[130:133], v118 offset0:24 offset1:25
	ds_read2_b64 v[134:137], v118 offset0:26 offset1:27
	ds_read2_b64 v[138:141], v118 offset0:28 offset1:29
	ds_read2_b64 v[142:145], v118 offset0:30 offset1:31
	ds_read2_b64 v[146:149], v118 offset0:32 offset1:33
	ds_read2_b64 v[150:153], v118 offset0:34 offset1:35
	ds_read2_b64 v[154:157], v118 offset0:36 offset1:37
	ds_read2_b64 v[158:161], v118 offset0:38 offset1:39
	ds_read2_b64 v[162:165], v118 offset0:40 offset1:41
	ds_read2_b64 v[166:169], v118 offset0:42 offset1:43
	ds_read2_b64 v[170:173], v118 offset0:44 offset1:45
	ds_read_b64 v[0:1], v118 offset:416
	s_waitcnt lgkmcnt(13)
	v_fma_f64 v[70:71], -v[68:69], v[122:123], v[70:71]
	v_fma_f64 v[64:65], -v[68:69], v[124:125], v[64:65]
	s_waitcnt lgkmcnt(12)
	v_fma_f64 v[66:67], -v[68:69], v[126:127], v[66:67]
	v_fma_f64 v[62:63], -v[68:69], v[128:129], v[62:63]
	;; [unrolled: 3-line block ×3, first 2 shown]
	ds_read2_b64 v[122:125], v118 offset0:46 offset1:47
	ds_read2_b64 v[126:129], v118 offset0:48 offset1:49
	ds_read2_b64 v[130:133], v118 offset0:50 offset1:51
	s_waitcnt lgkmcnt(13)
	v_fma_f64 v[56:57], -v[68:69], v[134:135], v[56:57]
	v_fma_f64 v[54:55], -v[68:69], v[136:137], v[54:55]
	s_waitcnt lgkmcnt(12)
	v_fma_f64 v[52:53], -v[68:69], v[138:139], v[52:53]
	v_fma_f64 v[48:49], -v[68:69], v[140:141], v[48:49]
	s_waitcnt lgkmcnt(11)
	v_fma_f64 v[50:51], -v[68:69], v[142:143], v[50:51]
	v_fma_f64 v[44:45], -v[68:69], v[144:145], v[44:45]
	s_waitcnt lgkmcnt(10)
	v_fma_f64 v[46:47], -v[68:69], v[146:147], v[46:47]
	v_fma_f64 v[42:43], -v[68:69], v[148:149], v[42:43]
	s_waitcnt lgkmcnt(9)
	v_fma_f64 v[40:41], -v[68:69], v[150:151], v[40:41]
	v_fma_f64 v[38:39], -v[68:69], v[152:153], v[38:39]
	s_waitcnt lgkmcnt(8)
	v_fma_f64 v[36:37], -v[68:69], v[154:155], v[36:37]
	v_fma_f64 v[34:35], -v[68:69], v[156:157], v[34:35]
	s_waitcnt lgkmcnt(7)
	v_fma_f64 v[32:33], -v[68:69], v[158:159], v[32:33]
	v_fma_f64 v[28:29], -v[68:69], v[160:161], v[28:29]
	s_waitcnt lgkmcnt(6)
	v_fma_f64 v[30:31], -v[68:69], v[162:163], v[30:31]
	v_fma_f64 v[24:25], -v[68:69], v[164:165], v[24:25]
	s_waitcnt lgkmcnt(5)
	v_fma_f64 v[26:27], -v[68:69], v[166:167], v[26:27]
	v_fma_f64 v[22:23], -v[68:69], v[168:169], v[22:23]
	s_waitcnt lgkmcnt(4)
	v_fma_f64 v[20:21], -v[68:69], v[170:171], v[20:21]
	v_fma_f64 v[18:19], -v[68:69], v[172:173], v[18:19]
	s_waitcnt lgkmcnt(2)
	v_fma_f64 v[16:17], -v[68:69], v[122:123], v[16:17]
	v_fma_f64 v[14:15], -v[68:69], v[124:125], v[14:15]
	s_waitcnt lgkmcnt(1)
	v_fma_f64 v[12:13], -v[68:69], v[126:127], v[12:13]
	v_fma_f64 v[8:9], -v[68:69], v[128:129], v[8:9]
	s_waitcnt lgkmcnt(0)
	v_fma_f64 v[10:11], -v[68:69], v[130:131], v[10:11]
	v_fma_f64 v[6:7], -v[68:69], v[132:133], v[6:7]
	v_fma_f64 v[110:111], -v[68:69], v[0:1], v[110:111]
.LBB104_335:
	s_or_b32 exec_lo, exec_lo, s0
	v_lshl_add_u32 v0, v121, 3, v118
	s_barrier
	buffer_gl0_inv
	v_mov_b32_e32 v112, 20
	ds_write_b64 v0, v[70:71]
	s_waitcnt lgkmcnt(0)
	s_barrier
	buffer_gl0_inv
	ds_read_b64 v[0:1], v118 offset:160
	s_cmp_lt_i32 s7, 22
	s_cbranch_scc1 .LBB104_338
; %bb.336:
	v_add3_u32 v113, v119, 0, 0xa8
	v_mov_b32_e32 v112, 20
	s_mov_b32 s0, 21
.LBB104_337:                            ; =>This Inner Loop Header: Depth=1
	ds_read_b64 v[122:123], v113
	v_add_nc_u32_e32 v113, 8, v113
	s_waitcnt lgkmcnt(0)
	v_cmp_lt_f64_e64 vcc_lo, |v[0:1]|, |v[122:123]|
	v_cndmask_b32_e32 v1, v1, v123, vcc_lo
	v_cndmask_b32_e32 v0, v0, v122, vcc_lo
	v_cndmask_b32_e64 v112, v112, s0, vcc_lo
	s_add_i32 s0, s0, 1
	s_cmp_lg_u32 s7, s0
	s_cbranch_scc1 .LBB104_337
.LBB104_338:
	s_mov_b32 s0, exec_lo
	s_waitcnt lgkmcnt(0)
	v_cmpx_eq_f64_e32 0, v[0:1]
	s_xor_b32 s0, exec_lo, s0
; %bb.339:
	v_cmp_ne_u32_e32 vcc_lo, 0, v115
	v_cndmask_b32_e32 v115, 21, v115, vcc_lo
; %bb.340:
	s_andn2_saveexec_b32 s0, s0
	s_cbranch_execz .LBB104_342
; %bb.341:
	v_div_scale_f64 v[113:114], null, v[0:1], v[0:1], 1.0
	v_rcp_f64_e32 v[122:123], v[113:114]
	v_fma_f64 v[124:125], -v[113:114], v[122:123], 1.0
	v_fma_f64 v[122:123], v[122:123], v[124:125], v[122:123]
	v_fma_f64 v[124:125], -v[113:114], v[122:123], 1.0
	v_fma_f64 v[122:123], v[122:123], v[124:125], v[122:123]
	v_div_scale_f64 v[124:125], vcc_lo, 1.0, v[0:1], 1.0
	v_mul_f64 v[126:127], v[124:125], v[122:123]
	v_fma_f64 v[113:114], -v[113:114], v[126:127], v[124:125]
	v_div_fmas_f64 v[113:114], v[113:114], v[122:123], v[126:127]
	v_div_fixup_f64 v[0:1], v[113:114], v[0:1], 1.0
.LBB104_342:
	s_or_b32 exec_lo, exec_lo, s0
	s_mov_b32 s0, exec_lo
	v_cmpx_ne_u32_e64 v121, v112
	s_xor_b32 s0, exec_lo, s0
	s_cbranch_execz .LBB104_348
; %bb.343:
	s_mov_b32 s1, exec_lo
	v_cmpx_eq_u32_e32 20, v121
	s_cbranch_execz .LBB104_347
; %bb.344:
	v_cmp_ne_u32_e32 vcc_lo, 20, v112
	s_xor_b32 s2, s6, -1
	s_and_b32 s3, s2, vcc_lo
	s_and_saveexec_b32 s2, s3
	s_cbranch_execz .LBB104_346
; %bb.345:
	v_ashrrev_i32_e32 v113, 31, v112
	v_lshlrev_b64 v[113:114], 2, v[112:113]
	v_add_co_u32 v113, vcc_lo, v4, v113
	v_add_co_ci_u32_e64 v114, null, v5, v114, vcc_lo
	s_clause 0x1
	global_load_dword v120, v[113:114], off
	global_load_dword v121, v[4:5], off offset:80
	s_waitcnt vmcnt(1)
	global_store_dword v[4:5], v120, off offset:80
	s_waitcnt vmcnt(0)
	global_store_dword v[113:114], v121, off
.LBB104_346:
	s_or_b32 exec_lo, exec_lo, s2
	v_mov_b32_e32 v120, v112
	v_mov_b32_e32 v121, v112
.LBB104_347:
	s_or_b32 exec_lo, exec_lo, s1
.LBB104_348:
	s_andn2_saveexec_b32 s0, s0
	s_cbranch_execz .LBB104_350
; %bb.349:
	v_mov_b32_e32 v121, 20
	ds_write2_b64 v118, v[64:65], v[66:67] offset0:21 offset1:22
	ds_write2_b64 v118, v[62:63], v[60:61] offset0:23 offset1:24
	;; [unrolled: 1-line block ×16, first 2 shown]
.LBB104_350:
	s_or_b32 exec_lo, exec_lo, s0
	s_mov_b32 s0, exec_lo
	s_waitcnt lgkmcnt(0)
	s_waitcnt_vscnt null, 0x0
	s_barrier
	buffer_gl0_inv
	v_cmpx_lt_i32_e32 20, v121
	s_cbranch_execz .LBB104_352
; %bb.351:
	v_mul_f64 v[70:71], v[0:1], v[70:71]
	ds_read2_b64 v[122:125], v118 offset0:21 offset1:22
	ds_read2_b64 v[126:129], v118 offset0:23 offset1:24
	;; [unrolled: 1-line block ×13, first 2 shown]
	s_waitcnt lgkmcnt(12)
	v_fma_f64 v[64:65], -v[70:71], v[122:123], v[64:65]
	v_fma_f64 v[66:67], -v[70:71], v[124:125], v[66:67]
	s_waitcnt lgkmcnt(11)
	v_fma_f64 v[62:63], -v[70:71], v[126:127], v[62:63]
	v_fma_f64 v[60:61], -v[70:71], v[128:129], v[60:61]
	;; [unrolled: 3-line block ×3, first 2 shown]
	ds_read2_b64 v[122:125], v118 offset0:47 offset1:48
	ds_read2_b64 v[126:129], v118 offset0:49 offset1:50
	;; [unrolled: 1-line block ×3, first 2 shown]
	s_waitcnt lgkmcnt(12)
	v_fma_f64 v[54:55], -v[70:71], v[134:135], v[54:55]
	v_fma_f64 v[52:53], -v[70:71], v[136:137], v[52:53]
	s_waitcnt lgkmcnt(11)
	v_fma_f64 v[48:49], -v[70:71], v[138:139], v[48:49]
	v_fma_f64 v[50:51], -v[70:71], v[140:141], v[50:51]
	;; [unrolled: 3-line block ×13, first 2 shown]
.LBB104_352:
	s_or_b32 exec_lo, exec_lo, s0
	v_lshl_add_u32 v0, v121, 3, v118
	s_barrier
	buffer_gl0_inv
	v_mov_b32_e32 v112, 21
	ds_write_b64 v0, v[64:65]
	s_waitcnt lgkmcnt(0)
	s_barrier
	buffer_gl0_inv
	ds_read_b64 v[0:1], v118 offset:168
	s_cmp_lt_i32 s7, 23
	s_cbranch_scc1 .LBB104_355
; %bb.353:
	v_add3_u32 v113, v119, 0, 0xb0
	v_mov_b32_e32 v112, 21
	s_mov_b32 s0, 22
.LBB104_354:                            ; =>This Inner Loop Header: Depth=1
	ds_read_b64 v[122:123], v113
	v_add_nc_u32_e32 v113, 8, v113
	s_waitcnt lgkmcnt(0)
	v_cmp_lt_f64_e64 vcc_lo, |v[0:1]|, |v[122:123]|
	v_cndmask_b32_e32 v1, v1, v123, vcc_lo
	v_cndmask_b32_e32 v0, v0, v122, vcc_lo
	v_cndmask_b32_e64 v112, v112, s0, vcc_lo
	s_add_i32 s0, s0, 1
	s_cmp_lg_u32 s7, s0
	s_cbranch_scc1 .LBB104_354
.LBB104_355:
	s_mov_b32 s0, exec_lo
	s_waitcnt lgkmcnt(0)
	v_cmpx_eq_f64_e32 0, v[0:1]
	s_xor_b32 s0, exec_lo, s0
; %bb.356:
	v_cmp_ne_u32_e32 vcc_lo, 0, v115
	v_cndmask_b32_e32 v115, 22, v115, vcc_lo
; %bb.357:
	s_andn2_saveexec_b32 s0, s0
	s_cbranch_execz .LBB104_359
; %bb.358:
	v_div_scale_f64 v[113:114], null, v[0:1], v[0:1], 1.0
	v_rcp_f64_e32 v[122:123], v[113:114]
	v_fma_f64 v[124:125], -v[113:114], v[122:123], 1.0
	v_fma_f64 v[122:123], v[122:123], v[124:125], v[122:123]
	v_fma_f64 v[124:125], -v[113:114], v[122:123], 1.0
	v_fma_f64 v[122:123], v[122:123], v[124:125], v[122:123]
	v_div_scale_f64 v[124:125], vcc_lo, 1.0, v[0:1], 1.0
	v_mul_f64 v[126:127], v[124:125], v[122:123]
	v_fma_f64 v[113:114], -v[113:114], v[126:127], v[124:125]
	v_div_fmas_f64 v[113:114], v[113:114], v[122:123], v[126:127]
	v_div_fixup_f64 v[0:1], v[113:114], v[0:1], 1.0
.LBB104_359:
	s_or_b32 exec_lo, exec_lo, s0
	s_mov_b32 s0, exec_lo
	v_cmpx_ne_u32_e64 v121, v112
	s_xor_b32 s0, exec_lo, s0
	s_cbranch_execz .LBB104_365
; %bb.360:
	s_mov_b32 s1, exec_lo
	v_cmpx_eq_u32_e32 21, v121
	s_cbranch_execz .LBB104_364
; %bb.361:
	v_cmp_ne_u32_e32 vcc_lo, 21, v112
	s_xor_b32 s2, s6, -1
	s_and_b32 s3, s2, vcc_lo
	s_and_saveexec_b32 s2, s3
	s_cbranch_execz .LBB104_363
; %bb.362:
	v_ashrrev_i32_e32 v113, 31, v112
	v_lshlrev_b64 v[113:114], 2, v[112:113]
	v_add_co_u32 v113, vcc_lo, v4, v113
	v_add_co_ci_u32_e64 v114, null, v5, v114, vcc_lo
	s_clause 0x1
	global_load_dword v120, v[113:114], off
	global_load_dword v121, v[4:5], off offset:84
	s_waitcnt vmcnt(1)
	global_store_dword v[4:5], v120, off offset:84
	s_waitcnt vmcnt(0)
	global_store_dword v[113:114], v121, off
.LBB104_363:
	s_or_b32 exec_lo, exec_lo, s2
	v_mov_b32_e32 v120, v112
	v_mov_b32_e32 v121, v112
.LBB104_364:
	s_or_b32 exec_lo, exec_lo, s1
.LBB104_365:
	s_andn2_saveexec_b32 s0, s0
	s_cbranch_execz .LBB104_367
; %bb.366:
	v_mov_b32_e32 v112, v66
	v_mov_b32_e32 v113, v67
	;; [unrolled: 1-line block ×8, first 2 shown]
	ds_write2_b64 v118, v[112:113], v[121:122] offset0:22 offset1:23
	v_mov_b32_e32 v112, v58
	v_mov_b32_e32 v113, v59
	;; [unrolled: 1-line block ×16, first 2 shown]
	ds_write2_b64 v118, v[123:124], v[112:113] offset0:24 offset1:25
	ds_write2_b64 v118, v[121:122], v[125:126] offset0:26 offset1:27
	;; [unrolled: 1-line block ×5, first 2 shown]
	v_mov_b32_e32 v112, v40
	v_mov_b32_e32 v113, v41
	;; [unrolled: 1-line block ×20, first 2 shown]
	ds_write2_b64 v118, v[112:113], v[121:122] offset0:34 offset1:35
	ds_write2_b64 v118, v[123:124], v[125:126] offset0:36 offset1:37
	;; [unrolled: 1-line block ×5, first 2 shown]
	v_mov_b32_e32 v112, v20
	v_mov_b32_e32 v113, v21
	;; [unrolled: 1-line block ×8, first 2 shown]
	ds_write2_b64 v118, v[112:113], v[121:122] offset0:44 offset1:45
	v_mov_b32_e32 v121, 21
	v_mov_b32_e32 v127, v12
	;; [unrolled: 1-line block ×9, first 2 shown]
	ds_write2_b64 v118, v[123:124], v[125:126] offset0:46 offset1:47
	ds_write2_b64 v118, v[127:128], v[129:130] offset0:48 offset1:49
	;; [unrolled: 1-line block ×3, first 2 shown]
	ds_write_b64 v118, v[110:111] offset:416
.LBB104_367:
	s_or_b32 exec_lo, exec_lo, s0
	s_mov_b32 s0, exec_lo
	s_waitcnt lgkmcnt(0)
	s_waitcnt_vscnt null, 0x0
	s_barrier
	buffer_gl0_inv
	v_cmpx_lt_i32_e32 21, v121
	s_cbranch_execz .LBB104_369
; %bb.368:
	v_mul_f64 v[64:65], v[0:1], v[64:65]
	ds_read2_b64 v[122:125], v118 offset0:22 offset1:23
	ds_read2_b64 v[126:129], v118 offset0:24 offset1:25
	;; [unrolled: 1-line block ×13, first 2 shown]
	ds_read_b64 v[0:1], v118 offset:416
	s_waitcnt lgkmcnt(13)
	v_fma_f64 v[66:67], -v[64:65], v[122:123], v[66:67]
	v_fma_f64 v[62:63], -v[64:65], v[124:125], v[62:63]
	s_waitcnt lgkmcnt(12)
	v_fma_f64 v[60:61], -v[64:65], v[126:127], v[60:61]
	v_fma_f64 v[58:59], -v[64:65], v[128:129], v[58:59]
	ds_read2_b64 v[122:125], v118 offset0:48 offset1:49
	ds_read2_b64 v[126:129], v118 offset0:50 offset1:51
	s_waitcnt lgkmcnt(13)
	v_fma_f64 v[56:57], -v[64:65], v[130:131], v[56:57]
	v_fma_f64 v[54:55], -v[64:65], v[132:133], v[54:55]
	s_waitcnt lgkmcnt(12)
	v_fma_f64 v[52:53], -v[64:65], v[134:135], v[52:53]
	v_fma_f64 v[48:49], -v[64:65], v[136:137], v[48:49]
	;; [unrolled: 3-line block ×13, first 2 shown]
	v_fma_f64 v[110:111], -v[64:65], v[0:1], v[110:111]
.LBB104_369:
	s_or_b32 exec_lo, exec_lo, s0
	v_lshl_add_u32 v0, v121, 3, v118
	s_barrier
	buffer_gl0_inv
	v_mov_b32_e32 v112, 22
	ds_write_b64 v0, v[66:67]
	s_waitcnt lgkmcnt(0)
	s_barrier
	buffer_gl0_inv
	ds_read_b64 v[0:1], v118 offset:176
	s_cmp_lt_i32 s7, 24
	s_cbranch_scc1 .LBB104_372
; %bb.370:
	v_add3_u32 v113, v119, 0, 0xb8
	v_mov_b32_e32 v112, 22
	s_mov_b32 s0, 23
.LBB104_371:                            ; =>This Inner Loop Header: Depth=1
	ds_read_b64 v[122:123], v113
	v_add_nc_u32_e32 v113, 8, v113
	s_waitcnt lgkmcnt(0)
	v_cmp_lt_f64_e64 vcc_lo, |v[0:1]|, |v[122:123]|
	v_cndmask_b32_e32 v1, v1, v123, vcc_lo
	v_cndmask_b32_e32 v0, v0, v122, vcc_lo
	v_cndmask_b32_e64 v112, v112, s0, vcc_lo
	s_add_i32 s0, s0, 1
	s_cmp_lg_u32 s7, s0
	s_cbranch_scc1 .LBB104_371
.LBB104_372:
	s_mov_b32 s0, exec_lo
	s_waitcnt lgkmcnt(0)
	v_cmpx_eq_f64_e32 0, v[0:1]
	s_xor_b32 s0, exec_lo, s0
; %bb.373:
	v_cmp_ne_u32_e32 vcc_lo, 0, v115
	v_cndmask_b32_e32 v115, 23, v115, vcc_lo
; %bb.374:
	s_andn2_saveexec_b32 s0, s0
	s_cbranch_execz .LBB104_376
; %bb.375:
	v_div_scale_f64 v[113:114], null, v[0:1], v[0:1], 1.0
	v_rcp_f64_e32 v[122:123], v[113:114]
	v_fma_f64 v[124:125], -v[113:114], v[122:123], 1.0
	v_fma_f64 v[122:123], v[122:123], v[124:125], v[122:123]
	v_fma_f64 v[124:125], -v[113:114], v[122:123], 1.0
	v_fma_f64 v[122:123], v[122:123], v[124:125], v[122:123]
	v_div_scale_f64 v[124:125], vcc_lo, 1.0, v[0:1], 1.0
	v_mul_f64 v[126:127], v[124:125], v[122:123]
	v_fma_f64 v[113:114], -v[113:114], v[126:127], v[124:125]
	v_div_fmas_f64 v[113:114], v[113:114], v[122:123], v[126:127]
	v_div_fixup_f64 v[0:1], v[113:114], v[0:1], 1.0
.LBB104_376:
	s_or_b32 exec_lo, exec_lo, s0
	s_mov_b32 s0, exec_lo
	v_cmpx_ne_u32_e64 v121, v112
	s_xor_b32 s0, exec_lo, s0
	s_cbranch_execz .LBB104_382
; %bb.377:
	s_mov_b32 s1, exec_lo
	v_cmpx_eq_u32_e32 22, v121
	s_cbranch_execz .LBB104_381
; %bb.378:
	v_cmp_ne_u32_e32 vcc_lo, 22, v112
	s_xor_b32 s2, s6, -1
	s_and_b32 s3, s2, vcc_lo
	s_and_saveexec_b32 s2, s3
	s_cbranch_execz .LBB104_380
; %bb.379:
	v_ashrrev_i32_e32 v113, 31, v112
	v_lshlrev_b64 v[113:114], 2, v[112:113]
	v_add_co_u32 v113, vcc_lo, v4, v113
	v_add_co_ci_u32_e64 v114, null, v5, v114, vcc_lo
	s_clause 0x1
	global_load_dword v120, v[113:114], off
	global_load_dword v121, v[4:5], off offset:88
	s_waitcnt vmcnt(1)
	global_store_dword v[4:5], v120, off offset:88
	s_waitcnt vmcnt(0)
	global_store_dword v[113:114], v121, off
.LBB104_380:
	s_or_b32 exec_lo, exec_lo, s2
	v_mov_b32_e32 v120, v112
	v_mov_b32_e32 v121, v112
.LBB104_381:
	s_or_b32 exec_lo, exec_lo, s1
.LBB104_382:
	s_andn2_saveexec_b32 s0, s0
	s_cbranch_execz .LBB104_384
; %bb.383:
	v_mov_b32_e32 v121, 22
	ds_write2_b64 v118, v[62:63], v[60:61] offset0:23 offset1:24
	ds_write2_b64 v118, v[58:59], v[56:57] offset0:25 offset1:26
	ds_write2_b64 v118, v[54:55], v[52:53] offset0:27 offset1:28
	ds_write2_b64 v118, v[48:49], v[50:51] offset0:29 offset1:30
	ds_write2_b64 v118, v[44:45], v[46:47] offset0:31 offset1:32
	ds_write2_b64 v118, v[42:43], v[40:41] offset0:33 offset1:34
	ds_write2_b64 v118, v[38:39], v[36:37] offset0:35 offset1:36
	ds_write2_b64 v118, v[34:35], v[32:33] offset0:37 offset1:38
	ds_write2_b64 v118, v[28:29], v[30:31] offset0:39 offset1:40
	ds_write2_b64 v118, v[24:25], v[26:27] offset0:41 offset1:42
	ds_write2_b64 v118, v[22:23], v[20:21] offset0:43 offset1:44
	ds_write2_b64 v118, v[18:19], v[16:17] offset0:45 offset1:46
	ds_write2_b64 v118, v[14:15], v[12:13] offset0:47 offset1:48
	ds_write2_b64 v118, v[8:9], v[10:11] offset0:49 offset1:50
	ds_write2_b64 v118, v[6:7], v[110:111] offset0:51 offset1:52
.LBB104_384:
	s_or_b32 exec_lo, exec_lo, s0
	s_mov_b32 s0, exec_lo
	s_waitcnt lgkmcnt(0)
	s_waitcnt_vscnt null, 0x0
	s_barrier
	buffer_gl0_inv
	v_cmpx_lt_i32_e32 22, v121
	s_cbranch_execz .LBB104_386
; %bb.385:
	v_mul_f64 v[66:67], v[0:1], v[66:67]
	ds_read2_b64 v[122:125], v118 offset0:23 offset1:24
	ds_read2_b64 v[126:129], v118 offset0:25 offset1:26
	;; [unrolled: 1-line block ×14, first 2 shown]
	s_waitcnt lgkmcnt(13)
	v_fma_f64 v[62:63], -v[66:67], v[122:123], v[62:63]
	v_fma_f64 v[60:61], -v[66:67], v[124:125], v[60:61]
	ds_read2_b64 v[122:125], v118 offset0:51 offset1:52
	s_waitcnt lgkmcnt(13)
	v_fma_f64 v[58:59], -v[66:67], v[126:127], v[58:59]
	v_fma_f64 v[56:57], -v[66:67], v[128:129], v[56:57]
	s_waitcnt lgkmcnt(12)
	v_fma_f64 v[54:55], -v[66:67], v[130:131], v[54:55]
	v_fma_f64 v[52:53], -v[66:67], v[132:133], v[52:53]
	;; [unrolled: 3-line block ×14, first 2 shown]
.LBB104_386:
	s_or_b32 exec_lo, exec_lo, s0
	v_lshl_add_u32 v0, v121, 3, v118
	s_barrier
	buffer_gl0_inv
	v_mov_b32_e32 v112, 23
	ds_write_b64 v0, v[62:63]
	s_waitcnt lgkmcnt(0)
	s_barrier
	buffer_gl0_inv
	ds_read_b64 v[0:1], v118 offset:184
	s_cmp_lt_i32 s7, 25
	s_cbranch_scc1 .LBB104_389
; %bb.387:
	v_add3_u32 v113, v119, 0, 0xc0
	v_mov_b32_e32 v112, 23
	s_mov_b32 s0, 24
.LBB104_388:                            ; =>This Inner Loop Header: Depth=1
	ds_read_b64 v[122:123], v113
	v_add_nc_u32_e32 v113, 8, v113
	s_waitcnt lgkmcnt(0)
	v_cmp_lt_f64_e64 vcc_lo, |v[0:1]|, |v[122:123]|
	v_cndmask_b32_e32 v1, v1, v123, vcc_lo
	v_cndmask_b32_e32 v0, v0, v122, vcc_lo
	v_cndmask_b32_e64 v112, v112, s0, vcc_lo
	s_add_i32 s0, s0, 1
	s_cmp_lg_u32 s7, s0
	s_cbranch_scc1 .LBB104_388
.LBB104_389:
	s_mov_b32 s0, exec_lo
	s_waitcnt lgkmcnt(0)
	v_cmpx_eq_f64_e32 0, v[0:1]
	s_xor_b32 s0, exec_lo, s0
; %bb.390:
	v_cmp_ne_u32_e32 vcc_lo, 0, v115
	v_cndmask_b32_e32 v115, 24, v115, vcc_lo
; %bb.391:
	s_andn2_saveexec_b32 s0, s0
	s_cbranch_execz .LBB104_393
; %bb.392:
	v_div_scale_f64 v[113:114], null, v[0:1], v[0:1], 1.0
	v_rcp_f64_e32 v[122:123], v[113:114]
	v_fma_f64 v[124:125], -v[113:114], v[122:123], 1.0
	v_fma_f64 v[122:123], v[122:123], v[124:125], v[122:123]
	v_fma_f64 v[124:125], -v[113:114], v[122:123], 1.0
	v_fma_f64 v[122:123], v[122:123], v[124:125], v[122:123]
	v_div_scale_f64 v[124:125], vcc_lo, 1.0, v[0:1], 1.0
	v_mul_f64 v[126:127], v[124:125], v[122:123]
	v_fma_f64 v[113:114], -v[113:114], v[126:127], v[124:125]
	v_div_fmas_f64 v[113:114], v[113:114], v[122:123], v[126:127]
	v_div_fixup_f64 v[0:1], v[113:114], v[0:1], 1.0
.LBB104_393:
	s_or_b32 exec_lo, exec_lo, s0
	s_mov_b32 s0, exec_lo
	v_cmpx_ne_u32_e64 v121, v112
	s_xor_b32 s0, exec_lo, s0
	s_cbranch_execz .LBB104_399
; %bb.394:
	s_mov_b32 s1, exec_lo
	v_cmpx_eq_u32_e32 23, v121
	s_cbranch_execz .LBB104_398
; %bb.395:
	v_cmp_ne_u32_e32 vcc_lo, 23, v112
	s_xor_b32 s2, s6, -1
	s_and_b32 s3, s2, vcc_lo
	s_and_saveexec_b32 s2, s3
	s_cbranch_execz .LBB104_397
; %bb.396:
	v_ashrrev_i32_e32 v113, 31, v112
	v_lshlrev_b64 v[113:114], 2, v[112:113]
	v_add_co_u32 v113, vcc_lo, v4, v113
	v_add_co_ci_u32_e64 v114, null, v5, v114, vcc_lo
	s_clause 0x1
	global_load_dword v120, v[113:114], off
	global_load_dword v121, v[4:5], off offset:92
	s_waitcnt vmcnt(1)
	global_store_dword v[4:5], v120, off offset:92
	s_waitcnt vmcnt(0)
	global_store_dword v[113:114], v121, off
.LBB104_397:
	s_or_b32 exec_lo, exec_lo, s2
	v_mov_b32_e32 v120, v112
	v_mov_b32_e32 v121, v112
.LBB104_398:
	s_or_b32 exec_lo, exec_lo, s1
.LBB104_399:
	s_andn2_saveexec_b32 s0, s0
	s_cbranch_execz .LBB104_401
; %bb.400:
	v_mov_b32_e32 v112, v60
	v_mov_b32_e32 v113, v61
	;; [unrolled: 1-line block ×20, first 2 shown]
	ds_write2_b64 v118, v[112:113], v[121:122] offset0:24 offset1:25
	ds_write2_b64 v118, v[123:124], v[125:126] offset0:26 offset1:27
	;; [unrolled: 1-line block ×5, first 2 shown]
	v_mov_b32_e32 v112, v40
	v_mov_b32_e32 v113, v41
	;; [unrolled: 1-line block ×20, first 2 shown]
	ds_write2_b64 v118, v[112:113], v[121:122] offset0:34 offset1:35
	ds_write2_b64 v118, v[123:124], v[125:126] offset0:36 offset1:37
	;; [unrolled: 1-line block ×5, first 2 shown]
	v_mov_b32_e32 v112, v20
	v_mov_b32_e32 v113, v21
	;; [unrolled: 1-line block ×8, first 2 shown]
	ds_write2_b64 v118, v[112:113], v[121:122] offset0:44 offset1:45
	v_mov_b32_e32 v121, 23
	v_mov_b32_e32 v127, v12
	;; [unrolled: 1-line block ×9, first 2 shown]
	ds_write2_b64 v118, v[123:124], v[125:126] offset0:46 offset1:47
	ds_write2_b64 v118, v[127:128], v[129:130] offset0:48 offset1:49
	;; [unrolled: 1-line block ×3, first 2 shown]
	ds_write_b64 v118, v[110:111] offset:416
.LBB104_401:
	s_or_b32 exec_lo, exec_lo, s0
	s_mov_b32 s0, exec_lo
	s_waitcnt lgkmcnt(0)
	s_waitcnt_vscnt null, 0x0
	s_barrier
	buffer_gl0_inv
	v_cmpx_lt_i32_e32 23, v121
	s_cbranch_execz .LBB104_403
; %bb.402:
	v_mul_f64 v[62:63], v[0:1], v[62:63]
	ds_read2_b64 v[122:125], v118 offset0:24 offset1:25
	ds_read2_b64 v[126:129], v118 offset0:26 offset1:27
	;; [unrolled: 1-line block ×14, first 2 shown]
	ds_read_b64 v[0:1], v118 offset:416
	s_waitcnt lgkmcnt(14)
	v_fma_f64 v[60:61], -v[62:63], v[122:123], v[60:61]
	v_fma_f64 v[58:59], -v[62:63], v[124:125], v[58:59]
	s_waitcnt lgkmcnt(13)
	v_fma_f64 v[56:57], -v[62:63], v[126:127], v[56:57]
	v_fma_f64 v[54:55], -v[62:63], v[128:129], v[54:55]
	;; [unrolled: 3-line block ×14, first 2 shown]
	s_waitcnt lgkmcnt(0)
	v_fma_f64 v[110:111], -v[62:63], v[0:1], v[110:111]
.LBB104_403:
	s_or_b32 exec_lo, exec_lo, s0
	v_lshl_add_u32 v0, v121, 3, v118
	s_barrier
	buffer_gl0_inv
	v_mov_b32_e32 v112, 24
	ds_write_b64 v0, v[60:61]
	s_waitcnt lgkmcnt(0)
	s_barrier
	buffer_gl0_inv
	ds_read_b64 v[0:1], v118 offset:192
	s_cmp_lt_i32 s7, 26
	s_cbranch_scc1 .LBB104_406
; %bb.404:
	v_add3_u32 v113, v119, 0, 0xc8
	v_mov_b32_e32 v112, 24
	s_mov_b32 s0, 25
.LBB104_405:                            ; =>This Inner Loop Header: Depth=1
	ds_read_b64 v[122:123], v113
	v_add_nc_u32_e32 v113, 8, v113
	s_waitcnt lgkmcnt(0)
	v_cmp_lt_f64_e64 vcc_lo, |v[0:1]|, |v[122:123]|
	v_cndmask_b32_e32 v1, v1, v123, vcc_lo
	v_cndmask_b32_e32 v0, v0, v122, vcc_lo
	v_cndmask_b32_e64 v112, v112, s0, vcc_lo
	s_add_i32 s0, s0, 1
	s_cmp_lg_u32 s7, s0
	s_cbranch_scc1 .LBB104_405
.LBB104_406:
	s_mov_b32 s0, exec_lo
	s_waitcnt lgkmcnt(0)
	v_cmpx_eq_f64_e32 0, v[0:1]
	s_xor_b32 s0, exec_lo, s0
; %bb.407:
	v_cmp_ne_u32_e32 vcc_lo, 0, v115
	v_cndmask_b32_e32 v115, 25, v115, vcc_lo
; %bb.408:
	s_andn2_saveexec_b32 s0, s0
	s_cbranch_execz .LBB104_410
; %bb.409:
	v_div_scale_f64 v[113:114], null, v[0:1], v[0:1], 1.0
	v_rcp_f64_e32 v[122:123], v[113:114]
	v_fma_f64 v[124:125], -v[113:114], v[122:123], 1.0
	v_fma_f64 v[122:123], v[122:123], v[124:125], v[122:123]
	v_fma_f64 v[124:125], -v[113:114], v[122:123], 1.0
	v_fma_f64 v[122:123], v[122:123], v[124:125], v[122:123]
	v_div_scale_f64 v[124:125], vcc_lo, 1.0, v[0:1], 1.0
	v_mul_f64 v[126:127], v[124:125], v[122:123]
	v_fma_f64 v[113:114], -v[113:114], v[126:127], v[124:125]
	v_div_fmas_f64 v[113:114], v[113:114], v[122:123], v[126:127]
	v_div_fixup_f64 v[0:1], v[113:114], v[0:1], 1.0
.LBB104_410:
	s_or_b32 exec_lo, exec_lo, s0
	s_mov_b32 s0, exec_lo
	v_cmpx_ne_u32_e64 v121, v112
	s_xor_b32 s0, exec_lo, s0
	s_cbranch_execz .LBB104_416
; %bb.411:
	s_mov_b32 s1, exec_lo
	v_cmpx_eq_u32_e32 24, v121
	s_cbranch_execz .LBB104_415
; %bb.412:
	v_cmp_ne_u32_e32 vcc_lo, 24, v112
	s_xor_b32 s2, s6, -1
	s_and_b32 s3, s2, vcc_lo
	s_and_saveexec_b32 s2, s3
	s_cbranch_execz .LBB104_414
; %bb.413:
	v_ashrrev_i32_e32 v113, 31, v112
	v_lshlrev_b64 v[113:114], 2, v[112:113]
	v_add_co_u32 v113, vcc_lo, v4, v113
	v_add_co_ci_u32_e64 v114, null, v5, v114, vcc_lo
	s_clause 0x1
	global_load_dword v120, v[113:114], off
	global_load_dword v121, v[4:5], off offset:96
	s_waitcnt vmcnt(1)
	global_store_dword v[4:5], v120, off offset:96
	s_waitcnt vmcnt(0)
	global_store_dword v[113:114], v121, off
.LBB104_414:
	s_or_b32 exec_lo, exec_lo, s2
	v_mov_b32_e32 v120, v112
	v_mov_b32_e32 v121, v112
.LBB104_415:
	s_or_b32 exec_lo, exec_lo, s1
.LBB104_416:
	s_andn2_saveexec_b32 s0, s0
	s_cbranch_execz .LBB104_418
; %bb.417:
	v_mov_b32_e32 v121, 24
	ds_write2_b64 v118, v[58:59], v[56:57] offset0:25 offset1:26
	ds_write2_b64 v118, v[54:55], v[52:53] offset0:27 offset1:28
	;; [unrolled: 1-line block ×14, first 2 shown]
.LBB104_418:
	s_or_b32 exec_lo, exec_lo, s0
	s_mov_b32 s0, exec_lo
	s_waitcnt lgkmcnt(0)
	s_waitcnt_vscnt null, 0x0
	s_barrier
	buffer_gl0_inv
	v_cmpx_lt_i32_e32 24, v121
	s_cbranch_execz .LBB104_420
; %bb.419:
	v_mul_f64 v[60:61], v[0:1], v[60:61]
	ds_read2_b64 v[122:125], v118 offset0:25 offset1:26
	ds_read2_b64 v[126:129], v118 offset0:27 offset1:28
	;; [unrolled: 1-line block ×14, first 2 shown]
	s_waitcnt lgkmcnt(13)
	v_fma_f64 v[58:59], -v[60:61], v[122:123], v[58:59]
	v_fma_f64 v[56:57], -v[60:61], v[124:125], v[56:57]
	s_waitcnt lgkmcnt(12)
	v_fma_f64 v[54:55], -v[60:61], v[126:127], v[54:55]
	v_fma_f64 v[52:53], -v[60:61], v[128:129], v[52:53]
	;; [unrolled: 3-line block ×14, first 2 shown]
.LBB104_420:
	s_or_b32 exec_lo, exec_lo, s0
	v_lshl_add_u32 v0, v121, 3, v118
	s_barrier
	buffer_gl0_inv
	v_mov_b32_e32 v112, 25
	ds_write_b64 v0, v[58:59]
	s_waitcnt lgkmcnt(0)
	s_barrier
	buffer_gl0_inv
	ds_read_b64 v[0:1], v118 offset:200
	s_cmp_lt_i32 s7, 27
	s_cbranch_scc1 .LBB104_423
; %bb.421:
	v_add3_u32 v113, v119, 0, 0xd0
	v_mov_b32_e32 v112, 25
	s_mov_b32 s0, 26
.LBB104_422:                            ; =>This Inner Loop Header: Depth=1
	ds_read_b64 v[122:123], v113
	v_add_nc_u32_e32 v113, 8, v113
	s_waitcnt lgkmcnt(0)
	v_cmp_lt_f64_e64 vcc_lo, |v[0:1]|, |v[122:123]|
	v_cndmask_b32_e32 v1, v1, v123, vcc_lo
	v_cndmask_b32_e32 v0, v0, v122, vcc_lo
	v_cndmask_b32_e64 v112, v112, s0, vcc_lo
	s_add_i32 s0, s0, 1
	s_cmp_lg_u32 s7, s0
	s_cbranch_scc1 .LBB104_422
.LBB104_423:
	s_mov_b32 s0, exec_lo
	s_waitcnt lgkmcnt(0)
	v_cmpx_eq_f64_e32 0, v[0:1]
	s_xor_b32 s0, exec_lo, s0
; %bb.424:
	v_cmp_ne_u32_e32 vcc_lo, 0, v115
	v_cndmask_b32_e32 v115, 26, v115, vcc_lo
; %bb.425:
	s_andn2_saveexec_b32 s0, s0
	s_cbranch_execz .LBB104_427
; %bb.426:
	v_div_scale_f64 v[113:114], null, v[0:1], v[0:1], 1.0
	v_rcp_f64_e32 v[122:123], v[113:114]
	v_fma_f64 v[124:125], -v[113:114], v[122:123], 1.0
	v_fma_f64 v[122:123], v[122:123], v[124:125], v[122:123]
	v_fma_f64 v[124:125], -v[113:114], v[122:123], 1.0
	v_fma_f64 v[122:123], v[122:123], v[124:125], v[122:123]
	v_div_scale_f64 v[124:125], vcc_lo, 1.0, v[0:1], 1.0
	v_mul_f64 v[126:127], v[124:125], v[122:123]
	v_fma_f64 v[113:114], -v[113:114], v[126:127], v[124:125]
	v_div_fmas_f64 v[113:114], v[113:114], v[122:123], v[126:127]
	v_div_fixup_f64 v[0:1], v[113:114], v[0:1], 1.0
.LBB104_427:
	s_or_b32 exec_lo, exec_lo, s0
	s_mov_b32 s0, exec_lo
	v_cmpx_ne_u32_e64 v121, v112
	s_xor_b32 s0, exec_lo, s0
	s_cbranch_execz .LBB104_433
; %bb.428:
	s_mov_b32 s1, exec_lo
	v_cmpx_eq_u32_e32 25, v121
	s_cbranch_execz .LBB104_432
; %bb.429:
	v_cmp_ne_u32_e32 vcc_lo, 25, v112
	s_xor_b32 s2, s6, -1
	s_and_b32 s3, s2, vcc_lo
	s_and_saveexec_b32 s2, s3
	s_cbranch_execz .LBB104_431
; %bb.430:
	v_ashrrev_i32_e32 v113, 31, v112
	v_lshlrev_b64 v[113:114], 2, v[112:113]
	v_add_co_u32 v113, vcc_lo, v4, v113
	v_add_co_ci_u32_e64 v114, null, v5, v114, vcc_lo
	s_clause 0x1
	global_load_dword v120, v[113:114], off
	global_load_dword v121, v[4:5], off offset:100
	s_waitcnt vmcnt(1)
	global_store_dword v[4:5], v120, off offset:100
	s_waitcnt vmcnt(0)
	global_store_dword v[113:114], v121, off
.LBB104_431:
	s_or_b32 exec_lo, exec_lo, s2
	v_mov_b32_e32 v120, v112
	v_mov_b32_e32 v121, v112
.LBB104_432:
	s_or_b32 exec_lo, exec_lo, s1
.LBB104_433:
	s_andn2_saveexec_b32 s0, s0
	s_cbranch_execz .LBB104_435
; %bb.434:
	v_mov_b32_e32 v112, v56
	v_mov_b32_e32 v113, v57
	;; [unrolled: 1-line block ×16, first 2 shown]
	ds_write2_b64 v118, v[112:113], v[121:122] offset0:26 offset1:27
	ds_write2_b64 v118, v[123:124], v[125:126] offset0:28 offset1:29
	;; [unrolled: 1-line block ×4, first 2 shown]
	v_mov_b32_e32 v112, v40
	v_mov_b32_e32 v113, v41
	;; [unrolled: 1-line block ×20, first 2 shown]
	ds_write2_b64 v118, v[112:113], v[121:122] offset0:34 offset1:35
	ds_write2_b64 v118, v[123:124], v[125:126] offset0:36 offset1:37
	;; [unrolled: 1-line block ×5, first 2 shown]
	v_mov_b32_e32 v112, v20
	v_mov_b32_e32 v113, v21
	;; [unrolled: 1-line block ×8, first 2 shown]
	ds_write2_b64 v118, v[112:113], v[121:122] offset0:44 offset1:45
	v_mov_b32_e32 v121, 25
	v_mov_b32_e32 v127, v12
	;; [unrolled: 1-line block ×9, first 2 shown]
	ds_write2_b64 v118, v[123:124], v[125:126] offset0:46 offset1:47
	ds_write2_b64 v118, v[127:128], v[129:130] offset0:48 offset1:49
	;; [unrolled: 1-line block ×3, first 2 shown]
	ds_write_b64 v118, v[110:111] offset:416
.LBB104_435:
	s_or_b32 exec_lo, exec_lo, s0
	s_mov_b32 s0, exec_lo
	s_waitcnt lgkmcnt(0)
	s_waitcnt_vscnt null, 0x0
	s_barrier
	buffer_gl0_inv
	v_cmpx_lt_i32_e32 25, v121
	s_cbranch_execz .LBB104_437
; %bb.436:
	v_mul_f64 v[58:59], v[0:1], v[58:59]
	ds_read2_b64 v[122:125], v118 offset0:26 offset1:27
	ds_read2_b64 v[126:129], v118 offset0:28 offset1:29
	ds_read2_b64 v[130:133], v118 offset0:30 offset1:31
	ds_read2_b64 v[134:137], v118 offset0:32 offset1:33
	ds_read2_b64 v[138:141], v118 offset0:34 offset1:35
	ds_read2_b64 v[142:145], v118 offset0:36 offset1:37
	ds_read2_b64 v[146:149], v118 offset0:38 offset1:39
	ds_read2_b64 v[150:153], v118 offset0:40 offset1:41
	ds_read2_b64 v[154:157], v118 offset0:42 offset1:43
	ds_read2_b64 v[158:161], v118 offset0:44 offset1:45
	ds_read2_b64 v[162:165], v118 offset0:46 offset1:47
	ds_read2_b64 v[166:169], v118 offset0:48 offset1:49
	ds_read2_b64 v[170:173], v118 offset0:50 offset1:51
	ds_read_b64 v[0:1], v118 offset:416
	s_waitcnt lgkmcnt(13)
	v_fma_f64 v[56:57], -v[58:59], v[122:123], v[56:57]
	v_fma_f64 v[54:55], -v[58:59], v[124:125], v[54:55]
	s_waitcnt lgkmcnt(12)
	v_fma_f64 v[52:53], -v[58:59], v[126:127], v[52:53]
	v_fma_f64 v[48:49], -v[58:59], v[128:129], v[48:49]
	;; [unrolled: 3-line block ×13, first 2 shown]
	s_waitcnt lgkmcnt(0)
	v_fma_f64 v[110:111], -v[58:59], v[0:1], v[110:111]
.LBB104_437:
	s_or_b32 exec_lo, exec_lo, s0
	v_lshl_add_u32 v0, v121, 3, v118
	s_barrier
	buffer_gl0_inv
	v_mov_b32_e32 v112, 26
	ds_write_b64 v0, v[56:57]
	s_waitcnt lgkmcnt(0)
	s_barrier
	buffer_gl0_inv
	ds_read_b64 v[0:1], v118 offset:208
	s_cmp_lt_i32 s7, 28
	s_cbranch_scc1 .LBB104_440
; %bb.438:
	v_add3_u32 v113, v119, 0, 0xd8
	v_mov_b32_e32 v112, 26
	s_mov_b32 s0, 27
.LBB104_439:                            ; =>This Inner Loop Header: Depth=1
	ds_read_b64 v[122:123], v113
	v_add_nc_u32_e32 v113, 8, v113
	s_waitcnt lgkmcnt(0)
	v_cmp_lt_f64_e64 vcc_lo, |v[0:1]|, |v[122:123]|
	v_cndmask_b32_e32 v1, v1, v123, vcc_lo
	v_cndmask_b32_e32 v0, v0, v122, vcc_lo
	v_cndmask_b32_e64 v112, v112, s0, vcc_lo
	s_add_i32 s0, s0, 1
	s_cmp_lg_u32 s7, s0
	s_cbranch_scc1 .LBB104_439
.LBB104_440:
	s_mov_b32 s0, exec_lo
	s_waitcnt lgkmcnt(0)
	v_cmpx_eq_f64_e32 0, v[0:1]
	s_xor_b32 s0, exec_lo, s0
; %bb.441:
	v_cmp_ne_u32_e32 vcc_lo, 0, v115
	v_cndmask_b32_e32 v115, 27, v115, vcc_lo
; %bb.442:
	s_andn2_saveexec_b32 s0, s0
	s_cbranch_execz .LBB104_444
; %bb.443:
	v_div_scale_f64 v[113:114], null, v[0:1], v[0:1], 1.0
	v_rcp_f64_e32 v[122:123], v[113:114]
	v_fma_f64 v[124:125], -v[113:114], v[122:123], 1.0
	v_fma_f64 v[122:123], v[122:123], v[124:125], v[122:123]
	v_fma_f64 v[124:125], -v[113:114], v[122:123], 1.0
	v_fma_f64 v[122:123], v[122:123], v[124:125], v[122:123]
	v_div_scale_f64 v[124:125], vcc_lo, 1.0, v[0:1], 1.0
	v_mul_f64 v[126:127], v[124:125], v[122:123]
	v_fma_f64 v[113:114], -v[113:114], v[126:127], v[124:125]
	v_div_fmas_f64 v[113:114], v[113:114], v[122:123], v[126:127]
	v_div_fixup_f64 v[0:1], v[113:114], v[0:1], 1.0
.LBB104_444:
	s_or_b32 exec_lo, exec_lo, s0
	s_mov_b32 s0, exec_lo
	v_cmpx_ne_u32_e64 v121, v112
	s_xor_b32 s0, exec_lo, s0
	s_cbranch_execz .LBB104_450
; %bb.445:
	s_mov_b32 s1, exec_lo
	v_cmpx_eq_u32_e32 26, v121
	s_cbranch_execz .LBB104_449
; %bb.446:
	v_cmp_ne_u32_e32 vcc_lo, 26, v112
	s_xor_b32 s2, s6, -1
	s_and_b32 s3, s2, vcc_lo
	s_and_saveexec_b32 s2, s3
	s_cbranch_execz .LBB104_448
; %bb.447:
	v_ashrrev_i32_e32 v113, 31, v112
	v_lshlrev_b64 v[113:114], 2, v[112:113]
	v_add_co_u32 v113, vcc_lo, v4, v113
	v_add_co_ci_u32_e64 v114, null, v5, v114, vcc_lo
	s_clause 0x1
	global_load_dword v120, v[113:114], off
	global_load_dword v121, v[4:5], off offset:104
	s_waitcnt vmcnt(1)
	global_store_dword v[4:5], v120, off offset:104
	s_waitcnt vmcnt(0)
	global_store_dword v[113:114], v121, off
.LBB104_448:
	s_or_b32 exec_lo, exec_lo, s2
	v_mov_b32_e32 v120, v112
	v_mov_b32_e32 v121, v112
.LBB104_449:
	s_or_b32 exec_lo, exec_lo, s1
.LBB104_450:
	s_andn2_saveexec_b32 s0, s0
	s_cbranch_execz .LBB104_452
; %bb.451:
	v_mov_b32_e32 v121, 26
	ds_write2_b64 v118, v[54:55], v[52:53] offset0:27 offset1:28
	ds_write2_b64 v118, v[48:49], v[50:51] offset0:29 offset1:30
	;; [unrolled: 1-line block ×13, first 2 shown]
.LBB104_452:
	s_or_b32 exec_lo, exec_lo, s0
	s_mov_b32 s0, exec_lo
	s_waitcnt lgkmcnt(0)
	s_waitcnt_vscnt null, 0x0
	s_barrier
	buffer_gl0_inv
	v_cmpx_lt_i32_e32 26, v121
	s_cbranch_execz .LBB104_454
; %bb.453:
	v_mul_f64 v[56:57], v[0:1], v[56:57]
	ds_read2_b64 v[122:125], v118 offset0:27 offset1:28
	ds_read2_b64 v[126:129], v118 offset0:29 offset1:30
	ds_read2_b64 v[130:133], v118 offset0:31 offset1:32
	ds_read2_b64 v[134:137], v118 offset0:33 offset1:34
	ds_read2_b64 v[138:141], v118 offset0:35 offset1:36
	ds_read2_b64 v[142:145], v118 offset0:37 offset1:38
	ds_read2_b64 v[146:149], v118 offset0:39 offset1:40
	ds_read2_b64 v[150:153], v118 offset0:41 offset1:42
	ds_read2_b64 v[154:157], v118 offset0:43 offset1:44
	ds_read2_b64 v[158:161], v118 offset0:45 offset1:46
	ds_read2_b64 v[162:165], v118 offset0:47 offset1:48
	ds_read2_b64 v[166:169], v118 offset0:49 offset1:50
	ds_read2_b64 v[170:173], v118 offset0:51 offset1:52
	s_waitcnt lgkmcnt(12)
	v_fma_f64 v[54:55], -v[56:57], v[122:123], v[54:55]
	v_fma_f64 v[52:53], -v[56:57], v[124:125], v[52:53]
	s_waitcnt lgkmcnt(11)
	v_fma_f64 v[48:49], -v[56:57], v[126:127], v[48:49]
	v_fma_f64 v[50:51], -v[56:57], v[128:129], v[50:51]
	;; [unrolled: 3-line block ×13, first 2 shown]
.LBB104_454:
	s_or_b32 exec_lo, exec_lo, s0
	v_lshl_add_u32 v0, v121, 3, v118
	s_barrier
	buffer_gl0_inv
	v_mov_b32_e32 v112, 27
	ds_write_b64 v0, v[54:55]
	s_waitcnt lgkmcnt(0)
	s_barrier
	buffer_gl0_inv
	ds_read_b64 v[0:1], v118 offset:216
	s_cmp_lt_i32 s7, 29
	s_cbranch_scc1 .LBB104_457
; %bb.455:
	v_add3_u32 v113, v119, 0, 0xe0
	v_mov_b32_e32 v112, 27
	s_mov_b32 s0, 28
.LBB104_456:                            ; =>This Inner Loop Header: Depth=1
	ds_read_b64 v[122:123], v113
	v_add_nc_u32_e32 v113, 8, v113
	s_waitcnt lgkmcnt(0)
	v_cmp_lt_f64_e64 vcc_lo, |v[0:1]|, |v[122:123]|
	v_cndmask_b32_e32 v1, v1, v123, vcc_lo
	v_cndmask_b32_e32 v0, v0, v122, vcc_lo
	v_cndmask_b32_e64 v112, v112, s0, vcc_lo
	s_add_i32 s0, s0, 1
	s_cmp_lg_u32 s7, s0
	s_cbranch_scc1 .LBB104_456
.LBB104_457:
	s_mov_b32 s0, exec_lo
	s_waitcnt lgkmcnt(0)
	v_cmpx_eq_f64_e32 0, v[0:1]
	s_xor_b32 s0, exec_lo, s0
; %bb.458:
	v_cmp_ne_u32_e32 vcc_lo, 0, v115
	v_cndmask_b32_e32 v115, 28, v115, vcc_lo
; %bb.459:
	s_andn2_saveexec_b32 s0, s0
	s_cbranch_execz .LBB104_461
; %bb.460:
	v_div_scale_f64 v[113:114], null, v[0:1], v[0:1], 1.0
	v_rcp_f64_e32 v[122:123], v[113:114]
	v_fma_f64 v[124:125], -v[113:114], v[122:123], 1.0
	v_fma_f64 v[122:123], v[122:123], v[124:125], v[122:123]
	v_fma_f64 v[124:125], -v[113:114], v[122:123], 1.0
	v_fma_f64 v[122:123], v[122:123], v[124:125], v[122:123]
	v_div_scale_f64 v[124:125], vcc_lo, 1.0, v[0:1], 1.0
	v_mul_f64 v[126:127], v[124:125], v[122:123]
	v_fma_f64 v[113:114], -v[113:114], v[126:127], v[124:125]
	v_div_fmas_f64 v[113:114], v[113:114], v[122:123], v[126:127]
	v_div_fixup_f64 v[0:1], v[113:114], v[0:1], 1.0
.LBB104_461:
	s_or_b32 exec_lo, exec_lo, s0
	s_mov_b32 s0, exec_lo
	v_cmpx_ne_u32_e64 v121, v112
	s_xor_b32 s0, exec_lo, s0
	s_cbranch_execz .LBB104_467
; %bb.462:
	s_mov_b32 s1, exec_lo
	v_cmpx_eq_u32_e32 27, v121
	s_cbranch_execz .LBB104_466
; %bb.463:
	v_cmp_ne_u32_e32 vcc_lo, 27, v112
	s_xor_b32 s2, s6, -1
	s_and_b32 s3, s2, vcc_lo
	s_and_saveexec_b32 s2, s3
	s_cbranch_execz .LBB104_465
; %bb.464:
	v_ashrrev_i32_e32 v113, 31, v112
	v_lshlrev_b64 v[113:114], 2, v[112:113]
	v_add_co_u32 v113, vcc_lo, v4, v113
	v_add_co_ci_u32_e64 v114, null, v5, v114, vcc_lo
	s_clause 0x1
	global_load_dword v120, v[113:114], off
	global_load_dword v121, v[4:5], off offset:108
	s_waitcnt vmcnt(1)
	global_store_dword v[4:5], v120, off offset:108
	s_waitcnt vmcnt(0)
	global_store_dword v[113:114], v121, off
.LBB104_465:
	s_or_b32 exec_lo, exec_lo, s2
	v_mov_b32_e32 v120, v112
	v_mov_b32_e32 v121, v112
.LBB104_466:
	s_or_b32 exec_lo, exec_lo, s1
.LBB104_467:
	s_andn2_saveexec_b32 s0, s0
	s_cbranch_execz .LBB104_469
; %bb.468:
	v_mov_b32_e32 v112, v52
	v_mov_b32_e32 v113, v53
	;; [unrolled: 1-line block ×12, first 2 shown]
	ds_write2_b64 v118, v[112:113], v[121:122] offset0:28 offset1:29
	ds_write2_b64 v118, v[123:124], v[125:126] offset0:30 offset1:31
	ds_write2_b64 v118, v[127:128], v[129:130] offset0:32 offset1:33
	v_mov_b32_e32 v112, v40
	v_mov_b32_e32 v113, v41
	;; [unrolled: 1-line block ×20, first 2 shown]
	ds_write2_b64 v118, v[112:113], v[121:122] offset0:34 offset1:35
	ds_write2_b64 v118, v[123:124], v[125:126] offset0:36 offset1:37
	;; [unrolled: 1-line block ×5, first 2 shown]
	v_mov_b32_e32 v112, v20
	v_mov_b32_e32 v113, v21
	;; [unrolled: 1-line block ×8, first 2 shown]
	ds_write2_b64 v118, v[112:113], v[121:122] offset0:44 offset1:45
	v_mov_b32_e32 v121, 27
	v_mov_b32_e32 v127, v12
	;; [unrolled: 1-line block ×9, first 2 shown]
	ds_write2_b64 v118, v[123:124], v[125:126] offset0:46 offset1:47
	ds_write2_b64 v118, v[127:128], v[129:130] offset0:48 offset1:49
	;; [unrolled: 1-line block ×3, first 2 shown]
	ds_write_b64 v118, v[110:111] offset:416
.LBB104_469:
	s_or_b32 exec_lo, exec_lo, s0
	s_mov_b32 s0, exec_lo
	s_waitcnt lgkmcnt(0)
	s_waitcnt_vscnt null, 0x0
	s_barrier
	buffer_gl0_inv
	v_cmpx_lt_i32_e32 27, v121
	s_cbranch_execz .LBB104_471
; %bb.470:
	v_mul_f64 v[54:55], v[0:1], v[54:55]
	ds_read2_b64 v[122:125], v118 offset0:28 offset1:29
	ds_read2_b64 v[126:129], v118 offset0:30 offset1:31
	ds_read2_b64 v[130:133], v118 offset0:32 offset1:33
	ds_read2_b64 v[134:137], v118 offset0:34 offset1:35
	ds_read2_b64 v[138:141], v118 offset0:36 offset1:37
	ds_read2_b64 v[142:145], v118 offset0:38 offset1:39
	ds_read2_b64 v[146:149], v118 offset0:40 offset1:41
	ds_read2_b64 v[150:153], v118 offset0:42 offset1:43
	ds_read2_b64 v[154:157], v118 offset0:44 offset1:45
	ds_read2_b64 v[158:161], v118 offset0:46 offset1:47
	ds_read2_b64 v[162:165], v118 offset0:48 offset1:49
	ds_read2_b64 v[166:169], v118 offset0:50 offset1:51
	ds_read_b64 v[0:1], v118 offset:416
	s_waitcnt lgkmcnt(12)
	v_fma_f64 v[52:53], -v[54:55], v[122:123], v[52:53]
	v_fma_f64 v[48:49], -v[54:55], v[124:125], v[48:49]
	s_waitcnt lgkmcnt(11)
	v_fma_f64 v[50:51], -v[54:55], v[126:127], v[50:51]
	v_fma_f64 v[44:45], -v[54:55], v[128:129], v[44:45]
	;; [unrolled: 3-line block ×12, first 2 shown]
	s_waitcnt lgkmcnt(0)
	v_fma_f64 v[110:111], -v[54:55], v[0:1], v[110:111]
.LBB104_471:
	s_or_b32 exec_lo, exec_lo, s0
	v_lshl_add_u32 v0, v121, 3, v118
	s_barrier
	buffer_gl0_inv
	v_mov_b32_e32 v112, 28
	ds_write_b64 v0, v[52:53]
	s_waitcnt lgkmcnt(0)
	s_barrier
	buffer_gl0_inv
	ds_read_b64 v[0:1], v118 offset:224
	s_cmp_lt_i32 s7, 30
	s_cbranch_scc1 .LBB104_474
; %bb.472:
	v_add3_u32 v113, v119, 0, 0xe8
	v_mov_b32_e32 v112, 28
	s_mov_b32 s0, 29
.LBB104_473:                            ; =>This Inner Loop Header: Depth=1
	ds_read_b64 v[122:123], v113
	v_add_nc_u32_e32 v113, 8, v113
	s_waitcnt lgkmcnt(0)
	v_cmp_lt_f64_e64 vcc_lo, |v[0:1]|, |v[122:123]|
	v_cndmask_b32_e32 v1, v1, v123, vcc_lo
	v_cndmask_b32_e32 v0, v0, v122, vcc_lo
	v_cndmask_b32_e64 v112, v112, s0, vcc_lo
	s_add_i32 s0, s0, 1
	s_cmp_lg_u32 s7, s0
	s_cbranch_scc1 .LBB104_473
.LBB104_474:
	s_mov_b32 s0, exec_lo
	s_waitcnt lgkmcnt(0)
	v_cmpx_eq_f64_e32 0, v[0:1]
	s_xor_b32 s0, exec_lo, s0
; %bb.475:
	v_cmp_ne_u32_e32 vcc_lo, 0, v115
	v_cndmask_b32_e32 v115, 29, v115, vcc_lo
; %bb.476:
	s_andn2_saveexec_b32 s0, s0
	s_cbranch_execz .LBB104_478
; %bb.477:
	v_div_scale_f64 v[113:114], null, v[0:1], v[0:1], 1.0
	v_rcp_f64_e32 v[122:123], v[113:114]
	v_fma_f64 v[124:125], -v[113:114], v[122:123], 1.0
	v_fma_f64 v[122:123], v[122:123], v[124:125], v[122:123]
	v_fma_f64 v[124:125], -v[113:114], v[122:123], 1.0
	v_fma_f64 v[122:123], v[122:123], v[124:125], v[122:123]
	v_div_scale_f64 v[124:125], vcc_lo, 1.0, v[0:1], 1.0
	v_mul_f64 v[126:127], v[124:125], v[122:123]
	v_fma_f64 v[113:114], -v[113:114], v[126:127], v[124:125]
	v_div_fmas_f64 v[113:114], v[113:114], v[122:123], v[126:127]
	v_div_fixup_f64 v[0:1], v[113:114], v[0:1], 1.0
.LBB104_478:
	s_or_b32 exec_lo, exec_lo, s0
	s_mov_b32 s0, exec_lo
	v_cmpx_ne_u32_e64 v121, v112
	s_xor_b32 s0, exec_lo, s0
	s_cbranch_execz .LBB104_484
; %bb.479:
	s_mov_b32 s1, exec_lo
	v_cmpx_eq_u32_e32 28, v121
	s_cbranch_execz .LBB104_483
; %bb.480:
	v_cmp_ne_u32_e32 vcc_lo, 28, v112
	s_xor_b32 s2, s6, -1
	s_and_b32 s3, s2, vcc_lo
	s_and_saveexec_b32 s2, s3
	s_cbranch_execz .LBB104_482
; %bb.481:
	v_ashrrev_i32_e32 v113, 31, v112
	v_lshlrev_b64 v[113:114], 2, v[112:113]
	v_add_co_u32 v113, vcc_lo, v4, v113
	v_add_co_ci_u32_e64 v114, null, v5, v114, vcc_lo
	s_clause 0x1
	global_load_dword v120, v[113:114], off
	global_load_dword v121, v[4:5], off offset:112
	s_waitcnt vmcnt(1)
	global_store_dword v[4:5], v120, off offset:112
	s_waitcnt vmcnt(0)
	global_store_dword v[113:114], v121, off
.LBB104_482:
	s_or_b32 exec_lo, exec_lo, s2
	v_mov_b32_e32 v120, v112
	v_mov_b32_e32 v121, v112
.LBB104_483:
	s_or_b32 exec_lo, exec_lo, s1
.LBB104_484:
	s_andn2_saveexec_b32 s0, s0
	s_cbranch_execz .LBB104_486
; %bb.485:
	v_mov_b32_e32 v121, 28
	ds_write2_b64 v118, v[48:49], v[50:51] offset0:29 offset1:30
	ds_write2_b64 v118, v[44:45], v[46:47] offset0:31 offset1:32
	;; [unrolled: 1-line block ×12, first 2 shown]
.LBB104_486:
	s_or_b32 exec_lo, exec_lo, s0
	s_mov_b32 s0, exec_lo
	s_waitcnt lgkmcnt(0)
	s_waitcnt_vscnt null, 0x0
	s_barrier
	buffer_gl0_inv
	v_cmpx_lt_i32_e32 28, v121
	s_cbranch_execz .LBB104_488
; %bb.487:
	v_mul_f64 v[52:53], v[0:1], v[52:53]
	ds_read2_b64 v[122:125], v118 offset0:29 offset1:30
	ds_read2_b64 v[126:129], v118 offset0:31 offset1:32
	;; [unrolled: 1-line block ×12, first 2 shown]
	s_waitcnt lgkmcnt(11)
	v_fma_f64 v[48:49], -v[52:53], v[122:123], v[48:49]
	v_fma_f64 v[50:51], -v[52:53], v[124:125], v[50:51]
	s_waitcnt lgkmcnt(10)
	v_fma_f64 v[44:45], -v[52:53], v[126:127], v[44:45]
	v_fma_f64 v[46:47], -v[52:53], v[128:129], v[46:47]
	;; [unrolled: 3-line block ×12, first 2 shown]
.LBB104_488:
	s_or_b32 exec_lo, exec_lo, s0
	v_lshl_add_u32 v0, v121, 3, v118
	s_barrier
	buffer_gl0_inv
	v_mov_b32_e32 v112, 29
	ds_write_b64 v0, v[48:49]
	s_waitcnt lgkmcnt(0)
	s_barrier
	buffer_gl0_inv
	ds_read_b64 v[0:1], v118 offset:232
	s_cmp_lt_i32 s7, 31
	s_cbranch_scc1 .LBB104_491
; %bb.489:
	v_add3_u32 v113, v119, 0, 0xf0
	v_mov_b32_e32 v112, 29
	s_mov_b32 s0, 30
.LBB104_490:                            ; =>This Inner Loop Header: Depth=1
	ds_read_b64 v[122:123], v113
	v_add_nc_u32_e32 v113, 8, v113
	s_waitcnt lgkmcnt(0)
	v_cmp_lt_f64_e64 vcc_lo, |v[0:1]|, |v[122:123]|
	v_cndmask_b32_e32 v1, v1, v123, vcc_lo
	v_cndmask_b32_e32 v0, v0, v122, vcc_lo
	v_cndmask_b32_e64 v112, v112, s0, vcc_lo
	s_add_i32 s0, s0, 1
	s_cmp_lg_u32 s7, s0
	s_cbranch_scc1 .LBB104_490
.LBB104_491:
	s_mov_b32 s0, exec_lo
	s_waitcnt lgkmcnt(0)
	v_cmpx_eq_f64_e32 0, v[0:1]
	s_xor_b32 s0, exec_lo, s0
; %bb.492:
	v_cmp_ne_u32_e32 vcc_lo, 0, v115
	v_cndmask_b32_e32 v115, 30, v115, vcc_lo
; %bb.493:
	s_andn2_saveexec_b32 s0, s0
	s_cbranch_execz .LBB104_495
; %bb.494:
	v_div_scale_f64 v[113:114], null, v[0:1], v[0:1], 1.0
	v_rcp_f64_e32 v[122:123], v[113:114]
	v_fma_f64 v[124:125], -v[113:114], v[122:123], 1.0
	v_fma_f64 v[122:123], v[122:123], v[124:125], v[122:123]
	v_fma_f64 v[124:125], -v[113:114], v[122:123], 1.0
	v_fma_f64 v[122:123], v[122:123], v[124:125], v[122:123]
	v_div_scale_f64 v[124:125], vcc_lo, 1.0, v[0:1], 1.0
	v_mul_f64 v[126:127], v[124:125], v[122:123]
	v_fma_f64 v[113:114], -v[113:114], v[126:127], v[124:125]
	v_div_fmas_f64 v[113:114], v[113:114], v[122:123], v[126:127]
	v_div_fixup_f64 v[0:1], v[113:114], v[0:1], 1.0
.LBB104_495:
	s_or_b32 exec_lo, exec_lo, s0
	s_mov_b32 s0, exec_lo
	v_cmpx_ne_u32_e64 v121, v112
	s_xor_b32 s0, exec_lo, s0
	s_cbranch_execz .LBB104_501
; %bb.496:
	s_mov_b32 s1, exec_lo
	v_cmpx_eq_u32_e32 29, v121
	s_cbranch_execz .LBB104_500
; %bb.497:
	v_cmp_ne_u32_e32 vcc_lo, 29, v112
	s_xor_b32 s2, s6, -1
	s_and_b32 s3, s2, vcc_lo
	s_and_saveexec_b32 s2, s3
	s_cbranch_execz .LBB104_499
; %bb.498:
	v_ashrrev_i32_e32 v113, 31, v112
	v_lshlrev_b64 v[113:114], 2, v[112:113]
	v_add_co_u32 v113, vcc_lo, v4, v113
	v_add_co_ci_u32_e64 v114, null, v5, v114, vcc_lo
	s_clause 0x1
	global_load_dword v120, v[113:114], off
	global_load_dword v121, v[4:5], off offset:116
	s_waitcnt vmcnt(1)
	global_store_dword v[4:5], v120, off offset:116
	s_waitcnt vmcnt(0)
	global_store_dword v[113:114], v121, off
.LBB104_499:
	s_or_b32 exec_lo, exec_lo, s2
	v_mov_b32_e32 v120, v112
	v_mov_b32_e32 v121, v112
.LBB104_500:
	s_or_b32 exec_lo, exec_lo, s1
.LBB104_501:
	s_andn2_saveexec_b32 s0, s0
	s_cbranch_execz .LBB104_503
; %bb.502:
	v_mov_b32_e32 v112, v50
	v_mov_b32_e32 v113, v51
	;; [unrolled: 1-line block ×8, first 2 shown]
	ds_write2_b64 v118, v[112:113], v[121:122] offset0:30 offset1:31
	ds_write2_b64 v118, v[123:124], v[125:126] offset0:32 offset1:33
	v_mov_b32_e32 v112, v40
	v_mov_b32_e32 v113, v41
	v_mov_b32_e32 v121, v38
	v_mov_b32_e32 v122, v39
	v_mov_b32_e32 v123, v36
	v_mov_b32_e32 v124, v37
	v_mov_b32_e32 v125, v34
	v_mov_b32_e32 v126, v35
	v_mov_b32_e32 v127, v32
	v_mov_b32_e32 v128, v33
	v_mov_b32_e32 v129, v28
	v_mov_b32_e32 v130, v29
	v_mov_b32_e32 v131, v30
	v_mov_b32_e32 v132, v31
	v_mov_b32_e32 v133, v24
	v_mov_b32_e32 v134, v25
	v_mov_b32_e32 v135, v26
	v_mov_b32_e32 v136, v27
	v_mov_b32_e32 v137, v22
	v_mov_b32_e32 v138, v23
	ds_write2_b64 v118, v[112:113], v[121:122] offset0:34 offset1:35
	ds_write2_b64 v118, v[123:124], v[125:126] offset0:36 offset1:37
	;; [unrolled: 1-line block ×5, first 2 shown]
	v_mov_b32_e32 v112, v20
	v_mov_b32_e32 v113, v21
	;; [unrolled: 1-line block ×8, first 2 shown]
	ds_write2_b64 v118, v[112:113], v[121:122] offset0:44 offset1:45
	v_mov_b32_e32 v121, 29
	v_mov_b32_e32 v127, v12
	;; [unrolled: 1-line block ×9, first 2 shown]
	ds_write2_b64 v118, v[123:124], v[125:126] offset0:46 offset1:47
	ds_write2_b64 v118, v[127:128], v[129:130] offset0:48 offset1:49
	ds_write2_b64 v118, v[131:132], v[133:134] offset0:50 offset1:51
	ds_write_b64 v118, v[110:111] offset:416
.LBB104_503:
	s_or_b32 exec_lo, exec_lo, s0
	s_mov_b32 s0, exec_lo
	s_waitcnt lgkmcnt(0)
	s_waitcnt_vscnt null, 0x0
	s_barrier
	buffer_gl0_inv
	v_cmpx_lt_i32_e32 29, v121
	s_cbranch_execz .LBB104_505
; %bb.504:
	v_mul_f64 v[48:49], v[0:1], v[48:49]
	ds_read2_b64 v[122:125], v118 offset0:30 offset1:31
	ds_read2_b64 v[126:129], v118 offset0:32 offset1:33
	;; [unrolled: 1-line block ×11, first 2 shown]
	ds_read_b64 v[0:1], v118 offset:416
	s_waitcnt lgkmcnt(11)
	v_fma_f64 v[50:51], -v[48:49], v[122:123], v[50:51]
	v_fma_f64 v[44:45], -v[48:49], v[124:125], v[44:45]
	s_waitcnt lgkmcnt(10)
	v_fma_f64 v[46:47], -v[48:49], v[126:127], v[46:47]
	v_fma_f64 v[42:43], -v[48:49], v[128:129], v[42:43]
	;; [unrolled: 3-line block ×11, first 2 shown]
	s_waitcnt lgkmcnt(0)
	v_fma_f64 v[110:111], -v[48:49], v[0:1], v[110:111]
.LBB104_505:
	s_or_b32 exec_lo, exec_lo, s0
	v_lshl_add_u32 v0, v121, 3, v118
	s_barrier
	buffer_gl0_inv
	v_mov_b32_e32 v112, 30
	ds_write_b64 v0, v[50:51]
	s_waitcnt lgkmcnt(0)
	s_barrier
	buffer_gl0_inv
	ds_read_b64 v[0:1], v118 offset:240
	s_cmp_lt_i32 s7, 32
	s_cbranch_scc1 .LBB104_508
; %bb.506:
	v_add3_u32 v113, v119, 0, 0xf8
	v_mov_b32_e32 v112, 30
	s_mov_b32 s0, 31
.LBB104_507:                            ; =>This Inner Loop Header: Depth=1
	ds_read_b64 v[122:123], v113
	v_add_nc_u32_e32 v113, 8, v113
	s_waitcnt lgkmcnt(0)
	v_cmp_lt_f64_e64 vcc_lo, |v[0:1]|, |v[122:123]|
	v_cndmask_b32_e32 v1, v1, v123, vcc_lo
	v_cndmask_b32_e32 v0, v0, v122, vcc_lo
	v_cndmask_b32_e64 v112, v112, s0, vcc_lo
	s_add_i32 s0, s0, 1
	s_cmp_lg_u32 s7, s0
	s_cbranch_scc1 .LBB104_507
.LBB104_508:
	s_mov_b32 s0, exec_lo
	s_waitcnt lgkmcnt(0)
	v_cmpx_eq_f64_e32 0, v[0:1]
	s_xor_b32 s0, exec_lo, s0
; %bb.509:
	v_cmp_ne_u32_e32 vcc_lo, 0, v115
	v_cndmask_b32_e32 v115, 31, v115, vcc_lo
; %bb.510:
	s_andn2_saveexec_b32 s0, s0
	s_cbranch_execz .LBB104_512
; %bb.511:
	v_div_scale_f64 v[113:114], null, v[0:1], v[0:1], 1.0
	v_rcp_f64_e32 v[122:123], v[113:114]
	v_fma_f64 v[124:125], -v[113:114], v[122:123], 1.0
	v_fma_f64 v[122:123], v[122:123], v[124:125], v[122:123]
	v_fma_f64 v[124:125], -v[113:114], v[122:123], 1.0
	v_fma_f64 v[122:123], v[122:123], v[124:125], v[122:123]
	v_div_scale_f64 v[124:125], vcc_lo, 1.0, v[0:1], 1.0
	v_mul_f64 v[126:127], v[124:125], v[122:123]
	v_fma_f64 v[113:114], -v[113:114], v[126:127], v[124:125]
	v_div_fmas_f64 v[113:114], v[113:114], v[122:123], v[126:127]
	v_div_fixup_f64 v[0:1], v[113:114], v[0:1], 1.0
.LBB104_512:
	s_or_b32 exec_lo, exec_lo, s0
	s_mov_b32 s0, exec_lo
	v_cmpx_ne_u32_e64 v121, v112
	s_xor_b32 s0, exec_lo, s0
	s_cbranch_execz .LBB104_518
; %bb.513:
	s_mov_b32 s1, exec_lo
	v_cmpx_eq_u32_e32 30, v121
	s_cbranch_execz .LBB104_517
; %bb.514:
	v_cmp_ne_u32_e32 vcc_lo, 30, v112
	s_xor_b32 s2, s6, -1
	s_and_b32 s3, s2, vcc_lo
	s_and_saveexec_b32 s2, s3
	s_cbranch_execz .LBB104_516
; %bb.515:
	v_ashrrev_i32_e32 v113, 31, v112
	v_lshlrev_b64 v[113:114], 2, v[112:113]
	v_add_co_u32 v113, vcc_lo, v4, v113
	v_add_co_ci_u32_e64 v114, null, v5, v114, vcc_lo
	s_clause 0x1
	global_load_dword v120, v[113:114], off
	global_load_dword v121, v[4:5], off offset:120
	s_waitcnt vmcnt(1)
	global_store_dword v[4:5], v120, off offset:120
	s_waitcnt vmcnt(0)
	global_store_dword v[113:114], v121, off
.LBB104_516:
	s_or_b32 exec_lo, exec_lo, s2
	v_mov_b32_e32 v120, v112
	v_mov_b32_e32 v121, v112
.LBB104_517:
	s_or_b32 exec_lo, exec_lo, s1
.LBB104_518:
	s_andn2_saveexec_b32 s0, s0
	s_cbranch_execz .LBB104_520
; %bb.519:
	v_mov_b32_e32 v121, 30
	ds_write2_b64 v118, v[44:45], v[46:47] offset0:31 offset1:32
	ds_write2_b64 v118, v[42:43], v[40:41] offset0:33 offset1:34
	;; [unrolled: 1-line block ×11, first 2 shown]
.LBB104_520:
	s_or_b32 exec_lo, exec_lo, s0
	s_mov_b32 s0, exec_lo
	s_waitcnt lgkmcnt(0)
	s_waitcnt_vscnt null, 0x0
	s_barrier
	buffer_gl0_inv
	v_cmpx_lt_i32_e32 30, v121
	s_cbranch_execz .LBB104_522
; %bb.521:
	v_mul_f64 v[50:51], v[0:1], v[50:51]
	ds_read2_b64 v[122:125], v118 offset0:31 offset1:32
	ds_read2_b64 v[126:129], v118 offset0:33 offset1:34
	;; [unrolled: 1-line block ×11, first 2 shown]
	s_waitcnt lgkmcnt(10)
	v_fma_f64 v[44:45], -v[50:51], v[122:123], v[44:45]
	v_fma_f64 v[46:47], -v[50:51], v[124:125], v[46:47]
	s_waitcnt lgkmcnt(9)
	v_fma_f64 v[42:43], -v[50:51], v[126:127], v[42:43]
	v_fma_f64 v[40:41], -v[50:51], v[128:129], v[40:41]
	;; [unrolled: 3-line block ×11, first 2 shown]
.LBB104_522:
	s_or_b32 exec_lo, exec_lo, s0
	v_lshl_add_u32 v0, v121, 3, v118
	s_barrier
	buffer_gl0_inv
	v_mov_b32_e32 v112, 31
	ds_write_b64 v0, v[44:45]
	s_waitcnt lgkmcnt(0)
	s_barrier
	buffer_gl0_inv
	ds_read_b64 v[0:1], v118 offset:248
	s_cmp_lt_i32 s7, 33
	s_cbranch_scc1 .LBB104_525
; %bb.523:
	v_add3_u32 v113, v119, 0, 0x100
	v_mov_b32_e32 v112, 31
	s_mov_b32 s0, 32
.LBB104_524:                            ; =>This Inner Loop Header: Depth=1
	ds_read_b64 v[122:123], v113
	v_add_nc_u32_e32 v113, 8, v113
	s_waitcnt lgkmcnt(0)
	v_cmp_lt_f64_e64 vcc_lo, |v[0:1]|, |v[122:123]|
	v_cndmask_b32_e32 v1, v1, v123, vcc_lo
	v_cndmask_b32_e32 v0, v0, v122, vcc_lo
	v_cndmask_b32_e64 v112, v112, s0, vcc_lo
	s_add_i32 s0, s0, 1
	s_cmp_lg_u32 s7, s0
	s_cbranch_scc1 .LBB104_524
.LBB104_525:
	s_mov_b32 s0, exec_lo
	s_waitcnt lgkmcnt(0)
	v_cmpx_eq_f64_e32 0, v[0:1]
	s_xor_b32 s0, exec_lo, s0
; %bb.526:
	v_cmp_ne_u32_e32 vcc_lo, 0, v115
	v_cndmask_b32_e32 v115, 32, v115, vcc_lo
; %bb.527:
	s_andn2_saveexec_b32 s0, s0
	s_cbranch_execz .LBB104_529
; %bb.528:
	v_div_scale_f64 v[113:114], null, v[0:1], v[0:1], 1.0
	v_rcp_f64_e32 v[122:123], v[113:114]
	v_fma_f64 v[124:125], -v[113:114], v[122:123], 1.0
	v_fma_f64 v[122:123], v[122:123], v[124:125], v[122:123]
	v_fma_f64 v[124:125], -v[113:114], v[122:123], 1.0
	v_fma_f64 v[122:123], v[122:123], v[124:125], v[122:123]
	v_div_scale_f64 v[124:125], vcc_lo, 1.0, v[0:1], 1.0
	v_mul_f64 v[126:127], v[124:125], v[122:123]
	v_fma_f64 v[113:114], -v[113:114], v[126:127], v[124:125]
	v_div_fmas_f64 v[113:114], v[113:114], v[122:123], v[126:127]
	v_div_fixup_f64 v[0:1], v[113:114], v[0:1], 1.0
.LBB104_529:
	s_or_b32 exec_lo, exec_lo, s0
	s_mov_b32 s0, exec_lo
	v_cmpx_ne_u32_e64 v121, v112
	s_xor_b32 s0, exec_lo, s0
	s_cbranch_execz .LBB104_535
; %bb.530:
	s_mov_b32 s1, exec_lo
	v_cmpx_eq_u32_e32 31, v121
	s_cbranch_execz .LBB104_534
; %bb.531:
	v_cmp_ne_u32_e32 vcc_lo, 31, v112
	s_xor_b32 s2, s6, -1
	s_and_b32 s3, s2, vcc_lo
	s_and_saveexec_b32 s2, s3
	s_cbranch_execz .LBB104_533
; %bb.532:
	v_ashrrev_i32_e32 v113, 31, v112
	v_lshlrev_b64 v[113:114], 2, v[112:113]
	v_add_co_u32 v113, vcc_lo, v4, v113
	v_add_co_ci_u32_e64 v114, null, v5, v114, vcc_lo
	s_clause 0x1
	global_load_dword v120, v[113:114], off
	global_load_dword v121, v[4:5], off offset:124
	s_waitcnt vmcnt(1)
	global_store_dword v[4:5], v120, off offset:124
	s_waitcnt vmcnt(0)
	global_store_dword v[113:114], v121, off
.LBB104_533:
	s_or_b32 exec_lo, exec_lo, s2
	v_mov_b32_e32 v120, v112
	v_mov_b32_e32 v121, v112
.LBB104_534:
	s_or_b32 exec_lo, exec_lo, s1
.LBB104_535:
	s_andn2_saveexec_b32 s0, s0
	s_cbranch_execz .LBB104_537
; %bb.536:
	v_mov_b32_e32 v112, v46
	v_mov_b32_e32 v113, v47
	;; [unrolled: 1-line block ×8, first 2 shown]
	ds_write2_b64 v118, v[112:113], v[121:122] offset0:32 offset1:33
	v_mov_b32_e32 v112, v38
	v_mov_b32_e32 v113, v39
	;; [unrolled: 1-line block ×16, first 2 shown]
	ds_write2_b64 v118, v[123:124], v[112:113] offset0:34 offset1:35
	ds_write2_b64 v118, v[121:122], v[125:126] offset0:36 offset1:37
	;; [unrolled: 1-line block ×5, first 2 shown]
	v_mov_b32_e32 v112, v20
	v_mov_b32_e32 v113, v21
	;; [unrolled: 1-line block ×8, first 2 shown]
	ds_write2_b64 v118, v[112:113], v[121:122] offset0:44 offset1:45
	v_mov_b32_e32 v121, 31
	v_mov_b32_e32 v127, v12
	;; [unrolled: 1-line block ×9, first 2 shown]
	ds_write2_b64 v118, v[123:124], v[125:126] offset0:46 offset1:47
	ds_write2_b64 v118, v[127:128], v[129:130] offset0:48 offset1:49
	;; [unrolled: 1-line block ×3, first 2 shown]
	ds_write_b64 v118, v[110:111] offset:416
.LBB104_537:
	s_or_b32 exec_lo, exec_lo, s0
	s_mov_b32 s0, exec_lo
	s_waitcnt lgkmcnt(0)
	s_waitcnt_vscnt null, 0x0
	s_barrier
	buffer_gl0_inv
	v_cmpx_lt_i32_e32 31, v121
	s_cbranch_execz .LBB104_539
; %bb.538:
	v_mul_f64 v[44:45], v[0:1], v[44:45]
	ds_read2_b64 v[122:125], v118 offset0:32 offset1:33
	ds_read2_b64 v[126:129], v118 offset0:34 offset1:35
	;; [unrolled: 1-line block ×10, first 2 shown]
	ds_read_b64 v[0:1], v118 offset:416
	s_waitcnt lgkmcnt(10)
	v_fma_f64 v[46:47], -v[44:45], v[122:123], v[46:47]
	v_fma_f64 v[42:43], -v[44:45], v[124:125], v[42:43]
	s_waitcnt lgkmcnt(9)
	v_fma_f64 v[40:41], -v[44:45], v[126:127], v[40:41]
	v_fma_f64 v[38:39], -v[44:45], v[128:129], v[38:39]
	;; [unrolled: 3-line block ×10, first 2 shown]
	s_waitcnt lgkmcnt(0)
	v_fma_f64 v[110:111], -v[44:45], v[0:1], v[110:111]
.LBB104_539:
	s_or_b32 exec_lo, exec_lo, s0
	v_lshl_add_u32 v0, v121, 3, v118
	s_barrier
	buffer_gl0_inv
	v_mov_b32_e32 v112, 32
	ds_write_b64 v0, v[46:47]
	s_waitcnt lgkmcnt(0)
	s_barrier
	buffer_gl0_inv
	ds_read_b64 v[0:1], v118 offset:256
	s_cmp_lt_i32 s7, 34
	s_cbranch_scc1 .LBB104_542
; %bb.540:
	v_add3_u32 v113, v119, 0, 0x108
	v_mov_b32_e32 v112, 32
	s_mov_b32 s0, 33
.LBB104_541:                            ; =>This Inner Loop Header: Depth=1
	ds_read_b64 v[122:123], v113
	v_add_nc_u32_e32 v113, 8, v113
	s_waitcnt lgkmcnt(0)
	v_cmp_lt_f64_e64 vcc_lo, |v[0:1]|, |v[122:123]|
	v_cndmask_b32_e32 v1, v1, v123, vcc_lo
	v_cndmask_b32_e32 v0, v0, v122, vcc_lo
	v_cndmask_b32_e64 v112, v112, s0, vcc_lo
	s_add_i32 s0, s0, 1
	s_cmp_lg_u32 s7, s0
	s_cbranch_scc1 .LBB104_541
.LBB104_542:
	s_mov_b32 s0, exec_lo
	s_waitcnt lgkmcnt(0)
	v_cmpx_eq_f64_e32 0, v[0:1]
	s_xor_b32 s0, exec_lo, s0
; %bb.543:
	v_cmp_ne_u32_e32 vcc_lo, 0, v115
	v_cndmask_b32_e32 v115, 33, v115, vcc_lo
; %bb.544:
	s_andn2_saveexec_b32 s0, s0
	s_cbranch_execz .LBB104_546
; %bb.545:
	v_div_scale_f64 v[113:114], null, v[0:1], v[0:1], 1.0
	v_rcp_f64_e32 v[122:123], v[113:114]
	v_fma_f64 v[124:125], -v[113:114], v[122:123], 1.0
	v_fma_f64 v[122:123], v[122:123], v[124:125], v[122:123]
	v_fma_f64 v[124:125], -v[113:114], v[122:123], 1.0
	v_fma_f64 v[122:123], v[122:123], v[124:125], v[122:123]
	v_div_scale_f64 v[124:125], vcc_lo, 1.0, v[0:1], 1.0
	v_mul_f64 v[126:127], v[124:125], v[122:123]
	v_fma_f64 v[113:114], -v[113:114], v[126:127], v[124:125]
	v_div_fmas_f64 v[113:114], v[113:114], v[122:123], v[126:127]
	v_div_fixup_f64 v[0:1], v[113:114], v[0:1], 1.0
.LBB104_546:
	s_or_b32 exec_lo, exec_lo, s0
	s_mov_b32 s0, exec_lo
	v_cmpx_ne_u32_e64 v121, v112
	s_xor_b32 s0, exec_lo, s0
	s_cbranch_execz .LBB104_552
; %bb.547:
	s_mov_b32 s1, exec_lo
	v_cmpx_eq_u32_e32 32, v121
	s_cbranch_execz .LBB104_551
; %bb.548:
	v_cmp_ne_u32_e32 vcc_lo, 32, v112
	s_xor_b32 s2, s6, -1
	s_and_b32 s3, s2, vcc_lo
	s_and_saveexec_b32 s2, s3
	s_cbranch_execz .LBB104_550
; %bb.549:
	v_ashrrev_i32_e32 v113, 31, v112
	v_lshlrev_b64 v[113:114], 2, v[112:113]
	v_add_co_u32 v113, vcc_lo, v4, v113
	v_add_co_ci_u32_e64 v114, null, v5, v114, vcc_lo
	s_clause 0x1
	global_load_dword v120, v[113:114], off
	global_load_dword v121, v[4:5], off offset:128
	s_waitcnt vmcnt(1)
	global_store_dword v[4:5], v120, off offset:128
	s_waitcnt vmcnt(0)
	global_store_dword v[113:114], v121, off
.LBB104_550:
	s_or_b32 exec_lo, exec_lo, s2
	v_mov_b32_e32 v120, v112
	v_mov_b32_e32 v121, v112
.LBB104_551:
	s_or_b32 exec_lo, exec_lo, s1
.LBB104_552:
	s_andn2_saveexec_b32 s0, s0
	s_cbranch_execz .LBB104_554
; %bb.553:
	v_mov_b32_e32 v121, 32
	ds_write2_b64 v118, v[42:43], v[40:41] offset0:33 offset1:34
	ds_write2_b64 v118, v[38:39], v[36:37] offset0:35 offset1:36
	ds_write2_b64 v118, v[34:35], v[32:33] offset0:37 offset1:38
	ds_write2_b64 v118, v[28:29], v[30:31] offset0:39 offset1:40
	ds_write2_b64 v118, v[24:25], v[26:27] offset0:41 offset1:42
	ds_write2_b64 v118, v[22:23], v[20:21] offset0:43 offset1:44
	ds_write2_b64 v118, v[18:19], v[16:17] offset0:45 offset1:46
	ds_write2_b64 v118, v[14:15], v[12:13] offset0:47 offset1:48
	ds_write2_b64 v118, v[8:9], v[10:11] offset0:49 offset1:50
	ds_write2_b64 v118, v[6:7], v[110:111] offset0:51 offset1:52
.LBB104_554:
	s_or_b32 exec_lo, exec_lo, s0
	s_mov_b32 s0, exec_lo
	s_waitcnt lgkmcnt(0)
	s_waitcnt_vscnt null, 0x0
	s_barrier
	buffer_gl0_inv
	v_cmpx_lt_i32_e32 32, v121
	s_cbranch_execz .LBB104_556
; %bb.555:
	v_mul_f64 v[46:47], v[0:1], v[46:47]
	ds_read2_b64 v[122:125], v118 offset0:33 offset1:34
	ds_read2_b64 v[126:129], v118 offset0:35 offset1:36
	ds_read2_b64 v[130:133], v118 offset0:37 offset1:38
	ds_read2_b64 v[134:137], v118 offset0:39 offset1:40
	ds_read2_b64 v[138:141], v118 offset0:41 offset1:42
	ds_read2_b64 v[142:145], v118 offset0:43 offset1:44
	ds_read2_b64 v[146:149], v118 offset0:45 offset1:46
	ds_read2_b64 v[150:153], v118 offset0:47 offset1:48
	ds_read2_b64 v[154:157], v118 offset0:49 offset1:50
	ds_read2_b64 v[158:161], v118 offset0:51 offset1:52
	s_waitcnt lgkmcnt(9)
	v_fma_f64 v[42:43], -v[46:47], v[122:123], v[42:43]
	v_fma_f64 v[40:41], -v[46:47], v[124:125], v[40:41]
	s_waitcnt lgkmcnt(8)
	v_fma_f64 v[38:39], -v[46:47], v[126:127], v[38:39]
	v_fma_f64 v[36:37], -v[46:47], v[128:129], v[36:37]
	;; [unrolled: 3-line block ×10, first 2 shown]
.LBB104_556:
	s_or_b32 exec_lo, exec_lo, s0
	v_lshl_add_u32 v0, v121, 3, v118
	s_barrier
	buffer_gl0_inv
	v_mov_b32_e32 v112, 33
	ds_write_b64 v0, v[42:43]
	s_waitcnt lgkmcnt(0)
	s_barrier
	buffer_gl0_inv
	ds_read_b64 v[0:1], v118 offset:264
	s_cmp_lt_i32 s7, 35
	s_cbranch_scc1 .LBB104_559
; %bb.557:
	v_add3_u32 v113, v119, 0, 0x110
	v_mov_b32_e32 v112, 33
	s_mov_b32 s0, 34
.LBB104_558:                            ; =>This Inner Loop Header: Depth=1
	ds_read_b64 v[122:123], v113
	v_add_nc_u32_e32 v113, 8, v113
	s_waitcnt lgkmcnt(0)
	v_cmp_lt_f64_e64 vcc_lo, |v[0:1]|, |v[122:123]|
	v_cndmask_b32_e32 v1, v1, v123, vcc_lo
	v_cndmask_b32_e32 v0, v0, v122, vcc_lo
	v_cndmask_b32_e64 v112, v112, s0, vcc_lo
	s_add_i32 s0, s0, 1
	s_cmp_lg_u32 s7, s0
	s_cbranch_scc1 .LBB104_558
.LBB104_559:
	s_mov_b32 s0, exec_lo
	s_waitcnt lgkmcnt(0)
	v_cmpx_eq_f64_e32 0, v[0:1]
	s_xor_b32 s0, exec_lo, s0
; %bb.560:
	v_cmp_ne_u32_e32 vcc_lo, 0, v115
	v_cndmask_b32_e32 v115, 34, v115, vcc_lo
; %bb.561:
	s_andn2_saveexec_b32 s0, s0
	s_cbranch_execz .LBB104_563
; %bb.562:
	v_div_scale_f64 v[113:114], null, v[0:1], v[0:1], 1.0
	v_rcp_f64_e32 v[122:123], v[113:114]
	v_fma_f64 v[124:125], -v[113:114], v[122:123], 1.0
	v_fma_f64 v[122:123], v[122:123], v[124:125], v[122:123]
	v_fma_f64 v[124:125], -v[113:114], v[122:123], 1.0
	v_fma_f64 v[122:123], v[122:123], v[124:125], v[122:123]
	v_div_scale_f64 v[124:125], vcc_lo, 1.0, v[0:1], 1.0
	v_mul_f64 v[126:127], v[124:125], v[122:123]
	v_fma_f64 v[113:114], -v[113:114], v[126:127], v[124:125]
	v_div_fmas_f64 v[113:114], v[113:114], v[122:123], v[126:127]
	v_div_fixup_f64 v[0:1], v[113:114], v[0:1], 1.0
.LBB104_563:
	s_or_b32 exec_lo, exec_lo, s0
	s_mov_b32 s0, exec_lo
	v_cmpx_ne_u32_e64 v121, v112
	s_xor_b32 s0, exec_lo, s0
	s_cbranch_execz .LBB104_569
; %bb.564:
	s_mov_b32 s1, exec_lo
	v_cmpx_eq_u32_e32 33, v121
	s_cbranch_execz .LBB104_568
; %bb.565:
	v_cmp_ne_u32_e32 vcc_lo, 33, v112
	s_xor_b32 s2, s6, -1
	s_and_b32 s3, s2, vcc_lo
	s_and_saveexec_b32 s2, s3
	s_cbranch_execz .LBB104_567
; %bb.566:
	v_ashrrev_i32_e32 v113, 31, v112
	v_lshlrev_b64 v[113:114], 2, v[112:113]
	v_add_co_u32 v113, vcc_lo, v4, v113
	v_add_co_ci_u32_e64 v114, null, v5, v114, vcc_lo
	s_clause 0x1
	global_load_dword v120, v[113:114], off
	global_load_dword v121, v[4:5], off offset:132
	s_waitcnt vmcnt(1)
	global_store_dword v[4:5], v120, off offset:132
	s_waitcnt vmcnt(0)
	global_store_dword v[113:114], v121, off
.LBB104_567:
	s_or_b32 exec_lo, exec_lo, s2
	v_mov_b32_e32 v120, v112
	v_mov_b32_e32 v121, v112
.LBB104_568:
	s_or_b32 exec_lo, exec_lo, s1
.LBB104_569:
	s_andn2_saveexec_b32 s0, s0
	s_cbranch_execz .LBB104_571
; %bb.570:
	v_mov_b32_e32 v112, v40
	v_mov_b32_e32 v113, v41
	;; [unrolled: 1-line block ×20, first 2 shown]
	ds_write2_b64 v118, v[112:113], v[121:122] offset0:34 offset1:35
	ds_write2_b64 v118, v[123:124], v[125:126] offset0:36 offset1:37
	;; [unrolled: 1-line block ×5, first 2 shown]
	v_mov_b32_e32 v112, v20
	v_mov_b32_e32 v113, v21
	;; [unrolled: 1-line block ×8, first 2 shown]
	ds_write2_b64 v118, v[112:113], v[121:122] offset0:44 offset1:45
	v_mov_b32_e32 v121, 33
	v_mov_b32_e32 v127, v12
	;; [unrolled: 1-line block ×9, first 2 shown]
	ds_write2_b64 v118, v[123:124], v[125:126] offset0:46 offset1:47
	ds_write2_b64 v118, v[127:128], v[129:130] offset0:48 offset1:49
	ds_write2_b64 v118, v[131:132], v[133:134] offset0:50 offset1:51
	ds_write_b64 v118, v[110:111] offset:416
.LBB104_571:
	s_or_b32 exec_lo, exec_lo, s0
	s_mov_b32 s0, exec_lo
	s_waitcnt lgkmcnt(0)
	s_waitcnt_vscnt null, 0x0
	s_barrier
	buffer_gl0_inv
	v_cmpx_lt_i32_e32 33, v121
	s_cbranch_execz .LBB104_573
; %bb.572:
	v_mul_f64 v[42:43], v[0:1], v[42:43]
	ds_read2_b64 v[122:125], v118 offset0:34 offset1:35
	ds_read2_b64 v[126:129], v118 offset0:36 offset1:37
	;; [unrolled: 1-line block ×9, first 2 shown]
	ds_read_b64 v[0:1], v118 offset:416
	s_waitcnt lgkmcnt(9)
	v_fma_f64 v[40:41], -v[42:43], v[122:123], v[40:41]
	v_fma_f64 v[38:39], -v[42:43], v[124:125], v[38:39]
	s_waitcnt lgkmcnt(8)
	v_fma_f64 v[36:37], -v[42:43], v[126:127], v[36:37]
	v_fma_f64 v[34:35], -v[42:43], v[128:129], v[34:35]
	s_waitcnt lgkmcnt(7)
	v_fma_f64 v[32:33], -v[42:43], v[130:131], v[32:33]
	v_fma_f64 v[28:29], -v[42:43], v[132:133], v[28:29]
	s_waitcnt lgkmcnt(6)
	v_fma_f64 v[30:31], -v[42:43], v[134:135], v[30:31]
	v_fma_f64 v[24:25], -v[42:43], v[136:137], v[24:25]
	s_waitcnt lgkmcnt(5)
	v_fma_f64 v[26:27], -v[42:43], v[138:139], v[26:27]
	v_fma_f64 v[22:23], -v[42:43], v[140:141], v[22:23]
	s_waitcnt lgkmcnt(4)
	v_fma_f64 v[20:21], -v[42:43], v[142:143], v[20:21]
	v_fma_f64 v[18:19], -v[42:43], v[144:145], v[18:19]
	s_waitcnt lgkmcnt(3)
	v_fma_f64 v[16:17], -v[42:43], v[146:147], v[16:17]
	v_fma_f64 v[14:15], -v[42:43], v[148:149], v[14:15]
	s_waitcnt lgkmcnt(2)
	v_fma_f64 v[12:13], -v[42:43], v[150:151], v[12:13]
	v_fma_f64 v[8:9], -v[42:43], v[152:153], v[8:9]
	s_waitcnt lgkmcnt(1)
	v_fma_f64 v[10:11], -v[42:43], v[154:155], v[10:11]
	v_fma_f64 v[6:7], -v[42:43], v[156:157], v[6:7]
	s_waitcnt lgkmcnt(0)
	v_fma_f64 v[110:111], -v[42:43], v[0:1], v[110:111]
.LBB104_573:
	s_or_b32 exec_lo, exec_lo, s0
	v_lshl_add_u32 v0, v121, 3, v118
	s_barrier
	buffer_gl0_inv
	v_mov_b32_e32 v112, 34
	ds_write_b64 v0, v[40:41]
	s_waitcnt lgkmcnt(0)
	s_barrier
	buffer_gl0_inv
	ds_read_b64 v[0:1], v118 offset:272
	s_cmp_lt_i32 s7, 36
	s_cbranch_scc1 .LBB104_576
; %bb.574:
	v_add3_u32 v113, v119, 0, 0x118
	v_mov_b32_e32 v112, 34
	s_mov_b32 s0, 35
.LBB104_575:                            ; =>This Inner Loop Header: Depth=1
	ds_read_b64 v[122:123], v113
	v_add_nc_u32_e32 v113, 8, v113
	s_waitcnt lgkmcnt(0)
	v_cmp_lt_f64_e64 vcc_lo, |v[0:1]|, |v[122:123]|
	v_cndmask_b32_e32 v1, v1, v123, vcc_lo
	v_cndmask_b32_e32 v0, v0, v122, vcc_lo
	v_cndmask_b32_e64 v112, v112, s0, vcc_lo
	s_add_i32 s0, s0, 1
	s_cmp_lg_u32 s7, s0
	s_cbranch_scc1 .LBB104_575
.LBB104_576:
	s_mov_b32 s0, exec_lo
	s_waitcnt lgkmcnt(0)
	v_cmpx_eq_f64_e32 0, v[0:1]
	s_xor_b32 s0, exec_lo, s0
; %bb.577:
	v_cmp_ne_u32_e32 vcc_lo, 0, v115
	v_cndmask_b32_e32 v115, 35, v115, vcc_lo
; %bb.578:
	s_andn2_saveexec_b32 s0, s0
	s_cbranch_execz .LBB104_580
; %bb.579:
	v_div_scale_f64 v[113:114], null, v[0:1], v[0:1], 1.0
	v_rcp_f64_e32 v[122:123], v[113:114]
	v_fma_f64 v[124:125], -v[113:114], v[122:123], 1.0
	v_fma_f64 v[122:123], v[122:123], v[124:125], v[122:123]
	v_fma_f64 v[124:125], -v[113:114], v[122:123], 1.0
	v_fma_f64 v[122:123], v[122:123], v[124:125], v[122:123]
	v_div_scale_f64 v[124:125], vcc_lo, 1.0, v[0:1], 1.0
	v_mul_f64 v[126:127], v[124:125], v[122:123]
	v_fma_f64 v[113:114], -v[113:114], v[126:127], v[124:125]
	v_div_fmas_f64 v[113:114], v[113:114], v[122:123], v[126:127]
	v_div_fixup_f64 v[0:1], v[113:114], v[0:1], 1.0
.LBB104_580:
	s_or_b32 exec_lo, exec_lo, s0
	s_mov_b32 s0, exec_lo
	v_cmpx_ne_u32_e64 v121, v112
	s_xor_b32 s0, exec_lo, s0
	s_cbranch_execz .LBB104_586
; %bb.581:
	s_mov_b32 s1, exec_lo
	v_cmpx_eq_u32_e32 34, v121
	s_cbranch_execz .LBB104_585
; %bb.582:
	v_cmp_ne_u32_e32 vcc_lo, 34, v112
	s_xor_b32 s2, s6, -1
	s_and_b32 s3, s2, vcc_lo
	s_and_saveexec_b32 s2, s3
	s_cbranch_execz .LBB104_584
; %bb.583:
	v_ashrrev_i32_e32 v113, 31, v112
	v_lshlrev_b64 v[113:114], 2, v[112:113]
	v_add_co_u32 v113, vcc_lo, v4, v113
	v_add_co_ci_u32_e64 v114, null, v5, v114, vcc_lo
	s_clause 0x1
	global_load_dword v120, v[113:114], off
	global_load_dword v121, v[4:5], off offset:136
	s_waitcnt vmcnt(1)
	global_store_dword v[4:5], v120, off offset:136
	s_waitcnt vmcnt(0)
	global_store_dword v[113:114], v121, off
.LBB104_584:
	s_or_b32 exec_lo, exec_lo, s2
	v_mov_b32_e32 v120, v112
	v_mov_b32_e32 v121, v112
.LBB104_585:
	s_or_b32 exec_lo, exec_lo, s1
.LBB104_586:
	s_andn2_saveexec_b32 s0, s0
	s_cbranch_execz .LBB104_588
; %bb.587:
	v_mov_b32_e32 v121, 34
	ds_write2_b64 v118, v[38:39], v[36:37] offset0:35 offset1:36
	ds_write2_b64 v118, v[34:35], v[32:33] offset0:37 offset1:38
	;; [unrolled: 1-line block ×9, first 2 shown]
.LBB104_588:
	s_or_b32 exec_lo, exec_lo, s0
	s_mov_b32 s0, exec_lo
	s_waitcnt lgkmcnt(0)
	s_waitcnt_vscnt null, 0x0
	s_barrier
	buffer_gl0_inv
	v_cmpx_lt_i32_e32 34, v121
	s_cbranch_execz .LBB104_590
; %bb.589:
	v_mul_f64 v[40:41], v[0:1], v[40:41]
	ds_read2_b64 v[122:125], v118 offset0:35 offset1:36
	ds_read2_b64 v[126:129], v118 offset0:37 offset1:38
	;; [unrolled: 1-line block ×9, first 2 shown]
	s_waitcnt lgkmcnt(8)
	v_fma_f64 v[38:39], -v[40:41], v[122:123], v[38:39]
	v_fma_f64 v[36:37], -v[40:41], v[124:125], v[36:37]
	s_waitcnt lgkmcnt(7)
	v_fma_f64 v[34:35], -v[40:41], v[126:127], v[34:35]
	v_fma_f64 v[32:33], -v[40:41], v[128:129], v[32:33]
	s_waitcnt lgkmcnt(6)
	v_fma_f64 v[28:29], -v[40:41], v[130:131], v[28:29]
	v_fma_f64 v[30:31], -v[40:41], v[132:133], v[30:31]
	s_waitcnt lgkmcnt(5)
	v_fma_f64 v[24:25], -v[40:41], v[134:135], v[24:25]
	v_fma_f64 v[26:27], -v[40:41], v[136:137], v[26:27]
	s_waitcnt lgkmcnt(4)
	v_fma_f64 v[22:23], -v[40:41], v[138:139], v[22:23]
	v_fma_f64 v[20:21], -v[40:41], v[140:141], v[20:21]
	s_waitcnt lgkmcnt(3)
	v_fma_f64 v[18:19], -v[40:41], v[142:143], v[18:19]
	v_fma_f64 v[16:17], -v[40:41], v[144:145], v[16:17]
	s_waitcnt lgkmcnt(2)
	v_fma_f64 v[14:15], -v[40:41], v[146:147], v[14:15]
	v_fma_f64 v[12:13], -v[40:41], v[148:149], v[12:13]
	s_waitcnt lgkmcnt(1)
	v_fma_f64 v[8:9], -v[40:41], v[150:151], v[8:9]
	v_fma_f64 v[10:11], -v[40:41], v[152:153], v[10:11]
	s_waitcnt lgkmcnt(0)
	v_fma_f64 v[6:7], -v[40:41], v[154:155], v[6:7]
	v_fma_f64 v[110:111], -v[40:41], v[156:157], v[110:111]
.LBB104_590:
	s_or_b32 exec_lo, exec_lo, s0
	v_lshl_add_u32 v0, v121, 3, v118
	s_barrier
	buffer_gl0_inv
	v_mov_b32_e32 v112, 35
	ds_write_b64 v0, v[38:39]
	s_waitcnt lgkmcnt(0)
	s_barrier
	buffer_gl0_inv
	ds_read_b64 v[0:1], v118 offset:280
	s_cmp_lt_i32 s7, 37
	s_cbranch_scc1 .LBB104_593
; %bb.591:
	v_add3_u32 v113, v119, 0, 0x120
	v_mov_b32_e32 v112, 35
	s_mov_b32 s0, 36
.LBB104_592:                            ; =>This Inner Loop Header: Depth=1
	ds_read_b64 v[122:123], v113
	v_add_nc_u32_e32 v113, 8, v113
	s_waitcnt lgkmcnt(0)
	v_cmp_lt_f64_e64 vcc_lo, |v[0:1]|, |v[122:123]|
	v_cndmask_b32_e32 v1, v1, v123, vcc_lo
	v_cndmask_b32_e32 v0, v0, v122, vcc_lo
	v_cndmask_b32_e64 v112, v112, s0, vcc_lo
	s_add_i32 s0, s0, 1
	s_cmp_lg_u32 s7, s0
	s_cbranch_scc1 .LBB104_592
.LBB104_593:
	s_mov_b32 s0, exec_lo
	s_waitcnt lgkmcnt(0)
	v_cmpx_eq_f64_e32 0, v[0:1]
	s_xor_b32 s0, exec_lo, s0
; %bb.594:
	v_cmp_ne_u32_e32 vcc_lo, 0, v115
	v_cndmask_b32_e32 v115, 36, v115, vcc_lo
; %bb.595:
	s_andn2_saveexec_b32 s0, s0
	s_cbranch_execz .LBB104_597
; %bb.596:
	v_div_scale_f64 v[113:114], null, v[0:1], v[0:1], 1.0
	v_rcp_f64_e32 v[122:123], v[113:114]
	v_fma_f64 v[124:125], -v[113:114], v[122:123], 1.0
	v_fma_f64 v[122:123], v[122:123], v[124:125], v[122:123]
	v_fma_f64 v[124:125], -v[113:114], v[122:123], 1.0
	v_fma_f64 v[122:123], v[122:123], v[124:125], v[122:123]
	v_div_scale_f64 v[124:125], vcc_lo, 1.0, v[0:1], 1.0
	v_mul_f64 v[126:127], v[124:125], v[122:123]
	v_fma_f64 v[113:114], -v[113:114], v[126:127], v[124:125]
	v_div_fmas_f64 v[113:114], v[113:114], v[122:123], v[126:127]
	v_div_fixup_f64 v[0:1], v[113:114], v[0:1], 1.0
.LBB104_597:
	s_or_b32 exec_lo, exec_lo, s0
	s_mov_b32 s0, exec_lo
	v_cmpx_ne_u32_e64 v121, v112
	s_xor_b32 s0, exec_lo, s0
	s_cbranch_execz .LBB104_603
; %bb.598:
	s_mov_b32 s1, exec_lo
	v_cmpx_eq_u32_e32 35, v121
	s_cbranch_execz .LBB104_602
; %bb.599:
	v_cmp_ne_u32_e32 vcc_lo, 35, v112
	s_xor_b32 s2, s6, -1
	s_and_b32 s3, s2, vcc_lo
	s_and_saveexec_b32 s2, s3
	s_cbranch_execz .LBB104_601
; %bb.600:
	v_ashrrev_i32_e32 v113, 31, v112
	v_lshlrev_b64 v[113:114], 2, v[112:113]
	v_add_co_u32 v113, vcc_lo, v4, v113
	v_add_co_ci_u32_e64 v114, null, v5, v114, vcc_lo
	s_clause 0x1
	global_load_dword v120, v[113:114], off
	global_load_dword v121, v[4:5], off offset:140
	s_waitcnt vmcnt(1)
	global_store_dword v[4:5], v120, off offset:140
	s_waitcnt vmcnt(0)
	global_store_dword v[113:114], v121, off
.LBB104_601:
	s_or_b32 exec_lo, exec_lo, s2
	v_mov_b32_e32 v120, v112
	v_mov_b32_e32 v121, v112
.LBB104_602:
	s_or_b32 exec_lo, exec_lo, s1
.LBB104_603:
	s_andn2_saveexec_b32 s0, s0
	s_cbranch_execz .LBB104_605
; %bb.604:
	v_mov_b32_e32 v112, v36
	v_mov_b32_e32 v113, v37
	;; [unrolled: 1-line block ×16, first 2 shown]
	ds_write2_b64 v118, v[112:113], v[121:122] offset0:36 offset1:37
	ds_write2_b64 v118, v[123:124], v[125:126] offset0:38 offset1:39
	;; [unrolled: 1-line block ×4, first 2 shown]
	v_mov_b32_e32 v112, v20
	v_mov_b32_e32 v113, v21
	;; [unrolled: 1-line block ×8, first 2 shown]
	ds_write2_b64 v118, v[112:113], v[121:122] offset0:44 offset1:45
	v_mov_b32_e32 v121, 35
	v_mov_b32_e32 v127, v12
	;; [unrolled: 1-line block ×9, first 2 shown]
	ds_write2_b64 v118, v[123:124], v[125:126] offset0:46 offset1:47
	ds_write2_b64 v118, v[127:128], v[129:130] offset0:48 offset1:49
	;; [unrolled: 1-line block ×3, first 2 shown]
	ds_write_b64 v118, v[110:111] offset:416
.LBB104_605:
	s_or_b32 exec_lo, exec_lo, s0
	s_mov_b32 s0, exec_lo
	s_waitcnt lgkmcnt(0)
	s_waitcnt_vscnt null, 0x0
	s_barrier
	buffer_gl0_inv
	v_cmpx_lt_i32_e32 35, v121
	s_cbranch_execz .LBB104_607
; %bb.606:
	v_mul_f64 v[38:39], v[0:1], v[38:39]
	ds_read2_b64 v[122:125], v118 offset0:36 offset1:37
	ds_read2_b64 v[126:129], v118 offset0:38 offset1:39
	;; [unrolled: 1-line block ×8, first 2 shown]
	ds_read_b64 v[0:1], v118 offset:416
	s_waitcnt lgkmcnt(8)
	v_fma_f64 v[36:37], -v[38:39], v[122:123], v[36:37]
	v_fma_f64 v[34:35], -v[38:39], v[124:125], v[34:35]
	s_waitcnt lgkmcnt(7)
	v_fma_f64 v[32:33], -v[38:39], v[126:127], v[32:33]
	v_fma_f64 v[28:29], -v[38:39], v[128:129], v[28:29]
	;; [unrolled: 3-line block ×8, first 2 shown]
	s_waitcnt lgkmcnt(0)
	v_fma_f64 v[110:111], -v[38:39], v[0:1], v[110:111]
.LBB104_607:
	s_or_b32 exec_lo, exec_lo, s0
	v_lshl_add_u32 v0, v121, 3, v118
	s_barrier
	buffer_gl0_inv
	v_mov_b32_e32 v112, 36
	ds_write_b64 v0, v[36:37]
	s_waitcnt lgkmcnt(0)
	s_barrier
	buffer_gl0_inv
	ds_read_b64 v[0:1], v118 offset:288
	s_cmp_lt_i32 s7, 38
	s_cbranch_scc1 .LBB104_610
; %bb.608:
	v_add3_u32 v113, v119, 0, 0x128
	v_mov_b32_e32 v112, 36
	s_mov_b32 s0, 37
.LBB104_609:                            ; =>This Inner Loop Header: Depth=1
	ds_read_b64 v[122:123], v113
	v_add_nc_u32_e32 v113, 8, v113
	s_waitcnt lgkmcnt(0)
	v_cmp_lt_f64_e64 vcc_lo, |v[0:1]|, |v[122:123]|
	v_cndmask_b32_e32 v1, v1, v123, vcc_lo
	v_cndmask_b32_e32 v0, v0, v122, vcc_lo
	v_cndmask_b32_e64 v112, v112, s0, vcc_lo
	s_add_i32 s0, s0, 1
	s_cmp_lg_u32 s7, s0
	s_cbranch_scc1 .LBB104_609
.LBB104_610:
	s_mov_b32 s0, exec_lo
	s_waitcnt lgkmcnt(0)
	v_cmpx_eq_f64_e32 0, v[0:1]
	s_xor_b32 s0, exec_lo, s0
; %bb.611:
	v_cmp_ne_u32_e32 vcc_lo, 0, v115
	v_cndmask_b32_e32 v115, 37, v115, vcc_lo
; %bb.612:
	s_andn2_saveexec_b32 s0, s0
	s_cbranch_execz .LBB104_614
; %bb.613:
	v_div_scale_f64 v[113:114], null, v[0:1], v[0:1], 1.0
	v_rcp_f64_e32 v[122:123], v[113:114]
	v_fma_f64 v[124:125], -v[113:114], v[122:123], 1.0
	v_fma_f64 v[122:123], v[122:123], v[124:125], v[122:123]
	v_fma_f64 v[124:125], -v[113:114], v[122:123], 1.0
	v_fma_f64 v[122:123], v[122:123], v[124:125], v[122:123]
	v_div_scale_f64 v[124:125], vcc_lo, 1.0, v[0:1], 1.0
	v_mul_f64 v[126:127], v[124:125], v[122:123]
	v_fma_f64 v[113:114], -v[113:114], v[126:127], v[124:125]
	v_div_fmas_f64 v[113:114], v[113:114], v[122:123], v[126:127]
	v_div_fixup_f64 v[0:1], v[113:114], v[0:1], 1.0
.LBB104_614:
	s_or_b32 exec_lo, exec_lo, s0
	s_mov_b32 s0, exec_lo
	v_cmpx_ne_u32_e64 v121, v112
	s_xor_b32 s0, exec_lo, s0
	s_cbranch_execz .LBB104_620
; %bb.615:
	s_mov_b32 s1, exec_lo
	v_cmpx_eq_u32_e32 36, v121
	s_cbranch_execz .LBB104_619
; %bb.616:
	v_cmp_ne_u32_e32 vcc_lo, 36, v112
	s_xor_b32 s2, s6, -1
	s_and_b32 s3, s2, vcc_lo
	s_and_saveexec_b32 s2, s3
	s_cbranch_execz .LBB104_618
; %bb.617:
	v_ashrrev_i32_e32 v113, 31, v112
	v_lshlrev_b64 v[113:114], 2, v[112:113]
	v_add_co_u32 v113, vcc_lo, v4, v113
	v_add_co_ci_u32_e64 v114, null, v5, v114, vcc_lo
	s_clause 0x1
	global_load_dword v120, v[113:114], off
	global_load_dword v121, v[4:5], off offset:144
	s_waitcnt vmcnt(1)
	global_store_dword v[4:5], v120, off offset:144
	s_waitcnt vmcnt(0)
	global_store_dword v[113:114], v121, off
.LBB104_618:
	s_or_b32 exec_lo, exec_lo, s2
	v_mov_b32_e32 v120, v112
	v_mov_b32_e32 v121, v112
.LBB104_619:
	s_or_b32 exec_lo, exec_lo, s1
.LBB104_620:
	s_andn2_saveexec_b32 s0, s0
	s_cbranch_execz .LBB104_622
; %bb.621:
	v_mov_b32_e32 v121, 36
	ds_write2_b64 v118, v[34:35], v[32:33] offset0:37 offset1:38
	ds_write2_b64 v118, v[28:29], v[30:31] offset0:39 offset1:40
	;; [unrolled: 1-line block ×8, first 2 shown]
.LBB104_622:
	s_or_b32 exec_lo, exec_lo, s0
	s_mov_b32 s0, exec_lo
	s_waitcnt lgkmcnt(0)
	s_waitcnt_vscnt null, 0x0
	s_barrier
	buffer_gl0_inv
	v_cmpx_lt_i32_e32 36, v121
	s_cbranch_execz .LBB104_624
; %bb.623:
	v_mul_f64 v[36:37], v[0:1], v[36:37]
	ds_read2_b64 v[122:125], v118 offset0:37 offset1:38
	ds_read2_b64 v[126:129], v118 offset0:39 offset1:40
	;; [unrolled: 1-line block ×8, first 2 shown]
	s_waitcnt lgkmcnt(7)
	v_fma_f64 v[34:35], -v[36:37], v[122:123], v[34:35]
	v_fma_f64 v[32:33], -v[36:37], v[124:125], v[32:33]
	s_waitcnt lgkmcnt(6)
	v_fma_f64 v[28:29], -v[36:37], v[126:127], v[28:29]
	v_fma_f64 v[30:31], -v[36:37], v[128:129], v[30:31]
	;; [unrolled: 3-line block ×8, first 2 shown]
.LBB104_624:
	s_or_b32 exec_lo, exec_lo, s0
	v_lshl_add_u32 v0, v121, 3, v118
	s_barrier
	buffer_gl0_inv
	v_mov_b32_e32 v112, 37
	ds_write_b64 v0, v[34:35]
	s_waitcnt lgkmcnt(0)
	s_barrier
	buffer_gl0_inv
	ds_read_b64 v[0:1], v118 offset:296
	s_cmp_lt_i32 s7, 39
	s_cbranch_scc1 .LBB104_627
; %bb.625:
	v_add3_u32 v113, v119, 0, 0x130
	v_mov_b32_e32 v112, 37
	s_mov_b32 s0, 38
.LBB104_626:                            ; =>This Inner Loop Header: Depth=1
	ds_read_b64 v[122:123], v113
	v_add_nc_u32_e32 v113, 8, v113
	s_waitcnt lgkmcnt(0)
	v_cmp_lt_f64_e64 vcc_lo, |v[0:1]|, |v[122:123]|
	v_cndmask_b32_e32 v1, v1, v123, vcc_lo
	v_cndmask_b32_e32 v0, v0, v122, vcc_lo
	v_cndmask_b32_e64 v112, v112, s0, vcc_lo
	s_add_i32 s0, s0, 1
	s_cmp_lg_u32 s7, s0
	s_cbranch_scc1 .LBB104_626
.LBB104_627:
	s_mov_b32 s0, exec_lo
	s_waitcnt lgkmcnt(0)
	v_cmpx_eq_f64_e32 0, v[0:1]
	s_xor_b32 s0, exec_lo, s0
; %bb.628:
	v_cmp_ne_u32_e32 vcc_lo, 0, v115
	v_cndmask_b32_e32 v115, 38, v115, vcc_lo
; %bb.629:
	s_andn2_saveexec_b32 s0, s0
	s_cbranch_execz .LBB104_631
; %bb.630:
	v_div_scale_f64 v[113:114], null, v[0:1], v[0:1], 1.0
	v_rcp_f64_e32 v[122:123], v[113:114]
	v_fma_f64 v[124:125], -v[113:114], v[122:123], 1.0
	v_fma_f64 v[122:123], v[122:123], v[124:125], v[122:123]
	v_fma_f64 v[124:125], -v[113:114], v[122:123], 1.0
	v_fma_f64 v[122:123], v[122:123], v[124:125], v[122:123]
	v_div_scale_f64 v[124:125], vcc_lo, 1.0, v[0:1], 1.0
	v_mul_f64 v[126:127], v[124:125], v[122:123]
	v_fma_f64 v[113:114], -v[113:114], v[126:127], v[124:125]
	v_div_fmas_f64 v[113:114], v[113:114], v[122:123], v[126:127]
	v_div_fixup_f64 v[0:1], v[113:114], v[0:1], 1.0
.LBB104_631:
	s_or_b32 exec_lo, exec_lo, s0
	s_mov_b32 s0, exec_lo
	v_cmpx_ne_u32_e64 v121, v112
	s_xor_b32 s0, exec_lo, s0
	s_cbranch_execz .LBB104_637
; %bb.632:
	s_mov_b32 s1, exec_lo
	v_cmpx_eq_u32_e32 37, v121
	s_cbranch_execz .LBB104_636
; %bb.633:
	v_cmp_ne_u32_e32 vcc_lo, 37, v112
	s_xor_b32 s2, s6, -1
	s_and_b32 s3, s2, vcc_lo
	s_and_saveexec_b32 s2, s3
	s_cbranch_execz .LBB104_635
; %bb.634:
	v_ashrrev_i32_e32 v113, 31, v112
	v_lshlrev_b64 v[113:114], 2, v[112:113]
	v_add_co_u32 v113, vcc_lo, v4, v113
	v_add_co_ci_u32_e64 v114, null, v5, v114, vcc_lo
	s_clause 0x1
	global_load_dword v120, v[113:114], off
	global_load_dword v121, v[4:5], off offset:148
	s_waitcnt vmcnt(1)
	global_store_dword v[4:5], v120, off offset:148
	s_waitcnt vmcnt(0)
	global_store_dword v[113:114], v121, off
.LBB104_635:
	s_or_b32 exec_lo, exec_lo, s2
	v_mov_b32_e32 v120, v112
	v_mov_b32_e32 v121, v112
.LBB104_636:
	s_or_b32 exec_lo, exec_lo, s1
.LBB104_637:
	s_andn2_saveexec_b32 s0, s0
	s_cbranch_execz .LBB104_639
; %bb.638:
	v_mov_b32_e32 v112, v32
	v_mov_b32_e32 v113, v33
	;; [unrolled: 1-line block ×12, first 2 shown]
	ds_write2_b64 v118, v[112:113], v[121:122] offset0:38 offset1:39
	ds_write2_b64 v118, v[123:124], v[125:126] offset0:40 offset1:41
	;; [unrolled: 1-line block ×3, first 2 shown]
	v_mov_b32_e32 v112, v20
	v_mov_b32_e32 v113, v21
	;; [unrolled: 1-line block ×8, first 2 shown]
	ds_write2_b64 v118, v[112:113], v[121:122] offset0:44 offset1:45
	v_mov_b32_e32 v121, 37
	v_mov_b32_e32 v127, v12
	;; [unrolled: 1-line block ×9, first 2 shown]
	ds_write2_b64 v118, v[123:124], v[125:126] offset0:46 offset1:47
	ds_write2_b64 v118, v[127:128], v[129:130] offset0:48 offset1:49
	;; [unrolled: 1-line block ×3, first 2 shown]
	ds_write_b64 v118, v[110:111] offset:416
.LBB104_639:
	s_or_b32 exec_lo, exec_lo, s0
	s_mov_b32 s0, exec_lo
	s_waitcnt lgkmcnt(0)
	s_waitcnt_vscnt null, 0x0
	s_barrier
	buffer_gl0_inv
	v_cmpx_lt_i32_e32 37, v121
	s_cbranch_execz .LBB104_641
; %bb.640:
	v_mul_f64 v[34:35], v[0:1], v[34:35]
	ds_read2_b64 v[122:125], v118 offset0:38 offset1:39
	ds_read2_b64 v[126:129], v118 offset0:40 offset1:41
	;; [unrolled: 1-line block ×7, first 2 shown]
	ds_read_b64 v[0:1], v118 offset:416
	s_waitcnt lgkmcnt(7)
	v_fma_f64 v[32:33], -v[34:35], v[122:123], v[32:33]
	v_fma_f64 v[28:29], -v[34:35], v[124:125], v[28:29]
	s_waitcnt lgkmcnt(6)
	v_fma_f64 v[30:31], -v[34:35], v[126:127], v[30:31]
	v_fma_f64 v[24:25], -v[34:35], v[128:129], v[24:25]
	;; [unrolled: 3-line block ×7, first 2 shown]
	s_waitcnt lgkmcnt(0)
	v_fma_f64 v[110:111], -v[34:35], v[0:1], v[110:111]
.LBB104_641:
	s_or_b32 exec_lo, exec_lo, s0
	v_lshl_add_u32 v0, v121, 3, v118
	s_barrier
	buffer_gl0_inv
	v_mov_b32_e32 v112, 38
	ds_write_b64 v0, v[32:33]
	s_waitcnt lgkmcnt(0)
	s_barrier
	buffer_gl0_inv
	ds_read_b64 v[0:1], v118 offset:304
	s_cmp_lt_i32 s7, 40
	s_cbranch_scc1 .LBB104_644
; %bb.642:
	v_add3_u32 v113, v119, 0, 0x138
	v_mov_b32_e32 v112, 38
	s_mov_b32 s0, 39
.LBB104_643:                            ; =>This Inner Loop Header: Depth=1
	ds_read_b64 v[122:123], v113
	v_add_nc_u32_e32 v113, 8, v113
	s_waitcnt lgkmcnt(0)
	v_cmp_lt_f64_e64 vcc_lo, |v[0:1]|, |v[122:123]|
	v_cndmask_b32_e32 v1, v1, v123, vcc_lo
	v_cndmask_b32_e32 v0, v0, v122, vcc_lo
	v_cndmask_b32_e64 v112, v112, s0, vcc_lo
	s_add_i32 s0, s0, 1
	s_cmp_lg_u32 s7, s0
	s_cbranch_scc1 .LBB104_643
.LBB104_644:
	s_mov_b32 s0, exec_lo
	s_waitcnt lgkmcnt(0)
	v_cmpx_eq_f64_e32 0, v[0:1]
	s_xor_b32 s0, exec_lo, s0
; %bb.645:
	v_cmp_ne_u32_e32 vcc_lo, 0, v115
	v_cndmask_b32_e32 v115, 39, v115, vcc_lo
; %bb.646:
	s_andn2_saveexec_b32 s0, s0
	s_cbranch_execz .LBB104_648
; %bb.647:
	v_div_scale_f64 v[113:114], null, v[0:1], v[0:1], 1.0
	v_rcp_f64_e32 v[122:123], v[113:114]
	v_fma_f64 v[124:125], -v[113:114], v[122:123], 1.0
	v_fma_f64 v[122:123], v[122:123], v[124:125], v[122:123]
	v_fma_f64 v[124:125], -v[113:114], v[122:123], 1.0
	v_fma_f64 v[122:123], v[122:123], v[124:125], v[122:123]
	v_div_scale_f64 v[124:125], vcc_lo, 1.0, v[0:1], 1.0
	v_mul_f64 v[126:127], v[124:125], v[122:123]
	v_fma_f64 v[113:114], -v[113:114], v[126:127], v[124:125]
	v_div_fmas_f64 v[113:114], v[113:114], v[122:123], v[126:127]
	v_div_fixup_f64 v[0:1], v[113:114], v[0:1], 1.0
.LBB104_648:
	s_or_b32 exec_lo, exec_lo, s0
	s_mov_b32 s0, exec_lo
	v_cmpx_ne_u32_e64 v121, v112
	s_xor_b32 s0, exec_lo, s0
	s_cbranch_execz .LBB104_654
; %bb.649:
	s_mov_b32 s1, exec_lo
	v_cmpx_eq_u32_e32 38, v121
	s_cbranch_execz .LBB104_653
; %bb.650:
	v_cmp_ne_u32_e32 vcc_lo, 38, v112
	s_xor_b32 s2, s6, -1
	s_and_b32 s3, s2, vcc_lo
	s_and_saveexec_b32 s2, s3
	s_cbranch_execz .LBB104_652
; %bb.651:
	v_ashrrev_i32_e32 v113, 31, v112
	v_lshlrev_b64 v[113:114], 2, v[112:113]
	v_add_co_u32 v113, vcc_lo, v4, v113
	v_add_co_ci_u32_e64 v114, null, v5, v114, vcc_lo
	s_clause 0x1
	global_load_dword v120, v[113:114], off
	global_load_dword v121, v[4:5], off offset:152
	s_waitcnt vmcnt(1)
	global_store_dword v[4:5], v120, off offset:152
	s_waitcnt vmcnt(0)
	global_store_dword v[113:114], v121, off
.LBB104_652:
	s_or_b32 exec_lo, exec_lo, s2
	v_mov_b32_e32 v120, v112
	v_mov_b32_e32 v121, v112
.LBB104_653:
	s_or_b32 exec_lo, exec_lo, s1
.LBB104_654:
	s_andn2_saveexec_b32 s0, s0
	s_cbranch_execz .LBB104_656
; %bb.655:
	v_mov_b32_e32 v121, 38
	ds_write2_b64 v118, v[28:29], v[30:31] offset0:39 offset1:40
	ds_write2_b64 v118, v[24:25], v[26:27] offset0:41 offset1:42
	;; [unrolled: 1-line block ×7, first 2 shown]
.LBB104_656:
	s_or_b32 exec_lo, exec_lo, s0
	s_mov_b32 s0, exec_lo
	s_waitcnt lgkmcnt(0)
	s_waitcnt_vscnt null, 0x0
	s_barrier
	buffer_gl0_inv
	v_cmpx_lt_i32_e32 38, v121
	s_cbranch_execz .LBB104_658
; %bb.657:
	v_mul_f64 v[32:33], v[0:1], v[32:33]
	ds_read2_b64 v[122:125], v118 offset0:39 offset1:40
	ds_read2_b64 v[126:129], v118 offset0:41 offset1:42
	;; [unrolled: 1-line block ×7, first 2 shown]
	s_waitcnt lgkmcnt(6)
	v_fma_f64 v[28:29], -v[32:33], v[122:123], v[28:29]
	v_fma_f64 v[30:31], -v[32:33], v[124:125], v[30:31]
	s_waitcnt lgkmcnt(5)
	v_fma_f64 v[24:25], -v[32:33], v[126:127], v[24:25]
	v_fma_f64 v[26:27], -v[32:33], v[128:129], v[26:27]
	;; [unrolled: 3-line block ×7, first 2 shown]
.LBB104_658:
	s_or_b32 exec_lo, exec_lo, s0
	v_lshl_add_u32 v0, v121, 3, v118
	s_barrier
	buffer_gl0_inv
	v_mov_b32_e32 v112, 39
	ds_write_b64 v0, v[28:29]
	s_waitcnt lgkmcnt(0)
	s_barrier
	buffer_gl0_inv
	ds_read_b64 v[0:1], v118 offset:312
	s_cmp_lt_i32 s7, 41
	s_cbranch_scc1 .LBB104_661
; %bb.659:
	v_add3_u32 v113, v119, 0, 0x140
	v_mov_b32_e32 v112, 39
	s_mov_b32 s0, 40
.LBB104_660:                            ; =>This Inner Loop Header: Depth=1
	ds_read_b64 v[122:123], v113
	v_add_nc_u32_e32 v113, 8, v113
	s_waitcnt lgkmcnt(0)
	v_cmp_lt_f64_e64 vcc_lo, |v[0:1]|, |v[122:123]|
	v_cndmask_b32_e32 v1, v1, v123, vcc_lo
	v_cndmask_b32_e32 v0, v0, v122, vcc_lo
	v_cndmask_b32_e64 v112, v112, s0, vcc_lo
	s_add_i32 s0, s0, 1
	s_cmp_lg_u32 s7, s0
	s_cbranch_scc1 .LBB104_660
.LBB104_661:
	s_mov_b32 s0, exec_lo
	s_waitcnt lgkmcnt(0)
	v_cmpx_eq_f64_e32 0, v[0:1]
	s_xor_b32 s0, exec_lo, s0
; %bb.662:
	v_cmp_ne_u32_e32 vcc_lo, 0, v115
	v_cndmask_b32_e32 v115, 40, v115, vcc_lo
; %bb.663:
	s_andn2_saveexec_b32 s0, s0
	s_cbranch_execz .LBB104_665
; %bb.664:
	v_div_scale_f64 v[113:114], null, v[0:1], v[0:1], 1.0
	v_rcp_f64_e32 v[122:123], v[113:114]
	v_fma_f64 v[124:125], -v[113:114], v[122:123], 1.0
	v_fma_f64 v[122:123], v[122:123], v[124:125], v[122:123]
	v_fma_f64 v[124:125], -v[113:114], v[122:123], 1.0
	v_fma_f64 v[122:123], v[122:123], v[124:125], v[122:123]
	v_div_scale_f64 v[124:125], vcc_lo, 1.0, v[0:1], 1.0
	v_mul_f64 v[126:127], v[124:125], v[122:123]
	v_fma_f64 v[113:114], -v[113:114], v[126:127], v[124:125]
	v_div_fmas_f64 v[113:114], v[113:114], v[122:123], v[126:127]
	v_div_fixup_f64 v[0:1], v[113:114], v[0:1], 1.0
.LBB104_665:
	s_or_b32 exec_lo, exec_lo, s0
	s_mov_b32 s0, exec_lo
	v_cmpx_ne_u32_e64 v121, v112
	s_xor_b32 s0, exec_lo, s0
	s_cbranch_execz .LBB104_671
; %bb.666:
	s_mov_b32 s1, exec_lo
	v_cmpx_eq_u32_e32 39, v121
	s_cbranch_execz .LBB104_670
; %bb.667:
	v_cmp_ne_u32_e32 vcc_lo, 39, v112
	s_xor_b32 s2, s6, -1
	s_and_b32 s3, s2, vcc_lo
	s_and_saveexec_b32 s2, s3
	s_cbranch_execz .LBB104_669
; %bb.668:
	v_ashrrev_i32_e32 v113, 31, v112
	v_lshlrev_b64 v[113:114], 2, v[112:113]
	v_add_co_u32 v113, vcc_lo, v4, v113
	v_add_co_ci_u32_e64 v114, null, v5, v114, vcc_lo
	s_clause 0x1
	global_load_dword v120, v[113:114], off
	global_load_dword v121, v[4:5], off offset:156
	s_waitcnt vmcnt(1)
	global_store_dword v[4:5], v120, off offset:156
	s_waitcnt vmcnt(0)
	global_store_dword v[113:114], v121, off
.LBB104_669:
	s_or_b32 exec_lo, exec_lo, s2
	v_mov_b32_e32 v120, v112
	v_mov_b32_e32 v121, v112
.LBB104_670:
	s_or_b32 exec_lo, exec_lo, s1
.LBB104_671:
	s_andn2_saveexec_b32 s0, s0
	s_cbranch_execz .LBB104_673
; %bb.672:
	v_mov_b32_e32 v112, v30
	v_mov_b32_e32 v113, v31
	;; [unrolled: 1-line block ×8, first 2 shown]
	ds_write2_b64 v118, v[112:113], v[121:122] offset0:40 offset1:41
	ds_write2_b64 v118, v[123:124], v[125:126] offset0:42 offset1:43
	v_mov_b32_e32 v112, v20
	v_mov_b32_e32 v113, v21
	;; [unrolled: 1-line block ×8, first 2 shown]
	ds_write2_b64 v118, v[112:113], v[121:122] offset0:44 offset1:45
	v_mov_b32_e32 v121, 39
	v_mov_b32_e32 v127, v12
	;; [unrolled: 1-line block ×9, first 2 shown]
	ds_write2_b64 v118, v[123:124], v[125:126] offset0:46 offset1:47
	ds_write2_b64 v118, v[127:128], v[129:130] offset0:48 offset1:49
	;; [unrolled: 1-line block ×3, first 2 shown]
	ds_write_b64 v118, v[110:111] offset:416
.LBB104_673:
	s_or_b32 exec_lo, exec_lo, s0
	s_mov_b32 s0, exec_lo
	s_waitcnt lgkmcnt(0)
	s_waitcnt_vscnt null, 0x0
	s_barrier
	buffer_gl0_inv
	v_cmpx_lt_i32_e32 39, v121
	s_cbranch_execz .LBB104_675
; %bb.674:
	v_mul_f64 v[28:29], v[0:1], v[28:29]
	ds_read2_b64 v[122:125], v118 offset0:40 offset1:41
	ds_read2_b64 v[126:129], v118 offset0:42 offset1:43
	;; [unrolled: 1-line block ×6, first 2 shown]
	ds_read_b64 v[0:1], v118 offset:416
	s_waitcnt lgkmcnt(6)
	v_fma_f64 v[30:31], -v[28:29], v[122:123], v[30:31]
	v_fma_f64 v[24:25], -v[28:29], v[124:125], v[24:25]
	s_waitcnt lgkmcnt(5)
	v_fma_f64 v[26:27], -v[28:29], v[126:127], v[26:27]
	v_fma_f64 v[22:23], -v[28:29], v[128:129], v[22:23]
	;; [unrolled: 3-line block ×6, first 2 shown]
	s_waitcnt lgkmcnt(0)
	v_fma_f64 v[110:111], -v[28:29], v[0:1], v[110:111]
.LBB104_675:
	s_or_b32 exec_lo, exec_lo, s0
	v_lshl_add_u32 v0, v121, 3, v118
	s_barrier
	buffer_gl0_inv
	v_mov_b32_e32 v112, 40
	ds_write_b64 v0, v[30:31]
	s_waitcnt lgkmcnt(0)
	s_barrier
	buffer_gl0_inv
	ds_read_b64 v[0:1], v118 offset:320
	s_cmp_lt_i32 s7, 42
	s_cbranch_scc1 .LBB104_678
; %bb.676:
	v_add3_u32 v113, v119, 0, 0x148
	v_mov_b32_e32 v112, 40
	s_mov_b32 s0, 41
.LBB104_677:                            ; =>This Inner Loop Header: Depth=1
	ds_read_b64 v[122:123], v113
	v_add_nc_u32_e32 v113, 8, v113
	s_waitcnt lgkmcnt(0)
	v_cmp_lt_f64_e64 vcc_lo, |v[0:1]|, |v[122:123]|
	v_cndmask_b32_e32 v1, v1, v123, vcc_lo
	v_cndmask_b32_e32 v0, v0, v122, vcc_lo
	v_cndmask_b32_e64 v112, v112, s0, vcc_lo
	s_add_i32 s0, s0, 1
	s_cmp_lg_u32 s7, s0
	s_cbranch_scc1 .LBB104_677
.LBB104_678:
	s_mov_b32 s0, exec_lo
	s_waitcnt lgkmcnt(0)
	v_cmpx_eq_f64_e32 0, v[0:1]
	s_xor_b32 s0, exec_lo, s0
; %bb.679:
	v_cmp_ne_u32_e32 vcc_lo, 0, v115
	v_cndmask_b32_e32 v115, 41, v115, vcc_lo
; %bb.680:
	s_andn2_saveexec_b32 s0, s0
	s_cbranch_execz .LBB104_682
; %bb.681:
	v_div_scale_f64 v[113:114], null, v[0:1], v[0:1], 1.0
	v_rcp_f64_e32 v[122:123], v[113:114]
	v_fma_f64 v[124:125], -v[113:114], v[122:123], 1.0
	v_fma_f64 v[122:123], v[122:123], v[124:125], v[122:123]
	v_fma_f64 v[124:125], -v[113:114], v[122:123], 1.0
	v_fma_f64 v[122:123], v[122:123], v[124:125], v[122:123]
	v_div_scale_f64 v[124:125], vcc_lo, 1.0, v[0:1], 1.0
	v_mul_f64 v[126:127], v[124:125], v[122:123]
	v_fma_f64 v[113:114], -v[113:114], v[126:127], v[124:125]
	v_div_fmas_f64 v[113:114], v[113:114], v[122:123], v[126:127]
	v_div_fixup_f64 v[0:1], v[113:114], v[0:1], 1.0
.LBB104_682:
	s_or_b32 exec_lo, exec_lo, s0
	s_mov_b32 s0, exec_lo
	v_cmpx_ne_u32_e64 v121, v112
	s_xor_b32 s0, exec_lo, s0
	s_cbranch_execz .LBB104_688
; %bb.683:
	s_mov_b32 s1, exec_lo
	v_cmpx_eq_u32_e32 40, v121
	s_cbranch_execz .LBB104_687
; %bb.684:
	v_cmp_ne_u32_e32 vcc_lo, 40, v112
	s_xor_b32 s2, s6, -1
	s_and_b32 s3, s2, vcc_lo
	s_and_saveexec_b32 s2, s3
	s_cbranch_execz .LBB104_686
; %bb.685:
	v_ashrrev_i32_e32 v113, 31, v112
	v_lshlrev_b64 v[113:114], 2, v[112:113]
	v_add_co_u32 v113, vcc_lo, v4, v113
	v_add_co_ci_u32_e64 v114, null, v5, v114, vcc_lo
	s_clause 0x1
	global_load_dword v120, v[113:114], off
	global_load_dword v121, v[4:5], off offset:160
	s_waitcnt vmcnt(1)
	global_store_dword v[4:5], v120, off offset:160
	s_waitcnt vmcnt(0)
	global_store_dword v[113:114], v121, off
.LBB104_686:
	s_or_b32 exec_lo, exec_lo, s2
	v_mov_b32_e32 v120, v112
	v_mov_b32_e32 v121, v112
.LBB104_687:
	s_or_b32 exec_lo, exec_lo, s1
.LBB104_688:
	s_andn2_saveexec_b32 s0, s0
	s_cbranch_execz .LBB104_690
; %bb.689:
	v_mov_b32_e32 v121, 40
	ds_write2_b64 v118, v[24:25], v[26:27] offset0:41 offset1:42
	ds_write2_b64 v118, v[22:23], v[20:21] offset0:43 offset1:44
	;; [unrolled: 1-line block ×6, first 2 shown]
.LBB104_690:
	s_or_b32 exec_lo, exec_lo, s0
	s_mov_b32 s0, exec_lo
	s_waitcnt lgkmcnt(0)
	s_waitcnt_vscnt null, 0x0
	s_barrier
	buffer_gl0_inv
	v_cmpx_lt_i32_e32 40, v121
	s_cbranch_execz .LBB104_692
; %bb.691:
	v_mul_f64 v[30:31], v[0:1], v[30:31]
	ds_read2_b64 v[122:125], v118 offset0:41 offset1:42
	ds_read2_b64 v[126:129], v118 offset0:43 offset1:44
	;; [unrolled: 1-line block ×6, first 2 shown]
	s_waitcnt lgkmcnt(5)
	v_fma_f64 v[24:25], -v[30:31], v[122:123], v[24:25]
	v_fma_f64 v[26:27], -v[30:31], v[124:125], v[26:27]
	s_waitcnt lgkmcnt(4)
	v_fma_f64 v[22:23], -v[30:31], v[126:127], v[22:23]
	v_fma_f64 v[20:21], -v[30:31], v[128:129], v[20:21]
	;; [unrolled: 3-line block ×6, first 2 shown]
.LBB104_692:
	s_or_b32 exec_lo, exec_lo, s0
	v_lshl_add_u32 v0, v121, 3, v118
	s_barrier
	buffer_gl0_inv
	v_mov_b32_e32 v112, 41
	ds_write_b64 v0, v[24:25]
	s_waitcnt lgkmcnt(0)
	s_barrier
	buffer_gl0_inv
	ds_read_b64 v[0:1], v118 offset:328
	s_cmp_lt_i32 s7, 43
	s_cbranch_scc1 .LBB104_695
; %bb.693:
	v_add3_u32 v113, v119, 0, 0x150
	v_mov_b32_e32 v112, 41
	s_mov_b32 s0, 42
.LBB104_694:                            ; =>This Inner Loop Header: Depth=1
	ds_read_b64 v[122:123], v113
	v_add_nc_u32_e32 v113, 8, v113
	s_waitcnt lgkmcnt(0)
	v_cmp_lt_f64_e64 vcc_lo, |v[0:1]|, |v[122:123]|
	v_cndmask_b32_e32 v1, v1, v123, vcc_lo
	v_cndmask_b32_e32 v0, v0, v122, vcc_lo
	v_cndmask_b32_e64 v112, v112, s0, vcc_lo
	s_add_i32 s0, s0, 1
	s_cmp_lg_u32 s7, s0
	s_cbranch_scc1 .LBB104_694
.LBB104_695:
	s_mov_b32 s0, exec_lo
	s_waitcnt lgkmcnt(0)
	v_cmpx_eq_f64_e32 0, v[0:1]
	s_xor_b32 s0, exec_lo, s0
; %bb.696:
	v_cmp_ne_u32_e32 vcc_lo, 0, v115
	v_cndmask_b32_e32 v115, 42, v115, vcc_lo
; %bb.697:
	s_andn2_saveexec_b32 s0, s0
	s_cbranch_execz .LBB104_699
; %bb.698:
	v_div_scale_f64 v[113:114], null, v[0:1], v[0:1], 1.0
	v_rcp_f64_e32 v[122:123], v[113:114]
	v_fma_f64 v[124:125], -v[113:114], v[122:123], 1.0
	v_fma_f64 v[122:123], v[122:123], v[124:125], v[122:123]
	v_fma_f64 v[124:125], -v[113:114], v[122:123], 1.0
	v_fma_f64 v[122:123], v[122:123], v[124:125], v[122:123]
	v_div_scale_f64 v[124:125], vcc_lo, 1.0, v[0:1], 1.0
	v_mul_f64 v[126:127], v[124:125], v[122:123]
	v_fma_f64 v[113:114], -v[113:114], v[126:127], v[124:125]
	v_div_fmas_f64 v[113:114], v[113:114], v[122:123], v[126:127]
	v_div_fixup_f64 v[0:1], v[113:114], v[0:1], 1.0
.LBB104_699:
	s_or_b32 exec_lo, exec_lo, s0
	s_mov_b32 s0, exec_lo
	v_cmpx_ne_u32_e64 v121, v112
	s_xor_b32 s0, exec_lo, s0
	s_cbranch_execz .LBB104_705
; %bb.700:
	s_mov_b32 s1, exec_lo
	v_cmpx_eq_u32_e32 41, v121
	s_cbranch_execz .LBB104_704
; %bb.701:
	v_cmp_ne_u32_e32 vcc_lo, 41, v112
	s_xor_b32 s2, s6, -1
	s_and_b32 s3, s2, vcc_lo
	s_and_saveexec_b32 s2, s3
	s_cbranch_execz .LBB104_703
; %bb.702:
	v_ashrrev_i32_e32 v113, 31, v112
	v_lshlrev_b64 v[113:114], 2, v[112:113]
	v_add_co_u32 v113, vcc_lo, v4, v113
	v_add_co_ci_u32_e64 v114, null, v5, v114, vcc_lo
	s_clause 0x1
	global_load_dword v120, v[113:114], off
	global_load_dword v121, v[4:5], off offset:164
	s_waitcnt vmcnt(1)
	global_store_dword v[4:5], v120, off offset:164
	s_waitcnt vmcnt(0)
	global_store_dword v[113:114], v121, off
.LBB104_703:
	s_or_b32 exec_lo, exec_lo, s2
	v_mov_b32_e32 v120, v112
	v_mov_b32_e32 v121, v112
.LBB104_704:
	s_or_b32 exec_lo, exec_lo, s1
.LBB104_705:
	s_andn2_saveexec_b32 s0, s0
	s_cbranch_execz .LBB104_707
; %bb.706:
	v_mov_b32_e32 v112, v26
	v_mov_b32_e32 v113, v27
	;; [unrolled: 1-line block ×8, first 2 shown]
	ds_write2_b64 v118, v[112:113], v[121:122] offset0:42 offset1:43
	v_mov_b32_e32 v112, v18
	v_mov_b32_e32 v113, v19
	;; [unrolled: 1-line block ×13, first 2 shown]
	ds_write2_b64 v118, v[123:124], v[112:113] offset0:44 offset1:45
	ds_write2_b64 v118, v[125:126], v[127:128] offset0:46 offset1:47
	;; [unrolled: 1-line block ×4, first 2 shown]
	ds_write_b64 v118, v[110:111] offset:416
.LBB104_707:
	s_or_b32 exec_lo, exec_lo, s0
	s_mov_b32 s0, exec_lo
	s_waitcnt lgkmcnt(0)
	s_waitcnt_vscnt null, 0x0
	s_barrier
	buffer_gl0_inv
	v_cmpx_lt_i32_e32 41, v121
	s_cbranch_execz .LBB104_709
; %bb.708:
	v_mul_f64 v[24:25], v[0:1], v[24:25]
	ds_read2_b64 v[122:125], v118 offset0:42 offset1:43
	ds_read2_b64 v[126:129], v118 offset0:44 offset1:45
	;; [unrolled: 1-line block ×5, first 2 shown]
	ds_read_b64 v[0:1], v118 offset:416
	s_waitcnt lgkmcnt(5)
	v_fma_f64 v[26:27], -v[24:25], v[122:123], v[26:27]
	v_fma_f64 v[22:23], -v[24:25], v[124:125], v[22:23]
	s_waitcnt lgkmcnt(4)
	v_fma_f64 v[20:21], -v[24:25], v[126:127], v[20:21]
	v_fma_f64 v[18:19], -v[24:25], v[128:129], v[18:19]
	s_waitcnt lgkmcnt(3)
	v_fma_f64 v[16:17], -v[24:25], v[130:131], v[16:17]
	v_fma_f64 v[14:15], -v[24:25], v[132:133], v[14:15]
	s_waitcnt lgkmcnt(2)
	v_fma_f64 v[12:13], -v[24:25], v[134:135], v[12:13]
	v_fma_f64 v[8:9], -v[24:25], v[136:137], v[8:9]
	s_waitcnt lgkmcnt(1)
	v_fma_f64 v[10:11], -v[24:25], v[138:139], v[10:11]
	v_fma_f64 v[6:7], -v[24:25], v[140:141], v[6:7]
	s_waitcnt lgkmcnt(0)
	v_fma_f64 v[110:111], -v[24:25], v[0:1], v[110:111]
.LBB104_709:
	s_or_b32 exec_lo, exec_lo, s0
	v_lshl_add_u32 v0, v121, 3, v118
	s_barrier
	buffer_gl0_inv
	v_mov_b32_e32 v112, 42
	ds_write_b64 v0, v[26:27]
	s_waitcnt lgkmcnt(0)
	s_barrier
	buffer_gl0_inv
	ds_read_b64 v[0:1], v118 offset:336
	s_cmp_lt_i32 s7, 44
	s_cbranch_scc1 .LBB104_712
; %bb.710:
	v_add3_u32 v113, v119, 0, 0x158
	v_mov_b32_e32 v112, 42
	s_mov_b32 s0, 43
.LBB104_711:                            ; =>This Inner Loop Header: Depth=1
	ds_read_b64 v[122:123], v113
	v_add_nc_u32_e32 v113, 8, v113
	s_waitcnt lgkmcnt(0)
	v_cmp_lt_f64_e64 vcc_lo, |v[0:1]|, |v[122:123]|
	v_cndmask_b32_e32 v1, v1, v123, vcc_lo
	v_cndmask_b32_e32 v0, v0, v122, vcc_lo
	v_cndmask_b32_e64 v112, v112, s0, vcc_lo
	s_add_i32 s0, s0, 1
	s_cmp_lg_u32 s7, s0
	s_cbranch_scc1 .LBB104_711
.LBB104_712:
	s_mov_b32 s0, exec_lo
	s_waitcnt lgkmcnt(0)
	v_cmpx_eq_f64_e32 0, v[0:1]
	s_xor_b32 s0, exec_lo, s0
; %bb.713:
	v_cmp_ne_u32_e32 vcc_lo, 0, v115
	v_cndmask_b32_e32 v115, 43, v115, vcc_lo
; %bb.714:
	s_andn2_saveexec_b32 s0, s0
	s_cbranch_execz .LBB104_716
; %bb.715:
	v_div_scale_f64 v[113:114], null, v[0:1], v[0:1], 1.0
	v_rcp_f64_e32 v[122:123], v[113:114]
	v_fma_f64 v[124:125], -v[113:114], v[122:123], 1.0
	v_fma_f64 v[122:123], v[122:123], v[124:125], v[122:123]
	v_fma_f64 v[124:125], -v[113:114], v[122:123], 1.0
	v_fma_f64 v[122:123], v[122:123], v[124:125], v[122:123]
	v_div_scale_f64 v[124:125], vcc_lo, 1.0, v[0:1], 1.0
	v_mul_f64 v[126:127], v[124:125], v[122:123]
	v_fma_f64 v[113:114], -v[113:114], v[126:127], v[124:125]
	v_div_fmas_f64 v[113:114], v[113:114], v[122:123], v[126:127]
	v_div_fixup_f64 v[0:1], v[113:114], v[0:1], 1.0
.LBB104_716:
	s_or_b32 exec_lo, exec_lo, s0
	s_mov_b32 s0, exec_lo
	v_cmpx_ne_u32_e64 v121, v112
	s_xor_b32 s0, exec_lo, s0
	s_cbranch_execz .LBB104_722
; %bb.717:
	s_mov_b32 s1, exec_lo
	v_cmpx_eq_u32_e32 42, v121
	s_cbranch_execz .LBB104_721
; %bb.718:
	v_cmp_ne_u32_e32 vcc_lo, 42, v112
	s_xor_b32 s2, s6, -1
	s_and_b32 s3, s2, vcc_lo
	s_and_saveexec_b32 s2, s3
	s_cbranch_execz .LBB104_720
; %bb.719:
	v_ashrrev_i32_e32 v113, 31, v112
	v_lshlrev_b64 v[113:114], 2, v[112:113]
	v_add_co_u32 v113, vcc_lo, v4, v113
	v_add_co_ci_u32_e64 v114, null, v5, v114, vcc_lo
	s_clause 0x1
	global_load_dword v120, v[113:114], off
	global_load_dword v121, v[4:5], off offset:168
	s_waitcnt vmcnt(1)
	global_store_dword v[4:5], v120, off offset:168
	s_waitcnt vmcnt(0)
	global_store_dword v[113:114], v121, off
.LBB104_720:
	s_or_b32 exec_lo, exec_lo, s2
	v_mov_b32_e32 v120, v112
	v_mov_b32_e32 v121, v112
.LBB104_721:
	s_or_b32 exec_lo, exec_lo, s1
.LBB104_722:
	s_andn2_saveexec_b32 s0, s0
	s_cbranch_execz .LBB104_724
; %bb.723:
	v_mov_b32_e32 v121, 42
	ds_write2_b64 v118, v[22:23], v[20:21] offset0:43 offset1:44
	ds_write2_b64 v118, v[18:19], v[16:17] offset0:45 offset1:46
	;; [unrolled: 1-line block ×5, first 2 shown]
.LBB104_724:
	s_or_b32 exec_lo, exec_lo, s0
	s_mov_b32 s0, exec_lo
	s_waitcnt lgkmcnt(0)
	s_waitcnt_vscnt null, 0x0
	s_barrier
	buffer_gl0_inv
	v_cmpx_lt_i32_e32 42, v121
	s_cbranch_execz .LBB104_726
; %bb.725:
	v_mul_f64 v[26:27], v[0:1], v[26:27]
	ds_read2_b64 v[122:125], v118 offset0:43 offset1:44
	ds_read2_b64 v[126:129], v118 offset0:45 offset1:46
	;; [unrolled: 1-line block ×5, first 2 shown]
	s_waitcnt lgkmcnt(4)
	v_fma_f64 v[22:23], -v[26:27], v[122:123], v[22:23]
	v_fma_f64 v[20:21], -v[26:27], v[124:125], v[20:21]
	s_waitcnt lgkmcnt(3)
	v_fma_f64 v[18:19], -v[26:27], v[126:127], v[18:19]
	v_fma_f64 v[16:17], -v[26:27], v[128:129], v[16:17]
	;; [unrolled: 3-line block ×5, first 2 shown]
.LBB104_726:
	s_or_b32 exec_lo, exec_lo, s0
	v_lshl_add_u32 v0, v121, 3, v118
	s_barrier
	buffer_gl0_inv
	v_mov_b32_e32 v112, 43
	ds_write_b64 v0, v[22:23]
	s_waitcnt lgkmcnt(0)
	s_barrier
	buffer_gl0_inv
	ds_read_b64 v[0:1], v118 offset:344
	s_cmp_lt_i32 s7, 45
	s_cbranch_scc1 .LBB104_729
; %bb.727:
	v_add3_u32 v113, v119, 0, 0x160
	v_mov_b32_e32 v112, 43
	s_mov_b32 s0, 44
.LBB104_728:                            ; =>This Inner Loop Header: Depth=1
	ds_read_b64 v[122:123], v113
	v_add_nc_u32_e32 v113, 8, v113
	s_waitcnt lgkmcnt(0)
	v_cmp_lt_f64_e64 vcc_lo, |v[0:1]|, |v[122:123]|
	v_cndmask_b32_e32 v1, v1, v123, vcc_lo
	v_cndmask_b32_e32 v0, v0, v122, vcc_lo
	v_cndmask_b32_e64 v112, v112, s0, vcc_lo
	s_add_i32 s0, s0, 1
	s_cmp_lg_u32 s7, s0
	s_cbranch_scc1 .LBB104_728
.LBB104_729:
	s_mov_b32 s0, exec_lo
	s_waitcnt lgkmcnt(0)
	v_cmpx_eq_f64_e32 0, v[0:1]
	s_xor_b32 s0, exec_lo, s0
; %bb.730:
	v_cmp_ne_u32_e32 vcc_lo, 0, v115
	v_cndmask_b32_e32 v115, 44, v115, vcc_lo
; %bb.731:
	s_andn2_saveexec_b32 s0, s0
	s_cbranch_execz .LBB104_733
; %bb.732:
	v_div_scale_f64 v[113:114], null, v[0:1], v[0:1], 1.0
	v_rcp_f64_e32 v[122:123], v[113:114]
	v_fma_f64 v[124:125], -v[113:114], v[122:123], 1.0
	v_fma_f64 v[122:123], v[122:123], v[124:125], v[122:123]
	v_fma_f64 v[124:125], -v[113:114], v[122:123], 1.0
	v_fma_f64 v[122:123], v[122:123], v[124:125], v[122:123]
	v_div_scale_f64 v[124:125], vcc_lo, 1.0, v[0:1], 1.0
	v_mul_f64 v[126:127], v[124:125], v[122:123]
	v_fma_f64 v[113:114], -v[113:114], v[126:127], v[124:125]
	v_div_fmas_f64 v[113:114], v[113:114], v[122:123], v[126:127]
	v_div_fixup_f64 v[0:1], v[113:114], v[0:1], 1.0
.LBB104_733:
	s_or_b32 exec_lo, exec_lo, s0
	s_mov_b32 s0, exec_lo
	v_cmpx_ne_u32_e64 v121, v112
	s_xor_b32 s0, exec_lo, s0
	s_cbranch_execz .LBB104_739
; %bb.734:
	s_mov_b32 s1, exec_lo
	v_cmpx_eq_u32_e32 43, v121
	s_cbranch_execz .LBB104_738
; %bb.735:
	v_cmp_ne_u32_e32 vcc_lo, 43, v112
	s_xor_b32 s2, s6, -1
	s_and_b32 s3, s2, vcc_lo
	s_and_saveexec_b32 s2, s3
	s_cbranch_execz .LBB104_737
; %bb.736:
	v_ashrrev_i32_e32 v113, 31, v112
	v_lshlrev_b64 v[113:114], 2, v[112:113]
	v_add_co_u32 v113, vcc_lo, v4, v113
	v_add_co_ci_u32_e64 v114, null, v5, v114, vcc_lo
	s_clause 0x1
	global_load_dword v120, v[113:114], off
	global_load_dword v121, v[4:5], off offset:172
	s_waitcnt vmcnt(1)
	global_store_dword v[4:5], v120, off offset:172
	s_waitcnt vmcnt(0)
	global_store_dword v[113:114], v121, off
.LBB104_737:
	s_or_b32 exec_lo, exec_lo, s2
	v_mov_b32_e32 v120, v112
	v_mov_b32_e32 v121, v112
.LBB104_738:
	s_or_b32 exec_lo, exec_lo, s1
.LBB104_739:
	s_andn2_saveexec_b32 s0, s0
	s_cbranch_execz .LBB104_741
; %bb.740:
	v_mov_b32_e32 v112, v20
	v_mov_b32_e32 v113, v21
	;; [unrolled: 1-line block ×8, first 2 shown]
	ds_write2_b64 v118, v[112:113], v[121:122] offset0:44 offset1:45
	v_mov_b32_e32 v121, 43
	v_mov_b32_e32 v127, v12
	;; [unrolled: 1-line block ×9, first 2 shown]
	ds_write2_b64 v118, v[123:124], v[125:126] offset0:46 offset1:47
	ds_write2_b64 v118, v[127:128], v[129:130] offset0:48 offset1:49
	;; [unrolled: 1-line block ×3, first 2 shown]
	ds_write_b64 v118, v[110:111] offset:416
.LBB104_741:
	s_or_b32 exec_lo, exec_lo, s0
	s_mov_b32 s0, exec_lo
	s_waitcnt lgkmcnt(0)
	s_waitcnt_vscnt null, 0x0
	s_barrier
	buffer_gl0_inv
	v_cmpx_lt_i32_e32 43, v121
	s_cbranch_execz .LBB104_743
; %bb.742:
	v_mul_f64 v[22:23], v[0:1], v[22:23]
	ds_read2_b64 v[122:125], v118 offset0:44 offset1:45
	ds_read2_b64 v[126:129], v118 offset0:46 offset1:47
	;; [unrolled: 1-line block ×4, first 2 shown]
	ds_read_b64 v[0:1], v118 offset:416
	s_waitcnt lgkmcnt(4)
	v_fma_f64 v[20:21], -v[22:23], v[122:123], v[20:21]
	v_fma_f64 v[18:19], -v[22:23], v[124:125], v[18:19]
	s_waitcnt lgkmcnt(3)
	v_fma_f64 v[16:17], -v[22:23], v[126:127], v[16:17]
	v_fma_f64 v[14:15], -v[22:23], v[128:129], v[14:15]
	;; [unrolled: 3-line block ×4, first 2 shown]
	s_waitcnt lgkmcnt(0)
	v_fma_f64 v[110:111], -v[22:23], v[0:1], v[110:111]
.LBB104_743:
	s_or_b32 exec_lo, exec_lo, s0
	v_lshl_add_u32 v0, v121, 3, v118
	s_barrier
	buffer_gl0_inv
	v_mov_b32_e32 v112, 44
	ds_write_b64 v0, v[20:21]
	s_waitcnt lgkmcnt(0)
	s_barrier
	buffer_gl0_inv
	ds_read_b64 v[0:1], v118 offset:352
	s_cmp_lt_i32 s7, 46
	s_cbranch_scc1 .LBB104_746
; %bb.744:
	v_add3_u32 v113, v119, 0, 0x168
	v_mov_b32_e32 v112, 44
	s_mov_b32 s0, 45
.LBB104_745:                            ; =>This Inner Loop Header: Depth=1
	ds_read_b64 v[122:123], v113
	v_add_nc_u32_e32 v113, 8, v113
	s_waitcnt lgkmcnt(0)
	v_cmp_lt_f64_e64 vcc_lo, |v[0:1]|, |v[122:123]|
	v_cndmask_b32_e32 v1, v1, v123, vcc_lo
	v_cndmask_b32_e32 v0, v0, v122, vcc_lo
	v_cndmask_b32_e64 v112, v112, s0, vcc_lo
	s_add_i32 s0, s0, 1
	s_cmp_lg_u32 s7, s0
	s_cbranch_scc1 .LBB104_745
.LBB104_746:
	s_mov_b32 s0, exec_lo
	s_waitcnt lgkmcnt(0)
	v_cmpx_eq_f64_e32 0, v[0:1]
	s_xor_b32 s0, exec_lo, s0
; %bb.747:
	v_cmp_ne_u32_e32 vcc_lo, 0, v115
	v_cndmask_b32_e32 v115, 45, v115, vcc_lo
; %bb.748:
	s_andn2_saveexec_b32 s0, s0
	s_cbranch_execz .LBB104_750
; %bb.749:
	v_div_scale_f64 v[113:114], null, v[0:1], v[0:1], 1.0
	v_rcp_f64_e32 v[122:123], v[113:114]
	v_fma_f64 v[124:125], -v[113:114], v[122:123], 1.0
	v_fma_f64 v[122:123], v[122:123], v[124:125], v[122:123]
	v_fma_f64 v[124:125], -v[113:114], v[122:123], 1.0
	v_fma_f64 v[122:123], v[122:123], v[124:125], v[122:123]
	v_div_scale_f64 v[124:125], vcc_lo, 1.0, v[0:1], 1.0
	v_mul_f64 v[126:127], v[124:125], v[122:123]
	v_fma_f64 v[113:114], -v[113:114], v[126:127], v[124:125]
	v_div_fmas_f64 v[113:114], v[113:114], v[122:123], v[126:127]
	v_div_fixup_f64 v[0:1], v[113:114], v[0:1], 1.0
.LBB104_750:
	s_or_b32 exec_lo, exec_lo, s0
	s_mov_b32 s0, exec_lo
	v_cmpx_ne_u32_e64 v121, v112
	s_xor_b32 s0, exec_lo, s0
	s_cbranch_execz .LBB104_756
; %bb.751:
	s_mov_b32 s1, exec_lo
	v_cmpx_eq_u32_e32 44, v121
	s_cbranch_execz .LBB104_755
; %bb.752:
	v_cmp_ne_u32_e32 vcc_lo, 44, v112
	s_xor_b32 s2, s6, -1
	s_and_b32 s3, s2, vcc_lo
	s_and_saveexec_b32 s2, s3
	s_cbranch_execz .LBB104_754
; %bb.753:
	v_ashrrev_i32_e32 v113, 31, v112
	v_lshlrev_b64 v[113:114], 2, v[112:113]
	v_add_co_u32 v113, vcc_lo, v4, v113
	v_add_co_ci_u32_e64 v114, null, v5, v114, vcc_lo
	s_clause 0x1
	global_load_dword v120, v[113:114], off
	global_load_dword v121, v[4:5], off offset:176
	s_waitcnt vmcnt(1)
	global_store_dword v[4:5], v120, off offset:176
	s_waitcnt vmcnt(0)
	global_store_dword v[113:114], v121, off
.LBB104_754:
	s_or_b32 exec_lo, exec_lo, s2
	v_mov_b32_e32 v120, v112
	v_mov_b32_e32 v121, v112
.LBB104_755:
	s_or_b32 exec_lo, exec_lo, s1
.LBB104_756:
	s_andn2_saveexec_b32 s0, s0
	s_cbranch_execz .LBB104_758
; %bb.757:
	v_mov_b32_e32 v121, 44
	ds_write2_b64 v118, v[18:19], v[16:17] offset0:45 offset1:46
	ds_write2_b64 v118, v[14:15], v[12:13] offset0:47 offset1:48
	;; [unrolled: 1-line block ×4, first 2 shown]
.LBB104_758:
	s_or_b32 exec_lo, exec_lo, s0
	s_mov_b32 s0, exec_lo
	s_waitcnt lgkmcnt(0)
	s_waitcnt_vscnt null, 0x0
	s_barrier
	buffer_gl0_inv
	v_cmpx_lt_i32_e32 44, v121
	s_cbranch_execz .LBB104_760
; %bb.759:
	v_mul_f64 v[20:21], v[0:1], v[20:21]
	ds_read2_b64 v[122:125], v118 offset0:45 offset1:46
	ds_read2_b64 v[126:129], v118 offset0:47 offset1:48
	;; [unrolled: 1-line block ×4, first 2 shown]
	s_waitcnt lgkmcnt(3)
	v_fma_f64 v[18:19], -v[20:21], v[122:123], v[18:19]
	v_fma_f64 v[16:17], -v[20:21], v[124:125], v[16:17]
	s_waitcnt lgkmcnt(2)
	v_fma_f64 v[14:15], -v[20:21], v[126:127], v[14:15]
	v_fma_f64 v[12:13], -v[20:21], v[128:129], v[12:13]
	;; [unrolled: 3-line block ×4, first 2 shown]
.LBB104_760:
	s_or_b32 exec_lo, exec_lo, s0
	v_lshl_add_u32 v0, v121, 3, v118
	s_barrier
	buffer_gl0_inv
	v_mov_b32_e32 v112, 45
	ds_write_b64 v0, v[18:19]
	s_waitcnt lgkmcnt(0)
	s_barrier
	buffer_gl0_inv
	ds_read_b64 v[0:1], v118 offset:360
	s_cmp_lt_i32 s7, 47
	s_cbranch_scc1 .LBB104_763
; %bb.761:
	v_add3_u32 v113, v119, 0, 0x170
	v_mov_b32_e32 v112, 45
	s_mov_b32 s0, 46
.LBB104_762:                            ; =>This Inner Loop Header: Depth=1
	ds_read_b64 v[122:123], v113
	v_add_nc_u32_e32 v113, 8, v113
	s_waitcnt lgkmcnt(0)
	v_cmp_lt_f64_e64 vcc_lo, |v[0:1]|, |v[122:123]|
	v_cndmask_b32_e32 v1, v1, v123, vcc_lo
	v_cndmask_b32_e32 v0, v0, v122, vcc_lo
	v_cndmask_b32_e64 v112, v112, s0, vcc_lo
	s_add_i32 s0, s0, 1
	s_cmp_lg_u32 s7, s0
	s_cbranch_scc1 .LBB104_762
.LBB104_763:
	s_mov_b32 s0, exec_lo
	s_waitcnt lgkmcnt(0)
	v_cmpx_eq_f64_e32 0, v[0:1]
	s_xor_b32 s0, exec_lo, s0
; %bb.764:
	v_cmp_ne_u32_e32 vcc_lo, 0, v115
	v_cndmask_b32_e32 v115, 46, v115, vcc_lo
; %bb.765:
	s_andn2_saveexec_b32 s0, s0
	s_cbranch_execz .LBB104_767
; %bb.766:
	v_div_scale_f64 v[113:114], null, v[0:1], v[0:1], 1.0
	v_rcp_f64_e32 v[122:123], v[113:114]
	v_fma_f64 v[124:125], -v[113:114], v[122:123], 1.0
	v_fma_f64 v[122:123], v[122:123], v[124:125], v[122:123]
	v_fma_f64 v[124:125], -v[113:114], v[122:123], 1.0
	v_fma_f64 v[122:123], v[122:123], v[124:125], v[122:123]
	v_div_scale_f64 v[124:125], vcc_lo, 1.0, v[0:1], 1.0
	v_mul_f64 v[126:127], v[124:125], v[122:123]
	v_fma_f64 v[113:114], -v[113:114], v[126:127], v[124:125]
	v_div_fmas_f64 v[113:114], v[113:114], v[122:123], v[126:127]
	v_div_fixup_f64 v[0:1], v[113:114], v[0:1], 1.0
.LBB104_767:
	s_or_b32 exec_lo, exec_lo, s0
	s_mov_b32 s0, exec_lo
	v_cmpx_ne_u32_e64 v121, v112
	s_xor_b32 s0, exec_lo, s0
	s_cbranch_execz .LBB104_773
; %bb.768:
	s_mov_b32 s1, exec_lo
	v_cmpx_eq_u32_e32 45, v121
	s_cbranch_execz .LBB104_772
; %bb.769:
	v_cmp_ne_u32_e32 vcc_lo, 45, v112
	s_xor_b32 s2, s6, -1
	s_and_b32 s3, s2, vcc_lo
	s_and_saveexec_b32 s2, s3
	s_cbranch_execz .LBB104_771
; %bb.770:
	v_ashrrev_i32_e32 v113, 31, v112
	v_lshlrev_b64 v[113:114], 2, v[112:113]
	v_add_co_u32 v113, vcc_lo, v4, v113
	v_add_co_ci_u32_e64 v114, null, v5, v114, vcc_lo
	s_clause 0x1
	global_load_dword v120, v[113:114], off
	global_load_dword v121, v[4:5], off offset:180
	s_waitcnt vmcnt(1)
	global_store_dword v[4:5], v120, off offset:180
	s_waitcnt vmcnt(0)
	global_store_dword v[113:114], v121, off
.LBB104_771:
	s_or_b32 exec_lo, exec_lo, s2
	v_mov_b32_e32 v120, v112
	v_mov_b32_e32 v121, v112
.LBB104_772:
	s_or_b32 exec_lo, exec_lo, s1
.LBB104_773:
	s_andn2_saveexec_b32 s0, s0
	s_cbranch_execz .LBB104_775
; %bb.774:
	v_mov_b32_e32 v112, v16
	v_mov_b32_e32 v113, v17
	;; [unrolled: 1-line block ×13, first 2 shown]
	ds_write2_b64 v118, v[112:113], v[122:123] offset0:46 offset1:47
	ds_write2_b64 v118, v[124:125], v[126:127] offset0:48 offset1:49
	;; [unrolled: 1-line block ×3, first 2 shown]
	ds_write_b64 v118, v[110:111] offset:416
.LBB104_775:
	s_or_b32 exec_lo, exec_lo, s0
	s_mov_b32 s0, exec_lo
	s_waitcnt lgkmcnt(0)
	s_waitcnt_vscnt null, 0x0
	s_barrier
	buffer_gl0_inv
	v_cmpx_lt_i32_e32 45, v121
	s_cbranch_execz .LBB104_777
; %bb.776:
	v_mul_f64 v[18:19], v[0:1], v[18:19]
	ds_read2_b64 v[122:125], v118 offset0:46 offset1:47
	ds_read2_b64 v[126:129], v118 offset0:48 offset1:49
	;; [unrolled: 1-line block ×3, first 2 shown]
	ds_read_b64 v[0:1], v118 offset:416
	s_waitcnt lgkmcnt(3)
	v_fma_f64 v[16:17], -v[18:19], v[122:123], v[16:17]
	v_fma_f64 v[14:15], -v[18:19], v[124:125], v[14:15]
	s_waitcnt lgkmcnt(2)
	v_fma_f64 v[12:13], -v[18:19], v[126:127], v[12:13]
	v_fma_f64 v[8:9], -v[18:19], v[128:129], v[8:9]
	;; [unrolled: 3-line block ×3, first 2 shown]
	s_waitcnt lgkmcnt(0)
	v_fma_f64 v[110:111], -v[18:19], v[0:1], v[110:111]
.LBB104_777:
	s_or_b32 exec_lo, exec_lo, s0
	v_lshl_add_u32 v0, v121, 3, v118
	s_barrier
	buffer_gl0_inv
	v_mov_b32_e32 v112, 46
	ds_write_b64 v0, v[16:17]
	s_waitcnt lgkmcnt(0)
	s_barrier
	buffer_gl0_inv
	ds_read_b64 v[0:1], v118 offset:368
	s_cmp_lt_i32 s7, 48
	s_cbranch_scc1 .LBB104_780
; %bb.778:
	v_add3_u32 v113, v119, 0, 0x178
	v_mov_b32_e32 v112, 46
	s_mov_b32 s0, 47
.LBB104_779:                            ; =>This Inner Loop Header: Depth=1
	ds_read_b64 v[122:123], v113
	v_add_nc_u32_e32 v113, 8, v113
	s_waitcnt lgkmcnt(0)
	v_cmp_lt_f64_e64 vcc_lo, |v[0:1]|, |v[122:123]|
	v_cndmask_b32_e32 v1, v1, v123, vcc_lo
	v_cndmask_b32_e32 v0, v0, v122, vcc_lo
	v_cndmask_b32_e64 v112, v112, s0, vcc_lo
	s_add_i32 s0, s0, 1
	s_cmp_lg_u32 s7, s0
	s_cbranch_scc1 .LBB104_779
.LBB104_780:
	s_mov_b32 s0, exec_lo
	s_waitcnt lgkmcnt(0)
	v_cmpx_eq_f64_e32 0, v[0:1]
	s_xor_b32 s0, exec_lo, s0
; %bb.781:
	v_cmp_ne_u32_e32 vcc_lo, 0, v115
	v_cndmask_b32_e32 v115, 47, v115, vcc_lo
; %bb.782:
	s_andn2_saveexec_b32 s0, s0
	s_cbranch_execz .LBB104_784
; %bb.783:
	v_div_scale_f64 v[113:114], null, v[0:1], v[0:1], 1.0
	v_rcp_f64_e32 v[122:123], v[113:114]
	v_fma_f64 v[124:125], -v[113:114], v[122:123], 1.0
	v_fma_f64 v[122:123], v[122:123], v[124:125], v[122:123]
	v_fma_f64 v[124:125], -v[113:114], v[122:123], 1.0
	v_fma_f64 v[122:123], v[122:123], v[124:125], v[122:123]
	v_div_scale_f64 v[124:125], vcc_lo, 1.0, v[0:1], 1.0
	v_mul_f64 v[126:127], v[124:125], v[122:123]
	v_fma_f64 v[113:114], -v[113:114], v[126:127], v[124:125]
	v_div_fmas_f64 v[113:114], v[113:114], v[122:123], v[126:127]
	v_div_fixup_f64 v[0:1], v[113:114], v[0:1], 1.0
.LBB104_784:
	s_or_b32 exec_lo, exec_lo, s0
	s_mov_b32 s0, exec_lo
	v_cmpx_ne_u32_e64 v121, v112
	s_xor_b32 s0, exec_lo, s0
	s_cbranch_execz .LBB104_790
; %bb.785:
	s_mov_b32 s1, exec_lo
	v_cmpx_eq_u32_e32 46, v121
	s_cbranch_execz .LBB104_789
; %bb.786:
	v_cmp_ne_u32_e32 vcc_lo, 46, v112
	s_xor_b32 s2, s6, -1
	s_and_b32 s3, s2, vcc_lo
	s_and_saveexec_b32 s2, s3
	s_cbranch_execz .LBB104_788
; %bb.787:
	v_ashrrev_i32_e32 v113, 31, v112
	v_lshlrev_b64 v[113:114], 2, v[112:113]
	v_add_co_u32 v113, vcc_lo, v4, v113
	v_add_co_ci_u32_e64 v114, null, v5, v114, vcc_lo
	s_clause 0x1
	global_load_dword v120, v[113:114], off
	global_load_dword v121, v[4:5], off offset:184
	s_waitcnt vmcnt(1)
	global_store_dword v[4:5], v120, off offset:184
	s_waitcnt vmcnt(0)
	global_store_dword v[113:114], v121, off
.LBB104_788:
	s_or_b32 exec_lo, exec_lo, s2
	v_mov_b32_e32 v120, v112
	v_mov_b32_e32 v121, v112
.LBB104_789:
	s_or_b32 exec_lo, exec_lo, s1
.LBB104_790:
	s_andn2_saveexec_b32 s0, s0
	s_cbranch_execz .LBB104_792
; %bb.791:
	v_mov_b32_e32 v121, 46
	ds_write2_b64 v118, v[14:15], v[12:13] offset0:47 offset1:48
	ds_write2_b64 v118, v[8:9], v[10:11] offset0:49 offset1:50
	;; [unrolled: 1-line block ×3, first 2 shown]
.LBB104_792:
	s_or_b32 exec_lo, exec_lo, s0
	s_mov_b32 s0, exec_lo
	s_waitcnt lgkmcnt(0)
	s_waitcnt_vscnt null, 0x0
	s_barrier
	buffer_gl0_inv
	v_cmpx_lt_i32_e32 46, v121
	s_cbranch_execz .LBB104_794
; %bb.793:
	v_mul_f64 v[16:17], v[0:1], v[16:17]
	ds_read2_b64 v[122:125], v118 offset0:47 offset1:48
	ds_read2_b64 v[126:129], v118 offset0:49 offset1:50
	;; [unrolled: 1-line block ×3, first 2 shown]
	s_waitcnt lgkmcnt(2)
	v_fma_f64 v[14:15], -v[16:17], v[122:123], v[14:15]
	v_fma_f64 v[12:13], -v[16:17], v[124:125], v[12:13]
	s_waitcnt lgkmcnt(1)
	v_fma_f64 v[8:9], -v[16:17], v[126:127], v[8:9]
	v_fma_f64 v[10:11], -v[16:17], v[128:129], v[10:11]
	;; [unrolled: 3-line block ×3, first 2 shown]
.LBB104_794:
	s_or_b32 exec_lo, exec_lo, s0
	v_lshl_add_u32 v0, v121, 3, v118
	s_barrier
	buffer_gl0_inv
	v_mov_b32_e32 v112, 47
	ds_write_b64 v0, v[14:15]
	s_waitcnt lgkmcnt(0)
	s_barrier
	buffer_gl0_inv
	ds_read_b64 v[0:1], v118 offset:376
	s_cmp_lt_i32 s7, 49
	s_cbranch_scc1 .LBB104_797
; %bb.795:
	v_add3_u32 v113, v119, 0, 0x180
	v_mov_b32_e32 v112, 47
	s_mov_b32 s0, 48
.LBB104_796:                            ; =>This Inner Loop Header: Depth=1
	ds_read_b64 v[122:123], v113
	v_add_nc_u32_e32 v113, 8, v113
	s_waitcnt lgkmcnt(0)
	v_cmp_lt_f64_e64 vcc_lo, |v[0:1]|, |v[122:123]|
	v_cndmask_b32_e32 v1, v1, v123, vcc_lo
	v_cndmask_b32_e32 v0, v0, v122, vcc_lo
	v_cndmask_b32_e64 v112, v112, s0, vcc_lo
	s_add_i32 s0, s0, 1
	s_cmp_lg_u32 s7, s0
	s_cbranch_scc1 .LBB104_796
.LBB104_797:
	s_mov_b32 s0, exec_lo
	s_waitcnt lgkmcnt(0)
	v_cmpx_eq_f64_e32 0, v[0:1]
	s_xor_b32 s0, exec_lo, s0
; %bb.798:
	v_cmp_ne_u32_e32 vcc_lo, 0, v115
	v_cndmask_b32_e32 v115, 48, v115, vcc_lo
; %bb.799:
	s_andn2_saveexec_b32 s0, s0
	s_cbranch_execz .LBB104_801
; %bb.800:
	v_div_scale_f64 v[113:114], null, v[0:1], v[0:1], 1.0
	v_rcp_f64_e32 v[122:123], v[113:114]
	v_fma_f64 v[124:125], -v[113:114], v[122:123], 1.0
	v_fma_f64 v[122:123], v[122:123], v[124:125], v[122:123]
	v_fma_f64 v[124:125], -v[113:114], v[122:123], 1.0
	v_fma_f64 v[122:123], v[122:123], v[124:125], v[122:123]
	v_div_scale_f64 v[124:125], vcc_lo, 1.0, v[0:1], 1.0
	v_mul_f64 v[126:127], v[124:125], v[122:123]
	v_fma_f64 v[113:114], -v[113:114], v[126:127], v[124:125]
	v_div_fmas_f64 v[113:114], v[113:114], v[122:123], v[126:127]
	v_div_fixup_f64 v[0:1], v[113:114], v[0:1], 1.0
.LBB104_801:
	s_or_b32 exec_lo, exec_lo, s0
	s_mov_b32 s0, exec_lo
	v_cmpx_ne_u32_e64 v121, v112
	s_xor_b32 s0, exec_lo, s0
	s_cbranch_execz .LBB104_807
; %bb.802:
	s_mov_b32 s1, exec_lo
	v_cmpx_eq_u32_e32 47, v121
	s_cbranch_execz .LBB104_806
; %bb.803:
	v_cmp_ne_u32_e32 vcc_lo, 47, v112
	s_xor_b32 s2, s6, -1
	s_and_b32 s3, s2, vcc_lo
	s_and_saveexec_b32 s2, s3
	s_cbranch_execz .LBB104_805
; %bb.804:
	v_ashrrev_i32_e32 v113, 31, v112
	v_lshlrev_b64 v[113:114], 2, v[112:113]
	v_add_co_u32 v113, vcc_lo, v4, v113
	v_add_co_ci_u32_e64 v114, null, v5, v114, vcc_lo
	s_clause 0x1
	global_load_dword v120, v[113:114], off
	global_load_dword v121, v[4:5], off offset:188
	s_waitcnt vmcnt(1)
	global_store_dword v[4:5], v120, off offset:188
	s_waitcnt vmcnt(0)
	global_store_dword v[113:114], v121, off
.LBB104_805:
	s_or_b32 exec_lo, exec_lo, s2
	v_mov_b32_e32 v120, v112
	v_mov_b32_e32 v121, v112
.LBB104_806:
	s_or_b32 exec_lo, exec_lo, s1
.LBB104_807:
	s_andn2_saveexec_b32 s0, s0
	s_cbranch_execz .LBB104_809
; %bb.808:
	v_mov_b32_e32 v112, v12
	v_mov_b32_e32 v113, v13
	;; [unrolled: 1-line block ×9, first 2 shown]
	ds_write2_b64 v118, v[112:113], v[122:123] offset0:48 offset1:49
	ds_write2_b64 v118, v[124:125], v[126:127] offset0:50 offset1:51
	ds_write_b64 v118, v[110:111] offset:416
.LBB104_809:
	s_or_b32 exec_lo, exec_lo, s0
	s_mov_b32 s0, exec_lo
	s_waitcnt lgkmcnt(0)
	s_waitcnt_vscnt null, 0x0
	s_barrier
	buffer_gl0_inv
	v_cmpx_lt_i32_e32 47, v121
	s_cbranch_execz .LBB104_811
; %bb.810:
	v_mul_f64 v[14:15], v[0:1], v[14:15]
	ds_read2_b64 v[122:125], v118 offset0:48 offset1:49
	ds_read2_b64 v[126:129], v118 offset0:50 offset1:51
	ds_read_b64 v[0:1], v118 offset:416
	s_waitcnt lgkmcnt(2)
	v_fma_f64 v[12:13], -v[14:15], v[122:123], v[12:13]
	v_fma_f64 v[8:9], -v[14:15], v[124:125], v[8:9]
	s_waitcnt lgkmcnt(1)
	v_fma_f64 v[10:11], -v[14:15], v[126:127], v[10:11]
	v_fma_f64 v[6:7], -v[14:15], v[128:129], v[6:7]
	s_waitcnt lgkmcnt(0)
	v_fma_f64 v[110:111], -v[14:15], v[0:1], v[110:111]
.LBB104_811:
	s_or_b32 exec_lo, exec_lo, s0
	v_lshl_add_u32 v0, v121, 3, v118
	s_barrier
	buffer_gl0_inv
	v_mov_b32_e32 v112, 48
	ds_write_b64 v0, v[12:13]
	s_waitcnt lgkmcnt(0)
	s_barrier
	buffer_gl0_inv
	ds_read_b64 v[0:1], v118 offset:384
	s_cmp_lt_i32 s7, 50
	s_cbranch_scc1 .LBB104_814
; %bb.812:
	v_add3_u32 v113, v119, 0, 0x188
	v_mov_b32_e32 v112, 48
	s_mov_b32 s0, 49
.LBB104_813:                            ; =>This Inner Loop Header: Depth=1
	ds_read_b64 v[122:123], v113
	v_add_nc_u32_e32 v113, 8, v113
	s_waitcnt lgkmcnt(0)
	v_cmp_lt_f64_e64 vcc_lo, |v[0:1]|, |v[122:123]|
	v_cndmask_b32_e32 v1, v1, v123, vcc_lo
	v_cndmask_b32_e32 v0, v0, v122, vcc_lo
	v_cndmask_b32_e64 v112, v112, s0, vcc_lo
	s_add_i32 s0, s0, 1
	s_cmp_lg_u32 s7, s0
	s_cbranch_scc1 .LBB104_813
.LBB104_814:
	s_mov_b32 s0, exec_lo
	s_waitcnt lgkmcnt(0)
	v_cmpx_eq_f64_e32 0, v[0:1]
	s_xor_b32 s0, exec_lo, s0
; %bb.815:
	v_cmp_ne_u32_e32 vcc_lo, 0, v115
	v_cndmask_b32_e32 v115, 49, v115, vcc_lo
; %bb.816:
	s_andn2_saveexec_b32 s0, s0
	s_cbranch_execz .LBB104_818
; %bb.817:
	v_div_scale_f64 v[113:114], null, v[0:1], v[0:1], 1.0
	v_rcp_f64_e32 v[122:123], v[113:114]
	v_fma_f64 v[124:125], -v[113:114], v[122:123], 1.0
	v_fma_f64 v[122:123], v[122:123], v[124:125], v[122:123]
	v_fma_f64 v[124:125], -v[113:114], v[122:123], 1.0
	v_fma_f64 v[122:123], v[122:123], v[124:125], v[122:123]
	v_div_scale_f64 v[124:125], vcc_lo, 1.0, v[0:1], 1.0
	v_mul_f64 v[126:127], v[124:125], v[122:123]
	v_fma_f64 v[113:114], -v[113:114], v[126:127], v[124:125]
	v_div_fmas_f64 v[113:114], v[113:114], v[122:123], v[126:127]
	v_div_fixup_f64 v[0:1], v[113:114], v[0:1], 1.0
.LBB104_818:
	s_or_b32 exec_lo, exec_lo, s0
	s_mov_b32 s0, exec_lo
	v_cmpx_ne_u32_e64 v121, v112
	s_xor_b32 s0, exec_lo, s0
	s_cbranch_execz .LBB104_824
; %bb.819:
	s_mov_b32 s1, exec_lo
	v_cmpx_eq_u32_e32 48, v121
	s_cbranch_execz .LBB104_823
; %bb.820:
	v_cmp_ne_u32_e32 vcc_lo, 48, v112
	s_xor_b32 s2, s6, -1
	s_and_b32 s3, s2, vcc_lo
	s_and_saveexec_b32 s2, s3
	s_cbranch_execz .LBB104_822
; %bb.821:
	v_ashrrev_i32_e32 v113, 31, v112
	v_lshlrev_b64 v[113:114], 2, v[112:113]
	v_add_co_u32 v113, vcc_lo, v4, v113
	v_add_co_ci_u32_e64 v114, null, v5, v114, vcc_lo
	s_clause 0x1
	global_load_dword v120, v[113:114], off
	global_load_dword v121, v[4:5], off offset:192
	s_waitcnt vmcnt(1)
	global_store_dword v[4:5], v120, off offset:192
	s_waitcnt vmcnt(0)
	global_store_dword v[113:114], v121, off
.LBB104_822:
	s_or_b32 exec_lo, exec_lo, s2
	v_mov_b32_e32 v120, v112
	v_mov_b32_e32 v121, v112
.LBB104_823:
	s_or_b32 exec_lo, exec_lo, s1
.LBB104_824:
	s_andn2_saveexec_b32 s0, s0
	s_cbranch_execz .LBB104_826
; %bb.825:
	v_mov_b32_e32 v121, 48
	ds_write2_b64 v118, v[8:9], v[10:11] offset0:49 offset1:50
	ds_write2_b64 v118, v[6:7], v[110:111] offset0:51 offset1:52
.LBB104_826:
	s_or_b32 exec_lo, exec_lo, s0
	s_mov_b32 s0, exec_lo
	s_waitcnt lgkmcnt(0)
	s_waitcnt_vscnt null, 0x0
	s_barrier
	buffer_gl0_inv
	v_cmpx_lt_i32_e32 48, v121
	s_cbranch_execz .LBB104_828
; %bb.827:
	v_mul_f64 v[12:13], v[0:1], v[12:13]
	ds_read2_b64 v[122:125], v118 offset0:49 offset1:50
	ds_read2_b64 v[126:129], v118 offset0:51 offset1:52
	s_waitcnt lgkmcnt(1)
	v_fma_f64 v[8:9], -v[12:13], v[122:123], v[8:9]
	v_fma_f64 v[10:11], -v[12:13], v[124:125], v[10:11]
	s_waitcnt lgkmcnt(0)
	v_fma_f64 v[6:7], -v[12:13], v[126:127], v[6:7]
	v_fma_f64 v[110:111], -v[12:13], v[128:129], v[110:111]
.LBB104_828:
	s_or_b32 exec_lo, exec_lo, s0
	v_lshl_add_u32 v0, v121, 3, v118
	s_barrier
	buffer_gl0_inv
	v_mov_b32_e32 v112, 49
	ds_write_b64 v0, v[8:9]
	s_waitcnt lgkmcnt(0)
	s_barrier
	buffer_gl0_inv
	ds_read_b64 v[0:1], v118 offset:392
	s_cmp_lt_i32 s7, 51
	s_cbranch_scc1 .LBB104_831
; %bb.829:
	v_add3_u32 v113, v119, 0, 0x190
	v_mov_b32_e32 v112, 49
	s_mov_b32 s0, 50
.LBB104_830:                            ; =>This Inner Loop Header: Depth=1
	ds_read_b64 v[122:123], v113
	v_add_nc_u32_e32 v113, 8, v113
	s_waitcnt lgkmcnt(0)
	v_cmp_lt_f64_e64 vcc_lo, |v[0:1]|, |v[122:123]|
	v_cndmask_b32_e32 v1, v1, v123, vcc_lo
	v_cndmask_b32_e32 v0, v0, v122, vcc_lo
	v_cndmask_b32_e64 v112, v112, s0, vcc_lo
	s_add_i32 s0, s0, 1
	s_cmp_lg_u32 s7, s0
	s_cbranch_scc1 .LBB104_830
.LBB104_831:
	s_mov_b32 s0, exec_lo
	s_waitcnt lgkmcnt(0)
	v_cmpx_eq_f64_e32 0, v[0:1]
	s_xor_b32 s0, exec_lo, s0
; %bb.832:
	v_cmp_ne_u32_e32 vcc_lo, 0, v115
	v_cndmask_b32_e32 v115, 50, v115, vcc_lo
; %bb.833:
	s_andn2_saveexec_b32 s0, s0
	s_cbranch_execz .LBB104_835
; %bb.834:
	v_div_scale_f64 v[113:114], null, v[0:1], v[0:1], 1.0
	v_rcp_f64_e32 v[122:123], v[113:114]
	v_fma_f64 v[124:125], -v[113:114], v[122:123], 1.0
	v_fma_f64 v[122:123], v[122:123], v[124:125], v[122:123]
	v_fma_f64 v[124:125], -v[113:114], v[122:123], 1.0
	v_fma_f64 v[122:123], v[122:123], v[124:125], v[122:123]
	v_div_scale_f64 v[124:125], vcc_lo, 1.0, v[0:1], 1.0
	v_mul_f64 v[126:127], v[124:125], v[122:123]
	v_fma_f64 v[113:114], -v[113:114], v[126:127], v[124:125]
	v_div_fmas_f64 v[113:114], v[113:114], v[122:123], v[126:127]
	v_div_fixup_f64 v[0:1], v[113:114], v[0:1], 1.0
.LBB104_835:
	s_or_b32 exec_lo, exec_lo, s0
	s_mov_b32 s0, exec_lo
	v_cmpx_ne_u32_e64 v121, v112
	s_xor_b32 s0, exec_lo, s0
	s_cbranch_execz .LBB104_841
; %bb.836:
	s_mov_b32 s1, exec_lo
	v_cmpx_eq_u32_e32 49, v121
	s_cbranch_execz .LBB104_840
; %bb.837:
	v_cmp_ne_u32_e32 vcc_lo, 49, v112
	s_xor_b32 s2, s6, -1
	s_and_b32 s3, s2, vcc_lo
	s_and_saveexec_b32 s2, s3
	s_cbranch_execz .LBB104_839
; %bb.838:
	v_ashrrev_i32_e32 v113, 31, v112
	v_lshlrev_b64 v[113:114], 2, v[112:113]
	v_add_co_u32 v113, vcc_lo, v4, v113
	v_add_co_ci_u32_e64 v114, null, v5, v114, vcc_lo
	s_clause 0x1
	global_load_dword v120, v[113:114], off
	global_load_dword v121, v[4:5], off offset:196
	s_waitcnt vmcnt(1)
	global_store_dword v[4:5], v120, off offset:196
	s_waitcnt vmcnt(0)
	global_store_dword v[113:114], v121, off
.LBB104_839:
	s_or_b32 exec_lo, exec_lo, s2
	v_mov_b32_e32 v120, v112
	v_mov_b32_e32 v121, v112
.LBB104_840:
	s_or_b32 exec_lo, exec_lo, s1
.LBB104_841:
	s_andn2_saveexec_b32 s0, s0
	s_cbranch_execz .LBB104_843
; %bb.842:
	v_mov_b32_e32 v112, v10
	v_mov_b32_e32 v113, v11
	;; [unrolled: 1-line block ×5, first 2 shown]
	ds_write2_b64 v118, v[112:113], v[122:123] offset0:50 offset1:51
	ds_write_b64 v118, v[110:111] offset:416
.LBB104_843:
	s_or_b32 exec_lo, exec_lo, s0
	s_mov_b32 s0, exec_lo
	s_waitcnt lgkmcnt(0)
	s_waitcnt_vscnt null, 0x0
	s_barrier
	buffer_gl0_inv
	v_cmpx_lt_i32_e32 49, v121
	s_cbranch_execz .LBB104_845
; %bb.844:
	v_mul_f64 v[8:9], v[0:1], v[8:9]
	ds_read2_b64 v[122:125], v118 offset0:50 offset1:51
	ds_read_b64 v[0:1], v118 offset:416
	s_waitcnt lgkmcnt(1)
	v_fma_f64 v[10:11], -v[8:9], v[122:123], v[10:11]
	v_fma_f64 v[6:7], -v[8:9], v[124:125], v[6:7]
	s_waitcnt lgkmcnt(0)
	v_fma_f64 v[110:111], -v[8:9], v[0:1], v[110:111]
.LBB104_845:
	s_or_b32 exec_lo, exec_lo, s0
	v_lshl_add_u32 v0, v121, 3, v118
	s_barrier
	buffer_gl0_inv
	v_mov_b32_e32 v112, 50
	ds_write_b64 v0, v[10:11]
	s_waitcnt lgkmcnt(0)
	s_barrier
	buffer_gl0_inv
	ds_read_b64 v[0:1], v118 offset:400
	s_cmp_lt_i32 s7, 52
	s_cbranch_scc1 .LBB104_848
; %bb.846:
	v_add3_u32 v113, v119, 0, 0x198
	v_mov_b32_e32 v112, 50
	s_mov_b32 s0, 51
.LBB104_847:                            ; =>This Inner Loop Header: Depth=1
	ds_read_b64 v[122:123], v113
	v_add_nc_u32_e32 v113, 8, v113
	s_waitcnt lgkmcnt(0)
	v_cmp_lt_f64_e64 vcc_lo, |v[0:1]|, |v[122:123]|
	v_cndmask_b32_e32 v1, v1, v123, vcc_lo
	v_cndmask_b32_e32 v0, v0, v122, vcc_lo
	v_cndmask_b32_e64 v112, v112, s0, vcc_lo
	s_add_i32 s0, s0, 1
	s_cmp_lg_u32 s7, s0
	s_cbranch_scc1 .LBB104_847
.LBB104_848:
	s_mov_b32 s0, exec_lo
	s_waitcnt lgkmcnt(0)
	v_cmpx_eq_f64_e32 0, v[0:1]
	s_xor_b32 s0, exec_lo, s0
; %bb.849:
	v_cmp_ne_u32_e32 vcc_lo, 0, v115
	v_cndmask_b32_e32 v115, 51, v115, vcc_lo
; %bb.850:
	s_andn2_saveexec_b32 s0, s0
	s_cbranch_execz .LBB104_852
; %bb.851:
	v_div_scale_f64 v[113:114], null, v[0:1], v[0:1], 1.0
	v_rcp_f64_e32 v[122:123], v[113:114]
	v_fma_f64 v[124:125], -v[113:114], v[122:123], 1.0
	v_fma_f64 v[122:123], v[122:123], v[124:125], v[122:123]
	v_fma_f64 v[124:125], -v[113:114], v[122:123], 1.0
	v_fma_f64 v[122:123], v[122:123], v[124:125], v[122:123]
	v_div_scale_f64 v[124:125], vcc_lo, 1.0, v[0:1], 1.0
	v_mul_f64 v[126:127], v[124:125], v[122:123]
	v_fma_f64 v[113:114], -v[113:114], v[126:127], v[124:125]
	v_div_fmas_f64 v[113:114], v[113:114], v[122:123], v[126:127]
	v_div_fixup_f64 v[0:1], v[113:114], v[0:1], 1.0
.LBB104_852:
	s_or_b32 exec_lo, exec_lo, s0
	s_mov_b32 s0, exec_lo
	v_cmpx_ne_u32_e64 v121, v112
	s_xor_b32 s0, exec_lo, s0
	s_cbranch_execz .LBB104_858
; %bb.853:
	s_mov_b32 s1, exec_lo
	v_cmpx_eq_u32_e32 50, v121
	s_cbranch_execz .LBB104_857
; %bb.854:
	v_cmp_ne_u32_e32 vcc_lo, 50, v112
	s_xor_b32 s2, s6, -1
	s_and_b32 s3, s2, vcc_lo
	s_and_saveexec_b32 s2, s3
	s_cbranch_execz .LBB104_856
; %bb.855:
	v_ashrrev_i32_e32 v113, 31, v112
	v_lshlrev_b64 v[113:114], 2, v[112:113]
	v_add_co_u32 v113, vcc_lo, v4, v113
	v_add_co_ci_u32_e64 v114, null, v5, v114, vcc_lo
	s_clause 0x1
	global_load_dword v120, v[113:114], off
	global_load_dword v121, v[4:5], off offset:200
	s_waitcnt vmcnt(1)
	global_store_dword v[4:5], v120, off offset:200
	s_waitcnt vmcnt(0)
	global_store_dword v[113:114], v121, off
.LBB104_856:
	s_or_b32 exec_lo, exec_lo, s2
	v_mov_b32_e32 v120, v112
	v_mov_b32_e32 v121, v112
.LBB104_857:
	s_or_b32 exec_lo, exec_lo, s1
.LBB104_858:
	s_andn2_saveexec_b32 s0, s0
; %bb.859:
	v_mov_b32_e32 v121, 50
	ds_write2_b64 v118, v[6:7], v[110:111] offset0:51 offset1:52
; %bb.860:
	s_or_b32 exec_lo, exec_lo, s0
	s_mov_b32 s0, exec_lo
	s_waitcnt lgkmcnt(0)
	s_waitcnt_vscnt null, 0x0
	s_barrier
	buffer_gl0_inv
	v_cmpx_lt_i32_e32 50, v121
	s_cbranch_execz .LBB104_862
; %bb.861:
	v_mul_f64 v[10:11], v[0:1], v[10:11]
	ds_read2_b64 v[122:125], v118 offset0:51 offset1:52
	s_waitcnt lgkmcnt(0)
	v_fma_f64 v[6:7], -v[10:11], v[122:123], v[6:7]
	v_fma_f64 v[110:111], -v[10:11], v[124:125], v[110:111]
.LBB104_862:
	s_or_b32 exec_lo, exec_lo, s0
	v_lshl_add_u32 v0, v121, 3, v118
	s_barrier
	buffer_gl0_inv
	v_mov_b32_e32 v112, 51
	ds_write_b64 v0, v[6:7]
	s_waitcnt lgkmcnt(0)
	s_barrier
	buffer_gl0_inv
	ds_read_b64 v[0:1], v118 offset:408
	s_cmp_lt_i32 s7, 53
	s_cbranch_scc1 .LBB104_865
; %bb.863:
	v_add3_u32 v113, v119, 0, 0x1a0
	v_mov_b32_e32 v112, 51
	s_mov_b32 s0, 52
.LBB104_864:                            ; =>This Inner Loop Header: Depth=1
	ds_read_b64 v[122:123], v113
	v_add_nc_u32_e32 v113, 8, v113
	s_waitcnt lgkmcnt(0)
	v_cmp_lt_f64_e64 vcc_lo, |v[0:1]|, |v[122:123]|
	v_cndmask_b32_e32 v1, v1, v123, vcc_lo
	v_cndmask_b32_e32 v0, v0, v122, vcc_lo
	v_cndmask_b32_e64 v112, v112, s0, vcc_lo
	s_add_i32 s0, s0, 1
	s_cmp_lg_u32 s7, s0
	s_cbranch_scc1 .LBB104_864
.LBB104_865:
	s_mov_b32 s0, exec_lo
	s_waitcnt lgkmcnt(0)
	v_cmpx_eq_f64_e32 0, v[0:1]
	s_xor_b32 s0, exec_lo, s0
; %bb.866:
	v_cmp_ne_u32_e32 vcc_lo, 0, v115
	v_cndmask_b32_e32 v115, 52, v115, vcc_lo
; %bb.867:
	s_andn2_saveexec_b32 s0, s0
	s_cbranch_execz .LBB104_869
; %bb.868:
	v_div_scale_f64 v[113:114], null, v[0:1], v[0:1], 1.0
	v_rcp_f64_e32 v[122:123], v[113:114]
	v_fma_f64 v[124:125], -v[113:114], v[122:123], 1.0
	v_fma_f64 v[122:123], v[122:123], v[124:125], v[122:123]
	v_fma_f64 v[124:125], -v[113:114], v[122:123], 1.0
	v_fma_f64 v[122:123], v[122:123], v[124:125], v[122:123]
	v_div_scale_f64 v[124:125], vcc_lo, 1.0, v[0:1], 1.0
	v_mul_f64 v[126:127], v[124:125], v[122:123]
	v_fma_f64 v[113:114], -v[113:114], v[126:127], v[124:125]
	v_div_fmas_f64 v[113:114], v[113:114], v[122:123], v[126:127]
	v_div_fixup_f64 v[0:1], v[113:114], v[0:1], 1.0
.LBB104_869:
	s_or_b32 exec_lo, exec_lo, s0
	s_mov_b32 s0, exec_lo
	v_cmpx_ne_u32_e64 v121, v112
	s_xor_b32 s0, exec_lo, s0
	s_cbranch_execz .LBB104_875
; %bb.870:
	s_mov_b32 s1, exec_lo
	v_cmpx_eq_u32_e32 51, v121
	s_cbranch_execz .LBB104_874
; %bb.871:
	v_cmp_ne_u32_e32 vcc_lo, 51, v112
	s_xor_b32 s2, s6, -1
	s_and_b32 s3, s2, vcc_lo
	s_and_saveexec_b32 s2, s3
	s_cbranch_execz .LBB104_873
; %bb.872:
	v_ashrrev_i32_e32 v113, 31, v112
	v_lshlrev_b64 v[113:114], 2, v[112:113]
	v_add_co_u32 v113, vcc_lo, v4, v113
	v_add_co_ci_u32_e64 v114, null, v5, v114, vcc_lo
	s_clause 0x1
	global_load_dword v120, v[113:114], off
	global_load_dword v121, v[4:5], off offset:204
	s_waitcnt vmcnt(1)
	global_store_dword v[4:5], v120, off offset:204
	s_waitcnt vmcnt(0)
	global_store_dword v[113:114], v121, off
.LBB104_873:
	s_or_b32 exec_lo, exec_lo, s2
	v_mov_b32_e32 v120, v112
	v_mov_b32_e32 v121, v112
.LBB104_874:
	s_or_b32 exec_lo, exec_lo, s1
.LBB104_875:
	s_andn2_saveexec_b32 s0, s0
; %bb.876:
	v_mov_b32_e32 v121, 51
	ds_write_b64 v118, v[110:111] offset:416
; %bb.877:
	s_or_b32 exec_lo, exec_lo, s0
	s_mov_b32 s0, exec_lo
	s_waitcnt lgkmcnt(0)
	s_waitcnt_vscnt null, 0x0
	s_barrier
	buffer_gl0_inv
	v_cmpx_lt_i32_e32 51, v121
	s_cbranch_execz .LBB104_879
; %bb.878:
	v_mul_f64 v[6:7], v[0:1], v[6:7]
	ds_read_b64 v[0:1], v118 offset:416
	s_waitcnt lgkmcnt(0)
	v_fma_f64 v[110:111], -v[6:7], v[0:1], v[110:111]
.LBB104_879:
	s_or_b32 exec_lo, exec_lo, s0
	v_lshl_add_u32 v0, v121, 3, v118
	s_barrier
	buffer_gl0_inv
	v_mov_b32_e32 v112, 52
	ds_write_b64 v0, v[110:111]
	s_waitcnt lgkmcnt(0)
	s_barrier
	buffer_gl0_inv
	ds_read_b64 v[0:1], v118 offset:416
	s_cmp_lt_i32 s7, 54
	s_cbranch_scc1 .LBB104_882
; %bb.880:
	v_add3_u32 v113, v119, 0, 0x1a8
	v_mov_b32_e32 v112, 52
	s_mov_b32 s0, 53
.LBB104_881:                            ; =>This Inner Loop Header: Depth=1
	ds_read_b64 v[118:119], v113
	v_add_nc_u32_e32 v113, 8, v113
	s_waitcnt lgkmcnt(0)
	v_cmp_lt_f64_e64 vcc_lo, |v[0:1]|, |v[118:119]|
	v_cndmask_b32_e32 v1, v1, v119, vcc_lo
	v_cndmask_b32_e32 v0, v0, v118, vcc_lo
	v_cndmask_b32_e64 v112, v112, s0, vcc_lo
	s_add_i32 s0, s0, 1
	s_cmp_lg_u32 s7, s0
	s_cbranch_scc1 .LBB104_881
.LBB104_882:
	s_mov_b32 s0, exec_lo
	s_waitcnt lgkmcnt(0)
	v_cmpx_eq_f64_e32 0, v[0:1]
	s_xor_b32 s0, exec_lo, s0
; %bb.883:
	v_cmp_ne_u32_e32 vcc_lo, 0, v115
	v_cndmask_b32_e32 v115, 53, v115, vcc_lo
; %bb.884:
	s_andn2_saveexec_b32 s0, s0
	s_cbranch_execz .LBB104_886
; %bb.885:
	v_div_scale_f64 v[113:114], null, v[0:1], v[0:1], 1.0
	v_rcp_f64_e32 v[118:119], v[113:114]
	v_fma_f64 v[122:123], -v[113:114], v[118:119], 1.0
	v_fma_f64 v[118:119], v[118:119], v[122:123], v[118:119]
	v_fma_f64 v[122:123], -v[113:114], v[118:119], 1.0
	v_fma_f64 v[118:119], v[118:119], v[122:123], v[118:119]
	v_div_scale_f64 v[122:123], vcc_lo, 1.0, v[0:1], 1.0
	v_mul_f64 v[124:125], v[122:123], v[118:119]
	v_fma_f64 v[113:114], -v[113:114], v[124:125], v[122:123]
	v_div_fmas_f64 v[113:114], v[113:114], v[118:119], v[124:125]
	v_div_fixup_f64 v[0:1], v[113:114], v[0:1], 1.0
.LBB104_886:
	s_or_b32 exec_lo, exec_lo, s0
	v_mov_b32_e32 v113, 52
	s_mov_b32 s0, exec_lo
	v_cmpx_ne_u32_e64 v121, v112
	s_cbranch_execz .LBB104_892
; %bb.887:
	s_mov_b32 s1, exec_lo
	v_cmpx_eq_u32_e32 52, v121
	s_cbranch_execz .LBB104_891
; %bb.888:
	v_cmp_ne_u32_e32 vcc_lo, 52, v112
	s_xor_b32 s2, s6, -1
	s_and_b32 s3, s2, vcc_lo
	s_and_saveexec_b32 s2, s3
	s_cbranch_execz .LBB104_890
; %bb.889:
	v_ashrrev_i32_e32 v113, 31, v112
	v_lshlrev_b64 v[113:114], 2, v[112:113]
	v_add_co_u32 v113, vcc_lo, v4, v113
	v_add_co_ci_u32_e64 v114, null, v5, v114, vcc_lo
	s_clause 0x1
	global_load_dword v118, v[113:114], off
	global_load_dword v119, v[4:5], off offset:208
	s_waitcnt vmcnt(1)
	global_store_dword v[4:5], v118, off offset:208
	s_waitcnt vmcnt(0)
	global_store_dword v[113:114], v119, off
.LBB104_890:
	s_or_b32 exec_lo, exec_lo, s2
	v_mov_b32_e32 v120, v112
	v_mov_b32_e32 v121, v112
.LBB104_891:
	s_or_b32 exec_lo, exec_lo, s1
	v_mov_b32_e32 v113, v121
.LBB104_892:
	s_or_b32 exec_lo, exec_lo, s0
	s_load_dwordx8 s[0:7], s[4:5], 0x28
	v_ashrrev_i32_e32 v114, 31, v113
	s_mov_b32 s9, exec_lo
	s_waitcnt lgkmcnt(0)
	s_waitcnt_vscnt null, 0x0
	s_barrier
	buffer_gl0_inv
	s_barrier
	buffer_gl0_inv
	v_cmpx_gt_i32_e32 53, v113
	s_cbranch_execz .LBB104_894
; %bb.893:
	v_mul_lo_u32 v112, s5, v2
	v_mul_lo_u32 v118, s4, v3
	v_mad_u64_u32 v[4:5], null, s4, v2, 0
	s_lshl_b64 s[2:3], s[2:3], 2
	v_add3_u32 v5, v5, v118, v112
	v_lshlrev_b64 v[4:5], 2, v[4:5]
	v_add_co_u32 v112, vcc_lo, s0, v4
	v_add_co_ci_u32_e64 v118, null, s1, v5, vcc_lo
	v_lshlrev_b64 v[4:5], 2, v[113:114]
	v_add_co_u32 v112, vcc_lo, v112, s2
	v_add_co_ci_u32_e64 v118, null, s3, v118, vcc_lo
	v_add_co_u32 v4, vcc_lo, v112, v4
	v_add_co_ci_u32_e64 v5, null, v118, v5, vcc_lo
	v_add3_u32 v112, v120, s13, 1
	global_store_dword v[4:5], v112, off
.LBB104_894:
	s_or_b32 exec_lo, exec_lo, s9
	s_mov_b32 s1, exec_lo
	v_cmpx_eq_u32_e32 0, v113
	s_cbranch_execz .LBB104_897
; %bb.895:
	v_lshlrev_b64 v[2:3], 2, v[2:3]
	v_cmp_ne_u32_e64 s0, 0, v115
	v_add_co_u32 v2, vcc_lo, s6, v2
	v_add_co_ci_u32_e64 v3, null, s7, v3, vcc_lo
	global_load_dword v4, v[2:3], off
	s_waitcnt vmcnt(0)
	v_cmp_eq_u32_e32 vcc_lo, 0, v4
	s_and_b32 s0, vcc_lo, s0
	s_and_b32 exec_lo, exec_lo, s0
	s_cbranch_execz .LBB104_897
; %bb.896:
	v_add_nc_u32_e32 v4, s13, v115
	global_store_dword v[2:3], v4, off
.LBB104_897:
	s_or_b32 exec_lo, exec_lo, s1
	v_mul_f64 v[0:1], v[0:1], v[110:111]
	v_add3_u32 v2, s8, s8, v113
	v_lshlrev_b64 v[4:5], 3, v[113:114]
	v_add_nc_u32_e32 v112, s8, v2
	v_ashrrev_i32_e32 v3, 31, v2
	v_add_co_u32 v4, vcc_lo, v116, v4
	v_add_co_ci_u32_e64 v5, null, v117, v5, vcc_lo
	v_add_nc_u32_e32 v114, s8, v112
	v_lshlrev_b64 v[2:3], 3, v[2:3]
	v_cmp_lt_i32_e32 vcc_lo, 52, v113
	flat_store_dwordx2 v[4:5], v[108:109]
	v_ashrrev_i32_e32 v113, 31, v112
	v_add_nc_u32_e32 v108, s8, v114
	v_add_co_u32 v4, s0, v4, s10
	v_add_co_ci_u32_e64 v5, null, s11, v5, s0
	v_cndmask_b32_e32 v1, v111, v1, vcc_lo
	v_cndmask_b32_e32 v0, v110, v0, vcc_lo
	v_add_co_u32 v2, vcc_lo, v116, v2
	v_ashrrev_i32_e32 v115, 31, v114
	v_add_co_ci_u32_e64 v3, null, v117, v3, vcc_lo
	v_ashrrev_i32_e32 v109, 31, v108
	v_lshlrev_b64 v[110:111], 3, v[112:113]
	flat_store_dwordx2 v[4:5], v[104:105]
	flat_store_dwordx2 v[2:3], v[106:107]
	v_lshlrev_b64 v[2:3], 3, v[114:115]
	v_add_nc_u32_e32 v106, s8, v108
	v_lshlrev_b64 v[104:105], 3, v[108:109]
	v_add_co_u32 v4, vcc_lo, v116, v110
	v_add_co_ci_u32_e64 v5, null, v117, v111, vcc_lo
	v_add_co_u32 v2, vcc_lo, v116, v2
	v_add_co_ci_u32_e64 v3, null, v117, v3, vcc_lo
	v_add_co_u32 v104, vcc_lo, v116, v104
	v_add_nc_u32_e32 v108, s8, v106
	v_add_co_ci_u32_e64 v105, null, v117, v105, vcc_lo
	v_ashrrev_i32_e32 v107, 31, v106
	flat_store_dwordx2 v[4:5], v[102:103]
	flat_store_dwordx2 v[2:3], v[100:101]
	flat_store_dwordx2 v[104:105], v[98:99]
	v_add_nc_u32_e32 v98, s8, v108
	v_ashrrev_i32_e32 v109, 31, v108
	v_lshlrev_b64 v[4:5], 3, v[106:107]
	v_add_nc_u32_e32 v100, s8, v98
	v_lshlrev_b64 v[2:3], 3, v[108:109]
	v_ashrrev_i32_e32 v99, 31, v98
	v_add_co_u32 v4, vcc_lo, v116, v4
	v_add_nc_u32_e32 v102, s8, v100
	v_add_co_ci_u32_e64 v5, null, v117, v5, vcc_lo
	v_add_co_u32 v2, vcc_lo, v116, v2
	v_ashrrev_i32_e32 v101, 31, v100
	v_add_co_ci_u32_e64 v3, null, v117, v3, vcc_lo
	v_ashrrev_i32_e32 v103, 31, v102
	v_lshlrev_b64 v[98:99], 3, v[98:99]
	flat_store_dwordx2 v[4:5], v[96:97]
	flat_store_dwordx2 v[2:3], v[94:95]
	v_lshlrev_b64 v[2:3], 3, v[100:101]
	v_add_nc_u32_e32 v96, s8, v102
	v_lshlrev_b64 v[94:95], 3, v[102:103]
	v_add_co_u32 v4, vcc_lo, v116, v98
	v_add_co_ci_u32_e64 v5, null, v117, v99, vcc_lo
	v_add_co_u32 v2, vcc_lo, v116, v2
	v_add_co_ci_u32_e64 v3, null, v117, v3, vcc_lo
	v_add_co_u32 v94, vcc_lo, v116, v94
	v_add_nc_u32_e32 v98, s8, v96
	v_add_co_ci_u32_e64 v95, null, v117, v95, vcc_lo
	v_ashrrev_i32_e32 v97, 31, v96
	flat_store_dwordx2 v[4:5], v[92:93]
	flat_store_dwordx2 v[2:3], v[88:89]
	flat_store_dwordx2 v[94:95], v[90:91]
	v_add_nc_u32_e32 v88, s8, v98
	v_ashrrev_i32_e32 v99, 31, v98
	v_lshlrev_b64 v[4:5], 3, v[96:97]
	v_add_nc_u32_e32 v90, s8, v88
	v_lshlrev_b64 v[2:3], 3, v[98:99]
	v_ashrrev_i32_e32 v89, 31, v88
	v_add_co_u32 v4, vcc_lo, v116, v4
	v_add_nc_u32_e32 v92, s8, v90
	v_add_co_ci_u32_e64 v5, null, v117, v5, vcc_lo
	;; [unrolled: 30-line block ×8, first 2 shown]
	v_add_co_u32 v2, vcc_lo, v116, v2
	v_ashrrev_i32_e32 v31, 31, v30
	v_add_co_ci_u32_e64 v3, null, v117, v3, vcc_lo
	v_ashrrev_i32_e32 v33, 31, v32
	v_lshlrev_b64 v[28:29], 3, v[28:29]
	flat_store_dwordx2 v[4:5], v[24:25]
	flat_store_dwordx2 v[2:3], v[26:27]
	v_lshlrev_b64 v[2:3], 3, v[30:31]
	v_add_nc_u32_e32 v26, s8, v32
	v_lshlrev_b64 v[24:25], 3, v[32:33]
	v_add_co_u32 v4, vcc_lo, v116, v28
	v_add_co_ci_u32_e64 v5, null, v117, v29, vcc_lo
	v_add_co_u32 v2, vcc_lo, v116, v2
	v_add_nc_u32_e32 v28, s8, v26
	v_add_co_ci_u32_e64 v3, null, v117, v3, vcc_lo
	v_add_co_u32 v24, vcc_lo, v116, v24
	v_ashrrev_i32_e32 v27, 31, v26
	v_add_co_ci_u32_e64 v25, null, v117, v25, vcc_lo
	v_ashrrev_i32_e32 v29, 31, v28
	flat_store_dwordx2 v[4:5], v[22:23]
	v_lshlrev_b64 v[4:5], 3, v[26:27]
	flat_store_dwordx2 v[2:3], v[20:21]
	flat_store_dwordx2 v[24:25], v[18:19]
	v_add_nc_u32_e32 v18, s8, v28
	v_lshlrev_b64 v[2:3], 3, v[28:29]
	v_add_co_u32 v4, vcc_lo, v116, v4
	v_add_nc_u32_e32 v20, s8, v18
	v_add_co_ci_u32_e64 v5, null, v117, v5, vcc_lo
	v_add_co_u32 v2, vcc_lo, v116, v2
	v_add_co_ci_u32_e64 v3, null, v117, v3, vcc_lo
	v_add_nc_u32_e32 v22, s8, v20
	v_ashrrev_i32_e32 v19, 31, v18
	flat_store_dwordx2 v[4:5], v[16:17]
	flat_store_dwordx2 v[2:3], v[14:15]
	v_ashrrev_i32_e32 v21, 31, v20
	v_add_nc_u32_e32 v14, s8, v22
	v_lshlrev_b64 v[4:5], 3, v[18:19]
	v_ashrrev_i32_e32 v23, 31, v22
	v_lshlrev_b64 v[2:3], 3, v[20:21]
	v_add_nc_u32_e32 v18, s8, v14
	v_ashrrev_i32_e32 v15, 31, v14
	v_lshlrev_b64 v[16:17], 3, v[22:23]
	v_add_co_u32 v4, vcc_lo, v116, v4
	v_ashrrev_i32_e32 v19, 31, v18
	v_lshlrev_b64 v[14:15], 3, v[14:15]
	v_add_co_ci_u32_e64 v5, null, v117, v5, vcc_lo
	v_add_co_u32 v2, vcc_lo, v116, v2
	v_lshlrev_b64 v[18:19], 3, v[18:19]
	v_add_co_ci_u32_e64 v3, null, v117, v3, vcc_lo
	v_add_co_u32 v16, vcc_lo, v116, v16
	v_add_co_ci_u32_e64 v17, null, v117, v17, vcc_lo
	v_add_co_u32 v14, vcc_lo, v116, v14
	;; [unrolled: 2-line block ×3, first 2 shown]
	v_add_co_ci_u32_e64 v19, null, v117, v19, vcc_lo
	flat_store_dwordx2 v[4:5], v[12:13]
	flat_store_dwordx2 v[2:3], v[8:9]
	;; [unrolled: 1-line block ×5, first 2 shown]
.LBB104_898:
	s_endpgm
	.section	.rodata,"a",@progbits
	.p2align	6, 0x0
	.amdhsa_kernel _ZN9rocsolver6v33100L18getf2_small_kernelILi53EdiiPKPdEEvT1_T3_lS5_lPS5_llPT2_S5_S5_S7_l
		.amdhsa_group_segment_fixed_size 0
		.amdhsa_private_segment_fixed_size 0
		.amdhsa_kernarg_size 352
		.amdhsa_user_sgpr_count 6
		.amdhsa_user_sgpr_private_segment_buffer 1
		.amdhsa_user_sgpr_dispatch_ptr 0
		.amdhsa_user_sgpr_queue_ptr 0
		.amdhsa_user_sgpr_kernarg_segment_ptr 1
		.amdhsa_user_sgpr_dispatch_id 0
		.amdhsa_user_sgpr_flat_scratch_init 0
		.amdhsa_user_sgpr_private_segment_size 0
		.amdhsa_wavefront_size32 1
		.amdhsa_uses_dynamic_stack 0
		.amdhsa_system_sgpr_private_segment_wavefront_offset 0
		.amdhsa_system_sgpr_workgroup_id_x 1
		.amdhsa_system_sgpr_workgroup_id_y 1
		.amdhsa_system_sgpr_workgroup_id_z 0
		.amdhsa_system_sgpr_workgroup_info 0
		.amdhsa_system_vgpr_workitem_id 1
		.amdhsa_next_free_vgpr 218
		.amdhsa_next_free_sgpr 14
		.amdhsa_reserve_vcc 1
		.amdhsa_reserve_flat_scratch 1
		.amdhsa_float_round_mode_32 0
		.amdhsa_float_round_mode_16_64 0
		.amdhsa_float_denorm_mode_32 3
		.amdhsa_float_denorm_mode_16_64 3
		.amdhsa_dx10_clamp 1
		.amdhsa_ieee_mode 1
		.amdhsa_fp16_overflow 0
		.amdhsa_workgroup_processor_mode 1
		.amdhsa_memory_ordered 1
		.amdhsa_forward_progress 1
		.amdhsa_shared_vgpr_count 0
		.amdhsa_exception_fp_ieee_invalid_op 0
		.amdhsa_exception_fp_denorm_src 0
		.amdhsa_exception_fp_ieee_div_zero 0
		.amdhsa_exception_fp_ieee_overflow 0
		.amdhsa_exception_fp_ieee_underflow 0
		.amdhsa_exception_fp_ieee_inexact 0
		.amdhsa_exception_int_div_zero 0
	.end_amdhsa_kernel
	.section	.text._ZN9rocsolver6v33100L18getf2_small_kernelILi53EdiiPKPdEEvT1_T3_lS5_lPS5_llPT2_S5_S5_S7_l,"axG",@progbits,_ZN9rocsolver6v33100L18getf2_small_kernelILi53EdiiPKPdEEvT1_T3_lS5_lPS5_llPT2_S5_S5_S7_l,comdat
.Lfunc_end104:
	.size	_ZN9rocsolver6v33100L18getf2_small_kernelILi53EdiiPKPdEEvT1_T3_lS5_lPS5_llPT2_S5_S5_S7_l, .Lfunc_end104-_ZN9rocsolver6v33100L18getf2_small_kernelILi53EdiiPKPdEEvT1_T3_lS5_lPS5_llPT2_S5_S5_S7_l
                                        ; -- End function
	.set _ZN9rocsolver6v33100L18getf2_small_kernelILi53EdiiPKPdEEvT1_T3_lS5_lPS5_llPT2_S5_S5_S7_l.num_vgpr, 218
	.set _ZN9rocsolver6v33100L18getf2_small_kernelILi53EdiiPKPdEEvT1_T3_lS5_lPS5_llPT2_S5_S5_S7_l.num_agpr, 0
	.set _ZN9rocsolver6v33100L18getf2_small_kernelILi53EdiiPKPdEEvT1_T3_lS5_lPS5_llPT2_S5_S5_S7_l.numbered_sgpr, 14
	.set _ZN9rocsolver6v33100L18getf2_small_kernelILi53EdiiPKPdEEvT1_T3_lS5_lPS5_llPT2_S5_S5_S7_l.num_named_barrier, 0
	.set _ZN9rocsolver6v33100L18getf2_small_kernelILi53EdiiPKPdEEvT1_T3_lS5_lPS5_llPT2_S5_S5_S7_l.private_seg_size, 0
	.set _ZN9rocsolver6v33100L18getf2_small_kernelILi53EdiiPKPdEEvT1_T3_lS5_lPS5_llPT2_S5_S5_S7_l.uses_vcc, 1
	.set _ZN9rocsolver6v33100L18getf2_small_kernelILi53EdiiPKPdEEvT1_T3_lS5_lPS5_llPT2_S5_S5_S7_l.uses_flat_scratch, 1
	.set _ZN9rocsolver6v33100L18getf2_small_kernelILi53EdiiPKPdEEvT1_T3_lS5_lPS5_llPT2_S5_S5_S7_l.has_dyn_sized_stack, 0
	.set _ZN9rocsolver6v33100L18getf2_small_kernelILi53EdiiPKPdEEvT1_T3_lS5_lPS5_llPT2_S5_S5_S7_l.has_recursion, 0
	.set _ZN9rocsolver6v33100L18getf2_small_kernelILi53EdiiPKPdEEvT1_T3_lS5_lPS5_llPT2_S5_S5_S7_l.has_indirect_call, 0
	.section	.AMDGPU.csdata,"",@progbits
; Kernel info:
; codeLenInByte = 59048
; TotalNumSgprs: 16
; NumVgprs: 218
; ScratchSize: 0
; MemoryBound: 0
; FloatMode: 240
; IeeeMode: 1
; LDSByteSize: 0 bytes/workgroup (compile time only)
; SGPRBlocks: 0
; VGPRBlocks: 27
; NumSGPRsForWavesPerEU: 16
; NumVGPRsForWavesPerEU: 218
; Occupancy: 4
; WaveLimiterHint : 1
; COMPUTE_PGM_RSRC2:SCRATCH_EN: 0
; COMPUTE_PGM_RSRC2:USER_SGPR: 6
; COMPUTE_PGM_RSRC2:TRAP_HANDLER: 0
; COMPUTE_PGM_RSRC2:TGID_X_EN: 1
; COMPUTE_PGM_RSRC2:TGID_Y_EN: 1
; COMPUTE_PGM_RSRC2:TGID_Z_EN: 0
; COMPUTE_PGM_RSRC2:TIDIG_COMP_CNT: 1
	.section	.text._ZN9rocsolver6v33100L23getf2_npvt_small_kernelILi53EdiiPKPdEEvT1_T3_lS5_lPT2_S5_S5_,"axG",@progbits,_ZN9rocsolver6v33100L23getf2_npvt_small_kernelILi53EdiiPKPdEEvT1_T3_lS5_lPT2_S5_S5_,comdat
	.globl	_ZN9rocsolver6v33100L23getf2_npvt_small_kernelILi53EdiiPKPdEEvT1_T3_lS5_lPT2_S5_S5_ ; -- Begin function _ZN9rocsolver6v33100L23getf2_npvt_small_kernelILi53EdiiPKPdEEvT1_T3_lS5_lPT2_S5_S5_
	.p2align	8
	.type	_ZN9rocsolver6v33100L23getf2_npvt_small_kernelILi53EdiiPKPdEEvT1_T3_lS5_lPT2_S5_S5_,@function
_ZN9rocsolver6v33100L23getf2_npvt_small_kernelILi53EdiiPKPdEEvT1_T3_lS5_lPT2_S5_S5_: ; @_ZN9rocsolver6v33100L23getf2_npvt_small_kernelILi53EdiiPKPdEEvT1_T3_lS5_lPT2_S5_S5_
; %bb.0:
	s_mov_b64 s[14:15], s[2:3]
	s_mov_b64 s[12:13], s[0:1]
	s_add_u32 s12, s12, s8
	s_clause 0x1
	s_load_dword s0, s[4:5], 0x44
	s_load_dwordx2 s[8:9], s[4:5], 0x30
	s_addc_u32 s13, s13, 0
	s_waitcnt lgkmcnt(0)
	s_lshr_b32 s10, s0, 16
	s_mov_b32 s0, exec_lo
	v_mad_u64_u32 v[2:3], null, s7, s10, v[1:2]
	v_cmpx_gt_i32_e64 s8, v2
	s_cbranch_execz .LBB105_268
; %bb.1:
	s_clause 0x1
	s_load_dwordx4 s[0:3], s[4:5], 0x8
	s_load_dword s6, s[4:5], 0x18
	v_ashrrev_i32_e32 v3, 31, v2
	s_mulk_i32 s10, 0x1a8
	v_lshlrev_b64 v[4:5], 3, v[2:3]
	s_waitcnt lgkmcnt(0)
	v_add_co_u32 v4, vcc_lo, s0, v4
	v_add_co_ci_u32_e64 v5, null, s1, v5, vcc_lo
	v_add3_u32 v6, s6, s6, v0
	s_lshl_b64 s[0:1], s[2:3], 3
	s_ashr_i32 s7, s6, 31
	global_load_dwordx2 v[4:5], v[4:5], off
	v_add_nc_u32_e32 v8, s6, v6
	v_ashrrev_i32_e32 v7, 31, v6
	v_add_nc_u32_e32 v10, s6, v8
	v_ashrrev_i32_e32 v9, 31, v8
	v_lshlrev_b64 v[6:7], 3, v[6:7]
	v_add_nc_u32_e32 v12, s6, v10
	v_ashrrev_i32_e32 v11, 31, v10
	v_lshlrev_b64 v[8:9], 3, v[8:9]
	;; [unrolled: 3-line block ×48, first 2 shown]
	v_ashrrev_i32_e32 v105, 31, v104
	v_lshlrev_b64 v[102:103], 3, v[102:103]
	s_waitcnt vmcnt(0)
	v_add_co_u32 v110, vcc_lo, v4, s0
	v_add_co_ci_u32_e64 v111, null, s1, v5, vcc_lo
	s_lshl_b64 s[0:1], s[6:7], 3
	v_add_co_u32 v4, vcc_lo, v110, v6
	v_add_co_ci_u32_e64 v5, null, v111, v7, vcc_lo
	v_add_co_u32 v6, vcc_lo, v110, v8
	v_add_co_ci_u32_e64 v7, null, v111, v9, vcc_lo
	;; [unrolled: 2-line block ×12, first 2 shown]
	v_add_co_u32 v28, vcc_lo, v110, v30
	v_mov_b32_e32 v113, v5
	v_add_co_ci_u32_e64 v29, null, v111, v31, vcc_lo
	v_mov_b32_e32 v112, v4
	v_add_co_u32 v4, vcc_lo, v110, v32
	v_mov_b32_e32 v31, v7
	v_add_co_ci_u32_e64 v5, null, v111, v33, vcc_lo
	v_mov_b32_e32 v30, v6
	;; [unrolled: 4-line block ×3, first 2 shown]
	v_add_co_u32 v8, vcc_lo, v110, v36
	v_add_co_ci_u32_e64 v9, null, v111, v37, vcc_lo
	v_add_co_u32 v106, vcc_lo, v110, v38
	v_mov_b32_e32 v36, v11
	v_mov_b32_e32 v35, v10
	v_add_co_ci_u32_e64 v107, null, v111, v39, vcc_lo
	v_add_co_u32 v10, vcc_lo, v110, v40
	v_mov_b32_e32 v38, v13
	v_mov_b32_e32 v37, v12
	;; [unrolled: 4-line block ×9, first 2 shown]
	v_add_co_ci_u32_e64 v25, null, v111, v55, vcc_lo
	v_add_co_u32 v26, vcc_lo, v110, v56
	v_mov_b32_e32 v56, v5
	v_add_co_ci_u32_e64 v27, null, v111, v57, vcc_lo
	v_mov_b32_e32 v55, v4
	v_add_co_u32 v4, vcc_lo, v110, v58
	v_mov_b32_e32 v58, v7
	v_add_co_ci_u32_e64 v5, null, v111, v59, vcc_lo
	v_mov_b32_e32 v57, v6
	;; [unrolled: 4-line block ×4, first 2 shown]
	v_add_co_u32 v10, vcc_lo, v110, v64
	v_mov_b32_e32 v54, v29
	v_mov_b32_e32 v53, v28
	v_add_co_ci_u32_e64 v11, null, v111, v65, vcc_lo
	v_add_co_u32 v28, vcc_lo, v110, v66
	v_mov_b32_e32 v66, v13
	v_add_co_ci_u32_e64 v29, null, v111, v67, vcc_lo
	v_mov_b32_e32 v65, v12
	v_add_co_u32 v12, vcc_lo, v110, v68
	v_mov_b32_e32 v68, v15
	v_add_co_ci_u32_e64 v13, null, v111, v69, vcc_lo
	v_mov_b32_e32 v67, v14
	;; [unrolled: 4-line block ×7, first 2 shown]
	v_add_co_u32 v24, vcc_lo, v110, v80
	v_add_co_ci_u32_e64 v25, null, v111, v81, vcc_lo
	v_add_co_u32 v108, vcc_lo, v110, v82
	v_add_co_ci_u32_e64 v109, null, v111, v83, vcc_lo
	;; [unrolled: 2-line block ×6, first 2 shown]
	v_add_co_u32 v230, vcc_lo, v110, v92
	v_mov_b32_e32 v63, v106
	v_mov_b32_e32 v64, v107
	v_add_co_ci_u32_e64 v231, null, v111, v93, vcc_lo
	v_add_co_u32 v106, vcc_lo, v110, v94
	v_mov_b32_e32 v82, v7
	v_mov_b32_e32 v84, v9
	;; [unrolled: 1-line block ×4, first 2 shown]
	v_add_co_ci_u32_e64 v107, null, v111, v95, vcc_lo
	v_add_co_u32 v9, vcc_lo, v110, v96
	v_add_nc_u32_e32 v6, s6, v104
	v_mov_b32_e32 v80, v5
	v_mov_b32_e32 v86, v11
	;; [unrolled: 1-line block ×4, first 2 shown]
	v_add_co_ci_u32_e64 v10, null, v111, v97, vcc_lo
	v_add_co_u32 v11, vcc_lo, v110, v98
	v_lshlrev_b64 v[4:5], 3, v[104:105]
	v_mov_b32_e32 v88, v13
	v_mov_b32_e32 v87, v12
	v_add_co_ci_u32_e64 v12, null, v111, v99, vcc_lo
	v_add_co_u32 v13, vcc_lo, v110, v100
	v_mov_b32_e32 v90, v15
	v_ashrrev_i32_e32 v7, 31, v6
	v_lshlrev_b32_e32 v8, 3, v0
	v_mov_b32_e32 v89, v14
	v_add_co_ci_u32_e64 v14, null, v111, v101, vcc_lo
	v_add_co_u32 v104, vcc_lo, v110, v102
	v_add_co_ci_u32_e64 v105, null, v111, v103, vcc_lo
	v_add_co_u32 v15, vcc_lo, v110, v4
	v_mov_b32_e32 v92, v17
	v_mov_b32_e32 v91, v16
	v_add_co_ci_u32_e64 v16, null, v111, v5, vcc_lo
	v_lshlrev_b64 v[4:5], 3, v[6:7]
	v_add_co_u32 v6, vcc_lo, v110, v8
	v_add_co_ci_u32_e64 v7, null, 0, v111, vcc_lo
	v_mov_b32_e32 v94, v19
	v_add_co_u32 v17, vcc_lo, v6, s0
	v_mov_b32_e32 v93, v18
	v_add_co_ci_u32_e64 v18, null, s1, v7, vcc_lo
	buffer_store_dword v6, off, s[12:15], 0 offset:72 ; 4-byte Folded Spill
	buffer_store_dword v7, off, s[12:15], 0 offset:76 ; 4-byte Folded Spill
	v_add_co_u32 v4, vcc_lo, v110, v4
	v_add_co_ci_u32_e64 v5, null, v111, v5, vcc_lo
	v_mov_b32_e32 v103, v23
	v_mov_b32_e32 v102, v22
	v_cmp_ne_u32_e64 s1, 0, v0
	v_cmp_eq_u32_e64 s0, 0, v0
	flat_load_dwordx2 v[176:177], v[6:7]
	buffer_store_dword v17, off, s[12:15], 0 offset:80 ; 4-byte Folded Spill
	buffer_store_dword v18, off, s[12:15], 0 offset:84 ; 4-byte Folded Spill
	flat_load_dwordx2 v[194:195], v[17:18]
	buffer_store_dword v112, off, s[12:15], 0 ; 4-byte Folded Spill
	buffer_store_dword v113, off, s[12:15], 0 offset:4 ; 4-byte Folded Spill
	flat_load_dwordx2 v[212:213], v[112:113]
	buffer_store_dword v30, off, s[12:15], 0 offset:8 ; 4-byte Folded Spill
	buffer_store_dword v31, off, s[12:15], 0 offset:12 ; 4-byte Folded Spill
	flat_load_dwordx2 v[192:193], v[30:31]
	buffer_store_dword v114, off, s[12:15], 0 offset:16 ; 4-byte Folded Spill
	buffer_store_dword v115, off, s[12:15], 0 offset:20 ; 4-byte Folded Spill
	v_mov_b32_e32 v31, v10
	v_mov_b32_e32 v30, v9
	flat_load_dwordx2 v[210:211], v[114:115]
	buffer_store_dword v35, off, s[12:15], 0 offset:24 ; 4-byte Folded Spill
	buffer_store_dword v36, off, s[12:15], 0 offset:28 ; 4-byte Folded Spill
	flat_load_dwordx2 v[190:191], v[35:36]
	buffer_store_dword v37, off, s[12:15], 0 offset:32 ; 4-byte Folded Spill
	buffer_store_dword v38, off, s[12:15], 0 offset:36 ; 4-byte Folded Spill
	v_mov_b32_e32 v36, v12
	v_mov_b32_e32 v35, v11
	flat_load_dwordx2 v[208:209], v[37:38]
	buffer_store_dword v39, off, s[12:15], 0 offset:40 ; 4-byte Folded Spill
	buffer_store_dword v40, off, s[12:15], 0 offset:44 ; 4-byte Folded Spill
	v_mov_b32_e32 v38, v14
	v_mov_b32_e32 v37, v13
	;; [unrolled: 5-line block ×4, first 2 shown]
	flat_load_dwordx2 v[186:187], v[43:44]
	buffer_store_dword v45, off, s[12:15], 0 offset:64 ; 4-byte Folded Spill
	buffer_store_dword v46, off, s[12:15], 0 offset:68 ; 4-byte Folded Spill
	flat_load_dwordx2 v[204:205], v[45:46]
	buffer_store_dword v47, off, s[12:15], 0 offset:88 ; 4-byte Folded Spill
	buffer_store_dword v48, off, s[12:15], 0 offset:92 ; 4-byte Folded Spill
	;; [unrolled: 3-line block ×28, first 2 shown]
	s_clause 0x1
	flat_load_dwordx2 v[124:125], v[20:21]
	flat_load_dwordx2 v[156:157], v[22:23]
	buffer_store_dword v24, off, s[12:15], 0 offset:304 ; 4-byte Folded Spill
	buffer_store_dword v25, off, s[12:15], 0 offset:308 ; 4-byte Folded Spill
	s_clause 0xd
	flat_load_dwordx2 v[122:123], v[24:25]
	flat_load_dwordx2 v[154:155], v[108:109]
	;; [unrolled: 1-line block ×14, first 2 shown]
	v_lshlrev_b32_e32 v4, 3, v1
	v_mad_u32_u24 v24, 0x1a8, v1, 0
	v_add3_u32 v1, 0, s10, v4
	s_and_saveexec_b32 s2, s0
	s_cbranch_execz .LBB105_4
; %bb.2:
	s_waitcnt vmcnt(52) lgkmcnt(52)
	ds_write_b64 v1, v[176:177]
	s_waitcnt vmcnt(50) lgkmcnt(51)
	ds_write2_b64 v24, v[194:195], v[212:213] offset0:1 offset1:2
	s_waitcnt vmcnt(48) lgkmcnt(50)
	ds_write2_b64 v24, v[192:193], v[210:211] offset0:3 offset1:4
	;; [unrolled: 2-line block ×26, first 2 shown]
	ds_read_b64 v[4:5], v1
	s_waitcnt lgkmcnt(0)
	v_cmp_neq_f64_e32 vcc_lo, 0, v[4:5]
	s_and_b32 exec_lo, exec_lo, vcc_lo
	s_cbranch_execz .LBB105_4
; %bb.3:
	v_div_scale_f64 v[6:7], null, v[4:5], v[4:5], 1.0
	v_rcp_f64_e32 v[8:9], v[6:7]
	v_fma_f64 v[10:11], -v[6:7], v[8:9], 1.0
	v_fma_f64 v[8:9], v[8:9], v[10:11], v[8:9]
	v_fma_f64 v[10:11], -v[6:7], v[8:9], 1.0
	v_fma_f64 v[8:9], v[8:9], v[10:11], v[8:9]
	v_div_scale_f64 v[10:11], vcc_lo, 1.0, v[4:5], 1.0
	v_mul_f64 v[12:13], v[10:11], v[8:9]
	v_fma_f64 v[6:7], -v[6:7], v[12:13], v[10:11]
	v_div_fmas_f64 v[6:7], v[6:7], v[8:9], v[12:13]
	v_div_fixup_f64 v[4:5], v[6:7], v[4:5], 1.0
	ds_write_b64 v1, v[4:5]
.LBB105_4:
	s_or_b32 exec_lo, exec_lo, s2
	s_waitcnt vmcnt(0) lgkmcnt(0)
	s_waitcnt_vscnt null, 0x0
	s_barrier
	buffer_gl0_inv
	ds_read_b64 v[43:44], v1
	s_and_saveexec_b32 s2, s1
	s_cbranch_execz .LBB105_6
; %bb.5:
	s_waitcnt lgkmcnt(0)
	v_mul_f64 v[176:177], v[43:44], v[176:177]
	ds_read2_b64 v[4:7], v24 offset0:1 offset1:2
	s_waitcnt lgkmcnt(0)
	v_fma_f64 v[194:195], -v[176:177], v[4:5], v[194:195]
	v_fma_f64 v[212:213], -v[176:177], v[6:7], v[212:213]
	ds_read2_b64 v[4:7], v24 offset0:3 offset1:4
	s_waitcnt lgkmcnt(0)
	v_fma_f64 v[192:193], -v[176:177], v[4:5], v[192:193]
	v_fma_f64 v[210:211], -v[176:177], v[6:7], v[210:211]
	;; [unrolled: 4-line block ×26, first 2 shown]
.LBB105_6:
	s_or_b32 exec_lo, exec_lo, s2
	s_mov_b32 s1, exec_lo
	s_waitcnt lgkmcnt(0)
	s_barrier
	buffer_gl0_inv
	v_cmpx_eq_u32_e32 1, v0
	s_cbranch_execz .LBB105_9
; %bb.7:
	v_mov_b32_e32 v4, v212
	v_mov_b32_e32 v5, v213
	;; [unrolled: 1-line block ×20, first 2 shown]
	ds_write_b64 v1, v[194:195]
	ds_write2_b64 v24, v[4:5], v[6:7] offset0:2 offset1:3
	ds_write2_b64 v24, v[8:9], v[10:11] offset0:4 offset1:5
	ds_write2_b64 v24, v[12:13], v[14:15] offset0:6 offset1:7
	ds_write2_b64 v24, v[16:17], v[18:19] offset0:8 offset1:9
	ds_write2_b64 v24, v[20:21], v[22:23] offset0:10 offset1:11
	v_mov_b32_e32 v4, v202
	v_mov_b32_e32 v5, v203
	v_mov_b32_e32 v6, v182
	v_mov_b32_e32 v7, v183
	v_mov_b32_e32 v8, v200
	v_mov_b32_e32 v9, v201
	v_mov_b32_e32 v10, v180
	v_mov_b32_e32 v11, v181
	v_mov_b32_e32 v12, v198
	v_mov_b32_e32 v13, v199
	v_mov_b32_e32 v14, v178
	v_mov_b32_e32 v15, v179
	v_mov_b32_e32 v16, v196
	v_mov_b32_e32 v17, v197
	v_mov_b32_e32 v18, v142
	v_mov_b32_e32 v19, v143
	v_mov_b32_e32 v20, v174
	v_mov_b32_e32 v21, v175
	v_mov_b32_e32 v22, v140
	v_mov_b32_e32 v23, v141
	ds_write2_b64 v24, v[4:5], v[6:7] offset0:12 offset1:13
	ds_write2_b64 v24, v[8:9], v[10:11] offset0:14 offset1:15
	ds_write2_b64 v24, v[12:13], v[14:15] offset0:16 offset1:17
	ds_write2_b64 v24, v[16:17], v[18:19] offset0:18 offset1:19
	ds_write2_b64 v24, v[20:21], v[22:23] offset0:20 offset1:21
	v_mov_b32_e32 v4, v172
	v_mov_b32_e32 v5, v173
	v_mov_b32_e32 v6, v138
	v_mov_b32_e32 v7, v139
	v_mov_b32_e32 v8, v170
	v_mov_b32_e32 v9, v171
	v_mov_b32_e32 v10, v136
	v_mov_b32_e32 v11, v137
	v_mov_b32_e32 v12, v168
	v_mov_b32_e32 v13, v169
	v_mov_b32_e32 v14, v134
	v_mov_b32_e32 v15, v135
	v_mov_b32_e32 v16, v166
	v_mov_b32_e32 v17, v167
	v_mov_b32_e32 v18, v132
	v_mov_b32_e32 v19, v133
	v_mov_b32_e32 v20, v164
	v_mov_b32_e32 v21, v165
	v_mov_b32_e32 v22, v130
	v_mov_b32_e32 v23, v131
	;; [unrolled: 25-line block ×4, first 2 shown]
	ds_write2_b64 v24, v[4:5], v[6:7] offset0:42 offset1:43
	ds_write2_b64 v24, v[8:9], v[10:11] offset0:44 offset1:45
	;; [unrolled: 1-line block ×5, first 2 shown]
	ds_write_b64 v24, v[214:215] offset:416
	ds_read_b64 v[4:5], v1
	s_waitcnt lgkmcnt(0)
	v_cmp_neq_f64_e32 vcc_lo, 0, v[4:5]
	s_and_b32 exec_lo, exec_lo, vcc_lo
	s_cbranch_execz .LBB105_9
; %bb.8:
	v_div_scale_f64 v[6:7], null, v[4:5], v[4:5], 1.0
	v_rcp_f64_e32 v[8:9], v[6:7]
	v_fma_f64 v[10:11], -v[6:7], v[8:9], 1.0
	v_fma_f64 v[8:9], v[8:9], v[10:11], v[8:9]
	v_fma_f64 v[10:11], -v[6:7], v[8:9], 1.0
	v_fma_f64 v[8:9], v[8:9], v[10:11], v[8:9]
	v_div_scale_f64 v[10:11], vcc_lo, 1.0, v[4:5], 1.0
	v_mul_f64 v[12:13], v[10:11], v[8:9]
	v_fma_f64 v[6:7], -v[6:7], v[12:13], v[10:11]
	v_div_fmas_f64 v[6:7], v[6:7], v[8:9], v[12:13]
	v_div_fixup_f64 v[4:5], v[6:7], v[4:5], 1.0
	ds_write_b64 v1, v[4:5]
.LBB105_9:
	s_or_b32 exec_lo, exec_lo, s1
	s_waitcnt lgkmcnt(0)
	s_barrier
	buffer_gl0_inv
	ds_read_b64 v[45:46], v1
	s_mov_b32 s1, exec_lo
	v_cmpx_lt_u32_e32 1, v0
	s_cbranch_execz .LBB105_11
; %bb.10:
	s_waitcnt lgkmcnt(0)
	v_mul_f64 v[194:195], v[45:46], v[194:195]
	ds_read2_b64 v[4:7], v24 offset0:2 offset1:3
	s_waitcnt lgkmcnt(0)
	v_fma_f64 v[212:213], -v[194:195], v[4:5], v[212:213]
	v_fma_f64 v[192:193], -v[194:195], v[6:7], v[192:193]
	ds_read2_b64 v[4:7], v24 offset0:4 offset1:5
	s_waitcnt lgkmcnt(0)
	v_fma_f64 v[210:211], -v[194:195], v[4:5], v[210:211]
	v_fma_f64 v[190:191], -v[194:195], v[6:7], v[190:191]
	ds_read2_b64 v[4:7], v24 offset0:6 offset1:7
	s_waitcnt lgkmcnt(0)
	v_fma_f64 v[208:209], -v[194:195], v[4:5], v[208:209]
	v_fma_f64 v[188:189], -v[194:195], v[6:7], v[188:189]
	ds_read2_b64 v[4:7], v24 offset0:8 offset1:9
	s_waitcnt lgkmcnt(0)
	v_fma_f64 v[206:207], -v[194:195], v[4:5], v[206:207]
	v_fma_f64 v[186:187], -v[194:195], v[6:7], v[186:187]
	ds_read2_b64 v[4:7], v24 offset0:10 offset1:11
	s_waitcnt lgkmcnt(0)
	v_fma_f64 v[204:205], -v[194:195], v[4:5], v[204:205]
	v_fma_f64 v[184:185], -v[194:195], v[6:7], v[184:185]
	ds_read2_b64 v[4:7], v24 offset0:12 offset1:13
	s_waitcnt lgkmcnt(0)
	v_fma_f64 v[202:203], -v[194:195], v[4:5], v[202:203]
	v_fma_f64 v[182:183], -v[194:195], v[6:7], v[182:183]
	ds_read2_b64 v[4:7], v24 offset0:14 offset1:15
	s_waitcnt lgkmcnt(0)
	v_fma_f64 v[200:201], -v[194:195], v[4:5], v[200:201]
	v_fma_f64 v[180:181], -v[194:195], v[6:7], v[180:181]
	ds_read2_b64 v[4:7], v24 offset0:16 offset1:17
	s_waitcnt lgkmcnt(0)
	v_fma_f64 v[198:199], -v[194:195], v[4:5], v[198:199]
	v_fma_f64 v[178:179], -v[194:195], v[6:7], v[178:179]
	ds_read2_b64 v[4:7], v24 offset0:18 offset1:19
	s_waitcnt lgkmcnt(0)
	v_fma_f64 v[196:197], -v[194:195], v[4:5], v[196:197]
	v_fma_f64 v[142:143], -v[194:195], v[6:7], v[142:143]
	ds_read2_b64 v[4:7], v24 offset0:20 offset1:21
	s_waitcnt lgkmcnt(0)
	v_fma_f64 v[174:175], -v[194:195], v[4:5], v[174:175]
	v_fma_f64 v[140:141], -v[194:195], v[6:7], v[140:141]
	ds_read2_b64 v[4:7], v24 offset0:22 offset1:23
	s_waitcnt lgkmcnt(0)
	v_fma_f64 v[172:173], -v[194:195], v[4:5], v[172:173]
	v_fma_f64 v[138:139], -v[194:195], v[6:7], v[138:139]
	ds_read2_b64 v[4:7], v24 offset0:24 offset1:25
	s_waitcnt lgkmcnt(0)
	v_fma_f64 v[170:171], -v[194:195], v[4:5], v[170:171]
	v_fma_f64 v[136:137], -v[194:195], v[6:7], v[136:137]
	ds_read2_b64 v[4:7], v24 offset0:26 offset1:27
	s_waitcnt lgkmcnt(0)
	v_fma_f64 v[168:169], -v[194:195], v[4:5], v[168:169]
	v_fma_f64 v[134:135], -v[194:195], v[6:7], v[134:135]
	ds_read2_b64 v[4:7], v24 offset0:28 offset1:29
	s_waitcnt lgkmcnt(0)
	v_fma_f64 v[166:167], -v[194:195], v[4:5], v[166:167]
	v_fma_f64 v[132:133], -v[194:195], v[6:7], v[132:133]
	ds_read2_b64 v[4:7], v24 offset0:30 offset1:31
	s_waitcnt lgkmcnt(0)
	v_fma_f64 v[164:165], -v[194:195], v[4:5], v[164:165]
	v_fma_f64 v[130:131], -v[194:195], v[6:7], v[130:131]
	ds_read2_b64 v[4:7], v24 offset0:32 offset1:33
	s_waitcnt lgkmcnt(0)
	v_fma_f64 v[162:163], -v[194:195], v[4:5], v[162:163]
	v_fma_f64 v[128:129], -v[194:195], v[6:7], v[128:129]
	ds_read2_b64 v[4:7], v24 offset0:34 offset1:35
	s_waitcnt lgkmcnt(0)
	v_fma_f64 v[160:161], -v[194:195], v[4:5], v[160:161]
	v_fma_f64 v[126:127], -v[194:195], v[6:7], v[126:127]
	ds_read2_b64 v[4:7], v24 offset0:36 offset1:37
	s_waitcnt lgkmcnt(0)
	v_fma_f64 v[158:159], -v[194:195], v[4:5], v[158:159]
	v_fma_f64 v[124:125], -v[194:195], v[6:7], v[124:125]
	ds_read2_b64 v[4:7], v24 offset0:38 offset1:39
	s_waitcnt lgkmcnt(0)
	v_fma_f64 v[156:157], -v[194:195], v[4:5], v[156:157]
	v_fma_f64 v[122:123], -v[194:195], v[6:7], v[122:123]
	ds_read2_b64 v[4:7], v24 offset0:40 offset1:41
	s_waitcnt lgkmcnt(0)
	v_fma_f64 v[154:155], -v[194:195], v[4:5], v[154:155]
	v_fma_f64 v[120:121], -v[194:195], v[6:7], v[120:121]
	ds_read2_b64 v[4:7], v24 offset0:42 offset1:43
	s_waitcnt lgkmcnt(0)
	v_fma_f64 v[152:153], -v[194:195], v[4:5], v[152:153]
	v_fma_f64 v[118:119], -v[194:195], v[6:7], v[118:119]
	ds_read2_b64 v[4:7], v24 offset0:44 offset1:45
	s_waitcnt lgkmcnt(0)
	v_fma_f64 v[150:151], -v[194:195], v[4:5], v[150:151]
	v_fma_f64 v[116:117], -v[194:195], v[6:7], v[116:117]
	ds_read2_b64 v[4:7], v24 offset0:46 offset1:47
	s_waitcnt lgkmcnt(0)
	v_fma_f64 v[148:149], -v[194:195], v[4:5], v[148:149]
	v_fma_f64 v[114:115], -v[194:195], v[6:7], v[114:115]
	ds_read2_b64 v[4:7], v24 offset0:48 offset1:49
	s_waitcnt lgkmcnt(0)
	v_fma_f64 v[146:147], -v[194:195], v[4:5], v[146:147]
	v_fma_f64 v[112:113], -v[194:195], v[6:7], v[112:113]
	ds_read2_b64 v[4:7], v24 offset0:50 offset1:51
	s_waitcnt lgkmcnt(0)
	v_fma_f64 v[144:145], -v[194:195], v[4:5], v[144:145]
	ds_read_b64 v[4:5], v24 offset:416
	v_fma_f64 v[110:111], -v[194:195], v[6:7], v[110:111]
	s_waitcnt lgkmcnt(0)
	v_fma_f64 v[214:215], -v[194:195], v[4:5], v[214:215]
.LBB105_11:
	s_or_b32 exec_lo, exec_lo, s1
	s_mov_b32 s1, exec_lo
	s_waitcnt lgkmcnt(0)
	s_barrier
	buffer_gl0_inv
	v_cmpx_eq_u32_e32 2, v0
	s_cbranch_execz .LBB105_14
; %bb.12:
	ds_write_b64 v1, v[212:213]
	ds_write2_b64 v24, v[192:193], v[210:211] offset0:3 offset1:4
	ds_write2_b64 v24, v[190:191], v[208:209] offset0:5 offset1:6
	;; [unrolled: 1-line block ×25, first 2 shown]
	ds_read_b64 v[4:5], v1
	s_waitcnt lgkmcnt(0)
	v_cmp_neq_f64_e32 vcc_lo, 0, v[4:5]
	s_and_b32 exec_lo, exec_lo, vcc_lo
	s_cbranch_execz .LBB105_14
; %bb.13:
	v_div_scale_f64 v[6:7], null, v[4:5], v[4:5], 1.0
	v_rcp_f64_e32 v[8:9], v[6:7]
	v_fma_f64 v[10:11], -v[6:7], v[8:9], 1.0
	v_fma_f64 v[8:9], v[8:9], v[10:11], v[8:9]
	v_fma_f64 v[10:11], -v[6:7], v[8:9], 1.0
	v_fma_f64 v[8:9], v[8:9], v[10:11], v[8:9]
	v_div_scale_f64 v[10:11], vcc_lo, 1.0, v[4:5], 1.0
	v_mul_f64 v[12:13], v[10:11], v[8:9]
	v_fma_f64 v[6:7], -v[6:7], v[12:13], v[10:11]
	v_div_fmas_f64 v[6:7], v[6:7], v[8:9], v[12:13]
	v_div_fixup_f64 v[4:5], v[6:7], v[4:5], 1.0
	ds_write_b64 v1, v[4:5]
.LBB105_14:
	s_or_b32 exec_lo, exec_lo, s1
	s_waitcnt lgkmcnt(0)
	s_barrier
	buffer_gl0_inv
	ds_read_b64 v[47:48], v1
	s_mov_b32 s1, exec_lo
	v_cmpx_lt_u32_e32 2, v0
	s_cbranch_execz .LBB105_16
; %bb.15:
	s_waitcnt lgkmcnt(0)
	v_mul_f64 v[212:213], v[47:48], v[212:213]
	ds_read2_b64 v[4:7], v24 offset0:3 offset1:4
	s_waitcnt lgkmcnt(0)
	v_fma_f64 v[192:193], -v[212:213], v[4:5], v[192:193]
	v_fma_f64 v[210:211], -v[212:213], v[6:7], v[210:211]
	ds_read2_b64 v[4:7], v24 offset0:5 offset1:6
	s_waitcnt lgkmcnt(0)
	v_fma_f64 v[190:191], -v[212:213], v[4:5], v[190:191]
	v_fma_f64 v[208:209], -v[212:213], v[6:7], v[208:209]
	;; [unrolled: 4-line block ×25, first 2 shown]
.LBB105_16:
	s_or_b32 exec_lo, exec_lo, s1
	s_mov_b32 s1, exec_lo
	s_waitcnt lgkmcnt(0)
	s_barrier
	buffer_gl0_inv
	v_cmpx_eq_u32_e32 3, v0
	s_cbranch_execz .LBB105_19
; %bb.17:
	v_mov_b32_e32 v4, v210
	v_mov_b32_e32 v5, v211
	;; [unrolled: 1-line block ×16, first 2 shown]
	ds_write_b64 v1, v[192:193]
	ds_write2_b64 v24, v[4:5], v[6:7] offset0:4 offset1:5
	ds_write2_b64 v24, v[8:9], v[10:11] offset0:6 offset1:7
	ds_write2_b64 v24, v[12:13], v[14:15] offset0:8 offset1:9
	ds_write2_b64 v24, v[16:17], v[18:19] offset0:10 offset1:11
	v_mov_b32_e32 v4, v202
	v_mov_b32_e32 v5, v203
	v_mov_b32_e32 v6, v182
	v_mov_b32_e32 v7, v183
	v_mov_b32_e32 v8, v200
	v_mov_b32_e32 v9, v201
	v_mov_b32_e32 v10, v180
	v_mov_b32_e32 v11, v181
	v_mov_b32_e32 v12, v198
	v_mov_b32_e32 v13, v199
	v_mov_b32_e32 v14, v178
	v_mov_b32_e32 v15, v179
	v_mov_b32_e32 v16, v196
	v_mov_b32_e32 v17, v197
	v_mov_b32_e32 v18, v142
	v_mov_b32_e32 v19, v143
	v_mov_b32_e32 v20, v174
	v_mov_b32_e32 v21, v175
	v_mov_b32_e32 v22, v140
	v_mov_b32_e32 v23, v141
	ds_write2_b64 v24, v[4:5], v[6:7] offset0:12 offset1:13
	ds_write2_b64 v24, v[8:9], v[10:11] offset0:14 offset1:15
	ds_write2_b64 v24, v[12:13], v[14:15] offset0:16 offset1:17
	ds_write2_b64 v24, v[16:17], v[18:19] offset0:18 offset1:19
	ds_write2_b64 v24, v[20:21], v[22:23] offset0:20 offset1:21
	v_mov_b32_e32 v4, v172
	v_mov_b32_e32 v5, v173
	v_mov_b32_e32 v6, v138
	v_mov_b32_e32 v7, v139
	v_mov_b32_e32 v8, v170
	v_mov_b32_e32 v9, v171
	v_mov_b32_e32 v10, v136
	v_mov_b32_e32 v11, v137
	v_mov_b32_e32 v12, v168
	v_mov_b32_e32 v13, v169
	v_mov_b32_e32 v14, v134
	v_mov_b32_e32 v15, v135
	v_mov_b32_e32 v16, v166
	v_mov_b32_e32 v17, v167
	v_mov_b32_e32 v18, v132
	v_mov_b32_e32 v19, v133
	v_mov_b32_e32 v20, v164
	v_mov_b32_e32 v21, v165
	v_mov_b32_e32 v22, v130
	v_mov_b32_e32 v23, v131
	ds_write2_b64 v24, v[4:5], v[6:7] offset0:22 offset1:23
	ds_write2_b64 v24, v[8:9], v[10:11] offset0:24 offset1:25
	ds_write2_b64 v24, v[12:13], v[14:15] offset0:26 offset1:27
	ds_write2_b64 v24, v[16:17], v[18:19] offset0:28 offset1:29
	ds_write2_b64 v24, v[20:21], v[22:23] offset0:30 offset1:31
	v_mov_b32_e32 v4, v162
	v_mov_b32_e32 v5, v163
	v_mov_b32_e32 v6, v128
	v_mov_b32_e32 v7, v129
	v_mov_b32_e32 v8, v160
	v_mov_b32_e32 v9, v161
	v_mov_b32_e32 v10, v126
	v_mov_b32_e32 v11, v127
	v_mov_b32_e32 v12, v158
	v_mov_b32_e32 v13, v159
	v_mov_b32_e32 v14, v124
	v_mov_b32_e32 v15, v125
	v_mov_b32_e32 v16, v156
	v_mov_b32_e32 v17, v157
	v_mov_b32_e32 v18, v122
	v_mov_b32_e32 v19, v123
	v_mov_b32_e32 v20, v154
	v_mov_b32_e32 v21, v155
	v_mov_b32_e32 v22, v120
	v_mov_b32_e32 v23, v121
	ds_write2_b64 v24, v[4:5], v[6:7] offset0:32 offset1:33
	ds_write2_b64 v24, v[8:9], v[10:11] offset0:34 offset1:35
	ds_write2_b64 v24, v[12:13], v[14:15] offset0:36 offset1:37
	ds_write2_b64 v24, v[16:17], v[18:19] offset0:38 offset1:39
	ds_write2_b64 v24, v[20:21], v[22:23] offset0:40 offset1:41
	v_mov_b32_e32 v4, v152
	v_mov_b32_e32 v5, v153
	v_mov_b32_e32 v6, v118
	v_mov_b32_e32 v7, v119
	v_mov_b32_e32 v8, v150
	v_mov_b32_e32 v9, v151
	v_mov_b32_e32 v10, v116
	v_mov_b32_e32 v11, v117
	v_mov_b32_e32 v12, v148
	v_mov_b32_e32 v13, v149
	v_mov_b32_e32 v14, v114
	v_mov_b32_e32 v15, v115
	v_mov_b32_e32 v16, v146
	v_mov_b32_e32 v17, v147
	v_mov_b32_e32 v18, v112
	v_mov_b32_e32 v19, v113
	v_mov_b32_e32 v20, v144
	v_mov_b32_e32 v21, v145
	v_mov_b32_e32 v22, v110
	v_mov_b32_e32 v23, v111
	ds_write2_b64 v24, v[4:5], v[6:7] offset0:42 offset1:43
	ds_write2_b64 v24, v[8:9], v[10:11] offset0:44 offset1:45
	ds_write2_b64 v24, v[12:13], v[14:15] offset0:46 offset1:47
	;; [unrolled: 1-line block ×4, first 2 shown]
	ds_write_b64 v24, v[214:215] offset:416
	ds_read_b64 v[4:5], v1
	s_waitcnt lgkmcnt(0)
	v_cmp_neq_f64_e32 vcc_lo, 0, v[4:5]
	s_and_b32 exec_lo, exec_lo, vcc_lo
	s_cbranch_execz .LBB105_19
; %bb.18:
	v_div_scale_f64 v[6:7], null, v[4:5], v[4:5], 1.0
	v_rcp_f64_e32 v[8:9], v[6:7]
	v_fma_f64 v[10:11], -v[6:7], v[8:9], 1.0
	v_fma_f64 v[8:9], v[8:9], v[10:11], v[8:9]
	v_fma_f64 v[10:11], -v[6:7], v[8:9], 1.0
	v_fma_f64 v[8:9], v[8:9], v[10:11], v[8:9]
	v_div_scale_f64 v[10:11], vcc_lo, 1.0, v[4:5], 1.0
	v_mul_f64 v[12:13], v[10:11], v[8:9]
	v_fma_f64 v[6:7], -v[6:7], v[12:13], v[10:11]
	v_div_fmas_f64 v[6:7], v[6:7], v[8:9], v[12:13]
	v_div_fixup_f64 v[4:5], v[6:7], v[4:5], 1.0
	ds_write_b64 v1, v[4:5]
.LBB105_19:
	s_or_b32 exec_lo, exec_lo, s1
	s_waitcnt lgkmcnt(0)
	s_barrier
	buffer_gl0_inv
	ds_read_b64 v[49:50], v1
	s_mov_b32 s1, exec_lo
	v_cmpx_lt_u32_e32 3, v0
	s_cbranch_execz .LBB105_21
; %bb.20:
	s_waitcnt lgkmcnt(0)
	v_mul_f64 v[192:193], v[49:50], v[192:193]
	ds_read2_b64 v[4:7], v24 offset0:4 offset1:5
	s_waitcnt lgkmcnt(0)
	v_fma_f64 v[210:211], -v[192:193], v[4:5], v[210:211]
	v_fma_f64 v[190:191], -v[192:193], v[6:7], v[190:191]
	ds_read2_b64 v[4:7], v24 offset0:6 offset1:7
	s_waitcnt lgkmcnt(0)
	v_fma_f64 v[208:209], -v[192:193], v[4:5], v[208:209]
	v_fma_f64 v[188:189], -v[192:193], v[6:7], v[188:189]
	;; [unrolled: 4-line block ×23, first 2 shown]
	ds_read2_b64 v[4:7], v24 offset0:50 offset1:51
	s_waitcnt lgkmcnt(0)
	v_fma_f64 v[144:145], -v[192:193], v[4:5], v[144:145]
	ds_read_b64 v[4:5], v24 offset:416
	v_fma_f64 v[110:111], -v[192:193], v[6:7], v[110:111]
	s_waitcnt lgkmcnt(0)
	v_fma_f64 v[214:215], -v[192:193], v[4:5], v[214:215]
.LBB105_21:
	s_or_b32 exec_lo, exec_lo, s1
	s_mov_b32 s1, exec_lo
	s_waitcnt lgkmcnt(0)
	s_barrier
	buffer_gl0_inv
	v_cmpx_eq_u32_e32 4, v0
	s_cbranch_execz .LBB105_24
; %bb.22:
	ds_write_b64 v1, v[210:211]
	ds_write2_b64 v24, v[190:191], v[208:209] offset0:5 offset1:6
	ds_write2_b64 v24, v[188:189], v[206:207] offset0:7 offset1:8
	;; [unrolled: 1-line block ×24, first 2 shown]
	ds_read_b64 v[4:5], v1
	s_waitcnt lgkmcnt(0)
	v_cmp_neq_f64_e32 vcc_lo, 0, v[4:5]
	s_and_b32 exec_lo, exec_lo, vcc_lo
	s_cbranch_execz .LBB105_24
; %bb.23:
	v_div_scale_f64 v[6:7], null, v[4:5], v[4:5], 1.0
	v_rcp_f64_e32 v[8:9], v[6:7]
	v_fma_f64 v[10:11], -v[6:7], v[8:9], 1.0
	v_fma_f64 v[8:9], v[8:9], v[10:11], v[8:9]
	v_fma_f64 v[10:11], -v[6:7], v[8:9], 1.0
	v_fma_f64 v[8:9], v[8:9], v[10:11], v[8:9]
	v_div_scale_f64 v[10:11], vcc_lo, 1.0, v[4:5], 1.0
	v_mul_f64 v[12:13], v[10:11], v[8:9]
	v_fma_f64 v[6:7], -v[6:7], v[12:13], v[10:11]
	v_div_fmas_f64 v[6:7], v[6:7], v[8:9], v[12:13]
	v_div_fixup_f64 v[4:5], v[6:7], v[4:5], 1.0
	ds_write_b64 v1, v[4:5]
.LBB105_24:
	s_or_b32 exec_lo, exec_lo, s1
	s_waitcnt lgkmcnt(0)
	s_barrier
	buffer_gl0_inv
	ds_read_b64 v[51:52], v1
	s_mov_b32 s1, exec_lo
	v_cmpx_lt_u32_e32 4, v0
	s_cbranch_execz .LBB105_26
; %bb.25:
	s_waitcnt lgkmcnt(0)
	v_mul_f64 v[210:211], v[51:52], v[210:211]
	ds_read2_b64 v[4:7], v24 offset0:5 offset1:6
	s_waitcnt lgkmcnt(0)
	v_fma_f64 v[190:191], -v[210:211], v[4:5], v[190:191]
	v_fma_f64 v[208:209], -v[210:211], v[6:7], v[208:209]
	ds_read2_b64 v[4:7], v24 offset0:7 offset1:8
	s_waitcnt lgkmcnt(0)
	v_fma_f64 v[188:189], -v[210:211], v[4:5], v[188:189]
	v_fma_f64 v[206:207], -v[210:211], v[6:7], v[206:207]
	;; [unrolled: 4-line block ×24, first 2 shown]
.LBB105_26:
	s_or_b32 exec_lo, exec_lo, s1
	s_mov_b32 s1, exec_lo
	s_waitcnt lgkmcnt(0)
	s_barrier
	buffer_gl0_inv
	v_cmpx_eq_u32_e32 5, v0
	s_cbranch_execz .LBB105_29
; %bb.27:
	v_mov_b32_e32 v4, v208
	v_mov_b32_e32 v5, v209
	;; [unrolled: 1-line block ×12, first 2 shown]
	ds_write_b64 v1, v[190:191]
	ds_write2_b64 v24, v[4:5], v[6:7] offset0:6 offset1:7
	ds_write2_b64 v24, v[8:9], v[10:11] offset0:8 offset1:9
	ds_write2_b64 v24, v[12:13], v[14:15] offset0:10 offset1:11
	v_mov_b32_e32 v4, v202
	v_mov_b32_e32 v5, v203
	v_mov_b32_e32 v6, v182
	v_mov_b32_e32 v7, v183
	v_mov_b32_e32 v8, v200
	v_mov_b32_e32 v9, v201
	v_mov_b32_e32 v10, v180
	v_mov_b32_e32 v11, v181
	v_mov_b32_e32 v12, v198
	v_mov_b32_e32 v13, v199
	v_mov_b32_e32 v14, v178
	v_mov_b32_e32 v15, v179
	v_mov_b32_e32 v16, v196
	v_mov_b32_e32 v17, v197
	v_mov_b32_e32 v18, v142
	v_mov_b32_e32 v19, v143
	v_mov_b32_e32 v20, v174
	v_mov_b32_e32 v21, v175
	v_mov_b32_e32 v22, v140
	v_mov_b32_e32 v23, v141
	ds_write2_b64 v24, v[4:5], v[6:7] offset0:12 offset1:13
	ds_write2_b64 v24, v[8:9], v[10:11] offset0:14 offset1:15
	ds_write2_b64 v24, v[12:13], v[14:15] offset0:16 offset1:17
	ds_write2_b64 v24, v[16:17], v[18:19] offset0:18 offset1:19
	ds_write2_b64 v24, v[20:21], v[22:23] offset0:20 offset1:21
	v_mov_b32_e32 v4, v172
	v_mov_b32_e32 v5, v173
	v_mov_b32_e32 v6, v138
	v_mov_b32_e32 v7, v139
	v_mov_b32_e32 v8, v170
	v_mov_b32_e32 v9, v171
	v_mov_b32_e32 v10, v136
	v_mov_b32_e32 v11, v137
	v_mov_b32_e32 v12, v168
	v_mov_b32_e32 v13, v169
	v_mov_b32_e32 v14, v134
	v_mov_b32_e32 v15, v135
	v_mov_b32_e32 v16, v166
	v_mov_b32_e32 v17, v167
	v_mov_b32_e32 v18, v132
	v_mov_b32_e32 v19, v133
	v_mov_b32_e32 v20, v164
	v_mov_b32_e32 v21, v165
	v_mov_b32_e32 v22, v130
	v_mov_b32_e32 v23, v131
	ds_write2_b64 v24, v[4:5], v[6:7] offset0:22 offset1:23
	ds_write2_b64 v24, v[8:9], v[10:11] offset0:24 offset1:25
	;; [unrolled: 25-line block ×4, first 2 shown]
	ds_write2_b64 v24, v[12:13], v[14:15] offset0:46 offset1:47
	ds_write2_b64 v24, v[16:17], v[18:19] offset0:48 offset1:49
	;; [unrolled: 1-line block ×3, first 2 shown]
	ds_write_b64 v24, v[214:215] offset:416
	ds_read_b64 v[4:5], v1
	s_waitcnt lgkmcnt(0)
	v_cmp_neq_f64_e32 vcc_lo, 0, v[4:5]
	s_and_b32 exec_lo, exec_lo, vcc_lo
	s_cbranch_execz .LBB105_29
; %bb.28:
	v_div_scale_f64 v[6:7], null, v[4:5], v[4:5], 1.0
	v_rcp_f64_e32 v[8:9], v[6:7]
	v_fma_f64 v[10:11], -v[6:7], v[8:9], 1.0
	v_fma_f64 v[8:9], v[8:9], v[10:11], v[8:9]
	v_fma_f64 v[10:11], -v[6:7], v[8:9], 1.0
	v_fma_f64 v[8:9], v[8:9], v[10:11], v[8:9]
	v_div_scale_f64 v[10:11], vcc_lo, 1.0, v[4:5], 1.0
	v_mul_f64 v[12:13], v[10:11], v[8:9]
	v_fma_f64 v[6:7], -v[6:7], v[12:13], v[10:11]
	v_div_fmas_f64 v[6:7], v[6:7], v[8:9], v[12:13]
	v_div_fixup_f64 v[4:5], v[6:7], v[4:5], 1.0
	ds_write_b64 v1, v[4:5]
.LBB105_29:
	s_or_b32 exec_lo, exec_lo, s1
	s_waitcnt lgkmcnt(0)
	s_barrier
	buffer_gl0_inv
	ds_read_b64 v[53:54], v1
	s_mov_b32 s1, exec_lo
	v_cmpx_lt_u32_e32 5, v0
	s_cbranch_execz .LBB105_31
; %bb.30:
	s_waitcnt lgkmcnt(0)
	v_mul_f64 v[190:191], v[53:54], v[190:191]
	ds_read2_b64 v[4:7], v24 offset0:6 offset1:7
	s_waitcnt lgkmcnt(0)
	v_fma_f64 v[208:209], -v[190:191], v[4:5], v[208:209]
	v_fma_f64 v[188:189], -v[190:191], v[6:7], v[188:189]
	ds_read2_b64 v[4:7], v24 offset0:8 offset1:9
	s_waitcnt lgkmcnt(0)
	v_fma_f64 v[206:207], -v[190:191], v[4:5], v[206:207]
	v_fma_f64 v[186:187], -v[190:191], v[6:7], v[186:187]
	;; [unrolled: 4-line block ×22, first 2 shown]
	ds_read2_b64 v[4:7], v24 offset0:50 offset1:51
	s_waitcnt lgkmcnt(0)
	v_fma_f64 v[144:145], -v[190:191], v[4:5], v[144:145]
	ds_read_b64 v[4:5], v24 offset:416
	v_fma_f64 v[110:111], -v[190:191], v[6:7], v[110:111]
	s_waitcnt lgkmcnt(0)
	v_fma_f64 v[214:215], -v[190:191], v[4:5], v[214:215]
.LBB105_31:
	s_or_b32 exec_lo, exec_lo, s1
	s_mov_b32 s1, exec_lo
	s_waitcnt lgkmcnt(0)
	s_barrier
	buffer_gl0_inv
	v_cmpx_eq_u32_e32 6, v0
	s_cbranch_execz .LBB105_34
; %bb.32:
	ds_write_b64 v1, v[208:209]
	ds_write2_b64 v24, v[188:189], v[206:207] offset0:7 offset1:8
	ds_write2_b64 v24, v[186:187], v[204:205] offset0:9 offset1:10
	;; [unrolled: 1-line block ×23, first 2 shown]
	ds_read_b64 v[4:5], v1
	s_waitcnt lgkmcnt(0)
	v_cmp_neq_f64_e32 vcc_lo, 0, v[4:5]
	s_and_b32 exec_lo, exec_lo, vcc_lo
	s_cbranch_execz .LBB105_34
; %bb.33:
	v_div_scale_f64 v[6:7], null, v[4:5], v[4:5], 1.0
	v_rcp_f64_e32 v[8:9], v[6:7]
	v_fma_f64 v[10:11], -v[6:7], v[8:9], 1.0
	v_fma_f64 v[8:9], v[8:9], v[10:11], v[8:9]
	v_fma_f64 v[10:11], -v[6:7], v[8:9], 1.0
	v_fma_f64 v[8:9], v[8:9], v[10:11], v[8:9]
	v_div_scale_f64 v[10:11], vcc_lo, 1.0, v[4:5], 1.0
	v_mul_f64 v[12:13], v[10:11], v[8:9]
	v_fma_f64 v[6:7], -v[6:7], v[12:13], v[10:11]
	v_div_fmas_f64 v[6:7], v[6:7], v[8:9], v[12:13]
	v_div_fixup_f64 v[4:5], v[6:7], v[4:5], 1.0
	ds_write_b64 v1, v[4:5]
.LBB105_34:
	s_or_b32 exec_lo, exec_lo, s1
	s_waitcnt lgkmcnt(0)
	s_barrier
	buffer_gl0_inv
	ds_read_b64 v[55:56], v1
	s_mov_b32 s1, exec_lo
	v_cmpx_lt_u32_e32 6, v0
	s_cbranch_execz .LBB105_36
; %bb.35:
	s_waitcnt lgkmcnt(0)
	v_mul_f64 v[208:209], v[55:56], v[208:209]
	ds_read2_b64 v[4:7], v24 offset0:7 offset1:8
	s_waitcnt lgkmcnt(0)
	v_fma_f64 v[188:189], -v[208:209], v[4:5], v[188:189]
	v_fma_f64 v[206:207], -v[208:209], v[6:7], v[206:207]
	ds_read2_b64 v[4:7], v24 offset0:9 offset1:10
	s_waitcnt lgkmcnt(0)
	v_fma_f64 v[186:187], -v[208:209], v[4:5], v[186:187]
	v_fma_f64 v[204:205], -v[208:209], v[6:7], v[204:205]
	;; [unrolled: 4-line block ×23, first 2 shown]
.LBB105_36:
	s_or_b32 exec_lo, exec_lo, s1
	s_mov_b32 s1, exec_lo
	s_waitcnt lgkmcnt(0)
	s_barrier
	buffer_gl0_inv
	v_cmpx_eq_u32_e32 7, v0
	s_cbranch_execz .LBB105_39
; %bb.37:
	v_mov_b32_e32 v4, v206
	v_mov_b32_e32 v5, v207
	;; [unrolled: 1-line block ×8, first 2 shown]
	ds_write_b64 v1, v[188:189]
	ds_write2_b64 v24, v[4:5], v[6:7] offset0:8 offset1:9
	ds_write2_b64 v24, v[8:9], v[10:11] offset0:10 offset1:11
	v_mov_b32_e32 v4, v202
	v_mov_b32_e32 v5, v203
	v_mov_b32_e32 v6, v182
	v_mov_b32_e32 v7, v183
	v_mov_b32_e32 v8, v200
	v_mov_b32_e32 v9, v201
	v_mov_b32_e32 v10, v180
	v_mov_b32_e32 v11, v181
	v_mov_b32_e32 v12, v198
	v_mov_b32_e32 v13, v199
	v_mov_b32_e32 v14, v178
	v_mov_b32_e32 v15, v179
	v_mov_b32_e32 v16, v196
	v_mov_b32_e32 v17, v197
	v_mov_b32_e32 v18, v142
	v_mov_b32_e32 v19, v143
	v_mov_b32_e32 v20, v174
	v_mov_b32_e32 v21, v175
	v_mov_b32_e32 v22, v140
	v_mov_b32_e32 v23, v141
	ds_write2_b64 v24, v[4:5], v[6:7] offset0:12 offset1:13
	ds_write2_b64 v24, v[8:9], v[10:11] offset0:14 offset1:15
	ds_write2_b64 v24, v[12:13], v[14:15] offset0:16 offset1:17
	ds_write2_b64 v24, v[16:17], v[18:19] offset0:18 offset1:19
	ds_write2_b64 v24, v[20:21], v[22:23] offset0:20 offset1:21
	v_mov_b32_e32 v4, v172
	v_mov_b32_e32 v5, v173
	v_mov_b32_e32 v6, v138
	v_mov_b32_e32 v7, v139
	v_mov_b32_e32 v8, v170
	v_mov_b32_e32 v9, v171
	v_mov_b32_e32 v10, v136
	v_mov_b32_e32 v11, v137
	v_mov_b32_e32 v12, v168
	v_mov_b32_e32 v13, v169
	v_mov_b32_e32 v14, v134
	v_mov_b32_e32 v15, v135
	v_mov_b32_e32 v16, v166
	v_mov_b32_e32 v17, v167
	v_mov_b32_e32 v18, v132
	v_mov_b32_e32 v19, v133
	v_mov_b32_e32 v20, v164
	v_mov_b32_e32 v21, v165
	v_mov_b32_e32 v22, v130
	v_mov_b32_e32 v23, v131
	ds_write2_b64 v24, v[4:5], v[6:7] offset0:22 offset1:23
	ds_write2_b64 v24, v[8:9], v[10:11] offset0:24 offset1:25
	ds_write2_b64 v24, v[12:13], v[14:15] offset0:26 offset1:27
	;; [unrolled: 25-line block ×4, first 2 shown]
	ds_write2_b64 v24, v[16:17], v[18:19] offset0:48 offset1:49
	ds_write2_b64 v24, v[20:21], v[22:23] offset0:50 offset1:51
	ds_write_b64 v24, v[214:215] offset:416
	ds_read_b64 v[4:5], v1
	s_waitcnt lgkmcnt(0)
	v_cmp_neq_f64_e32 vcc_lo, 0, v[4:5]
	s_and_b32 exec_lo, exec_lo, vcc_lo
	s_cbranch_execz .LBB105_39
; %bb.38:
	v_div_scale_f64 v[6:7], null, v[4:5], v[4:5], 1.0
	v_rcp_f64_e32 v[8:9], v[6:7]
	v_fma_f64 v[10:11], -v[6:7], v[8:9], 1.0
	v_fma_f64 v[8:9], v[8:9], v[10:11], v[8:9]
	v_fma_f64 v[10:11], -v[6:7], v[8:9], 1.0
	v_fma_f64 v[8:9], v[8:9], v[10:11], v[8:9]
	v_div_scale_f64 v[10:11], vcc_lo, 1.0, v[4:5], 1.0
	v_mul_f64 v[12:13], v[10:11], v[8:9]
	v_fma_f64 v[6:7], -v[6:7], v[12:13], v[10:11]
	v_div_fmas_f64 v[6:7], v[6:7], v[8:9], v[12:13]
	v_div_fixup_f64 v[4:5], v[6:7], v[4:5], 1.0
	ds_write_b64 v1, v[4:5]
.LBB105_39:
	s_or_b32 exec_lo, exec_lo, s1
	s_waitcnt lgkmcnt(0)
	s_barrier
	buffer_gl0_inv
	ds_read_b64 v[57:58], v1
	s_mov_b32 s1, exec_lo
	v_cmpx_lt_u32_e32 7, v0
	s_cbranch_execz .LBB105_41
; %bb.40:
	s_waitcnt lgkmcnt(0)
	v_mul_f64 v[188:189], v[57:58], v[188:189]
	ds_read2_b64 v[4:7], v24 offset0:8 offset1:9
	s_waitcnt lgkmcnt(0)
	v_fma_f64 v[206:207], -v[188:189], v[4:5], v[206:207]
	v_fma_f64 v[186:187], -v[188:189], v[6:7], v[186:187]
	ds_read2_b64 v[4:7], v24 offset0:10 offset1:11
	s_waitcnt lgkmcnt(0)
	v_fma_f64 v[204:205], -v[188:189], v[4:5], v[204:205]
	v_fma_f64 v[184:185], -v[188:189], v[6:7], v[184:185]
	ds_read2_b64 v[4:7], v24 offset0:12 offset1:13
	s_waitcnt lgkmcnt(0)
	v_fma_f64 v[202:203], -v[188:189], v[4:5], v[202:203]
	v_fma_f64 v[182:183], -v[188:189], v[6:7], v[182:183]
	ds_read2_b64 v[4:7], v24 offset0:14 offset1:15
	s_waitcnt lgkmcnt(0)
	v_fma_f64 v[200:201], -v[188:189], v[4:5], v[200:201]
	v_fma_f64 v[180:181], -v[188:189], v[6:7], v[180:181]
	ds_read2_b64 v[4:7], v24 offset0:16 offset1:17
	s_waitcnt lgkmcnt(0)
	v_fma_f64 v[198:199], -v[188:189], v[4:5], v[198:199]
	v_fma_f64 v[178:179], -v[188:189], v[6:7], v[178:179]
	ds_read2_b64 v[4:7], v24 offset0:18 offset1:19
	s_waitcnt lgkmcnt(0)
	v_fma_f64 v[196:197], -v[188:189], v[4:5], v[196:197]
	v_fma_f64 v[142:143], -v[188:189], v[6:7], v[142:143]
	ds_read2_b64 v[4:7], v24 offset0:20 offset1:21
	s_waitcnt lgkmcnt(0)
	v_fma_f64 v[174:175], -v[188:189], v[4:5], v[174:175]
	v_fma_f64 v[140:141], -v[188:189], v[6:7], v[140:141]
	ds_read2_b64 v[4:7], v24 offset0:22 offset1:23
	s_waitcnt lgkmcnt(0)
	v_fma_f64 v[172:173], -v[188:189], v[4:5], v[172:173]
	v_fma_f64 v[138:139], -v[188:189], v[6:7], v[138:139]
	ds_read2_b64 v[4:7], v24 offset0:24 offset1:25
	s_waitcnt lgkmcnt(0)
	v_fma_f64 v[170:171], -v[188:189], v[4:5], v[170:171]
	v_fma_f64 v[136:137], -v[188:189], v[6:7], v[136:137]
	ds_read2_b64 v[4:7], v24 offset0:26 offset1:27
	s_waitcnt lgkmcnt(0)
	v_fma_f64 v[168:169], -v[188:189], v[4:5], v[168:169]
	v_fma_f64 v[134:135], -v[188:189], v[6:7], v[134:135]
	ds_read2_b64 v[4:7], v24 offset0:28 offset1:29
	s_waitcnt lgkmcnt(0)
	v_fma_f64 v[166:167], -v[188:189], v[4:5], v[166:167]
	v_fma_f64 v[132:133], -v[188:189], v[6:7], v[132:133]
	ds_read2_b64 v[4:7], v24 offset0:30 offset1:31
	s_waitcnt lgkmcnt(0)
	v_fma_f64 v[164:165], -v[188:189], v[4:5], v[164:165]
	v_fma_f64 v[130:131], -v[188:189], v[6:7], v[130:131]
	ds_read2_b64 v[4:7], v24 offset0:32 offset1:33
	s_waitcnt lgkmcnt(0)
	v_fma_f64 v[162:163], -v[188:189], v[4:5], v[162:163]
	v_fma_f64 v[128:129], -v[188:189], v[6:7], v[128:129]
	ds_read2_b64 v[4:7], v24 offset0:34 offset1:35
	s_waitcnt lgkmcnt(0)
	v_fma_f64 v[160:161], -v[188:189], v[4:5], v[160:161]
	v_fma_f64 v[126:127], -v[188:189], v[6:7], v[126:127]
	ds_read2_b64 v[4:7], v24 offset0:36 offset1:37
	s_waitcnt lgkmcnt(0)
	v_fma_f64 v[158:159], -v[188:189], v[4:5], v[158:159]
	v_fma_f64 v[124:125], -v[188:189], v[6:7], v[124:125]
	ds_read2_b64 v[4:7], v24 offset0:38 offset1:39
	s_waitcnt lgkmcnt(0)
	v_fma_f64 v[156:157], -v[188:189], v[4:5], v[156:157]
	v_fma_f64 v[122:123], -v[188:189], v[6:7], v[122:123]
	ds_read2_b64 v[4:7], v24 offset0:40 offset1:41
	s_waitcnt lgkmcnt(0)
	v_fma_f64 v[154:155], -v[188:189], v[4:5], v[154:155]
	v_fma_f64 v[120:121], -v[188:189], v[6:7], v[120:121]
	ds_read2_b64 v[4:7], v24 offset0:42 offset1:43
	s_waitcnt lgkmcnt(0)
	v_fma_f64 v[152:153], -v[188:189], v[4:5], v[152:153]
	v_fma_f64 v[118:119], -v[188:189], v[6:7], v[118:119]
	ds_read2_b64 v[4:7], v24 offset0:44 offset1:45
	s_waitcnt lgkmcnt(0)
	v_fma_f64 v[150:151], -v[188:189], v[4:5], v[150:151]
	v_fma_f64 v[116:117], -v[188:189], v[6:7], v[116:117]
	ds_read2_b64 v[4:7], v24 offset0:46 offset1:47
	s_waitcnt lgkmcnt(0)
	v_fma_f64 v[148:149], -v[188:189], v[4:5], v[148:149]
	v_fma_f64 v[114:115], -v[188:189], v[6:7], v[114:115]
	ds_read2_b64 v[4:7], v24 offset0:48 offset1:49
	s_waitcnt lgkmcnt(0)
	v_fma_f64 v[146:147], -v[188:189], v[4:5], v[146:147]
	v_fma_f64 v[112:113], -v[188:189], v[6:7], v[112:113]
	ds_read2_b64 v[4:7], v24 offset0:50 offset1:51
	s_waitcnt lgkmcnt(0)
	v_fma_f64 v[144:145], -v[188:189], v[4:5], v[144:145]
	ds_read_b64 v[4:5], v24 offset:416
	v_fma_f64 v[110:111], -v[188:189], v[6:7], v[110:111]
	s_waitcnt lgkmcnt(0)
	v_fma_f64 v[214:215], -v[188:189], v[4:5], v[214:215]
.LBB105_41:
	s_or_b32 exec_lo, exec_lo, s1
	s_mov_b32 s1, exec_lo
	s_waitcnt lgkmcnt(0)
	s_barrier
	buffer_gl0_inv
	v_cmpx_eq_u32_e32 8, v0
	s_cbranch_execz .LBB105_44
; %bb.42:
	ds_write_b64 v1, v[206:207]
	ds_write2_b64 v24, v[186:187], v[204:205] offset0:9 offset1:10
	ds_write2_b64 v24, v[184:185], v[202:203] offset0:11 offset1:12
	;; [unrolled: 1-line block ×22, first 2 shown]
	ds_read_b64 v[4:5], v1
	s_waitcnt lgkmcnt(0)
	v_cmp_neq_f64_e32 vcc_lo, 0, v[4:5]
	s_and_b32 exec_lo, exec_lo, vcc_lo
	s_cbranch_execz .LBB105_44
; %bb.43:
	v_div_scale_f64 v[6:7], null, v[4:5], v[4:5], 1.0
	v_rcp_f64_e32 v[8:9], v[6:7]
	v_fma_f64 v[10:11], -v[6:7], v[8:9], 1.0
	v_fma_f64 v[8:9], v[8:9], v[10:11], v[8:9]
	v_fma_f64 v[10:11], -v[6:7], v[8:9], 1.0
	v_fma_f64 v[8:9], v[8:9], v[10:11], v[8:9]
	v_div_scale_f64 v[10:11], vcc_lo, 1.0, v[4:5], 1.0
	v_mul_f64 v[12:13], v[10:11], v[8:9]
	v_fma_f64 v[6:7], -v[6:7], v[12:13], v[10:11]
	v_div_fmas_f64 v[6:7], v[6:7], v[8:9], v[12:13]
	v_div_fixup_f64 v[4:5], v[6:7], v[4:5], 1.0
	ds_write_b64 v1, v[4:5]
.LBB105_44:
	s_or_b32 exec_lo, exec_lo, s1
	s_waitcnt lgkmcnt(0)
	s_barrier
	buffer_gl0_inv
	ds_read_b64 v[59:60], v1
	s_mov_b32 s1, exec_lo
	v_cmpx_lt_u32_e32 8, v0
	s_cbranch_execz .LBB105_46
; %bb.45:
	s_waitcnt lgkmcnt(0)
	v_mul_f64 v[206:207], v[59:60], v[206:207]
	ds_read2_b64 v[4:7], v24 offset0:9 offset1:10
	s_waitcnt lgkmcnt(0)
	v_fma_f64 v[186:187], -v[206:207], v[4:5], v[186:187]
	v_fma_f64 v[204:205], -v[206:207], v[6:7], v[204:205]
	ds_read2_b64 v[4:7], v24 offset0:11 offset1:12
	s_waitcnt lgkmcnt(0)
	v_fma_f64 v[184:185], -v[206:207], v[4:5], v[184:185]
	v_fma_f64 v[202:203], -v[206:207], v[6:7], v[202:203]
	;; [unrolled: 4-line block ×22, first 2 shown]
.LBB105_46:
	s_or_b32 exec_lo, exec_lo, s1
	s_mov_b32 s1, exec_lo
	s_waitcnt lgkmcnt(0)
	s_barrier
	buffer_gl0_inv
	v_cmpx_eq_u32_e32 9, v0
	s_cbranch_execz .LBB105_49
; %bb.47:
	v_mov_b32_e32 v4, v204
	v_mov_b32_e32 v5, v205
	v_mov_b32_e32 v6, v184
	v_mov_b32_e32 v7, v185
	ds_write_b64 v1, v[186:187]
	ds_write2_b64 v24, v[4:5], v[6:7] offset0:10 offset1:11
	v_mov_b32_e32 v4, v202
	v_mov_b32_e32 v5, v203
	v_mov_b32_e32 v6, v182
	v_mov_b32_e32 v7, v183
	v_mov_b32_e32 v8, v200
	v_mov_b32_e32 v9, v201
	v_mov_b32_e32 v10, v180
	v_mov_b32_e32 v11, v181
	v_mov_b32_e32 v12, v198
	v_mov_b32_e32 v13, v199
	v_mov_b32_e32 v14, v178
	v_mov_b32_e32 v15, v179
	v_mov_b32_e32 v16, v196
	v_mov_b32_e32 v17, v197
	v_mov_b32_e32 v18, v142
	v_mov_b32_e32 v19, v143
	v_mov_b32_e32 v20, v174
	v_mov_b32_e32 v21, v175
	v_mov_b32_e32 v22, v140
	v_mov_b32_e32 v23, v141
	ds_write2_b64 v24, v[4:5], v[6:7] offset0:12 offset1:13
	ds_write2_b64 v24, v[8:9], v[10:11] offset0:14 offset1:15
	ds_write2_b64 v24, v[12:13], v[14:15] offset0:16 offset1:17
	ds_write2_b64 v24, v[16:17], v[18:19] offset0:18 offset1:19
	ds_write2_b64 v24, v[20:21], v[22:23] offset0:20 offset1:21
	v_mov_b32_e32 v4, v172
	v_mov_b32_e32 v5, v173
	v_mov_b32_e32 v6, v138
	v_mov_b32_e32 v7, v139
	v_mov_b32_e32 v8, v170
	v_mov_b32_e32 v9, v171
	v_mov_b32_e32 v10, v136
	v_mov_b32_e32 v11, v137
	v_mov_b32_e32 v12, v168
	v_mov_b32_e32 v13, v169
	v_mov_b32_e32 v14, v134
	v_mov_b32_e32 v15, v135
	v_mov_b32_e32 v16, v166
	v_mov_b32_e32 v17, v167
	v_mov_b32_e32 v18, v132
	v_mov_b32_e32 v19, v133
	v_mov_b32_e32 v20, v164
	v_mov_b32_e32 v21, v165
	v_mov_b32_e32 v22, v130
	v_mov_b32_e32 v23, v131
	ds_write2_b64 v24, v[4:5], v[6:7] offset0:22 offset1:23
	ds_write2_b64 v24, v[8:9], v[10:11] offset0:24 offset1:25
	ds_write2_b64 v24, v[12:13], v[14:15] offset0:26 offset1:27
	ds_write2_b64 v24, v[16:17], v[18:19] offset0:28 offset1:29
	;; [unrolled: 25-line block ×4, first 2 shown]
	ds_write2_b64 v24, v[20:21], v[22:23] offset0:50 offset1:51
	ds_write_b64 v24, v[214:215] offset:416
	ds_read_b64 v[4:5], v1
	s_waitcnt lgkmcnt(0)
	v_cmp_neq_f64_e32 vcc_lo, 0, v[4:5]
	s_and_b32 exec_lo, exec_lo, vcc_lo
	s_cbranch_execz .LBB105_49
; %bb.48:
	v_div_scale_f64 v[6:7], null, v[4:5], v[4:5], 1.0
	v_rcp_f64_e32 v[8:9], v[6:7]
	v_fma_f64 v[10:11], -v[6:7], v[8:9], 1.0
	v_fma_f64 v[8:9], v[8:9], v[10:11], v[8:9]
	v_fma_f64 v[10:11], -v[6:7], v[8:9], 1.0
	v_fma_f64 v[8:9], v[8:9], v[10:11], v[8:9]
	v_div_scale_f64 v[10:11], vcc_lo, 1.0, v[4:5], 1.0
	v_mul_f64 v[12:13], v[10:11], v[8:9]
	v_fma_f64 v[6:7], -v[6:7], v[12:13], v[10:11]
	v_div_fmas_f64 v[6:7], v[6:7], v[8:9], v[12:13]
	v_div_fixup_f64 v[4:5], v[6:7], v[4:5], 1.0
	ds_write_b64 v1, v[4:5]
.LBB105_49:
	s_or_b32 exec_lo, exec_lo, s1
	s_waitcnt lgkmcnt(0)
	s_barrier
	buffer_gl0_inv
	ds_read_b64 v[61:62], v1
	s_mov_b32 s1, exec_lo
	v_cmpx_lt_u32_e32 9, v0
	s_cbranch_execz .LBB105_51
; %bb.50:
	s_waitcnt lgkmcnt(0)
	v_mul_f64 v[186:187], v[61:62], v[186:187]
	ds_read2_b64 v[4:7], v24 offset0:10 offset1:11
	s_waitcnt lgkmcnt(0)
	v_fma_f64 v[204:205], -v[186:187], v[4:5], v[204:205]
	v_fma_f64 v[184:185], -v[186:187], v[6:7], v[184:185]
	ds_read2_b64 v[4:7], v24 offset0:12 offset1:13
	s_waitcnt lgkmcnt(0)
	v_fma_f64 v[202:203], -v[186:187], v[4:5], v[202:203]
	v_fma_f64 v[182:183], -v[186:187], v[6:7], v[182:183]
	;; [unrolled: 4-line block ×20, first 2 shown]
	ds_read2_b64 v[4:7], v24 offset0:50 offset1:51
	s_waitcnt lgkmcnt(0)
	v_fma_f64 v[144:145], -v[186:187], v[4:5], v[144:145]
	ds_read_b64 v[4:5], v24 offset:416
	v_fma_f64 v[110:111], -v[186:187], v[6:7], v[110:111]
	s_waitcnt lgkmcnt(0)
	v_fma_f64 v[214:215], -v[186:187], v[4:5], v[214:215]
.LBB105_51:
	s_or_b32 exec_lo, exec_lo, s1
	s_mov_b32 s1, exec_lo
	s_waitcnt lgkmcnt(0)
	s_barrier
	buffer_gl0_inv
	v_cmpx_eq_u32_e32 10, v0
	s_cbranch_execz .LBB105_54
; %bb.52:
	ds_write_b64 v1, v[204:205]
	ds_write2_b64 v24, v[184:185], v[202:203] offset0:11 offset1:12
	ds_write2_b64 v24, v[182:183], v[200:201] offset0:13 offset1:14
	;; [unrolled: 1-line block ×21, first 2 shown]
	ds_read_b64 v[4:5], v1
	s_waitcnt lgkmcnt(0)
	v_cmp_neq_f64_e32 vcc_lo, 0, v[4:5]
	s_and_b32 exec_lo, exec_lo, vcc_lo
	s_cbranch_execz .LBB105_54
; %bb.53:
	v_div_scale_f64 v[6:7], null, v[4:5], v[4:5], 1.0
	v_rcp_f64_e32 v[8:9], v[6:7]
	v_fma_f64 v[10:11], -v[6:7], v[8:9], 1.0
	v_fma_f64 v[8:9], v[8:9], v[10:11], v[8:9]
	v_fma_f64 v[10:11], -v[6:7], v[8:9], 1.0
	v_fma_f64 v[8:9], v[8:9], v[10:11], v[8:9]
	v_div_scale_f64 v[10:11], vcc_lo, 1.0, v[4:5], 1.0
	v_mul_f64 v[12:13], v[10:11], v[8:9]
	v_fma_f64 v[6:7], -v[6:7], v[12:13], v[10:11]
	v_div_fmas_f64 v[6:7], v[6:7], v[8:9], v[12:13]
	v_div_fixup_f64 v[4:5], v[6:7], v[4:5], 1.0
	ds_write_b64 v1, v[4:5]
.LBB105_54:
	s_or_b32 exec_lo, exec_lo, s1
	s_waitcnt lgkmcnt(0)
	s_barrier
	buffer_gl0_inv
	ds_read_b64 v[63:64], v1
	s_mov_b32 s1, exec_lo
	v_cmpx_lt_u32_e32 10, v0
	s_cbranch_execz .LBB105_56
; %bb.55:
	s_waitcnt lgkmcnt(0)
	v_mul_f64 v[204:205], v[63:64], v[204:205]
	ds_read2_b64 v[4:7], v24 offset0:11 offset1:12
	s_waitcnt lgkmcnt(0)
	v_fma_f64 v[184:185], -v[204:205], v[4:5], v[184:185]
	v_fma_f64 v[202:203], -v[204:205], v[6:7], v[202:203]
	ds_read2_b64 v[4:7], v24 offset0:13 offset1:14
	s_waitcnt lgkmcnt(0)
	v_fma_f64 v[182:183], -v[204:205], v[4:5], v[182:183]
	v_fma_f64 v[200:201], -v[204:205], v[6:7], v[200:201]
	;; [unrolled: 4-line block ×21, first 2 shown]
.LBB105_56:
	s_or_b32 exec_lo, exec_lo, s1
	s_mov_b32 s1, exec_lo
	s_waitcnt lgkmcnt(0)
	s_barrier
	buffer_gl0_inv
	v_cmpx_eq_u32_e32 11, v0
	s_cbranch_execz .LBB105_59
; %bb.57:
	v_mov_b32_e32 v4, v202
	v_mov_b32_e32 v5, v203
	;; [unrolled: 1-line block ×4, first 2 shown]
	ds_write_b64 v1, v[184:185]
	ds_write2_b64 v24, v[4:5], v[6:7] offset0:12 offset1:13
	v_mov_b32_e32 v4, v200
	v_mov_b32_e32 v5, v201
	v_mov_b32_e32 v6, v180
	v_mov_b32_e32 v7, v181
	ds_write2_b64 v24, v[4:5], v[6:7] offset0:14 offset1:15
	v_mov_b32_e32 v4, v198
	v_mov_b32_e32 v5, v199
	v_mov_b32_e32 v6, v178
	v_mov_b32_e32 v7, v179
	;; [unrolled: 5-line block ×19, first 2 shown]
	ds_write2_b64 v24, v[4:5], v[6:7] offset0:50 offset1:51
	ds_write_b64 v24, v[214:215] offset:416
	ds_read_b64 v[4:5], v1
	s_waitcnt lgkmcnt(0)
	v_cmp_neq_f64_e32 vcc_lo, 0, v[4:5]
	s_and_b32 exec_lo, exec_lo, vcc_lo
	s_cbranch_execz .LBB105_59
; %bb.58:
	v_div_scale_f64 v[6:7], null, v[4:5], v[4:5], 1.0
	v_rcp_f64_e32 v[8:9], v[6:7]
	v_fma_f64 v[10:11], -v[6:7], v[8:9], 1.0
	v_fma_f64 v[8:9], v[8:9], v[10:11], v[8:9]
	v_fma_f64 v[10:11], -v[6:7], v[8:9], 1.0
	v_fma_f64 v[8:9], v[8:9], v[10:11], v[8:9]
	v_div_scale_f64 v[10:11], vcc_lo, 1.0, v[4:5], 1.0
	v_mul_f64 v[12:13], v[10:11], v[8:9]
	v_fma_f64 v[6:7], -v[6:7], v[12:13], v[10:11]
	v_div_fmas_f64 v[6:7], v[6:7], v[8:9], v[12:13]
	v_div_fixup_f64 v[4:5], v[6:7], v[4:5], 1.0
	ds_write_b64 v1, v[4:5]
.LBB105_59:
	s_or_b32 exec_lo, exec_lo, s1
	s_waitcnt lgkmcnt(0)
	s_barrier
	buffer_gl0_inv
	ds_read_b64 v[65:66], v1
	s_mov_b32 s1, exec_lo
	v_cmpx_lt_u32_e32 11, v0
	s_cbranch_execz .LBB105_61
; %bb.60:
	s_waitcnt lgkmcnt(0)
	v_mul_f64 v[184:185], v[65:66], v[184:185]
	ds_read2_b64 v[4:7], v24 offset0:12 offset1:13
	s_waitcnt lgkmcnt(0)
	v_fma_f64 v[202:203], -v[184:185], v[4:5], v[202:203]
	v_fma_f64 v[182:183], -v[184:185], v[6:7], v[182:183]
	ds_read2_b64 v[4:7], v24 offset0:14 offset1:15
	s_waitcnt lgkmcnt(0)
	v_fma_f64 v[200:201], -v[184:185], v[4:5], v[200:201]
	v_fma_f64 v[180:181], -v[184:185], v[6:7], v[180:181]
	;; [unrolled: 4-line block ×19, first 2 shown]
	ds_read2_b64 v[4:7], v24 offset0:50 offset1:51
	s_waitcnt lgkmcnt(0)
	v_fma_f64 v[144:145], -v[184:185], v[4:5], v[144:145]
	ds_read_b64 v[4:5], v24 offset:416
	v_fma_f64 v[110:111], -v[184:185], v[6:7], v[110:111]
	s_waitcnt lgkmcnt(0)
	v_fma_f64 v[214:215], -v[184:185], v[4:5], v[214:215]
.LBB105_61:
	s_or_b32 exec_lo, exec_lo, s1
	s_mov_b32 s1, exec_lo
	s_waitcnt lgkmcnt(0)
	s_barrier
	buffer_gl0_inv
	v_cmpx_eq_u32_e32 12, v0
	s_cbranch_execz .LBB105_64
; %bb.62:
	ds_write_b64 v1, v[202:203]
	ds_write2_b64 v24, v[182:183], v[200:201] offset0:13 offset1:14
	ds_write2_b64 v24, v[180:181], v[198:199] offset0:15 offset1:16
	;; [unrolled: 1-line block ×20, first 2 shown]
	ds_read_b64 v[4:5], v1
	s_waitcnt lgkmcnt(0)
	v_cmp_neq_f64_e32 vcc_lo, 0, v[4:5]
	s_and_b32 exec_lo, exec_lo, vcc_lo
	s_cbranch_execz .LBB105_64
; %bb.63:
	v_div_scale_f64 v[6:7], null, v[4:5], v[4:5], 1.0
	v_rcp_f64_e32 v[8:9], v[6:7]
	v_fma_f64 v[10:11], -v[6:7], v[8:9], 1.0
	v_fma_f64 v[8:9], v[8:9], v[10:11], v[8:9]
	v_fma_f64 v[10:11], -v[6:7], v[8:9], 1.0
	v_fma_f64 v[8:9], v[8:9], v[10:11], v[8:9]
	v_div_scale_f64 v[10:11], vcc_lo, 1.0, v[4:5], 1.0
	v_mul_f64 v[12:13], v[10:11], v[8:9]
	v_fma_f64 v[6:7], -v[6:7], v[12:13], v[10:11]
	v_div_fmas_f64 v[6:7], v[6:7], v[8:9], v[12:13]
	v_div_fixup_f64 v[4:5], v[6:7], v[4:5], 1.0
	ds_write_b64 v1, v[4:5]
.LBB105_64:
	s_or_b32 exec_lo, exec_lo, s1
	s_waitcnt lgkmcnt(0)
	s_barrier
	buffer_gl0_inv
	ds_read_b64 v[67:68], v1
	s_mov_b32 s1, exec_lo
	v_cmpx_lt_u32_e32 12, v0
	s_cbranch_execz .LBB105_66
; %bb.65:
	s_waitcnt lgkmcnt(0)
	v_mul_f64 v[202:203], v[67:68], v[202:203]
	ds_read2_b64 v[4:7], v24 offset0:13 offset1:14
	s_waitcnt lgkmcnt(0)
	v_fma_f64 v[182:183], -v[202:203], v[4:5], v[182:183]
	v_fma_f64 v[200:201], -v[202:203], v[6:7], v[200:201]
	ds_read2_b64 v[4:7], v24 offset0:15 offset1:16
	s_waitcnt lgkmcnt(0)
	v_fma_f64 v[180:181], -v[202:203], v[4:5], v[180:181]
	v_fma_f64 v[198:199], -v[202:203], v[6:7], v[198:199]
	;; [unrolled: 4-line block ×20, first 2 shown]
.LBB105_66:
	s_or_b32 exec_lo, exec_lo, s1
	s_mov_b32 s1, exec_lo
	s_waitcnt lgkmcnt(0)
	s_barrier
	buffer_gl0_inv
	v_cmpx_eq_u32_e32 13, v0
	s_cbranch_execz .LBB105_69
; %bb.67:
	v_mov_b32_e32 v4, v200
	v_mov_b32_e32 v5, v201
	;; [unrolled: 1-line block ×4, first 2 shown]
	ds_write_b64 v1, v[182:183]
	ds_write2_b64 v24, v[4:5], v[6:7] offset0:14 offset1:15
	v_mov_b32_e32 v4, v198
	v_mov_b32_e32 v5, v199
	v_mov_b32_e32 v6, v178
	v_mov_b32_e32 v7, v179
	ds_write2_b64 v24, v[4:5], v[6:7] offset0:16 offset1:17
	v_mov_b32_e32 v4, v196
	v_mov_b32_e32 v5, v197
	v_mov_b32_e32 v6, v142
	v_mov_b32_e32 v7, v143
	;; [unrolled: 5-line block ×18, first 2 shown]
	ds_write2_b64 v24, v[4:5], v[6:7] offset0:50 offset1:51
	ds_write_b64 v24, v[214:215] offset:416
	ds_read_b64 v[4:5], v1
	s_waitcnt lgkmcnt(0)
	v_cmp_neq_f64_e32 vcc_lo, 0, v[4:5]
	s_and_b32 exec_lo, exec_lo, vcc_lo
	s_cbranch_execz .LBB105_69
; %bb.68:
	v_div_scale_f64 v[6:7], null, v[4:5], v[4:5], 1.0
	v_rcp_f64_e32 v[8:9], v[6:7]
	v_fma_f64 v[10:11], -v[6:7], v[8:9], 1.0
	v_fma_f64 v[8:9], v[8:9], v[10:11], v[8:9]
	v_fma_f64 v[10:11], -v[6:7], v[8:9], 1.0
	v_fma_f64 v[8:9], v[8:9], v[10:11], v[8:9]
	v_div_scale_f64 v[10:11], vcc_lo, 1.0, v[4:5], 1.0
	v_mul_f64 v[12:13], v[10:11], v[8:9]
	v_fma_f64 v[6:7], -v[6:7], v[12:13], v[10:11]
	v_div_fmas_f64 v[6:7], v[6:7], v[8:9], v[12:13]
	v_div_fixup_f64 v[4:5], v[6:7], v[4:5], 1.0
	ds_write_b64 v1, v[4:5]
.LBB105_69:
	s_or_b32 exec_lo, exec_lo, s1
	s_waitcnt lgkmcnt(0)
	s_barrier
	buffer_gl0_inv
	ds_read_b64 v[69:70], v1
	s_mov_b32 s1, exec_lo
	v_cmpx_lt_u32_e32 13, v0
	s_cbranch_execz .LBB105_71
; %bb.70:
	s_waitcnt lgkmcnt(0)
	v_mul_f64 v[182:183], v[69:70], v[182:183]
	ds_read2_b64 v[4:7], v24 offset0:14 offset1:15
	s_waitcnt lgkmcnt(0)
	v_fma_f64 v[200:201], -v[182:183], v[4:5], v[200:201]
	v_fma_f64 v[180:181], -v[182:183], v[6:7], v[180:181]
	ds_read2_b64 v[4:7], v24 offset0:16 offset1:17
	s_waitcnt lgkmcnt(0)
	v_fma_f64 v[198:199], -v[182:183], v[4:5], v[198:199]
	v_fma_f64 v[178:179], -v[182:183], v[6:7], v[178:179]
	;; [unrolled: 4-line block ×18, first 2 shown]
	ds_read2_b64 v[4:7], v24 offset0:50 offset1:51
	s_waitcnt lgkmcnt(0)
	v_fma_f64 v[144:145], -v[182:183], v[4:5], v[144:145]
	ds_read_b64 v[4:5], v24 offset:416
	v_fma_f64 v[110:111], -v[182:183], v[6:7], v[110:111]
	s_waitcnt lgkmcnt(0)
	v_fma_f64 v[214:215], -v[182:183], v[4:5], v[214:215]
.LBB105_71:
	s_or_b32 exec_lo, exec_lo, s1
	s_mov_b32 s1, exec_lo
	s_waitcnt lgkmcnt(0)
	s_barrier
	buffer_gl0_inv
	v_cmpx_eq_u32_e32 14, v0
	s_cbranch_execz .LBB105_74
; %bb.72:
	ds_write_b64 v1, v[200:201]
	ds_write2_b64 v24, v[180:181], v[198:199] offset0:15 offset1:16
	ds_write2_b64 v24, v[178:179], v[196:197] offset0:17 offset1:18
	ds_write2_b64 v24, v[142:143], v[174:175] offset0:19 offset1:20
	ds_write2_b64 v24, v[140:141], v[172:173] offset0:21 offset1:22
	ds_write2_b64 v24, v[138:139], v[170:171] offset0:23 offset1:24
	ds_write2_b64 v24, v[136:137], v[168:169] offset0:25 offset1:26
	ds_write2_b64 v24, v[134:135], v[166:167] offset0:27 offset1:28
	ds_write2_b64 v24, v[132:133], v[164:165] offset0:29 offset1:30
	ds_write2_b64 v24, v[130:131], v[162:163] offset0:31 offset1:32
	ds_write2_b64 v24, v[128:129], v[160:161] offset0:33 offset1:34
	ds_write2_b64 v24, v[126:127], v[158:159] offset0:35 offset1:36
	ds_write2_b64 v24, v[124:125], v[156:157] offset0:37 offset1:38
	ds_write2_b64 v24, v[122:123], v[154:155] offset0:39 offset1:40
	ds_write2_b64 v24, v[120:121], v[152:153] offset0:41 offset1:42
	ds_write2_b64 v24, v[118:119], v[150:151] offset0:43 offset1:44
	ds_write2_b64 v24, v[116:117], v[148:149] offset0:45 offset1:46
	ds_write2_b64 v24, v[114:115], v[146:147] offset0:47 offset1:48
	ds_write2_b64 v24, v[112:113], v[144:145] offset0:49 offset1:50
	ds_write2_b64 v24, v[110:111], v[214:215] offset0:51 offset1:52
	ds_read_b64 v[4:5], v1
	s_waitcnt lgkmcnt(0)
	v_cmp_neq_f64_e32 vcc_lo, 0, v[4:5]
	s_and_b32 exec_lo, exec_lo, vcc_lo
	s_cbranch_execz .LBB105_74
; %bb.73:
	v_div_scale_f64 v[6:7], null, v[4:5], v[4:5], 1.0
	v_rcp_f64_e32 v[8:9], v[6:7]
	v_fma_f64 v[10:11], -v[6:7], v[8:9], 1.0
	v_fma_f64 v[8:9], v[8:9], v[10:11], v[8:9]
	v_fma_f64 v[10:11], -v[6:7], v[8:9], 1.0
	v_fma_f64 v[8:9], v[8:9], v[10:11], v[8:9]
	v_div_scale_f64 v[10:11], vcc_lo, 1.0, v[4:5], 1.0
	v_mul_f64 v[12:13], v[10:11], v[8:9]
	v_fma_f64 v[6:7], -v[6:7], v[12:13], v[10:11]
	v_div_fmas_f64 v[6:7], v[6:7], v[8:9], v[12:13]
	v_div_fixup_f64 v[4:5], v[6:7], v[4:5], 1.0
	ds_write_b64 v1, v[4:5]
.LBB105_74:
	s_or_b32 exec_lo, exec_lo, s1
	s_waitcnt lgkmcnt(0)
	s_barrier
	buffer_gl0_inv
	ds_read_b64 v[71:72], v1
	s_mov_b32 s1, exec_lo
	v_cmpx_lt_u32_e32 14, v0
	s_cbranch_execz .LBB105_76
; %bb.75:
	s_waitcnt lgkmcnt(0)
	v_mul_f64 v[200:201], v[71:72], v[200:201]
	ds_read2_b64 v[4:7], v24 offset0:15 offset1:16
	s_waitcnt lgkmcnt(0)
	v_fma_f64 v[180:181], -v[200:201], v[4:5], v[180:181]
	v_fma_f64 v[198:199], -v[200:201], v[6:7], v[198:199]
	ds_read2_b64 v[4:7], v24 offset0:17 offset1:18
	s_waitcnt lgkmcnt(0)
	v_fma_f64 v[178:179], -v[200:201], v[4:5], v[178:179]
	v_fma_f64 v[196:197], -v[200:201], v[6:7], v[196:197]
	;; [unrolled: 4-line block ×19, first 2 shown]
.LBB105_76:
	s_or_b32 exec_lo, exec_lo, s1
	s_mov_b32 s1, exec_lo
	s_waitcnt lgkmcnt(0)
	s_barrier
	buffer_gl0_inv
	v_cmpx_eq_u32_e32 15, v0
	s_cbranch_execz .LBB105_79
; %bb.77:
	v_mov_b32_e32 v4, v198
	v_mov_b32_e32 v5, v199
	;; [unrolled: 1-line block ×4, first 2 shown]
	ds_write_b64 v1, v[180:181]
	ds_write2_b64 v24, v[4:5], v[6:7] offset0:16 offset1:17
	v_mov_b32_e32 v4, v196
	v_mov_b32_e32 v5, v197
	v_mov_b32_e32 v6, v142
	v_mov_b32_e32 v7, v143
	ds_write2_b64 v24, v[4:5], v[6:7] offset0:18 offset1:19
	v_mov_b32_e32 v4, v174
	v_mov_b32_e32 v5, v175
	v_mov_b32_e32 v6, v140
	v_mov_b32_e32 v7, v141
	;; [unrolled: 5-line block ×17, first 2 shown]
	ds_write2_b64 v24, v[4:5], v[6:7] offset0:50 offset1:51
	ds_write_b64 v24, v[214:215] offset:416
	ds_read_b64 v[4:5], v1
	s_waitcnt lgkmcnt(0)
	v_cmp_neq_f64_e32 vcc_lo, 0, v[4:5]
	s_and_b32 exec_lo, exec_lo, vcc_lo
	s_cbranch_execz .LBB105_79
; %bb.78:
	v_div_scale_f64 v[6:7], null, v[4:5], v[4:5], 1.0
	v_rcp_f64_e32 v[8:9], v[6:7]
	v_fma_f64 v[10:11], -v[6:7], v[8:9], 1.0
	v_fma_f64 v[8:9], v[8:9], v[10:11], v[8:9]
	v_fma_f64 v[10:11], -v[6:7], v[8:9], 1.0
	v_fma_f64 v[8:9], v[8:9], v[10:11], v[8:9]
	v_div_scale_f64 v[10:11], vcc_lo, 1.0, v[4:5], 1.0
	v_mul_f64 v[12:13], v[10:11], v[8:9]
	v_fma_f64 v[6:7], -v[6:7], v[12:13], v[10:11]
	v_div_fmas_f64 v[6:7], v[6:7], v[8:9], v[12:13]
	v_div_fixup_f64 v[4:5], v[6:7], v[4:5], 1.0
	ds_write_b64 v1, v[4:5]
.LBB105_79:
	s_or_b32 exec_lo, exec_lo, s1
	s_waitcnt lgkmcnt(0)
	s_barrier
	buffer_gl0_inv
	ds_read_b64 v[73:74], v1
	s_mov_b32 s1, exec_lo
	v_cmpx_lt_u32_e32 15, v0
	s_cbranch_execz .LBB105_81
; %bb.80:
	s_waitcnt lgkmcnt(0)
	v_mul_f64 v[180:181], v[73:74], v[180:181]
	ds_read2_b64 v[4:7], v24 offset0:16 offset1:17
	s_waitcnt lgkmcnt(0)
	v_fma_f64 v[198:199], -v[180:181], v[4:5], v[198:199]
	v_fma_f64 v[178:179], -v[180:181], v[6:7], v[178:179]
	ds_read2_b64 v[4:7], v24 offset0:18 offset1:19
	s_waitcnt lgkmcnt(0)
	v_fma_f64 v[196:197], -v[180:181], v[4:5], v[196:197]
	v_fma_f64 v[142:143], -v[180:181], v[6:7], v[142:143]
	;; [unrolled: 4-line block ×17, first 2 shown]
	ds_read2_b64 v[4:7], v24 offset0:50 offset1:51
	s_waitcnt lgkmcnt(0)
	v_fma_f64 v[144:145], -v[180:181], v[4:5], v[144:145]
	ds_read_b64 v[4:5], v24 offset:416
	v_fma_f64 v[110:111], -v[180:181], v[6:7], v[110:111]
	s_waitcnt lgkmcnt(0)
	v_fma_f64 v[214:215], -v[180:181], v[4:5], v[214:215]
.LBB105_81:
	s_or_b32 exec_lo, exec_lo, s1
	s_mov_b32 s1, exec_lo
	s_waitcnt lgkmcnt(0)
	s_barrier
	buffer_gl0_inv
	v_cmpx_eq_u32_e32 16, v0
	s_cbranch_execz .LBB105_84
; %bb.82:
	ds_write_b64 v1, v[198:199]
	ds_write2_b64 v24, v[178:179], v[196:197] offset0:17 offset1:18
	ds_write2_b64 v24, v[142:143], v[174:175] offset0:19 offset1:20
	;; [unrolled: 1-line block ×18, first 2 shown]
	ds_read_b64 v[4:5], v1
	s_waitcnt lgkmcnt(0)
	v_cmp_neq_f64_e32 vcc_lo, 0, v[4:5]
	s_and_b32 exec_lo, exec_lo, vcc_lo
	s_cbranch_execz .LBB105_84
; %bb.83:
	v_div_scale_f64 v[6:7], null, v[4:5], v[4:5], 1.0
	v_rcp_f64_e32 v[8:9], v[6:7]
	v_fma_f64 v[10:11], -v[6:7], v[8:9], 1.0
	v_fma_f64 v[8:9], v[8:9], v[10:11], v[8:9]
	v_fma_f64 v[10:11], -v[6:7], v[8:9], 1.0
	v_fma_f64 v[8:9], v[8:9], v[10:11], v[8:9]
	v_div_scale_f64 v[10:11], vcc_lo, 1.0, v[4:5], 1.0
	v_mul_f64 v[12:13], v[10:11], v[8:9]
	v_fma_f64 v[6:7], -v[6:7], v[12:13], v[10:11]
	v_div_fmas_f64 v[6:7], v[6:7], v[8:9], v[12:13]
	v_div_fixup_f64 v[4:5], v[6:7], v[4:5], 1.0
	ds_write_b64 v1, v[4:5]
.LBB105_84:
	s_or_b32 exec_lo, exec_lo, s1
	s_waitcnt lgkmcnt(0)
	s_barrier
	buffer_gl0_inv
	ds_read_b64 v[75:76], v1
	s_mov_b32 s1, exec_lo
	v_cmpx_lt_u32_e32 16, v0
	s_cbranch_execz .LBB105_86
; %bb.85:
	s_waitcnt lgkmcnt(0)
	v_mul_f64 v[198:199], v[75:76], v[198:199]
	ds_read2_b64 v[4:7], v24 offset0:17 offset1:18
	s_waitcnt lgkmcnt(0)
	v_fma_f64 v[178:179], -v[198:199], v[4:5], v[178:179]
	v_fma_f64 v[196:197], -v[198:199], v[6:7], v[196:197]
	ds_read2_b64 v[4:7], v24 offset0:19 offset1:20
	s_waitcnt lgkmcnt(0)
	v_fma_f64 v[142:143], -v[198:199], v[4:5], v[142:143]
	v_fma_f64 v[174:175], -v[198:199], v[6:7], v[174:175]
	;; [unrolled: 4-line block ×18, first 2 shown]
.LBB105_86:
	s_or_b32 exec_lo, exec_lo, s1
	s_mov_b32 s1, exec_lo
	s_waitcnt lgkmcnt(0)
	s_barrier
	buffer_gl0_inv
	v_cmpx_eq_u32_e32 17, v0
	s_cbranch_execz .LBB105_89
; %bb.87:
	v_mov_b32_e32 v4, v196
	v_mov_b32_e32 v5, v197
	;; [unrolled: 1-line block ×4, first 2 shown]
	ds_write_b64 v1, v[178:179]
	ds_write2_b64 v24, v[4:5], v[6:7] offset0:18 offset1:19
	v_mov_b32_e32 v4, v174
	v_mov_b32_e32 v5, v175
	v_mov_b32_e32 v6, v140
	v_mov_b32_e32 v7, v141
	ds_write2_b64 v24, v[4:5], v[6:7] offset0:20 offset1:21
	v_mov_b32_e32 v4, v172
	v_mov_b32_e32 v5, v173
	v_mov_b32_e32 v6, v138
	v_mov_b32_e32 v7, v139
	;; [unrolled: 5-line block ×16, first 2 shown]
	ds_write2_b64 v24, v[4:5], v[6:7] offset0:50 offset1:51
	ds_write_b64 v24, v[214:215] offset:416
	ds_read_b64 v[4:5], v1
	s_waitcnt lgkmcnt(0)
	v_cmp_neq_f64_e32 vcc_lo, 0, v[4:5]
	s_and_b32 exec_lo, exec_lo, vcc_lo
	s_cbranch_execz .LBB105_89
; %bb.88:
	v_div_scale_f64 v[6:7], null, v[4:5], v[4:5], 1.0
	v_rcp_f64_e32 v[8:9], v[6:7]
	v_fma_f64 v[10:11], -v[6:7], v[8:9], 1.0
	v_fma_f64 v[8:9], v[8:9], v[10:11], v[8:9]
	v_fma_f64 v[10:11], -v[6:7], v[8:9], 1.0
	v_fma_f64 v[8:9], v[8:9], v[10:11], v[8:9]
	v_div_scale_f64 v[10:11], vcc_lo, 1.0, v[4:5], 1.0
	v_mul_f64 v[12:13], v[10:11], v[8:9]
	v_fma_f64 v[6:7], -v[6:7], v[12:13], v[10:11]
	v_div_fmas_f64 v[6:7], v[6:7], v[8:9], v[12:13]
	v_div_fixup_f64 v[4:5], v[6:7], v[4:5], 1.0
	ds_write_b64 v1, v[4:5]
.LBB105_89:
	s_or_b32 exec_lo, exec_lo, s1
	s_waitcnt lgkmcnt(0)
	s_barrier
	buffer_gl0_inv
	ds_read_b64 v[77:78], v1
	s_mov_b32 s1, exec_lo
	v_cmpx_lt_u32_e32 17, v0
	s_cbranch_execz .LBB105_91
; %bb.90:
	s_waitcnt lgkmcnt(0)
	v_mul_f64 v[178:179], v[77:78], v[178:179]
	ds_read2_b64 v[4:7], v24 offset0:18 offset1:19
	s_waitcnt lgkmcnt(0)
	v_fma_f64 v[196:197], -v[178:179], v[4:5], v[196:197]
	v_fma_f64 v[142:143], -v[178:179], v[6:7], v[142:143]
	ds_read2_b64 v[4:7], v24 offset0:20 offset1:21
	s_waitcnt lgkmcnt(0)
	v_fma_f64 v[174:175], -v[178:179], v[4:5], v[174:175]
	v_fma_f64 v[140:141], -v[178:179], v[6:7], v[140:141]
	;; [unrolled: 4-line block ×16, first 2 shown]
	ds_read2_b64 v[4:7], v24 offset0:50 offset1:51
	s_waitcnt lgkmcnt(0)
	v_fma_f64 v[144:145], -v[178:179], v[4:5], v[144:145]
	ds_read_b64 v[4:5], v24 offset:416
	v_fma_f64 v[110:111], -v[178:179], v[6:7], v[110:111]
	s_waitcnt lgkmcnt(0)
	v_fma_f64 v[214:215], -v[178:179], v[4:5], v[214:215]
.LBB105_91:
	s_or_b32 exec_lo, exec_lo, s1
	s_mov_b32 s1, exec_lo
	s_waitcnt lgkmcnt(0)
	s_barrier
	buffer_gl0_inv
	v_cmpx_eq_u32_e32 18, v0
	s_cbranch_execz .LBB105_94
; %bb.92:
	ds_write_b64 v1, v[196:197]
	ds_write2_b64 v24, v[142:143], v[174:175] offset0:19 offset1:20
	ds_write2_b64 v24, v[140:141], v[172:173] offset0:21 offset1:22
	;; [unrolled: 1-line block ×17, first 2 shown]
	ds_read_b64 v[4:5], v1
	s_waitcnt lgkmcnt(0)
	v_cmp_neq_f64_e32 vcc_lo, 0, v[4:5]
	s_and_b32 exec_lo, exec_lo, vcc_lo
	s_cbranch_execz .LBB105_94
; %bb.93:
	v_div_scale_f64 v[6:7], null, v[4:5], v[4:5], 1.0
	v_rcp_f64_e32 v[8:9], v[6:7]
	v_fma_f64 v[10:11], -v[6:7], v[8:9], 1.0
	v_fma_f64 v[8:9], v[8:9], v[10:11], v[8:9]
	v_fma_f64 v[10:11], -v[6:7], v[8:9], 1.0
	v_fma_f64 v[8:9], v[8:9], v[10:11], v[8:9]
	v_div_scale_f64 v[10:11], vcc_lo, 1.0, v[4:5], 1.0
	v_mul_f64 v[12:13], v[10:11], v[8:9]
	v_fma_f64 v[6:7], -v[6:7], v[12:13], v[10:11]
	v_div_fmas_f64 v[6:7], v[6:7], v[8:9], v[12:13]
	v_div_fixup_f64 v[4:5], v[6:7], v[4:5], 1.0
	ds_write_b64 v1, v[4:5]
.LBB105_94:
	s_or_b32 exec_lo, exec_lo, s1
	s_waitcnt lgkmcnt(0)
	s_barrier
	buffer_gl0_inv
	ds_read_b64 v[79:80], v1
	s_mov_b32 s1, exec_lo
	v_cmpx_lt_u32_e32 18, v0
	s_cbranch_execz .LBB105_96
; %bb.95:
	s_waitcnt lgkmcnt(0)
	v_mul_f64 v[196:197], v[79:80], v[196:197]
	ds_read2_b64 v[4:7], v24 offset0:19 offset1:20
	s_waitcnt lgkmcnt(0)
	v_fma_f64 v[142:143], -v[196:197], v[4:5], v[142:143]
	v_fma_f64 v[174:175], -v[196:197], v[6:7], v[174:175]
	ds_read2_b64 v[4:7], v24 offset0:21 offset1:22
	s_waitcnt lgkmcnt(0)
	v_fma_f64 v[140:141], -v[196:197], v[4:5], v[140:141]
	v_fma_f64 v[172:173], -v[196:197], v[6:7], v[172:173]
	;; [unrolled: 4-line block ×17, first 2 shown]
.LBB105_96:
	s_or_b32 exec_lo, exec_lo, s1
	s_mov_b32 s1, exec_lo
	s_waitcnt lgkmcnt(0)
	s_barrier
	buffer_gl0_inv
	v_cmpx_eq_u32_e32 19, v0
	s_cbranch_execz .LBB105_99
; %bb.97:
	v_mov_b32_e32 v4, v174
	v_mov_b32_e32 v5, v175
	;; [unrolled: 1-line block ×4, first 2 shown]
	ds_write_b64 v1, v[142:143]
	ds_write2_b64 v24, v[4:5], v[6:7] offset0:20 offset1:21
	v_mov_b32_e32 v4, v172
	v_mov_b32_e32 v5, v173
	v_mov_b32_e32 v6, v138
	v_mov_b32_e32 v7, v139
	ds_write2_b64 v24, v[4:5], v[6:7] offset0:22 offset1:23
	v_mov_b32_e32 v4, v170
	v_mov_b32_e32 v5, v171
	v_mov_b32_e32 v6, v136
	v_mov_b32_e32 v7, v137
	;; [unrolled: 5-line block ×15, first 2 shown]
	ds_write2_b64 v24, v[4:5], v[6:7] offset0:50 offset1:51
	ds_write_b64 v24, v[214:215] offset:416
	ds_read_b64 v[4:5], v1
	s_waitcnt lgkmcnt(0)
	v_cmp_neq_f64_e32 vcc_lo, 0, v[4:5]
	s_and_b32 exec_lo, exec_lo, vcc_lo
	s_cbranch_execz .LBB105_99
; %bb.98:
	v_div_scale_f64 v[6:7], null, v[4:5], v[4:5], 1.0
	v_rcp_f64_e32 v[8:9], v[6:7]
	v_fma_f64 v[10:11], -v[6:7], v[8:9], 1.0
	v_fma_f64 v[8:9], v[8:9], v[10:11], v[8:9]
	v_fma_f64 v[10:11], -v[6:7], v[8:9], 1.0
	v_fma_f64 v[8:9], v[8:9], v[10:11], v[8:9]
	v_div_scale_f64 v[10:11], vcc_lo, 1.0, v[4:5], 1.0
	v_mul_f64 v[12:13], v[10:11], v[8:9]
	v_fma_f64 v[6:7], -v[6:7], v[12:13], v[10:11]
	v_div_fmas_f64 v[6:7], v[6:7], v[8:9], v[12:13]
	v_div_fixup_f64 v[4:5], v[6:7], v[4:5], 1.0
	ds_write_b64 v1, v[4:5]
.LBB105_99:
	s_or_b32 exec_lo, exec_lo, s1
	s_waitcnt lgkmcnt(0)
	s_barrier
	buffer_gl0_inv
	ds_read_b64 v[81:82], v1
	s_mov_b32 s1, exec_lo
	v_cmpx_lt_u32_e32 19, v0
	s_cbranch_execz .LBB105_101
; %bb.100:
	s_waitcnt lgkmcnt(0)
	v_mul_f64 v[142:143], v[81:82], v[142:143]
	ds_read2_b64 v[4:7], v24 offset0:20 offset1:21
	s_waitcnt lgkmcnt(0)
	v_fma_f64 v[174:175], -v[142:143], v[4:5], v[174:175]
	v_fma_f64 v[140:141], -v[142:143], v[6:7], v[140:141]
	ds_read2_b64 v[4:7], v24 offset0:22 offset1:23
	s_waitcnt lgkmcnt(0)
	v_fma_f64 v[172:173], -v[142:143], v[4:5], v[172:173]
	v_fma_f64 v[138:139], -v[142:143], v[6:7], v[138:139]
	;; [unrolled: 4-line block ×15, first 2 shown]
	ds_read2_b64 v[4:7], v24 offset0:50 offset1:51
	s_waitcnt lgkmcnt(0)
	v_fma_f64 v[144:145], -v[142:143], v[4:5], v[144:145]
	ds_read_b64 v[4:5], v24 offset:416
	v_fma_f64 v[110:111], -v[142:143], v[6:7], v[110:111]
	s_waitcnt lgkmcnt(0)
	v_fma_f64 v[214:215], -v[142:143], v[4:5], v[214:215]
.LBB105_101:
	s_or_b32 exec_lo, exec_lo, s1
	s_mov_b32 s1, exec_lo
	s_waitcnt lgkmcnt(0)
	s_barrier
	buffer_gl0_inv
	v_cmpx_eq_u32_e32 20, v0
	s_cbranch_execz .LBB105_104
; %bb.102:
	ds_write_b64 v1, v[174:175]
	ds_write2_b64 v24, v[140:141], v[172:173] offset0:21 offset1:22
	ds_write2_b64 v24, v[138:139], v[170:171] offset0:23 offset1:24
	;; [unrolled: 1-line block ×16, first 2 shown]
	ds_read_b64 v[4:5], v1
	s_waitcnt lgkmcnt(0)
	v_cmp_neq_f64_e32 vcc_lo, 0, v[4:5]
	s_and_b32 exec_lo, exec_lo, vcc_lo
	s_cbranch_execz .LBB105_104
; %bb.103:
	v_div_scale_f64 v[6:7], null, v[4:5], v[4:5], 1.0
	v_rcp_f64_e32 v[8:9], v[6:7]
	v_fma_f64 v[10:11], -v[6:7], v[8:9], 1.0
	v_fma_f64 v[8:9], v[8:9], v[10:11], v[8:9]
	v_fma_f64 v[10:11], -v[6:7], v[8:9], 1.0
	v_fma_f64 v[8:9], v[8:9], v[10:11], v[8:9]
	v_div_scale_f64 v[10:11], vcc_lo, 1.0, v[4:5], 1.0
	v_mul_f64 v[12:13], v[10:11], v[8:9]
	v_fma_f64 v[6:7], -v[6:7], v[12:13], v[10:11]
	v_div_fmas_f64 v[6:7], v[6:7], v[8:9], v[12:13]
	v_div_fixup_f64 v[4:5], v[6:7], v[4:5], 1.0
	ds_write_b64 v1, v[4:5]
.LBB105_104:
	s_or_b32 exec_lo, exec_lo, s1
	s_waitcnt lgkmcnt(0)
	s_barrier
	buffer_gl0_inv
	ds_read_b64 v[83:84], v1
	s_mov_b32 s1, exec_lo
	v_cmpx_lt_u32_e32 20, v0
	s_cbranch_execz .LBB105_106
; %bb.105:
	s_waitcnt lgkmcnt(0)
	v_mul_f64 v[174:175], v[83:84], v[174:175]
	ds_read2_b64 v[4:7], v24 offset0:21 offset1:22
	s_waitcnt lgkmcnt(0)
	v_fma_f64 v[140:141], -v[174:175], v[4:5], v[140:141]
	v_fma_f64 v[172:173], -v[174:175], v[6:7], v[172:173]
	ds_read2_b64 v[4:7], v24 offset0:23 offset1:24
	s_waitcnt lgkmcnt(0)
	v_fma_f64 v[138:139], -v[174:175], v[4:5], v[138:139]
	v_fma_f64 v[170:171], -v[174:175], v[6:7], v[170:171]
	;; [unrolled: 4-line block ×16, first 2 shown]
.LBB105_106:
	s_or_b32 exec_lo, exec_lo, s1
	s_mov_b32 s1, exec_lo
	s_waitcnt lgkmcnt(0)
	s_barrier
	buffer_gl0_inv
	v_cmpx_eq_u32_e32 21, v0
	s_cbranch_execz .LBB105_109
; %bb.107:
	v_mov_b32_e32 v4, v172
	v_mov_b32_e32 v5, v173
	v_mov_b32_e32 v6, v138
	v_mov_b32_e32 v7, v139
	ds_write_b64 v1, v[140:141]
	ds_write2_b64 v24, v[4:5], v[6:7] offset0:22 offset1:23
	v_mov_b32_e32 v4, v170
	v_mov_b32_e32 v5, v171
	v_mov_b32_e32 v6, v136
	v_mov_b32_e32 v7, v137
	ds_write2_b64 v24, v[4:5], v[6:7] offset0:24 offset1:25
	v_mov_b32_e32 v4, v168
	v_mov_b32_e32 v5, v169
	v_mov_b32_e32 v6, v134
	v_mov_b32_e32 v7, v135
	;; [unrolled: 5-line block ×14, first 2 shown]
	ds_write2_b64 v24, v[4:5], v[6:7] offset0:50 offset1:51
	ds_write_b64 v24, v[214:215] offset:416
	ds_read_b64 v[4:5], v1
	s_waitcnt lgkmcnt(0)
	v_cmp_neq_f64_e32 vcc_lo, 0, v[4:5]
	s_and_b32 exec_lo, exec_lo, vcc_lo
	s_cbranch_execz .LBB105_109
; %bb.108:
	v_div_scale_f64 v[6:7], null, v[4:5], v[4:5], 1.0
	v_rcp_f64_e32 v[8:9], v[6:7]
	v_fma_f64 v[10:11], -v[6:7], v[8:9], 1.0
	v_fma_f64 v[8:9], v[8:9], v[10:11], v[8:9]
	v_fma_f64 v[10:11], -v[6:7], v[8:9], 1.0
	v_fma_f64 v[8:9], v[8:9], v[10:11], v[8:9]
	v_div_scale_f64 v[10:11], vcc_lo, 1.0, v[4:5], 1.0
	v_mul_f64 v[12:13], v[10:11], v[8:9]
	v_fma_f64 v[6:7], -v[6:7], v[12:13], v[10:11]
	v_div_fmas_f64 v[6:7], v[6:7], v[8:9], v[12:13]
	v_div_fixup_f64 v[4:5], v[6:7], v[4:5], 1.0
	ds_write_b64 v1, v[4:5]
.LBB105_109:
	s_or_b32 exec_lo, exec_lo, s1
	s_waitcnt lgkmcnt(0)
	s_barrier
	buffer_gl0_inv
	ds_read_b64 v[85:86], v1
	s_mov_b32 s1, exec_lo
	v_cmpx_lt_u32_e32 21, v0
	s_cbranch_execz .LBB105_111
; %bb.110:
	s_waitcnt lgkmcnt(0)
	v_mul_f64 v[140:141], v[85:86], v[140:141]
	ds_read2_b64 v[4:7], v24 offset0:22 offset1:23
	s_waitcnt lgkmcnt(0)
	v_fma_f64 v[172:173], -v[140:141], v[4:5], v[172:173]
	v_fma_f64 v[138:139], -v[140:141], v[6:7], v[138:139]
	ds_read2_b64 v[4:7], v24 offset0:24 offset1:25
	s_waitcnt lgkmcnt(0)
	v_fma_f64 v[170:171], -v[140:141], v[4:5], v[170:171]
	v_fma_f64 v[136:137], -v[140:141], v[6:7], v[136:137]
	;; [unrolled: 4-line block ×14, first 2 shown]
	ds_read2_b64 v[4:7], v24 offset0:50 offset1:51
	s_waitcnt lgkmcnt(0)
	v_fma_f64 v[144:145], -v[140:141], v[4:5], v[144:145]
	ds_read_b64 v[4:5], v24 offset:416
	v_fma_f64 v[110:111], -v[140:141], v[6:7], v[110:111]
	s_waitcnt lgkmcnt(0)
	v_fma_f64 v[214:215], -v[140:141], v[4:5], v[214:215]
.LBB105_111:
	s_or_b32 exec_lo, exec_lo, s1
	s_mov_b32 s1, exec_lo
	s_waitcnt lgkmcnt(0)
	s_barrier
	buffer_gl0_inv
	v_cmpx_eq_u32_e32 22, v0
	s_cbranch_execz .LBB105_114
; %bb.112:
	ds_write_b64 v1, v[172:173]
	ds_write2_b64 v24, v[138:139], v[170:171] offset0:23 offset1:24
	ds_write2_b64 v24, v[136:137], v[168:169] offset0:25 offset1:26
	;; [unrolled: 1-line block ×15, first 2 shown]
	ds_read_b64 v[4:5], v1
	s_waitcnt lgkmcnt(0)
	v_cmp_neq_f64_e32 vcc_lo, 0, v[4:5]
	s_and_b32 exec_lo, exec_lo, vcc_lo
	s_cbranch_execz .LBB105_114
; %bb.113:
	v_div_scale_f64 v[6:7], null, v[4:5], v[4:5], 1.0
	v_rcp_f64_e32 v[8:9], v[6:7]
	v_fma_f64 v[10:11], -v[6:7], v[8:9], 1.0
	v_fma_f64 v[8:9], v[8:9], v[10:11], v[8:9]
	v_fma_f64 v[10:11], -v[6:7], v[8:9], 1.0
	v_fma_f64 v[8:9], v[8:9], v[10:11], v[8:9]
	v_div_scale_f64 v[10:11], vcc_lo, 1.0, v[4:5], 1.0
	v_mul_f64 v[12:13], v[10:11], v[8:9]
	v_fma_f64 v[6:7], -v[6:7], v[12:13], v[10:11]
	v_div_fmas_f64 v[6:7], v[6:7], v[8:9], v[12:13]
	v_div_fixup_f64 v[4:5], v[6:7], v[4:5], 1.0
	ds_write_b64 v1, v[4:5]
.LBB105_114:
	s_or_b32 exec_lo, exec_lo, s1
	s_waitcnt lgkmcnt(0)
	s_barrier
	buffer_gl0_inv
	ds_read_b64 v[87:88], v1
	s_mov_b32 s1, exec_lo
	v_cmpx_lt_u32_e32 22, v0
	s_cbranch_execz .LBB105_116
; %bb.115:
	s_waitcnt lgkmcnt(0)
	v_mul_f64 v[172:173], v[87:88], v[172:173]
	ds_read2_b64 v[4:7], v24 offset0:23 offset1:24
	s_waitcnt lgkmcnt(0)
	v_fma_f64 v[138:139], -v[172:173], v[4:5], v[138:139]
	v_fma_f64 v[170:171], -v[172:173], v[6:7], v[170:171]
	ds_read2_b64 v[4:7], v24 offset0:25 offset1:26
	s_waitcnt lgkmcnt(0)
	v_fma_f64 v[136:137], -v[172:173], v[4:5], v[136:137]
	v_fma_f64 v[168:169], -v[172:173], v[6:7], v[168:169]
	;; [unrolled: 4-line block ×15, first 2 shown]
.LBB105_116:
	s_or_b32 exec_lo, exec_lo, s1
	s_mov_b32 s1, exec_lo
	s_waitcnt lgkmcnt(0)
	s_barrier
	buffer_gl0_inv
	v_cmpx_eq_u32_e32 23, v0
	s_cbranch_execz .LBB105_119
; %bb.117:
	v_mov_b32_e32 v4, v170
	v_mov_b32_e32 v5, v171
	;; [unrolled: 1-line block ×4, first 2 shown]
	ds_write_b64 v1, v[138:139]
	ds_write2_b64 v24, v[4:5], v[6:7] offset0:24 offset1:25
	v_mov_b32_e32 v4, v168
	v_mov_b32_e32 v5, v169
	v_mov_b32_e32 v6, v134
	v_mov_b32_e32 v7, v135
	ds_write2_b64 v24, v[4:5], v[6:7] offset0:26 offset1:27
	v_mov_b32_e32 v4, v166
	v_mov_b32_e32 v5, v167
	v_mov_b32_e32 v6, v132
	v_mov_b32_e32 v7, v133
	;; [unrolled: 5-line block ×13, first 2 shown]
	ds_write2_b64 v24, v[4:5], v[6:7] offset0:50 offset1:51
	ds_write_b64 v24, v[214:215] offset:416
	ds_read_b64 v[4:5], v1
	s_waitcnt lgkmcnt(0)
	v_cmp_neq_f64_e32 vcc_lo, 0, v[4:5]
	s_and_b32 exec_lo, exec_lo, vcc_lo
	s_cbranch_execz .LBB105_119
; %bb.118:
	v_div_scale_f64 v[6:7], null, v[4:5], v[4:5], 1.0
	v_rcp_f64_e32 v[8:9], v[6:7]
	v_fma_f64 v[10:11], -v[6:7], v[8:9], 1.0
	v_fma_f64 v[8:9], v[8:9], v[10:11], v[8:9]
	v_fma_f64 v[10:11], -v[6:7], v[8:9], 1.0
	v_fma_f64 v[8:9], v[8:9], v[10:11], v[8:9]
	v_div_scale_f64 v[10:11], vcc_lo, 1.0, v[4:5], 1.0
	v_mul_f64 v[12:13], v[10:11], v[8:9]
	v_fma_f64 v[6:7], -v[6:7], v[12:13], v[10:11]
	v_div_fmas_f64 v[6:7], v[6:7], v[8:9], v[12:13]
	v_div_fixup_f64 v[4:5], v[6:7], v[4:5], 1.0
	ds_write_b64 v1, v[4:5]
.LBB105_119:
	s_or_b32 exec_lo, exec_lo, s1
	s_waitcnt lgkmcnt(0)
	s_barrier
	buffer_gl0_inv
	ds_read_b64 v[89:90], v1
	s_mov_b32 s1, exec_lo
	v_cmpx_lt_u32_e32 23, v0
	s_cbranch_execz .LBB105_121
; %bb.120:
	s_waitcnt lgkmcnt(0)
	v_mul_f64 v[138:139], v[89:90], v[138:139]
	ds_read2_b64 v[4:7], v24 offset0:24 offset1:25
	s_waitcnt lgkmcnt(0)
	v_fma_f64 v[170:171], -v[138:139], v[4:5], v[170:171]
	v_fma_f64 v[136:137], -v[138:139], v[6:7], v[136:137]
	ds_read2_b64 v[4:7], v24 offset0:26 offset1:27
	s_waitcnt lgkmcnt(0)
	v_fma_f64 v[168:169], -v[138:139], v[4:5], v[168:169]
	v_fma_f64 v[134:135], -v[138:139], v[6:7], v[134:135]
	;; [unrolled: 4-line block ×13, first 2 shown]
	ds_read2_b64 v[4:7], v24 offset0:50 offset1:51
	s_waitcnt lgkmcnt(0)
	v_fma_f64 v[144:145], -v[138:139], v[4:5], v[144:145]
	ds_read_b64 v[4:5], v24 offset:416
	v_fma_f64 v[110:111], -v[138:139], v[6:7], v[110:111]
	s_waitcnt lgkmcnt(0)
	v_fma_f64 v[214:215], -v[138:139], v[4:5], v[214:215]
.LBB105_121:
	s_or_b32 exec_lo, exec_lo, s1
	s_mov_b32 s1, exec_lo
	s_waitcnt lgkmcnt(0)
	s_barrier
	buffer_gl0_inv
	v_cmpx_eq_u32_e32 24, v0
	s_cbranch_execz .LBB105_124
; %bb.122:
	ds_write_b64 v1, v[170:171]
	ds_write2_b64 v24, v[136:137], v[168:169] offset0:25 offset1:26
	ds_write2_b64 v24, v[134:135], v[166:167] offset0:27 offset1:28
	;; [unrolled: 1-line block ×14, first 2 shown]
	ds_read_b64 v[4:5], v1
	s_waitcnt lgkmcnt(0)
	v_cmp_neq_f64_e32 vcc_lo, 0, v[4:5]
	s_and_b32 exec_lo, exec_lo, vcc_lo
	s_cbranch_execz .LBB105_124
; %bb.123:
	v_div_scale_f64 v[6:7], null, v[4:5], v[4:5], 1.0
	v_rcp_f64_e32 v[8:9], v[6:7]
	v_fma_f64 v[10:11], -v[6:7], v[8:9], 1.0
	v_fma_f64 v[8:9], v[8:9], v[10:11], v[8:9]
	v_fma_f64 v[10:11], -v[6:7], v[8:9], 1.0
	v_fma_f64 v[8:9], v[8:9], v[10:11], v[8:9]
	v_div_scale_f64 v[10:11], vcc_lo, 1.0, v[4:5], 1.0
	v_mul_f64 v[12:13], v[10:11], v[8:9]
	v_fma_f64 v[6:7], -v[6:7], v[12:13], v[10:11]
	v_div_fmas_f64 v[6:7], v[6:7], v[8:9], v[12:13]
	v_div_fixup_f64 v[4:5], v[6:7], v[4:5], 1.0
	ds_write_b64 v1, v[4:5]
.LBB105_124:
	s_or_b32 exec_lo, exec_lo, s1
	s_waitcnt lgkmcnt(0)
	s_barrier
	buffer_gl0_inv
	ds_read_b64 v[91:92], v1
	s_mov_b32 s1, exec_lo
	v_cmpx_lt_u32_e32 24, v0
	s_cbranch_execz .LBB105_126
; %bb.125:
	s_waitcnt lgkmcnt(0)
	v_mul_f64 v[170:171], v[91:92], v[170:171]
	ds_read2_b64 v[4:7], v24 offset0:25 offset1:26
	s_waitcnt lgkmcnt(0)
	v_fma_f64 v[136:137], -v[170:171], v[4:5], v[136:137]
	v_fma_f64 v[168:169], -v[170:171], v[6:7], v[168:169]
	ds_read2_b64 v[4:7], v24 offset0:27 offset1:28
	s_waitcnt lgkmcnt(0)
	v_fma_f64 v[134:135], -v[170:171], v[4:5], v[134:135]
	v_fma_f64 v[166:167], -v[170:171], v[6:7], v[166:167]
	ds_read2_b64 v[4:7], v24 offset0:29 offset1:30
	s_waitcnt lgkmcnt(0)
	v_fma_f64 v[132:133], -v[170:171], v[4:5], v[132:133]
	v_fma_f64 v[164:165], -v[170:171], v[6:7], v[164:165]
	ds_read2_b64 v[4:7], v24 offset0:31 offset1:32
	s_waitcnt lgkmcnt(0)
	v_fma_f64 v[130:131], -v[170:171], v[4:5], v[130:131]
	v_fma_f64 v[162:163], -v[170:171], v[6:7], v[162:163]
	ds_read2_b64 v[4:7], v24 offset0:33 offset1:34
	s_waitcnt lgkmcnt(0)
	v_fma_f64 v[128:129], -v[170:171], v[4:5], v[128:129]
	v_fma_f64 v[160:161], -v[170:171], v[6:7], v[160:161]
	ds_read2_b64 v[4:7], v24 offset0:35 offset1:36
	s_waitcnt lgkmcnt(0)
	v_fma_f64 v[126:127], -v[170:171], v[4:5], v[126:127]
	v_fma_f64 v[158:159], -v[170:171], v[6:7], v[158:159]
	ds_read2_b64 v[4:7], v24 offset0:37 offset1:38
	s_waitcnt lgkmcnt(0)
	v_fma_f64 v[124:125], -v[170:171], v[4:5], v[124:125]
	v_fma_f64 v[156:157], -v[170:171], v[6:7], v[156:157]
	ds_read2_b64 v[4:7], v24 offset0:39 offset1:40
	s_waitcnt lgkmcnt(0)
	v_fma_f64 v[122:123], -v[170:171], v[4:5], v[122:123]
	v_fma_f64 v[154:155], -v[170:171], v[6:7], v[154:155]
	ds_read2_b64 v[4:7], v24 offset0:41 offset1:42
	s_waitcnt lgkmcnt(0)
	v_fma_f64 v[120:121], -v[170:171], v[4:5], v[120:121]
	v_fma_f64 v[152:153], -v[170:171], v[6:7], v[152:153]
	ds_read2_b64 v[4:7], v24 offset0:43 offset1:44
	s_waitcnt lgkmcnt(0)
	v_fma_f64 v[118:119], -v[170:171], v[4:5], v[118:119]
	v_fma_f64 v[150:151], -v[170:171], v[6:7], v[150:151]
	ds_read2_b64 v[4:7], v24 offset0:45 offset1:46
	s_waitcnt lgkmcnt(0)
	v_fma_f64 v[116:117], -v[170:171], v[4:5], v[116:117]
	v_fma_f64 v[148:149], -v[170:171], v[6:7], v[148:149]
	ds_read2_b64 v[4:7], v24 offset0:47 offset1:48
	s_waitcnt lgkmcnt(0)
	v_fma_f64 v[114:115], -v[170:171], v[4:5], v[114:115]
	v_fma_f64 v[146:147], -v[170:171], v[6:7], v[146:147]
	ds_read2_b64 v[4:7], v24 offset0:49 offset1:50
	s_waitcnt lgkmcnt(0)
	v_fma_f64 v[112:113], -v[170:171], v[4:5], v[112:113]
	v_fma_f64 v[144:145], -v[170:171], v[6:7], v[144:145]
	ds_read2_b64 v[4:7], v24 offset0:51 offset1:52
	s_waitcnt lgkmcnt(0)
	v_fma_f64 v[110:111], -v[170:171], v[4:5], v[110:111]
	v_fma_f64 v[214:215], -v[170:171], v[6:7], v[214:215]
.LBB105_126:
	s_or_b32 exec_lo, exec_lo, s1
	s_mov_b32 s1, exec_lo
	s_waitcnt lgkmcnt(0)
	s_barrier
	buffer_gl0_inv
	v_cmpx_eq_u32_e32 25, v0
	s_cbranch_execz .LBB105_129
; %bb.127:
	v_mov_b32_e32 v4, v168
	v_mov_b32_e32 v5, v169
	;; [unrolled: 1-line block ×4, first 2 shown]
	ds_write_b64 v1, v[136:137]
	ds_write2_b64 v24, v[4:5], v[6:7] offset0:26 offset1:27
	v_mov_b32_e32 v4, v166
	v_mov_b32_e32 v5, v167
	v_mov_b32_e32 v6, v132
	v_mov_b32_e32 v7, v133
	ds_write2_b64 v24, v[4:5], v[6:7] offset0:28 offset1:29
	v_mov_b32_e32 v4, v164
	v_mov_b32_e32 v5, v165
	v_mov_b32_e32 v6, v130
	v_mov_b32_e32 v7, v131
	;; [unrolled: 5-line block ×12, first 2 shown]
	ds_write2_b64 v24, v[4:5], v[6:7] offset0:50 offset1:51
	ds_write_b64 v24, v[214:215] offset:416
	ds_read_b64 v[4:5], v1
	s_waitcnt lgkmcnt(0)
	v_cmp_neq_f64_e32 vcc_lo, 0, v[4:5]
	s_and_b32 exec_lo, exec_lo, vcc_lo
	s_cbranch_execz .LBB105_129
; %bb.128:
	v_div_scale_f64 v[6:7], null, v[4:5], v[4:5], 1.0
	v_rcp_f64_e32 v[8:9], v[6:7]
	v_fma_f64 v[10:11], -v[6:7], v[8:9], 1.0
	v_fma_f64 v[8:9], v[8:9], v[10:11], v[8:9]
	v_fma_f64 v[10:11], -v[6:7], v[8:9], 1.0
	v_fma_f64 v[8:9], v[8:9], v[10:11], v[8:9]
	v_div_scale_f64 v[10:11], vcc_lo, 1.0, v[4:5], 1.0
	v_mul_f64 v[12:13], v[10:11], v[8:9]
	v_fma_f64 v[6:7], -v[6:7], v[12:13], v[10:11]
	v_div_fmas_f64 v[6:7], v[6:7], v[8:9], v[12:13]
	v_div_fixup_f64 v[4:5], v[6:7], v[4:5], 1.0
	ds_write_b64 v1, v[4:5]
.LBB105_129:
	s_or_b32 exec_lo, exec_lo, s1
	s_waitcnt lgkmcnt(0)
	s_barrier
	buffer_gl0_inv
	ds_read_b64 v[93:94], v1
	s_mov_b32 s1, exec_lo
	v_cmpx_lt_u32_e32 25, v0
	s_cbranch_execz .LBB105_131
; %bb.130:
	s_waitcnt lgkmcnt(0)
	v_mul_f64 v[136:137], v[93:94], v[136:137]
	ds_read2_b64 v[4:7], v24 offset0:26 offset1:27
	s_waitcnt lgkmcnt(0)
	v_fma_f64 v[168:169], -v[136:137], v[4:5], v[168:169]
	v_fma_f64 v[134:135], -v[136:137], v[6:7], v[134:135]
	ds_read2_b64 v[4:7], v24 offset0:28 offset1:29
	s_waitcnt lgkmcnt(0)
	v_fma_f64 v[166:167], -v[136:137], v[4:5], v[166:167]
	v_fma_f64 v[132:133], -v[136:137], v[6:7], v[132:133]
	;; [unrolled: 4-line block ×12, first 2 shown]
	ds_read2_b64 v[4:7], v24 offset0:50 offset1:51
	s_waitcnt lgkmcnt(0)
	v_fma_f64 v[144:145], -v[136:137], v[4:5], v[144:145]
	ds_read_b64 v[4:5], v24 offset:416
	v_fma_f64 v[110:111], -v[136:137], v[6:7], v[110:111]
	s_waitcnt lgkmcnt(0)
	v_fma_f64 v[214:215], -v[136:137], v[4:5], v[214:215]
.LBB105_131:
	s_or_b32 exec_lo, exec_lo, s1
	s_mov_b32 s1, exec_lo
	s_waitcnt lgkmcnt(0)
	s_barrier
	buffer_gl0_inv
	v_cmpx_eq_u32_e32 26, v0
	s_cbranch_execz .LBB105_134
; %bb.132:
	ds_write_b64 v1, v[168:169]
	ds_write2_b64 v24, v[134:135], v[166:167] offset0:27 offset1:28
	ds_write2_b64 v24, v[132:133], v[164:165] offset0:29 offset1:30
	;; [unrolled: 1-line block ×13, first 2 shown]
	ds_read_b64 v[4:5], v1
	s_waitcnt lgkmcnt(0)
	v_cmp_neq_f64_e32 vcc_lo, 0, v[4:5]
	s_and_b32 exec_lo, exec_lo, vcc_lo
	s_cbranch_execz .LBB105_134
; %bb.133:
	v_div_scale_f64 v[6:7], null, v[4:5], v[4:5], 1.0
	v_rcp_f64_e32 v[8:9], v[6:7]
	v_fma_f64 v[10:11], -v[6:7], v[8:9], 1.0
	v_fma_f64 v[8:9], v[8:9], v[10:11], v[8:9]
	v_fma_f64 v[10:11], -v[6:7], v[8:9], 1.0
	v_fma_f64 v[8:9], v[8:9], v[10:11], v[8:9]
	v_div_scale_f64 v[10:11], vcc_lo, 1.0, v[4:5], 1.0
	v_mul_f64 v[12:13], v[10:11], v[8:9]
	v_fma_f64 v[6:7], -v[6:7], v[12:13], v[10:11]
	v_div_fmas_f64 v[6:7], v[6:7], v[8:9], v[12:13]
	v_div_fixup_f64 v[4:5], v[6:7], v[4:5], 1.0
	ds_write_b64 v1, v[4:5]
.LBB105_134:
	s_or_b32 exec_lo, exec_lo, s1
	s_waitcnt lgkmcnt(0)
	s_barrier
	buffer_gl0_inv
	ds_read_b64 v[99:100], v1
	s_mov_b32 s1, exec_lo
	v_cmpx_lt_u32_e32 26, v0
	s_cbranch_execz .LBB105_136
; %bb.135:
	s_waitcnt lgkmcnt(0)
	v_mul_f64 v[168:169], v[99:100], v[168:169]
	ds_read2_b64 v[4:7], v24 offset0:27 offset1:28
	s_waitcnt lgkmcnt(0)
	v_fma_f64 v[134:135], -v[168:169], v[4:5], v[134:135]
	v_fma_f64 v[166:167], -v[168:169], v[6:7], v[166:167]
	ds_read2_b64 v[4:7], v24 offset0:29 offset1:30
	s_waitcnt lgkmcnt(0)
	v_fma_f64 v[132:133], -v[168:169], v[4:5], v[132:133]
	v_fma_f64 v[164:165], -v[168:169], v[6:7], v[164:165]
	;; [unrolled: 4-line block ×13, first 2 shown]
.LBB105_136:
	s_or_b32 exec_lo, exec_lo, s1
	s_mov_b32 s1, exec_lo
	s_waitcnt lgkmcnt(0)
	s_barrier
	buffer_gl0_inv
	v_cmpx_eq_u32_e32 27, v0
	s_cbranch_execz .LBB105_139
; %bb.137:
	v_mov_b32_e32 v4, v166
	v_mov_b32_e32 v5, v167
	;; [unrolled: 1-line block ×4, first 2 shown]
	ds_write_b64 v1, v[134:135]
	ds_write2_b64 v24, v[4:5], v[6:7] offset0:28 offset1:29
	v_mov_b32_e32 v4, v164
	v_mov_b32_e32 v5, v165
	v_mov_b32_e32 v6, v130
	v_mov_b32_e32 v7, v131
	ds_write2_b64 v24, v[4:5], v[6:7] offset0:30 offset1:31
	v_mov_b32_e32 v4, v162
	v_mov_b32_e32 v5, v163
	v_mov_b32_e32 v6, v128
	v_mov_b32_e32 v7, v129
	;; [unrolled: 5-line block ×11, first 2 shown]
	ds_write2_b64 v24, v[4:5], v[6:7] offset0:50 offset1:51
	ds_write_b64 v24, v[214:215] offset:416
	ds_read_b64 v[4:5], v1
	s_waitcnt lgkmcnt(0)
	v_cmp_neq_f64_e32 vcc_lo, 0, v[4:5]
	s_and_b32 exec_lo, exec_lo, vcc_lo
	s_cbranch_execz .LBB105_139
; %bb.138:
	v_div_scale_f64 v[6:7], null, v[4:5], v[4:5], 1.0
	v_rcp_f64_e32 v[8:9], v[6:7]
	v_fma_f64 v[10:11], -v[6:7], v[8:9], 1.0
	v_fma_f64 v[8:9], v[8:9], v[10:11], v[8:9]
	v_fma_f64 v[10:11], -v[6:7], v[8:9], 1.0
	v_fma_f64 v[8:9], v[8:9], v[10:11], v[8:9]
	v_div_scale_f64 v[10:11], vcc_lo, 1.0, v[4:5], 1.0
	v_mul_f64 v[12:13], v[10:11], v[8:9]
	v_fma_f64 v[6:7], -v[6:7], v[12:13], v[10:11]
	v_div_fmas_f64 v[6:7], v[6:7], v[8:9], v[12:13]
	v_div_fixup_f64 v[4:5], v[6:7], v[4:5], 1.0
	ds_write_b64 v1, v[4:5]
.LBB105_139:
	s_or_b32 exec_lo, exec_lo, s1
	s_waitcnt lgkmcnt(0)
	s_barrier
	buffer_gl0_inv
	ds_read_b64 v[33:34], v1
	s_mov_b32 s1, exec_lo
	v_cmpx_lt_u32_e32 27, v0
	s_cbranch_execz .LBB105_141
; %bb.140:
	s_waitcnt lgkmcnt(0)
	v_mul_f64 v[134:135], v[33:34], v[134:135]
	ds_read2_b64 v[4:7], v24 offset0:28 offset1:29
	s_waitcnt lgkmcnt(0)
	v_fma_f64 v[166:167], -v[134:135], v[4:5], v[166:167]
	v_fma_f64 v[132:133], -v[134:135], v[6:7], v[132:133]
	ds_read2_b64 v[4:7], v24 offset0:30 offset1:31
	s_waitcnt lgkmcnt(0)
	v_fma_f64 v[164:165], -v[134:135], v[4:5], v[164:165]
	v_fma_f64 v[130:131], -v[134:135], v[6:7], v[130:131]
	;; [unrolled: 4-line block ×11, first 2 shown]
	ds_read2_b64 v[4:7], v24 offset0:50 offset1:51
	s_waitcnt lgkmcnt(0)
	v_fma_f64 v[144:145], -v[134:135], v[4:5], v[144:145]
	ds_read_b64 v[4:5], v24 offset:416
	v_fma_f64 v[110:111], -v[134:135], v[6:7], v[110:111]
	s_waitcnt lgkmcnt(0)
	v_fma_f64 v[214:215], -v[134:135], v[4:5], v[214:215]
.LBB105_141:
	s_or_b32 exec_lo, exec_lo, s1
	s_mov_b32 s1, exec_lo
	s_waitcnt lgkmcnt(0)
	s_barrier
	buffer_gl0_inv
	v_cmpx_eq_u32_e32 28, v0
	s_cbranch_execz .LBB105_144
; %bb.142:
	ds_write_b64 v1, v[166:167]
	ds_write2_b64 v24, v[132:133], v[164:165] offset0:29 offset1:30
	ds_write2_b64 v24, v[130:131], v[162:163] offset0:31 offset1:32
	;; [unrolled: 1-line block ×12, first 2 shown]
	ds_read_b64 v[4:5], v1
	s_waitcnt lgkmcnt(0)
	v_cmp_neq_f64_e32 vcc_lo, 0, v[4:5]
	s_and_b32 exec_lo, exec_lo, vcc_lo
	s_cbranch_execz .LBB105_144
; %bb.143:
	v_div_scale_f64 v[6:7], null, v[4:5], v[4:5], 1.0
	v_rcp_f64_e32 v[8:9], v[6:7]
	v_fma_f64 v[10:11], -v[6:7], v[8:9], 1.0
	v_fma_f64 v[8:9], v[8:9], v[10:11], v[8:9]
	v_fma_f64 v[10:11], -v[6:7], v[8:9], 1.0
	v_fma_f64 v[8:9], v[8:9], v[10:11], v[8:9]
	v_div_scale_f64 v[10:11], vcc_lo, 1.0, v[4:5], 1.0
	v_mul_f64 v[12:13], v[10:11], v[8:9]
	v_fma_f64 v[6:7], -v[6:7], v[12:13], v[10:11]
	v_div_fmas_f64 v[6:7], v[6:7], v[8:9], v[12:13]
	v_div_fixup_f64 v[4:5], v[6:7], v[4:5], 1.0
	ds_write_b64 v1, v[4:5]
.LBB105_144:
	s_or_b32 exec_lo, exec_lo, s1
	s_waitcnt lgkmcnt(0)
	s_barrier
	buffer_gl0_inv
	ds_read_b64 v[232:233], v1
	s_mov_b32 s1, exec_lo
	v_cmpx_lt_u32_e32 28, v0
	s_cbranch_execz .LBB105_146
; %bb.145:
	s_waitcnt lgkmcnt(0)
	v_mul_f64 v[166:167], v[232:233], v[166:167]
	ds_read2_b64 v[4:7], v24 offset0:29 offset1:30
	s_waitcnt lgkmcnt(0)
	v_fma_f64 v[132:133], -v[166:167], v[4:5], v[132:133]
	v_fma_f64 v[164:165], -v[166:167], v[6:7], v[164:165]
	ds_read2_b64 v[4:7], v24 offset0:31 offset1:32
	s_waitcnt lgkmcnt(0)
	v_fma_f64 v[130:131], -v[166:167], v[4:5], v[130:131]
	v_fma_f64 v[162:163], -v[166:167], v[6:7], v[162:163]
	;; [unrolled: 4-line block ×12, first 2 shown]
.LBB105_146:
	s_or_b32 exec_lo, exec_lo, s1
	s_mov_b32 s1, exec_lo
	s_waitcnt lgkmcnt(0)
	s_barrier
	buffer_gl0_inv
	v_cmpx_eq_u32_e32 29, v0
	s_cbranch_execz .LBB105_149
; %bb.147:
	v_mov_b32_e32 v4, v164
	v_mov_b32_e32 v5, v165
	;; [unrolled: 1-line block ×4, first 2 shown]
	ds_write_b64 v1, v[132:133]
	ds_write2_b64 v24, v[4:5], v[6:7] offset0:30 offset1:31
	v_mov_b32_e32 v4, v162
	v_mov_b32_e32 v5, v163
	v_mov_b32_e32 v6, v128
	v_mov_b32_e32 v7, v129
	ds_write2_b64 v24, v[4:5], v[6:7] offset0:32 offset1:33
	v_mov_b32_e32 v4, v160
	v_mov_b32_e32 v5, v161
	v_mov_b32_e32 v6, v126
	v_mov_b32_e32 v7, v127
	;; [unrolled: 5-line block ×10, first 2 shown]
	ds_write2_b64 v24, v[4:5], v[6:7] offset0:50 offset1:51
	ds_write_b64 v24, v[214:215] offset:416
	ds_read_b64 v[4:5], v1
	s_waitcnt lgkmcnt(0)
	v_cmp_neq_f64_e32 vcc_lo, 0, v[4:5]
	s_and_b32 exec_lo, exec_lo, vcc_lo
	s_cbranch_execz .LBB105_149
; %bb.148:
	v_div_scale_f64 v[6:7], null, v[4:5], v[4:5], 1.0
	v_rcp_f64_e32 v[8:9], v[6:7]
	v_fma_f64 v[10:11], -v[6:7], v[8:9], 1.0
	v_fma_f64 v[8:9], v[8:9], v[10:11], v[8:9]
	v_fma_f64 v[10:11], -v[6:7], v[8:9], 1.0
	v_fma_f64 v[8:9], v[8:9], v[10:11], v[8:9]
	v_div_scale_f64 v[10:11], vcc_lo, 1.0, v[4:5], 1.0
	v_mul_f64 v[12:13], v[10:11], v[8:9]
	v_fma_f64 v[6:7], -v[6:7], v[12:13], v[10:11]
	v_div_fmas_f64 v[6:7], v[6:7], v[8:9], v[12:13]
	v_div_fixup_f64 v[4:5], v[6:7], v[4:5], 1.0
	ds_write_b64 v1, v[4:5]
.LBB105_149:
	s_or_b32 exec_lo, exec_lo, s1
	s_waitcnt lgkmcnt(0)
	s_barrier
	buffer_gl0_inv
	ds_read_b64 v[234:235], v1
	s_mov_b32 s1, exec_lo
	v_cmpx_lt_u32_e32 29, v0
	s_cbranch_execz .LBB105_151
; %bb.150:
	s_waitcnt lgkmcnt(0)
	v_mul_f64 v[132:133], v[234:235], v[132:133]
	ds_read2_b64 v[4:7], v24 offset0:30 offset1:31
	s_waitcnt lgkmcnt(0)
	v_fma_f64 v[164:165], -v[132:133], v[4:5], v[164:165]
	v_fma_f64 v[130:131], -v[132:133], v[6:7], v[130:131]
	ds_read2_b64 v[4:7], v24 offset0:32 offset1:33
	s_waitcnt lgkmcnt(0)
	v_fma_f64 v[162:163], -v[132:133], v[4:5], v[162:163]
	v_fma_f64 v[128:129], -v[132:133], v[6:7], v[128:129]
	ds_read2_b64 v[4:7], v24 offset0:34 offset1:35
	s_waitcnt lgkmcnt(0)
	v_fma_f64 v[160:161], -v[132:133], v[4:5], v[160:161]
	v_fma_f64 v[126:127], -v[132:133], v[6:7], v[126:127]
	ds_read2_b64 v[4:7], v24 offset0:36 offset1:37
	s_waitcnt lgkmcnt(0)
	v_fma_f64 v[158:159], -v[132:133], v[4:5], v[158:159]
	v_fma_f64 v[124:125], -v[132:133], v[6:7], v[124:125]
	ds_read2_b64 v[4:7], v24 offset0:38 offset1:39
	s_waitcnt lgkmcnt(0)
	v_fma_f64 v[156:157], -v[132:133], v[4:5], v[156:157]
	v_fma_f64 v[122:123], -v[132:133], v[6:7], v[122:123]
	ds_read2_b64 v[4:7], v24 offset0:40 offset1:41
	s_waitcnt lgkmcnt(0)
	v_fma_f64 v[154:155], -v[132:133], v[4:5], v[154:155]
	v_fma_f64 v[120:121], -v[132:133], v[6:7], v[120:121]
	ds_read2_b64 v[4:7], v24 offset0:42 offset1:43
	s_waitcnt lgkmcnt(0)
	v_fma_f64 v[152:153], -v[132:133], v[4:5], v[152:153]
	v_fma_f64 v[118:119], -v[132:133], v[6:7], v[118:119]
	ds_read2_b64 v[4:7], v24 offset0:44 offset1:45
	s_waitcnt lgkmcnt(0)
	v_fma_f64 v[150:151], -v[132:133], v[4:5], v[150:151]
	v_fma_f64 v[116:117], -v[132:133], v[6:7], v[116:117]
	ds_read2_b64 v[4:7], v24 offset0:46 offset1:47
	s_waitcnt lgkmcnt(0)
	v_fma_f64 v[148:149], -v[132:133], v[4:5], v[148:149]
	v_fma_f64 v[114:115], -v[132:133], v[6:7], v[114:115]
	ds_read2_b64 v[4:7], v24 offset0:48 offset1:49
	s_waitcnt lgkmcnt(0)
	v_fma_f64 v[146:147], -v[132:133], v[4:5], v[146:147]
	v_fma_f64 v[112:113], -v[132:133], v[6:7], v[112:113]
	ds_read2_b64 v[4:7], v24 offset0:50 offset1:51
	s_waitcnt lgkmcnt(0)
	v_fma_f64 v[144:145], -v[132:133], v[4:5], v[144:145]
	ds_read_b64 v[4:5], v24 offset:416
	v_fma_f64 v[110:111], -v[132:133], v[6:7], v[110:111]
	s_waitcnt lgkmcnt(0)
	v_fma_f64 v[214:215], -v[132:133], v[4:5], v[214:215]
.LBB105_151:
	s_or_b32 exec_lo, exec_lo, s1
	s_mov_b32 s1, exec_lo
	s_waitcnt lgkmcnt(0)
	s_barrier
	buffer_gl0_inv
	v_cmpx_eq_u32_e32 30, v0
	s_cbranch_execz .LBB105_154
; %bb.152:
	ds_write_b64 v1, v[164:165]
	ds_write2_b64 v24, v[130:131], v[162:163] offset0:31 offset1:32
	ds_write2_b64 v24, v[128:129], v[160:161] offset0:33 offset1:34
	;; [unrolled: 1-line block ×11, first 2 shown]
	ds_read_b64 v[4:5], v1
	s_waitcnt lgkmcnt(0)
	v_cmp_neq_f64_e32 vcc_lo, 0, v[4:5]
	s_and_b32 exec_lo, exec_lo, vcc_lo
	s_cbranch_execz .LBB105_154
; %bb.153:
	v_div_scale_f64 v[6:7], null, v[4:5], v[4:5], 1.0
	v_rcp_f64_e32 v[8:9], v[6:7]
	v_fma_f64 v[10:11], -v[6:7], v[8:9], 1.0
	v_fma_f64 v[8:9], v[8:9], v[10:11], v[8:9]
	v_fma_f64 v[10:11], -v[6:7], v[8:9], 1.0
	v_fma_f64 v[8:9], v[8:9], v[10:11], v[8:9]
	v_div_scale_f64 v[10:11], vcc_lo, 1.0, v[4:5], 1.0
	v_mul_f64 v[12:13], v[10:11], v[8:9]
	v_fma_f64 v[6:7], -v[6:7], v[12:13], v[10:11]
	v_div_fmas_f64 v[6:7], v[6:7], v[8:9], v[12:13]
	v_div_fixup_f64 v[4:5], v[6:7], v[4:5], 1.0
	ds_write_b64 v1, v[4:5]
.LBB105_154:
	s_or_b32 exec_lo, exec_lo, s1
	s_waitcnt lgkmcnt(0)
	s_barrier
	buffer_gl0_inv
	ds_read_b64 v[236:237], v1
	s_mov_b32 s1, exec_lo
	v_cmpx_lt_u32_e32 30, v0
	s_cbranch_execz .LBB105_156
; %bb.155:
	s_waitcnt lgkmcnt(0)
	v_mul_f64 v[164:165], v[236:237], v[164:165]
	ds_read2_b64 v[4:7], v24 offset0:31 offset1:32
	s_waitcnt lgkmcnt(0)
	v_fma_f64 v[130:131], -v[164:165], v[4:5], v[130:131]
	v_fma_f64 v[162:163], -v[164:165], v[6:7], v[162:163]
	ds_read2_b64 v[4:7], v24 offset0:33 offset1:34
	s_waitcnt lgkmcnt(0)
	v_fma_f64 v[128:129], -v[164:165], v[4:5], v[128:129]
	v_fma_f64 v[160:161], -v[164:165], v[6:7], v[160:161]
	;; [unrolled: 4-line block ×11, first 2 shown]
.LBB105_156:
	s_or_b32 exec_lo, exec_lo, s1
	s_mov_b32 s1, exec_lo
	s_waitcnt lgkmcnt(0)
	s_barrier
	buffer_gl0_inv
	v_cmpx_eq_u32_e32 31, v0
	s_cbranch_execz .LBB105_159
; %bb.157:
	v_mov_b32_e32 v4, v162
	v_mov_b32_e32 v5, v163
	;; [unrolled: 1-line block ×4, first 2 shown]
	ds_write_b64 v1, v[130:131]
	ds_write2_b64 v24, v[4:5], v[6:7] offset0:32 offset1:33
	v_mov_b32_e32 v4, v160
	v_mov_b32_e32 v5, v161
	v_mov_b32_e32 v6, v126
	v_mov_b32_e32 v7, v127
	ds_write2_b64 v24, v[4:5], v[6:7] offset0:34 offset1:35
	v_mov_b32_e32 v4, v158
	v_mov_b32_e32 v5, v159
	v_mov_b32_e32 v6, v124
	v_mov_b32_e32 v7, v125
	;; [unrolled: 5-line block ×9, first 2 shown]
	ds_write2_b64 v24, v[4:5], v[6:7] offset0:50 offset1:51
	ds_write_b64 v24, v[214:215] offset:416
	ds_read_b64 v[4:5], v1
	s_waitcnt lgkmcnt(0)
	v_cmp_neq_f64_e32 vcc_lo, 0, v[4:5]
	s_and_b32 exec_lo, exec_lo, vcc_lo
	s_cbranch_execz .LBB105_159
; %bb.158:
	v_div_scale_f64 v[6:7], null, v[4:5], v[4:5], 1.0
	v_rcp_f64_e32 v[8:9], v[6:7]
	v_fma_f64 v[10:11], -v[6:7], v[8:9], 1.0
	v_fma_f64 v[8:9], v[8:9], v[10:11], v[8:9]
	v_fma_f64 v[10:11], -v[6:7], v[8:9], 1.0
	v_fma_f64 v[8:9], v[8:9], v[10:11], v[8:9]
	v_div_scale_f64 v[10:11], vcc_lo, 1.0, v[4:5], 1.0
	v_mul_f64 v[12:13], v[10:11], v[8:9]
	v_fma_f64 v[6:7], -v[6:7], v[12:13], v[10:11]
	v_div_fmas_f64 v[6:7], v[6:7], v[8:9], v[12:13]
	v_div_fixup_f64 v[4:5], v[6:7], v[4:5], 1.0
	ds_write_b64 v1, v[4:5]
.LBB105_159:
	s_or_b32 exec_lo, exec_lo, s1
	s_waitcnt lgkmcnt(0)
	s_barrier
	buffer_gl0_inv
	ds_read_b64 v[238:239], v1
	s_mov_b32 s1, exec_lo
	v_cmpx_lt_u32_e32 31, v0
	s_cbranch_execz .LBB105_161
; %bb.160:
	s_waitcnt lgkmcnt(0)
	v_mul_f64 v[130:131], v[238:239], v[130:131]
	ds_read2_b64 v[4:7], v24 offset0:32 offset1:33
	s_waitcnt lgkmcnt(0)
	v_fma_f64 v[162:163], -v[130:131], v[4:5], v[162:163]
	v_fma_f64 v[128:129], -v[130:131], v[6:7], v[128:129]
	ds_read2_b64 v[4:7], v24 offset0:34 offset1:35
	s_waitcnt lgkmcnt(0)
	v_fma_f64 v[160:161], -v[130:131], v[4:5], v[160:161]
	v_fma_f64 v[126:127], -v[130:131], v[6:7], v[126:127]
	;; [unrolled: 4-line block ×9, first 2 shown]
	ds_read2_b64 v[4:7], v24 offset0:50 offset1:51
	s_waitcnt lgkmcnt(0)
	v_fma_f64 v[144:145], -v[130:131], v[4:5], v[144:145]
	ds_read_b64 v[4:5], v24 offset:416
	v_fma_f64 v[110:111], -v[130:131], v[6:7], v[110:111]
	s_waitcnt lgkmcnt(0)
	v_fma_f64 v[214:215], -v[130:131], v[4:5], v[214:215]
.LBB105_161:
	s_or_b32 exec_lo, exec_lo, s1
	s_mov_b32 s1, exec_lo
	s_waitcnt lgkmcnt(0)
	s_barrier
	buffer_gl0_inv
	v_cmpx_eq_u32_e32 32, v0
	s_cbranch_execz .LBB105_164
; %bb.162:
	ds_write_b64 v1, v[162:163]
	ds_write2_b64 v24, v[128:129], v[160:161] offset0:33 offset1:34
	ds_write2_b64 v24, v[126:127], v[158:159] offset0:35 offset1:36
	ds_write2_b64 v24, v[124:125], v[156:157] offset0:37 offset1:38
	ds_write2_b64 v24, v[122:123], v[154:155] offset0:39 offset1:40
	ds_write2_b64 v24, v[120:121], v[152:153] offset0:41 offset1:42
	ds_write2_b64 v24, v[118:119], v[150:151] offset0:43 offset1:44
	ds_write2_b64 v24, v[116:117], v[148:149] offset0:45 offset1:46
	ds_write2_b64 v24, v[114:115], v[146:147] offset0:47 offset1:48
	ds_write2_b64 v24, v[112:113], v[144:145] offset0:49 offset1:50
	ds_write2_b64 v24, v[110:111], v[214:215] offset0:51 offset1:52
	ds_read_b64 v[4:5], v1
	s_waitcnt lgkmcnt(0)
	v_cmp_neq_f64_e32 vcc_lo, 0, v[4:5]
	s_and_b32 exec_lo, exec_lo, vcc_lo
	s_cbranch_execz .LBB105_164
; %bb.163:
	v_div_scale_f64 v[6:7], null, v[4:5], v[4:5], 1.0
	v_rcp_f64_e32 v[8:9], v[6:7]
	v_fma_f64 v[10:11], -v[6:7], v[8:9], 1.0
	v_fma_f64 v[8:9], v[8:9], v[10:11], v[8:9]
	v_fma_f64 v[10:11], -v[6:7], v[8:9], 1.0
	v_fma_f64 v[8:9], v[8:9], v[10:11], v[8:9]
	v_div_scale_f64 v[10:11], vcc_lo, 1.0, v[4:5], 1.0
	v_mul_f64 v[12:13], v[10:11], v[8:9]
	v_fma_f64 v[6:7], -v[6:7], v[12:13], v[10:11]
	v_div_fmas_f64 v[6:7], v[6:7], v[8:9], v[12:13]
	v_div_fixup_f64 v[4:5], v[6:7], v[4:5], 1.0
	ds_write_b64 v1, v[4:5]
.LBB105_164:
	s_or_b32 exec_lo, exec_lo, s1
	s_waitcnt lgkmcnt(0)
	s_barrier
	buffer_gl0_inv
	ds_read_b64 v[240:241], v1
	s_mov_b32 s1, exec_lo
	v_cmpx_lt_u32_e32 32, v0
	s_cbranch_execz .LBB105_166
; %bb.165:
	s_waitcnt lgkmcnt(0)
	v_mul_f64 v[162:163], v[240:241], v[162:163]
	ds_read2_b64 v[4:7], v24 offset0:33 offset1:34
	s_waitcnt lgkmcnt(0)
	v_fma_f64 v[128:129], -v[162:163], v[4:5], v[128:129]
	v_fma_f64 v[160:161], -v[162:163], v[6:7], v[160:161]
	ds_read2_b64 v[4:7], v24 offset0:35 offset1:36
	s_waitcnt lgkmcnt(0)
	v_fma_f64 v[126:127], -v[162:163], v[4:5], v[126:127]
	v_fma_f64 v[158:159], -v[162:163], v[6:7], v[158:159]
	;; [unrolled: 4-line block ×10, first 2 shown]
.LBB105_166:
	s_or_b32 exec_lo, exec_lo, s1
	s_mov_b32 s1, exec_lo
	s_waitcnt lgkmcnt(0)
	s_barrier
	buffer_gl0_inv
	v_cmpx_eq_u32_e32 33, v0
	s_cbranch_execz .LBB105_169
; %bb.167:
	v_mov_b32_e32 v4, v160
	v_mov_b32_e32 v5, v161
	;; [unrolled: 1-line block ×4, first 2 shown]
	ds_write_b64 v1, v[128:129]
	ds_write2_b64 v24, v[4:5], v[6:7] offset0:34 offset1:35
	v_mov_b32_e32 v4, v158
	v_mov_b32_e32 v5, v159
	v_mov_b32_e32 v6, v124
	v_mov_b32_e32 v7, v125
	ds_write2_b64 v24, v[4:5], v[6:7] offset0:36 offset1:37
	v_mov_b32_e32 v4, v156
	v_mov_b32_e32 v5, v157
	v_mov_b32_e32 v6, v122
	v_mov_b32_e32 v7, v123
	ds_write2_b64 v24, v[4:5], v[6:7] offset0:38 offset1:39
	v_mov_b32_e32 v4, v154
	v_mov_b32_e32 v5, v155
	v_mov_b32_e32 v6, v120
	v_mov_b32_e32 v7, v121
	ds_write2_b64 v24, v[4:5], v[6:7] offset0:40 offset1:41
	v_mov_b32_e32 v4, v152
	v_mov_b32_e32 v5, v153
	v_mov_b32_e32 v6, v118
	v_mov_b32_e32 v7, v119
	ds_write2_b64 v24, v[4:5], v[6:7] offset0:42 offset1:43
	v_mov_b32_e32 v4, v150
	v_mov_b32_e32 v5, v151
	v_mov_b32_e32 v6, v116
	v_mov_b32_e32 v7, v117
	ds_write2_b64 v24, v[4:5], v[6:7] offset0:44 offset1:45
	v_mov_b32_e32 v4, v148
	v_mov_b32_e32 v5, v149
	v_mov_b32_e32 v6, v114
	v_mov_b32_e32 v7, v115
	ds_write2_b64 v24, v[4:5], v[6:7] offset0:46 offset1:47
	v_mov_b32_e32 v4, v146
	v_mov_b32_e32 v5, v147
	v_mov_b32_e32 v6, v112
	v_mov_b32_e32 v7, v113
	ds_write2_b64 v24, v[4:5], v[6:7] offset0:48 offset1:49
	v_mov_b32_e32 v4, v144
	v_mov_b32_e32 v5, v145
	v_mov_b32_e32 v6, v110
	v_mov_b32_e32 v7, v111
	ds_write2_b64 v24, v[4:5], v[6:7] offset0:50 offset1:51
	ds_write_b64 v24, v[214:215] offset:416
	ds_read_b64 v[4:5], v1
	s_waitcnt lgkmcnt(0)
	v_cmp_neq_f64_e32 vcc_lo, 0, v[4:5]
	s_and_b32 exec_lo, exec_lo, vcc_lo
	s_cbranch_execz .LBB105_169
; %bb.168:
	v_div_scale_f64 v[6:7], null, v[4:5], v[4:5], 1.0
	v_rcp_f64_e32 v[8:9], v[6:7]
	v_fma_f64 v[10:11], -v[6:7], v[8:9], 1.0
	v_fma_f64 v[8:9], v[8:9], v[10:11], v[8:9]
	v_fma_f64 v[10:11], -v[6:7], v[8:9], 1.0
	v_fma_f64 v[8:9], v[8:9], v[10:11], v[8:9]
	v_div_scale_f64 v[10:11], vcc_lo, 1.0, v[4:5], 1.0
	v_mul_f64 v[12:13], v[10:11], v[8:9]
	v_fma_f64 v[6:7], -v[6:7], v[12:13], v[10:11]
	v_div_fmas_f64 v[6:7], v[6:7], v[8:9], v[12:13]
	v_div_fixup_f64 v[4:5], v[6:7], v[4:5], 1.0
	ds_write_b64 v1, v[4:5]
.LBB105_169:
	s_or_b32 exec_lo, exec_lo, s1
	s_waitcnt lgkmcnt(0)
	s_barrier
	buffer_gl0_inv
	ds_read_b64 v[242:243], v1
	s_mov_b32 s1, exec_lo
	v_cmpx_lt_u32_e32 33, v0
	s_cbranch_execz .LBB105_171
; %bb.170:
	s_waitcnt lgkmcnt(0)
	v_mul_f64 v[128:129], v[242:243], v[128:129]
	ds_read2_b64 v[4:7], v24 offset0:34 offset1:35
	s_waitcnt lgkmcnt(0)
	v_fma_f64 v[160:161], -v[128:129], v[4:5], v[160:161]
	v_fma_f64 v[126:127], -v[128:129], v[6:7], v[126:127]
	ds_read2_b64 v[4:7], v24 offset0:36 offset1:37
	s_waitcnt lgkmcnt(0)
	v_fma_f64 v[158:159], -v[128:129], v[4:5], v[158:159]
	v_fma_f64 v[124:125], -v[128:129], v[6:7], v[124:125]
	;; [unrolled: 4-line block ×8, first 2 shown]
	ds_read2_b64 v[4:7], v24 offset0:50 offset1:51
	s_waitcnt lgkmcnt(0)
	v_fma_f64 v[144:145], -v[128:129], v[4:5], v[144:145]
	ds_read_b64 v[4:5], v24 offset:416
	v_fma_f64 v[110:111], -v[128:129], v[6:7], v[110:111]
	s_waitcnt lgkmcnt(0)
	v_fma_f64 v[214:215], -v[128:129], v[4:5], v[214:215]
.LBB105_171:
	s_or_b32 exec_lo, exec_lo, s1
	s_mov_b32 s1, exec_lo
	s_waitcnt lgkmcnt(0)
	s_barrier
	buffer_gl0_inv
	v_cmpx_eq_u32_e32 34, v0
	s_cbranch_execz .LBB105_174
; %bb.172:
	ds_write_b64 v1, v[160:161]
	ds_write2_b64 v24, v[126:127], v[158:159] offset0:35 offset1:36
	ds_write2_b64 v24, v[124:125], v[156:157] offset0:37 offset1:38
	ds_write2_b64 v24, v[122:123], v[154:155] offset0:39 offset1:40
	ds_write2_b64 v24, v[120:121], v[152:153] offset0:41 offset1:42
	ds_write2_b64 v24, v[118:119], v[150:151] offset0:43 offset1:44
	ds_write2_b64 v24, v[116:117], v[148:149] offset0:45 offset1:46
	ds_write2_b64 v24, v[114:115], v[146:147] offset0:47 offset1:48
	ds_write2_b64 v24, v[112:113], v[144:145] offset0:49 offset1:50
	ds_write2_b64 v24, v[110:111], v[214:215] offset0:51 offset1:52
	ds_read_b64 v[4:5], v1
	s_waitcnt lgkmcnt(0)
	v_cmp_neq_f64_e32 vcc_lo, 0, v[4:5]
	s_and_b32 exec_lo, exec_lo, vcc_lo
	s_cbranch_execz .LBB105_174
; %bb.173:
	v_div_scale_f64 v[6:7], null, v[4:5], v[4:5], 1.0
	v_rcp_f64_e32 v[8:9], v[6:7]
	v_fma_f64 v[10:11], -v[6:7], v[8:9], 1.0
	v_fma_f64 v[8:9], v[8:9], v[10:11], v[8:9]
	v_fma_f64 v[10:11], -v[6:7], v[8:9], 1.0
	v_fma_f64 v[8:9], v[8:9], v[10:11], v[8:9]
	v_div_scale_f64 v[10:11], vcc_lo, 1.0, v[4:5], 1.0
	v_mul_f64 v[12:13], v[10:11], v[8:9]
	v_fma_f64 v[6:7], -v[6:7], v[12:13], v[10:11]
	v_div_fmas_f64 v[6:7], v[6:7], v[8:9], v[12:13]
	v_div_fixup_f64 v[4:5], v[6:7], v[4:5], 1.0
	ds_write_b64 v1, v[4:5]
.LBB105_174:
	s_or_b32 exec_lo, exec_lo, s1
	s_waitcnt lgkmcnt(0)
	s_barrier
	buffer_gl0_inv
	ds_read_b64 v[244:245], v1
	s_mov_b32 s1, exec_lo
	v_cmpx_lt_u32_e32 34, v0
	s_cbranch_execz .LBB105_176
; %bb.175:
	s_waitcnt lgkmcnt(0)
	v_mul_f64 v[160:161], v[244:245], v[160:161]
	ds_read2_b64 v[4:7], v24 offset0:35 offset1:36
	s_waitcnt lgkmcnt(0)
	v_fma_f64 v[126:127], -v[160:161], v[4:5], v[126:127]
	v_fma_f64 v[158:159], -v[160:161], v[6:7], v[158:159]
	ds_read2_b64 v[4:7], v24 offset0:37 offset1:38
	s_waitcnt lgkmcnt(0)
	v_fma_f64 v[124:125], -v[160:161], v[4:5], v[124:125]
	v_fma_f64 v[156:157], -v[160:161], v[6:7], v[156:157]
	;; [unrolled: 4-line block ×9, first 2 shown]
.LBB105_176:
	s_or_b32 exec_lo, exec_lo, s1
	s_mov_b32 s1, exec_lo
	s_waitcnt lgkmcnt(0)
	s_barrier
	buffer_gl0_inv
	v_cmpx_eq_u32_e32 35, v0
	s_cbranch_execz .LBB105_179
; %bb.177:
	v_mov_b32_e32 v4, v158
	v_mov_b32_e32 v5, v159
	;; [unrolled: 1-line block ×4, first 2 shown]
	ds_write_b64 v1, v[126:127]
	ds_write2_b64 v24, v[4:5], v[6:7] offset0:36 offset1:37
	v_mov_b32_e32 v4, v156
	v_mov_b32_e32 v5, v157
	v_mov_b32_e32 v6, v122
	v_mov_b32_e32 v7, v123
	ds_write2_b64 v24, v[4:5], v[6:7] offset0:38 offset1:39
	v_mov_b32_e32 v4, v154
	v_mov_b32_e32 v5, v155
	v_mov_b32_e32 v6, v120
	v_mov_b32_e32 v7, v121
	;; [unrolled: 5-line block ×7, first 2 shown]
	ds_write2_b64 v24, v[4:5], v[6:7] offset0:50 offset1:51
	ds_write_b64 v24, v[214:215] offset:416
	ds_read_b64 v[4:5], v1
	s_waitcnt lgkmcnt(0)
	v_cmp_neq_f64_e32 vcc_lo, 0, v[4:5]
	s_and_b32 exec_lo, exec_lo, vcc_lo
	s_cbranch_execz .LBB105_179
; %bb.178:
	v_div_scale_f64 v[6:7], null, v[4:5], v[4:5], 1.0
	v_rcp_f64_e32 v[8:9], v[6:7]
	v_fma_f64 v[10:11], -v[6:7], v[8:9], 1.0
	v_fma_f64 v[8:9], v[8:9], v[10:11], v[8:9]
	v_fma_f64 v[10:11], -v[6:7], v[8:9], 1.0
	v_fma_f64 v[8:9], v[8:9], v[10:11], v[8:9]
	v_div_scale_f64 v[10:11], vcc_lo, 1.0, v[4:5], 1.0
	v_mul_f64 v[12:13], v[10:11], v[8:9]
	v_fma_f64 v[6:7], -v[6:7], v[12:13], v[10:11]
	v_div_fmas_f64 v[6:7], v[6:7], v[8:9], v[12:13]
	v_div_fixup_f64 v[4:5], v[6:7], v[4:5], 1.0
	ds_write_b64 v1, v[4:5]
.LBB105_179:
	s_or_b32 exec_lo, exec_lo, s1
	s_waitcnt lgkmcnt(0)
	s_barrier
	buffer_gl0_inv
	ds_read_b64 v[246:247], v1
	s_mov_b32 s1, exec_lo
	v_cmpx_lt_u32_e32 35, v0
	s_cbranch_execz .LBB105_181
; %bb.180:
	s_waitcnt lgkmcnt(0)
	v_mul_f64 v[126:127], v[246:247], v[126:127]
	ds_read2_b64 v[4:7], v24 offset0:36 offset1:37
	s_waitcnt lgkmcnt(0)
	v_fma_f64 v[158:159], -v[126:127], v[4:5], v[158:159]
	v_fma_f64 v[124:125], -v[126:127], v[6:7], v[124:125]
	ds_read2_b64 v[4:7], v24 offset0:38 offset1:39
	s_waitcnt lgkmcnt(0)
	v_fma_f64 v[156:157], -v[126:127], v[4:5], v[156:157]
	v_fma_f64 v[122:123], -v[126:127], v[6:7], v[122:123]
	;; [unrolled: 4-line block ×7, first 2 shown]
	ds_read2_b64 v[4:7], v24 offset0:50 offset1:51
	s_waitcnt lgkmcnt(0)
	v_fma_f64 v[144:145], -v[126:127], v[4:5], v[144:145]
	ds_read_b64 v[4:5], v24 offset:416
	v_fma_f64 v[110:111], -v[126:127], v[6:7], v[110:111]
	s_waitcnt lgkmcnt(0)
	v_fma_f64 v[214:215], -v[126:127], v[4:5], v[214:215]
.LBB105_181:
	s_or_b32 exec_lo, exec_lo, s1
	s_mov_b32 s1, exec_lo
	s_waitcnt lgkmcnt(0)
	s_barrier
	buffer_gl0_inv
	v_cmpx_eq_u32_e32 36, v0
	s_cbranch_execz .LBB105_184
; %bb.182:
	ds_write_b64 v1, v[158:159]
	ds_write2_b64 v24, v[124:125], v[156:157] offset0:37 offset1:38
	ds_write2_b64 v24, v[122:123], v[154:155] offset0:39 offset1:40
	;; [unrolled: 1-line block ×8, first 2 shown]
	ds_read_b64 v[4:5], v1
	s_waitcnt lgkmcnt(0)
	v_cmp_neq_f64_e32 vcc_lo, 0, v[4:5]
	s_and_b32 exec_lo, exec_lo, vcc_lo
	s_cbranch_execz .LBB105_184
; %bb.183:
	v_div_scale_f64 v[6:7], null, v[4:5], v[4:5], 1.0
	v_rcp_f64_e32 v[8:9], v[6:7]
	v_fma_f64 v[10:11], -v[6:7], v[8:9], 1.0
	v_fma_f64 v[8:9], v[8:9], v[10:11], v[8:9]
	v_fma_f64 v[10:11], -v[6:7], v[8:9], 1.0
	v_fma_f64 v[8:9], v[8:9], v[10:11], v[8:9]
	v_div_scale_f64 v[10:11], vcc_lo, 1.0, v[4:5], 1.0
	v_mul_f64 v[12:13], v[10:11], v[8:9]
	v_fma_f64 v[6:7], -v[6:7], v[12:13], v[10:11]
	v_div_fmas_f64 v[6:7], v[6:7], v[8:9], v[12:13]
	v_div_fixup_f64 v[4:5], v[6:7], v[4:5], 1.0
	ds_write_b64 v1, v[4:5]
.LBB105_184:
	s_or_b32 exec_lo, exec_lo, s1
	s_waitcnt lgkmcnt(0)
	s_barrier
	buffer_gl0_inv
	ds_read_b64 v[248:249], v1
	s_mov_b32 s1, exec_lo
	v_cmpx_lt_u32_e32 36, v0
	s_cbranch_execz .LBB105_186
; %bb.185:
	s_waitcnt lgkmcnt(0)
	v_mul_f64 v[158:159], v[248:249], v[158:159]
	ds_read2_b64 v[4:7], v24 offset0:37 offset1:38
	s_waitcnt lgkmcnt(0)
	v_fma_f64 v[124:125], -v[158:159], v[4:5], v[124:125]
	v_fma_f64 v[156:157], -v[158:159], v[6:7], v[156:157]
	ds_read2_b64 v[4:7], v24 offset0:39 offset1:40
	s_waitcnt lgkmcnt(0)
	v_fma_f64 v[122:123], -v[158:159], v[4:5], v[122:123]
	v_fma_f64 v[154:155], -v[158:159], v[6:7], v[154:155]
	;; [unrolled: 4-line block ×8, first 2 shown]
.LBB105_186:
	s_or_b32 exec_lo, exec_lo, s1
	s_mov_b32 s1, exec_lo
	s_waitcnt lgkmcnt(0)
	s_barrier
	buffer_gl0_inv
	v_cmpx_eq_u32_e32 37, v0
	s_cbranch_execz .LBB105_189
; %bb.187:
	v_mov_b32_e32 v4, v156
	v_mov_b32_e32 v5, v157
	;; [unrolled: 1-line block ×4, first 2 shown]
	ds_write_b64 v1, v[124:125]
	ds_write2_b64 v24, v[4:5], v[6:7] offset0:38 offset1:39
	v_mov_b32_e32 v4, v154
	v_mov_b32_e32 v5, v155
	v_mov_b32_e32 v6, v120
	v_mov_b32_e32 v7, v121
	ds_write2_b64 v24, v[4:5], v[6:7] offset0:40 offset1:41
	v_mov_b32_e32 v4, v152
	v_mov_b32_e32 v5, v153
	v_mov_b32_e32 v6, v118
	v_mov_b32_e32 v7, v119
	;; [unrolled: 5-line block ×6, first 2 shown]
	ds_write2_b64 v24, v[4:5], v[6:7] offset0:50 offset1:51
	ds_write_b64 v24, v[214:215] offset:416
	ds_read_b64 v[4:5], v1
	s_waitcnt lgkmcnt(0)
	v_cmp_neq_f64_e32 vcc_lo, 0, v[4:5]
	s_and_b32 exec_lo, exec_lo, vcc_lo
	s_cbranch_execz .LBB105_189
; %bb.188:
	v_div_scale_f64 v[6:7], null, v[4:5], v[4:5], 1.0
	v_rcp_f64_e32 v[8:9], v[6:7]
	v_fma_f64 v[10:11], -v[6:7], v[8:9], 1.0
	v_fma_f64 v[8:9], v[8:9], v[10:11], v[8:9]
	v_fma_f64 v[10:11], -v[6:7], v[8:9], 1.0
	v_fma_f64 v[8:9], v[8:9], v[10:11], v[8:9]
	v_div_scale_f64 v[10:11], vcc_lo, 1.0, v[4:5], 1.0
	v_mul_f64 v[12:13], v[10:11], v[8:9]
	v_fma_f64 v[6:7], -v[6:7], v[12:13], v[10:11]
	v_div_fmas_f64 v[6:7], v[6:7], v[8:9], v[12:13]
	v_div_fixup_f64 v[4:5], v[6:7], v[4:5], 1.0
	ds_write_b64 v1, v[4:5]
.LBB105_189:
	s_or_b32 exec_lo, exec_lo, s1
	s_waitcnt lgkmcnt(0)
	s_barrier
	buffer_gl0_inv
	ds_read_b64 v[250:251], v1
	s_mov_b32 s1, exec_lo
	v_cmpx_lt_u32_e32 37, v0
	s_cbranch_execz .LBB105_191
; %bb.190:
	s_waitcnt lgkmcnt(0)
	v_mul_f64 v[124:125], v[250:251], v[124:125]
	ds_read2_b64 v[4:7], v24 offset0:38 offset1:39
	s_waitcnt lgkmcnt(0)
	v_fma_f64 v[156:157], -v[124:125], v[4:5], v[156:157]
	v_fma_f64 v[122:123], -v[124:125], v[6:7], v[122:123]
	ds_read2_b64 v[4:7], v24 offset0:40 offset1:41
	s_waitcnt lgkmcnt(0)
	v_fma_f64 v[154:155], -v[124:125], v[4:5], v[154:155]
	v_fma_f64 v[120:121], -v[124:125], v[6:7], v[120:121]
	;; [unrolled: 4-line block ×6, first 2 shown]
	ds_read2_b64 v[4:7], v24 offset0:50 offset1:51
	s_waitcnt lgkmcnt(0)
	v_fma_f64 v[144:145], -v[124:125], v[4:5], v[144:145]
	ds_read_b64 v[4:5], v24 offset:416
	v_fma_f64 v[110:111], -v[124:125], v[6:7], v[110:111]
	s_waitcnt lgkmcnt(0)
	v_fma_f64 v[214:215], -v[124:125], v[4:5], v[214:215]
.LBB105_191:
	s_or_b32 exec_lo, exec_lo, s1
	s_mov_b32 s1, exec_lo
	s_waitcnt lgkmcnt(0)
	s_barrier
	buffer_gl0_inv
	v_cmpx_eq_u32_e32 38, v0
	s_cbranch_execz .LBB105_194
; %bb.192:
	ds_write_b64 v1, v[156:157]
	ds_write2_b64 v24, v[122:123], v[154:155] offset0:39 offset1:40
	ds_write2_b64 v24, v[120:121], v[152:153] offset0:41 offset1:42
	;; [unrolled: 1-line block ×7, first 2 shown]
	ds_read_b64 v[4:5], v1
	s_waitcnt lgkmcnt(0)
	v_cmp_neq_f64_e32 vcc_lo, 0, v[4:5]
	s_and_b32 exec_lo, exec_lo, vcc_lo
	s_cbranch_execz .LBB105_194
; %bb.193:
	v_div_scale_f64 v[6:7], null, v[4:5], v[4:5], 1.0
	v_rcp_f64_e32 v[8:9], v[6:7]
	v_fma_f64 v[10:11], -v[6:7], v[8:9], 1.0
	v_fma_f64 v[8:9], v[8:9], v[10:11], v[8:9]
	v_fma_f64 v[10:11], -v[6:7], v[8:9], 1.0
	v_fma_f64 v[8:9], v[8:9], v[10:11], v[8:9]
	v_div_scale_f64 v[10:11], vcc_lo, 1.0, v[4:5], 1.0
	v_mul_f64 v[12:13], v[10:11], v[8:9]
	v_fma_f64 v[6:7], -v[6:7], v[12:13], v[10:11]
	v_div_fmas_f64 v[6:7], v[6:7], v[8:9], v[12:13]
	v_div_fixup_f64 v[4:5], v[6:7], v[4:5], 1.0
	ds_write_b64 v1, v[4:5]
.LBB105_194:
	s_or_b32 exec_lo, exec_lo, s1
	s_waitcnt lgkmcnt(0)
	s_barrier
	buffer_gl0_inv
	ds_read_b64 v[252:253], v1
	s_mov_b32 s1, exec_lo
	v_cmpx_lt_u32_e32 38, v0
	s_cbranch_execz .LBB105_196
; %bb.195:
	s_waitcnt lgkmcnt(0)
	v_mul_f64 v[156:157], v[252:253], v[156:157]
	ds_read2_b64 v[4:7], v24 offset0:39 offset1:40
	s_waitcnt lgkmcnt(0)
	v_fma_f64 v[122:123], -v[156:157], v[4:5], v[122:123]
	v_fma_f64 v[154:155], -v[156:157], v[6:7], v[154:155]
	ds_read2_b64 v[4:7], v24 offset0:41 offset1:42
	s_waitcnt lgkmcnt(0)
	v_fma_f64 v[120:121], -v[156:157], v[4:5], v[120:121]
	v_fma_f64 v[152:153], -v[156:157], v[6:7], v[152:153]
	;; [unrolled: 4-line block ×7, first 2 shown]
.LBB105_196:
	s_or_b32 exec_lo, exec_lo, s1
	s_mov_b32 s1, exec_lo
	s_waitcnt lgkmcnt(0)
	s_barrier
	buffer_gl0_inv
	v_cmpx_eq_u32_e32 39, v0
	s_cbranch_execz .LBB105_199
; %bb.197:
	v_mov_b32_e32 v4, v154
	v_mov_b32_e32 v5, v155
	;; [unrolled: 1-line block ×4, first 2 shown]
	ds_write_b64 v1, v[122:123]
	ds_write2_b64 v24, v[4:5], v[6:7] offset0:40 offset1:41
	v_mov_b32_e32 v4, v152
	v_mov_b32_e32 v5, v153
	v_mov_b32_e32 v6, v118
	v_mov_b32_e32 v7, v119
	ds_write2_b64 v24, v[4:5], v[6:7] offset0:42 offset1:43
	v_mov_b32_e32 v4, v150
	v_mov_b32_e32 v5, v151
	v_mov_b32_e32 v6, v116
	v_mov_b32_e32 v7, v117
	;; [unrolled: 5-line block ×5, first 2 shown]
	ds_write2_b64 v24, v[4:5], v[6:7] offset0:50 offset1:51
	ds_write_b64 v24, v[214:215] offset:416
	ds_read_b64 v[4:5], v1
	s_waitcnt lgkmcnt(0)
	v_cmp_neq_f64_e32 vcc_lo, 0, v[4:5]
	s_and_b32 exec_lo, exec_lo, vcc_lo
	s_cbranch_execz .LBB105_199
; %bb.198:
	v_div_scale_f64 v[6:7], null, v[4:5], v[4:5], 1.0
	v_rcp_f64_e32 v[8:9], v[6:7]
	v_fma_f64 v[10:11], -v[6:7], v[8:9], 1.0
	v_fma_f64 v[8:9], v[8:9], v[10:11], v[8:9]
	v_fma_f64 v[10:11], -v[6:7], v[8:9], 1.0
	v_fma_f64 v[8:9], v[8:9], v[10:11], v[8:9]
	v_div_scale_f64 v[10:11], vcc_lo, 1.0, v[4:5], 1.0
	v_mul_f64 v[12:13], v[10:11], v[8:9]
	v_fma_f64 v[6:7], -v[6:7], v[12:13], v[10:11]
	v_div_fmas_f64 v[6:7], v[6:7], v[8:9], v[12:13]
	v_div_fixup_f64 v[4:5], v[6:7], v[4:5], 1.0
	ds_write_b64 v1, v[4:5]
.LBB105_199:
	s_or_b32 exec_lo, exec_lo, s1
	s_waitcnt lgkmcnt(0)
	s_barrier
	buffer_gl0_inv
	ds_read_b64 v[254:255], v1
	s_mov_b32 s1, exec_lo
	v_cmpx_lt_u32_e32 39, v0
	s_cbranch_execz .LBB105_201
; %bb.200:
	s_waitcnt lgkmcnt(0)
	v_mul_f64 v[122:123], v[254:255], v[122:123]
	ds_read2_b64 v[4:7], v24 offset0:40 offset1:41
	s_waitcnt lgkmcnt(0)
	v_fma_f64 v[154:155], -v[122:123], v[4:5], v[154:155]
	v_fma_f64 v[120:121], -v[122:123], v[6:7], v[120:121]
	ds_read2_b64 v[4:7], v24 offset0:42 offset1:43
	s_waitcnt lgkmcnt(0)
	v_fma_f64 v[152:153], -v[122:123], v[4:5], v[152:153]
	v_fma_f64 v[118:119], -v[122:123], v[6:7], v[118:119]
	;; [unrolled: 4-line block ×5, first 2 shown]
	ds_read2_b64 v[4:7], v24 offset0:50 offset1:51
	s_waitcnt lgkmcnt(0)
	v_fma_f64 v[144:145], -v[122:123], v[4:5], v[144:145]
	ds_read_b64 v[4:5], v24 offset:416
	v_fma_f64 v[110:111], -v[122:123], v[6:7], v[110:111]
	s_waitcnt lgkmcnt(0)
	v_fma_f64 v[214:215], -v[122:123], v[4:5], v[214:215]
.LBB105_201:
	s_or_b32 exec_lo, exec_lo, s1
	s_mov_b32 s1, exec_lo
	s_waitcnt lgkmcnt(0)
	s_barrier
	buffer_gl0_inv
	v_cmpx_eq_u32_e32 40, v0
	s_cbranch_execz .LBB105_204
; %bb.202:
	ds_write_b64 v1, v[154:155]
	ds_write2_b64 v24, v[120:121], v[152:153] offset0:41 offset1:42
	ds_write2_b64 v24, v[118:119], v[150:151] offset0:43 offset1:44
	;; [unrolled: 1-line block ×6, first 2 shown]
	ds_read_b64 v[4:5], v1
	s_waitcnt lgkmcnt(0)
	v_cmp_neq_f64_e32 vcc_lo, 0, v[4:5]
	s_and_b32 exec_lo, exec_lo, vcc_lo
	s_cbranch_execz .LBB105_204
; %bb.203:
	v_div_scale_f64 v[6:7], null, v[4:5], v[4:5], 1.0
	v_rcp_f64_e32 v[8:9], v[6:7]
	v_fma_f64 v[10:11], -v[6:7], v[8:9], 1.0
	v_fma_f64 v[8:9], v[8:9], v[10:11], v[8:9]
	v_fma_f64 v[10:11], -v[6:7], v[8:9], 1.0
	v_fma_f64 v[8:9], v[8:9], v[10:11], v[8:9]
	v_div_scale_f64 v[10:11], vcc_lo, 1.0, v[4:5], 1.0
	v_mul_f64 v[12:13], v[10:11], v[8:9]
	v_fma_f64 v[6:7], -v[6:7], v[12:13], v[10:11]
	v_div_fmas_f64 v[6:7], v[6:7], v[8:9], v[12:13]
	v_div_fixup_f64 v[4:5], v[6:7], v[4:5], 1.0
	ds_write_b64 v1, v[4:5]
.LBB105_204:
	s_or_b32 exec_lo, exec_lo, s1
	s_waitcnt lgkmcnt(0)
	s_barrier
	buffer_gl0_inv
	ds_read_b64 v[216:217], v1
	s_mov_b32 s1, exec_lo
	v_cmpx_lt_u32_e32 40, v0
	s_cbranch_execz .LBB105_206
; %bb.205:
	s_waitcnt lgkmcnt(0)
	v_mul_f64 v[154:155], v[216:217], v[154:155]
	ds_read2_b64 v[4:7], v24 offset0:41 offset1:42
	s_waitcnt lgkmcnt(0)
	v_fma_f64 v[120:121], -v[154:155], v[4:5], v[120:121]
	v_fma_f64 v[152:153], -v[154:155], v[6:7], v[152:153]
	ds_read2_b64 v[4:7], v24 offset0:43 offset1:44
	s_waitcnt lgkmcnt(0)
	v_fma_f64 v[118:119], -v[154:155], v[4:5], v[118:119]
	v_fma_f64 v[150:151], -v[154:155], v[6:7], v[150:151]
	;; [unrolled: 4-line block ×6, first 2 shown]
.LBB105_206:
	s_or_b32 exec_lo, exec_lo, s1
	s_mov_b32 s1, exec_lo
	s_waitcnt lgkmcnt(0)
	s_barrier
	buffer_gl0_inv
	v_cmpx_eq_u32_e32 41, v0
	s_cbranch_execz .LBB105_209
; %bb.207:
	v_mov_b32_e32 v4, v152
	v_mov_b32_e32 v5, v153
	;; [unrolled: 1-line block ×4, first 2 shown]
	ds_write_b64 v1, v[120:121]
	ds_write2_b64 v24, v[4:5], v[6:7] offset0:42 offset1:43
	v_mov_b32_e32 v4, v150
	v_mov_b32_e32 v5, v151
	v_mov_b32_e32 v6, v116
	v_mov_b32_e32 v7, v117
	ds_write2_b64 v24, v[4:5], v[6:7] offset0:44 offset1:45
	v_mov_b32_e32 v4, v148
	v_mov_b32_e32 v5, v149
	v_mov_b32_e32 v6, v114
	v_mov_b32_e32 v7, v115
	;; [unrolled: 5-line block ×4, first 2 shown]
	ds_write2_b64 v24, v[4:5], v[6:7] offset0:50 offset1:51
	ds_write_b64 v24, v[214:215] offset:416
	ds_read_b64 v[4:5], v1
	s_waitcnt lgkmcnt(0)
	v_cmp_neq_f64_e32 vcc_lo, 0, v[4:5]
	s_and_b32 exec_lo, exec_lo, vcc_lo
	s_cbranch_execz .LBB105_209
; %bb.208:
	v_div_scale_f64 v[6:7], null, v[4:5], v[4:5], 1.0
	v_rcp_f64_e32 v[8:9], v[6:7]
	v_fma_f64 v[10:11], -v[6:7], v[8:9], 1.0
	v_fma_f64 v[8:9], v[8:9], v[10:11], v[8:9]
	v_fma_f64 v[10:11], -v[6:7], v[8:9], 1.0
	v_fma_f64 v[8:9], v[8:9], v[10:11], v[8:9]
	v_div_scale_f64 v[10:11], vcc_lo, 1.0, v[4:5], 1.0
	v_mul_f64 v[12:13], v[10:11], v[8:9]
	v_fma_f64 v[6:7], -v[6:7], v[12:13], v[10:11]
	v_div_fmas_f64 v[6:7], v[6:7], v[8:9], v[12:13]
	v_div_fixup_f64 v[4:5], v[6:7], v[4:5], 1.0
	ds_write_b64 v1, v[4:5]
.LBB105_209:
	s_or_b32 exec_lo, exec_lo, s1
	s_waitcnt lgkmcnt(0)
	s_barrier
	buffer_gl0_inv
	ds_read_b64 v[218:219], v1
	s_mov_b32 s1, exec_lo
	v_cmpx_lt_u32_e32 41, v0
	s_cbranch_execz .LBB105_211
; %bb.210:
	s_waitcnt lgkmcnt(0)
	v_mul_f64 v[120:121], v[218:219], v[120:121]
	ds_read2_b64 v[4:7], v24 offset0:42 offset1:43
	s_waitcnt lgkmcnt(0)
	v_fma_f64 v[152:153], -v[120:121], v[4:5], v[152:153]
	v_fma_f64 v[118:119], -v[120:121], v[6:7], v[118:119]
	ds_read2_b64 v[4:7], v24 offset0:44 offset1:45
	s_waitcnt lgkmcnt(0)
	v_fma_f64 v[150:151], -v[120:121], v[4:5], v[150:151]
	v_fma_f64 v[116:117], -v[120:121], v[6:7], v[116:117]
	;; [unrolled: 4-line block ×4, first 2 shown]
	ds_read2_b64 v[4:7], v24 offset0:50 offset1:51
	s_waitcnt lgkmcnt(0)
	v_fma_f64 v[144:145], -v[120:121], v[4:5], v[144:145]
	ds_read_b64 v[4:5], v24 offset:416
	v_fma_f64 v[110:111], -v[120:121], v[6:7], v[110:111]
	s_waitcnt lgkmcnt(0)
	v_fma_f64 v[214:215], -v[120:121], v[4:5], v[214:215]
.LBB105_211:
	s_or_b32 exec_lo, exec_lo, s1
	s_mov_b32 s1, exec_lo
	s_waitcnt lgkmcnt(0)
	s_barrier
	buffer_gl0_inv
	v_cmpx_eq_u32_e32 42, v0
	s_cbranch_execz .LBB105_214
; %bb.212:
	ds_write_b64 v1, v[152:153]
	ds_write2_b64 v24, v[118:119], v[150:151] offset0:43 offset1:44
	ds_write2_b64 v24, v[116:117], v[148:149] offset0:45 offset1:46
	;; [unrolled: 1-line block ×5, first 2 shown]
	ds_read_b64 v[4:5], v1
	s_waitcnt lgkmcnt(0)
	v_cmp_neq_f64_e32 vcc_lo, 0, v[4:5]
	s_and_b32 exec_lo, exec_lo, vcc_lo
	s_cbranch_execz .LBB105_214
; %bb.213:
	v_div_scale_f64 v[6:7], null, v[4:5], v[4:5], 1.0
	v_rcp_f64_e32 v[8:9], v[6:7]
	v_fma_f64 v[10:11], -v[6:7], v[8:9], 1.0
	v_fma_f64 v[8:9], v[8:9], v[10:11], v[8:9]
	v_fma_f64 v[10:11], -v[6:7], v[8:9], 1.0
	v_fma_f64 v[8:9], v[8:9], v[10:11], v[8:9]
	v_div_scale_f64 v[10:11], vcc_lo, 1.0, v[4:5], 1.0
	v_mul_f64 v[12:13], v[10:11], v[8:9]
	v_fma_f64 v[6:7], -v[6:7], v[12:13], v[10:11]
	v_div_fmas_f64 v[6:7], v[6:7], v[8:9], v[12:13]
	v_div_fixup_f64 v[4:5], v[6:7], v[4:5], 1.0
	ds_write_b64 v1, v[4:5]
.LBB105_214:
	s_or_b32 exec_lo, exec_lo, s1
	s_waitcnt lgkmcnt(0)
	s_barrier
	buffer_gl0_inv
	ds_read_b64 v[220:221], v1
	s_mov_b32 s1, exec_lo
	v_cmpx_lt_u32_e32 42, v0
	s_cbranch_execz .LBB105_216
; %bb.215:
	s_waitcnt lgkmcnt(0)
	v_mul_f64 v[152:153], v[220:221], v[152:153]
	ds_read2_b64 v[4:7], v24 offset0:43 offset1:44
	s_waitcnt lgkmcnt(0)
	v_fma_f64 v[118:119], -v[152:153], v[4:5], v[118:119]
	v_fma_f64 v[150:151], -v[152:153], v[6:7], v[150:151]
	ds_read2_b64 v[4:7], v24 offset0:45 offset1:46
	s_waitcnt lgkmcnt(0)
	v_fma_f64 v[116:117], -v[152:153], v[4:5], v[116:117]
	v_fma_f64 v[148:149], -v[152:153], v[6:7], v[148:149]
	;; [unrolled: 4-line block ×5, first 2 shown]
.LBB105_216:
	s_or_b32 exec_lo, exec_lo, s1
	s_mov_b32 s1, exec_lo
	s_waitcnt lgkmcnt(0)
	s_barrier
	buffer_gl0_inv
	v_cmpx_eq_u32_e32 43, v0
	s_cbranch_execz .LBB105_219
; %bb.217:
	v_mov_b32_e32 v4, v150
	v_mov_b32_e32 v5, v151
	;; [unrolled: 1-line block ×4, first 2 shown]
	ds_write_b64 v1, v[118:119]
	ds_write2_b64 v24, v[4:5], v[6:7] offset0:44 offset1:45
	v_mov_b32_e32 v4, v148
	v_mov_b32_e32 v5, v149
	v_mov_b32_e32 v6, v114
	v_mov_b32_e32 v7, v115
	ds_write2_b64 v24, v[4:5], v[6:7] offset0:46 offset1:47
	v_mov_b32_e32 v4, v146
	v_mov_b32_e32 v5, v147
	v_mov_b32_e32 v6, v112
	v_mov_b32_e32 v7, v113
	;; [unrolled: 5-line block ×3, first 2 shown]
	ds_write2_b64 v24, v[4:5], v[6:7] offset0:50 offset1:51
	ds_write_b64 v24, v[214:215] offset:416
	ds_read_b64 v[4:5], v1
	s_waitcnt lgkmcnt(0)
	v_cmp_neq_f64_e32 vcc_lo, 0, v[4:5]
	s_and_b32 exec_lo, exec_lo, vcc_lo
	s_cbranch_execz .LBB105_219
; %bb.218:
	v_div_scale_f64 v[6:7], null, v[4:5], v[4:5], 1.0
	v_rcp_f64_e32 v[8:9], v[6:7]
	v_fma_f64 v[10:11], -v[6:7], v[8:9], 1.0
	v_fma_f64 v[8:9], v[8:9], v[10:11], v[8:9]
	v_fma_f64 v[10:11], -v[6:7], v[8:9], 1.0
	v_fma_f64 v[8:9], v[8:9], v[10:11], v[8:9]
	v_div_scale_f64 v[10:11], vcc_lo, 1.0, v[4:5], 1.0
	v_mul_f64 v[12:13], v[10:11], v[8:9]
	v_fma_f64 v[6:7], -v[6:7], v[12:13], v[10:11]
	v_div_fmas_f64 v[6:7], v[6:7], v[8:9], v[12:13]
	v_div_fixup_f64 v[4:5], v[6:7], v[4:5], 1.0
	ds_write_b64 v1, v[4:5]
.LBB105_219:
	s_or_b32 exec_lo, exec_lo, s1
	s_waitcnt lgkmcnt(0)
	s_barrier
	buffer_gl0_inv
	ds_read_b64 v[4:5], v1
	s_mov_b32 s1, exec_lo
	v_cmpx_lt_u32_e32 43, v0
	s_cbranch_execz .LBB105_221
; %bb.220:
	s_waitcnt lgkmcnt(0)
	v_mul_f64 v[118:119], v[4:5], v[118:119]
	ds_read2_b64 v[6:9], v24 offset0:44 offset1:45
	s_waitcnt lgkmcnt(0)
	v_fma_f64 v[150:151], -v[118:119], v[6:7], v[150:151]
	v_fma_f64 v[116:117], -v[118:119], v[8:9], v[116:117]
	ds_read2_b64 v[6:9], v24 offset0:46 offset1:47
	s_waitcnt lgkmcnt(0)
	v_fma_f64 v[148:149], -v[118:119], v[6:7], v[148:149]
	v_fma_f64 v[114:115], -v[118:119], v[8:9], v[114:115]
	;; [unrolled: 4-line block ×3, first 2 shown]
	ds_read2_b64 v[6:9], v24 offset0:50 offset1:51
	s_waitcnt lgkmcnt(0)
	v_fma_f64 v[144:145], -v[118:119], v[6:7], v[144:145]
	ds_read_b64 v[6:7], v24 offset:416
	v_fma_f64 v[110:111], -v[118:119], v[8:9], v[110:111]
	s_waitcnt lgkmcnt(0)
	v_fma_f64 v[214:215], -v[118:119], v[6:7], v[214:215]
.LBB105_221:
	s_or_b32 exec_lo, exec_lo, s1
	s_mov_b32 s1, exec_lo
	s_waitcnt lgkmcnt(0)
	s_barrier
	buffer_gl0_inv
	v_cmpx_eq_u32_e32 44, v0
	s_cbranch_execz .LBB105_224
; %bb.222:
	ds_write_b64 v1, v[150:151]
	ds_write2_b64 v24, v[116:117], v[148:149] offset0:45 offset1:46
	ds_write2_b64 v24, v[114:115], v[146:147] offset0:47 offset1:48
	;; [unrolled: 1-line block ×4, first 2 shown]
	ds_read_b64 v[6:7], v1
	s_waitcnt lgkmcnt(0)
	v_cmp_neq_f64_e32 vcc_lo, 0, v[6:7]
	s_and_b32 exec_lo, exec_lo, vcc_lo
	s_cbranch_execz .LBB105_224
; %bb.223:
	v_div_scale_f64 v[8:9], null, v[6:7], v[6:7], 1.0
	v_rcp_f64_e32 v[10:11], v[8:9]
	v_fma_f64 v[12:13], -v[8:9], v[10:11], 1.0
	v_fma_f64 v[10:11], v[10:11], v[12:13], v[10:11]
	v_fma_f64 v[12:13], -v[8:9], v[10:11], 1.0
	v_fma_f64 v[10:11], v[10:11], v[12:13], v[10:11]
	v_div_scale_f64 v[12:13], vcc_lo, 1.0, v[6:7], 1.0
	v_mul_f64 v[14:15], v[12:13], v[10:11]
	v_fma_f64 v[8:9], -v[8:9], v[14:15], v[12:13]
	v_div_fmas_f64 v[8:9], v[8:9], v[10:11], v[14:15]
	v_div_fixup_f64 v[6:7], v[8:9], v[6:7], 1.0
	ds_write_b64 v1, v[6:7]
.LBB105_224:
	s_or_b32 exec_lo, exec_lo, s1
	s_waitcnt lgkmcnt(0)
	s_barrier
	buffer_gl0_inv
	ds_read_b64 v[6:7], v1
	s_mov_b32 s1, exec_lo
	v_cmpx_lt_u32_e32 44, v0
	s_cbranch_execz .LBB105_226
; %bb.225:
	s_waitcnt lgkmcnt(0)
	v_mul_f64 v[150:151], v[6:7], v[150:151]
	ds_read2_b64 v[8:11], v24 offset0:45 offset1:46
	s_waitcnt lgkmcnt(0)
	v_fma_f64 v[116:117], -v[150:151], v[8:9], v[116:117]
	v_fma_f64 v[148:149], -v[150:151], v[10:11], v[148:149]
	ds_read2_b64 v[8:11], v24 offset0:47 offset1:48
	s_waitcnt lgkmcnt(0)
	v_fma_f64 v[114:115], -v[150:151], v[8:9], v[114:115]
	v_fma_f64 v[146:147], -v[150:151], v[10:11], v[146:147]
	;; [unrolled: 4-line block ×4, first 2 shown]
.LBB105_226:
	s_or_b32 exec_lo, exec_lo, s1
	s_mov_b32 s1, exec_lo
	s_waitcnt lgkmcnt(0)
	s_barrier
	buffer_gl0_inv
	v_cmpx_eq_u32_e32 45, v0
	s_cbranch_execz .LBB105_229
; %bb.227:
	v_mov_b32_e32 v8, v148
	v_mov_b32_e32 v9, v149
	v_mov_b32_e32 v10, v114
	v_mov_b32_e32 v11, v115
	ds_write_b64 v1, v[116:117]
	ds_write2_b64 v24, v[8:9], v[10:11] offset0:46 offset1:47
	v_mov_b32_e32 v8, v146
	v_mov_b32_e32 v9, v147
	;; [unrolled: 1-line block ×4, first 2 shown]
	ds_write2_b64 v24, v[8:9], v[10:11] offset0:48 offset1:49
	v_mov_b32_e32 v8, v144
	v_mov_b32_e32 v9, v145
	;; [unrolled: 1-line block ×4, first 2 shown]
	ds_write2_b64 v24, v[8:9], v[10:11] offset0:50 offset1:51
	ds_write_b64 v24, v[214:215] offset:416
	ds_read_b64 v[8:9], v1
	s_waitcnt lgkmcnt(0)
	v_cmp_neq_f64_e32 vcc_lo, 0, v[8:9]
	s_and_b32 exec_lo, exec_lo, vcc_lo
	s_cbranch_execz .LBB105_229
; %bb.228:
	v_div_scale_f64 v[10:11], null, v[8:9], v[8:9], 1.0
	v_rcp_f64_e32 v[12:13], v[10:11]
	v_fma_f64 v[14:15], -v[10:11], v[12:13], 1.0
	v_fma_f64 v[12:13], v[12:13], v[14:15], v[12:13]
	v_fma_f64 v[14:15], -v[10:11], v[12:13], 1.0
	v_fma_f64 v[12:13], v[12:13], v[14:15], v[12:13]
	v_div_scale_f64 v[14:15], vcc_lo, 1.0, v[8:9], 1.0
	v_mul_f64 v[16:17], v[14:15], v[12:13]
	v_fma_f64 v[10:11], -v[10:11], v[16:17], v[14:15]
	v_div_fmas_f64 v[10:11], v[10:11], v[12:13], v[16:17]
	v_div_fixup_f64 v[8:9], v[10:11], v[8:9], 1.0
	ds_write_b64 v1, v[8:9]
.LBB105_229:
	s_or_b32 exec_lo, exec_lo, s1
	s_waitcnt lgkmcnt(0)
	s_barrier
	buffer_gl0_inv
	ds_read_b64 v[10:11], v1
	s_mov_b32 s1, exec_lo
	v_cmpx_lt_u32_e32 45, v0
	s_cbranch_execz .LBB105_231
; %bb.230:
	s_waitcnt lgkmcnt(0)
	v_mul_f64 v[116:117], v[10:11], v[116:117]
	ds_read2_b64 v[12:15], v24 offset0:46 offset1:47
	ds_read_b64 v[8:9], v24 offset:416
	s_waitcnt lgkmcnt(1)
	v_fma_f64 v[148:149], -v[116:117], v[12:13], v[148:149]
	v_fma_f64 v[114:115], -v[116:117], v[14:15], v[114:115]
	ds_read2_b64 v[12:15], v24 offset0:48 offset1:49
	s_waitcnt lgkmcnt(1)
	v_fma_f64 v[214:215], -v[116:117], v[8:9], v[214:215]
	s_waitcnt lgkmcnt(0)
	v_fma_f64 v[146:147], -v[116:117], v[12:13], v[146:147]
	v_fma_f64 v[112:113], -v[116:117], v[14:15], v[112:113]
	ds_read2_b64 v[12:15], v24 offset0:50 offset1:51
	s_waitcnt lgkmcnt(0)
	v_fma_f64 v[144:145], -v[116:117], v[12:13], v[144:145]
	v_fma_f64 v[110:111], -v[116:117], v[14:15], v[110:111]
.LBB105_231:
	s_or_b32 exec_lo, exec_lo, s1
	s_mov_b32 s1, exec_lo
	s_waitcnt lgkmcnt(0)
	s_barrier
	buffer_gl0_inv
	v_cmpx_eq_u32_e32 46, v0
	s_cbranch_execz .LBB105_234
; %bb.232:
	ds_write_b64 v1, v[148:149]
	ds_write2_b64 v24, v[114:115], v[146:147] offset0:47 offset1:48
	ds_write2_b64 v24, v[112:113], v[144:145] offset0:49 offset1:50
	ds_write2_b64 v24, v[110:111], v[214:215] offset0:51 offset1:52
	ds_read_b64 v[8:9], v1
	s_waitcnt lgkmcnt(0)
	v_cmp_neq_f64_e32 vcc_lo, 0, v[8:9]
	s_and_b32 exec_lo, exec_lo, vcc_lo
	s_cbranch_execz .LBB105_234
; %bb.233:
	v_div_scale_f64 v[12:13], null, v[8:9], v[8:9], 1.0
	v_rcp_f64_e32 v[14:15], v[12:13]
	v_fma_f64 v[16:17], -v[12:13], v[14:15], 1.0
	v_fma_f64 v[14:15], v[14:15], v[16:17], v[14:15]
	v_fma_f64 v[16:17], -v[12:13], v[14:15], 1.0
	v_fma_f64 v[14:15], v[14:15], v[16:17], v[14:15]
	v_div_scale_f64 v[16:17], vcc_lo, 1.0, v[8:9], 1.0
	v_mul_f64 v[18:19], v[16:17], v[14:15]
	v_fma_f64 v[12:13], -v[12:13], v[18:19], v[16:17]
	v_div_fmas_f64 v[12:13], v[12:13], v[14:15], v[18:19]
	v_div_fixup_f64 v[8:9], v[12:13], v[8:9], 1.0
	ds_write_b64 v1, v[8:9]
.LBB105_234:
	s_or_b32 exec_lo, exec_lo, s1
	s_waitcnt lgkmcnt(0)
	s_barrier
	buffer_gl0_inv
	ds_read_b64 v[12:13], v1
	s_mov_b32 s1, exec_lo
	v_cmpx_lt_u32_e32 46, v0
	s_cbranch_execz .LBB105_236
; %bb.235:
	s_waitcnt lgkmcnt(0)
	v_mul_f64 v[148:149], v[12:13], v[148:149]
	ds_read2_b64 v[14:17], v24 offset0:47 offset1:48
	s_waitcnt lgkmcnt(0)
	v_fma_f64 v[114:115], -v[148:149], v[14:15], v[114:115]
	v_fma_f64 v[146:147], -v[148:149], v[16:17], v[146:147]
	ds_read2_b64 v[14:17], v24 offset0:49 offset1:50
	s_waitcnt lgkmcnt(0)
	v_fma_f64 v[112:113], -v[148:149], v[14:15], v[112:113]
	v_fma_f64 v[144:145], -v[148:149], v[16:17], v[144:145]
	;; [unrolled: 4-line block ×3, first 2 shown]
.LBB105_236:
	s_or_b32 exec_lo, exec_lo, s1
	s_mov_b32 s1, exec_lo
	s_waitcnt lgkmcnt(0)
	s_barrier
	buffer_gl0_inv
	v_cmpx_eq_u32_e32 47, v0
	s_cbranch_execz .LBB105_239
; %bb.237:
	v_mov_b32_e32 v8, v146
	v_mov_b32_e32 v9, v147
	v_mov_b32_e32 v14, v112
	v_mov_b32_e32 v15, v113
	ds_write_b64 v1, v[114:115]
	ds_write2_b64 v24, v[8:9], v[14:15] offset0:48 offset1:49
	v_mov_b32_e32 v8, v144
	v_mov_b32_e32 v9, v145
	;; [unrolled: 1-line block ×4, first 2 shown]
	ds_write2_b64 v24, v[8:9], v[14:15] offset0:50 offset1:51
	ds_write_b64 v24, v[214:215] offset:416
	ds_read_b64 v[8:9], v1
	s_waitcnt lgkmcnt(0)
	v_cmp_neq_f64_e32 vcc_lo, 0, v[8:9]
	s_and_b32 exec_lo, exec_lo, vcc_lo
	s_cbranch_execz .LBB105_239
; %bb.238:
	v_div_scale_f64 v[14:15], null, v[8:9], v[8:9], 1.0
	v_rcp_f64_e32 v[16:17], v[14:15]
	v_fma_f64 v[18:19], -v[14:15], v[16:17], 1.0
	v_fma_f64 v[16:17], v[16:17], v[18:19], v[16:17]
	v_fma_f64 v[18:19], -v[14:15], v[16:17], 1.0
	v_fma_f64 v[16:17], v[16:17], v[18:19], v[16:17]
	v_div_scale_f64 v[18:19], vcc_lo, 1.0, v[8:9], 1.0
	v_mul_f64 v[20:21], v[18:19], v[16:17]
	v_fma_f64 v[14:15], -v[14:15], v[20:21], v[18:19]
	v_div_fmas_f64 v[14:15], v[14:15], v[16:17], v[20:21]
	v_div_fixup_f64 v[8:9], v[14:15], v[8:9], 1.0
	ds_write_b64 v1, v[8:9]
.LBB105_239:
	s_or_b32 exec_lo, exec_lo, s1
	s_waitcnt lgkmcnt(0)
	s_barrier
	buffer_gl0_inv
	ds_read_b64 v[14:15], v1
	s_mov_b32 s1, exec_lo
	v_cmpx_lt_u32_e32 47, v0
	s_cbranch_execz .LBB105_241
; %bb.240:
	s_waitcnt lgkmcnt(0)
	v_mul_f64 v[114:115], v[14:15], v[114:115]
	ds_read2_b64 v[16:19], v24 offset0:48 offset1:49
	ds_read_b64 v[8:9], v24 offset:416
	s_waitcnt lgkmcnt(1)
	v_fma_f64 v[146:147], -v[114:115], v[16:17], v[146:147]
	v_fma_f64 v[112:113], -v[114:115], v[18:19], v[112:113]
	ds_read2_b64 v[16:19], v24 offset0:50 offset1:51
	s_waitcnt lgkmcnt(1)
	v_fma_f64 v[214:215], -v[114:115], v[8:9], v[214:215]
	s_waitcnt lgkmcnt(0)
	v_fma_f64 v[144:145], -v[114:115], v[16:17], v[144:145]
	v_fma_f64 v[110:111], -v[114:115], v[18:19], v[110:111]
.LBB105_241:
	s_or_b32 exec_lo, exec_lo, s1
	s_mov_b32 s1, exec_lo
	s_waitcnt lgkmcnt(0)
	s_barrier
	buffer_gl0_inv
	v_cmpx_eq_u32_e32 48, v0
	s_cbranch_execz .LBB105_244
; %bb.242:
	ds_write_b64 v1, v[146:147]
	ds_write2_b64 v24, v[112:113], v[144:145] offset0:49 offset1:50
	ds_write2_b64 v24, v[110:111], v[214:215] offset0:51 offset1:52
	ds_read_b64 v[8:9], v1
	s_waitcnt lgkmcnt(0)
	v_cmp_neq_f64_e32 vcc_lo, 0, v[8:9]
	s_and_b32 exec_lo, exec_lo, vcc_lo
	s_cbranch_execz .LBB105_244
; %bb.243:
	v_div_scale_f64 v[16:17], null, v[8:9], v[8:9], 1.0
	v_rcp_f64_e32 v[18:19], v[16:17]
	v_fma_f64 v[20:21], -v[16:17], v[18:19], 1.0
	v_fma_f64 v[18:19], v[18:19], v[20:21], v[18:19]
	v_fma_f64 v[20:21], -v[16:17], v[18:19], 1.0
	v_fma_f64 v[18:19], v[18:19], v[20:21], v[18:19]
	v_div_scale_f64 v[20:21], vcc_lo, 1.0, v[8:9], 1.0
	v_mul_f64 v[22:23], v[20:21], v[18:19]
	v_fma_f64 v[16:17], -v[16:17], v[22:23], v[20:21]
	v_div_fmas_f64 v[16:17], v[16:17], v[18:19], v[22:23]
	v_div_fixup_f64 v[8:9], v[16:17], v[8:9], 1.0
	ds_write_b64 v1, v[8:9]
.LBB105_244:
	s_or_b32 exec_lo, exec_lo, s1
	s_waitcnt lgkmcnt(0)
	s_barrier
	buffer_gl0_inv
	ds_read_b64 v[16:17], v1
	s_mov_b32 s1, exec_lo
	v_cmpx_lt_u32_e32 48, v0
	s_cbranch_execz .LBB105_246
; %bb.245:
	s_waitcnt lgkmcnt(0)
	v_mul_f64 v[146:147], v[16:17], v[146:147]
	ds_read2_b64 v[18:21], v24 offset0:49 offset1:50
	s_waitcnt lgkmcnt(0)
	v_fma_f64 v[112:113], -v[146:147], v[18:19], v[112:113]
	v_fma_f64 v[144:145], -v[146:147], v[20:21], v[144:145]
	ds_read2_b64 v[18:21], v24 offset0:51 offset1:52
	s_waitcnt lgkmcnt(0)
	v_fma_f64 v[110:111], -v[146:147], v[18:19], v[110:111]
	v_fma_f64 v[214:215], -v[146:147], v[20:21], v[214:215]
.LBB105_246:
	s_or_b32 exec_lo, exec_lo, s1
	s_mov_b32 s1, exec_lo
	s_waitcnt lgkmcnt(0)
	s_barrier
	buffer_gl0_inv
	v_cmpx_eq_u32_e32 49, v0
	s_cbranch_execz .LBB105_249
; %bb.247:
	v_mov_b32_e32 v8, v144
	v_mov_b32_e32 v9, v145
	;; [unrolled: 1-line block ×4, first 2 shown]
	ds_write_b64 v1, v[112:113]
	ds_write2_b64 v24, v[8:9], v[18:19] offset0:50 offset1:51
	ds_write_b64 v24, v[214:215] offset:416
	ds_read_b64 v[8:9], v1
	s_waitcnt lgkmcnt(0)
	v_cmp_neq_f64_e32 vcc_lo, 0, v[8:9]
	s_and_b32 exec_lo, exec_lo, vcc_lo
	s_cbranch_execz .LBB105_249
; %bb.248:
	v_div_scale_f64 v[18:19], null, v[8:9], v[8:9], 1.0
	v_rcp_f64_e32 v[20:21], v[18:19]
	v_fma_f64 v[22:23], -v[18:19], v[20:21], 1.0
	v_fma_f64 v[20:21], v[20:21], v[22:23], v[20:21]
	v_fma_f64 v[22:23], -v[18:19], v[20:21], 1.0
	v_fma_f64 v[20:21], v[20:21], v[22:23], v[20:21]
	v_div_scale_f64 v[22:23], vcc_lo, 1.0, v[8:9], 1.0
	v_mul_f64 v[25:26], v[22:23], v[20:21]
	v_fma_f64 v[18:19], -v[18:19], v[25:26], v[22:23]
	v_div_fmas_f64 v[18:19], v[18:19], v[20:21], v[25:26]
	v_div_fixup_f64 v[8:9], v[18:19], v[8:9], 1.0
	ds_write_b64 v1, v[8:9]
.LBB105_249:
	s_or_b32 exec_lo, exec_lo, s1
	s_waitcnt lgkmcnt(0)
	s_barrier
	buffer_gl0_inv
	ds_read_b64 v[18:19], v1
	s_mov_b32 s1, exec_lo
	v_cmpx_lt_u32_e32 49, v0
	s_cbranch_execz .LBB105_251
; %bb.250:
	s_waitcnt lgkmcnt(0)
	v_mul_f64 v[112:113], v[18:19], v[112:113]
	ds_read2_b64 v[20:23], v24 offset0:50 offset1:51
	ds_read_b64 v[8:9], v24 offset:416
	s_waitcnt lgkmcnt(1)
	v_fma_f64 v[144:145], -v[112:113], v[20:21], v[144:145]
	v_fma_f64 v[110:111], -v[112:113], v[22:23], v[110:111]
	s_waitcnt lgkmcnt(0)
	v_fma_f64 v[214:215], -v[112:113], v[8:9], v[214:215]
.LBB105_251:
	s_or_b32 exec_lo, exec_lo, s1
	s_mov_b32 s1, exec_lo
	s_waitcnt lgkmcnt(0)
	s_barrier
	buffer_gl0_inv
	v_cmpx_eq_u32_e32 50, v0
	s_cbranch_execz .LBB105_254
; %bb.252:
	ds_write_b64 v1, v[144:145]
	ds_write2_b64 v24, v[110:111], v[214:215] offset0:51 offset1:52
	ds_read_b64 v[8:9], v1
	s_waitcnt lgkmcnt(0)
	v_cmp_neq_f64_e32 vcc_lo, 0, v[8:9]
	s_and_b32 exec_lo, exec_lo, vcc_lo
	s_cbranch_execz .LBB105_254
; %bb.253:
	v_div_scale_f64 v[20:21], null, v[8:9], v[8:9], 1.0
	v_rcp_f64_e32 v[22:23], v[20:21]
	v_fma_f64 v[25:26], -v[20:21], v[22:23], 1.0
	v_fma_f64 v[22:23], v[22:23], v[25:26], v[22:23]
	v_fma_f64 v[25:26], -v[20:21], v[22:23], 1.0
	v_fma_f64 v[22:23], v[22:23], v[25:26], v[22:23]
	v_div_scale_f64 v[25:26], vcc_lo, 1.0, v[8:9], 1.0
	v_mul_f64 v[27:28], v[25:26], v[22:23]
	v_fma_f64 v[20:21], -v[20:21], v[27:28], v[25:26]
	v_div_fmas_f64 v[20:21], v[20:21], v[22:23], v[27:28]
	v_div_fixup_f64 v[8:9], v[20:21], v[8:9], 1.0
	ds_write_b64 v1, v[8:9]
.LBB105_254:
	s_or_b32 exec_lo, exec_lo, s1
	s_waitcnt lgkmcnt(0)
	s_barrier
	buffer_gl0_inv
	ds_read_b64 v[20:21], v1
	s_mov_b32 s1, exec_lo
	v_cmpx_lt_u32_e32 50, v0
	s_cbranch_execz .LBB105_256
; %bb.255:
	s_waitcnt lgkmcnt(0)
	v_mul_f64 v[144:145], v[20:21], v[144:145]
	ds_read2_b64 v[25:28], v24 offset0:51 offset1:52
	s_waitcnt lgkmcnt(0)
	v_fma_f64 v[110:111], -v[144:145], v[25:26], v[110:111]
	v_fma_f64 v[214:215], -v[144:145], v[27:28], v[214:215]
.LBB105_256:
	s_or_b32 exec_lo, exec_lo, s1
	s_mov_b32 s1, exec_lo
	s_waitcnt lgkmcnt(0)
	s_barrier
	buffer_gl0_inv
	v_cmpx_eq_u32_e32 51, v0
	s_cbranch_execz .LBB105_259
; %bb.257:
	ds_write_b64 v1, v[110:111]
	ds_write_b64 v24, v[214:215] offset:416
	ds_read_b64 v[8:9], v1
	s_waitcnt lgkmcnt(0)
	v_cmp_neq_f64_e32 vcc_lo, 0, v[8:9]
	s_and_b32 exec_lo, exec_lo, vcc_lo
	s_cbranch_execz .LBB105_259
; %bb.258:
	v_div_scale_f64 v[22:23], null, v[8:9], v[8:9], 1.0
	v_mov_b32_e32 v96, v92
	v_mov_b32_e32 v95, v91
	;; [unrolled: 1-line block ×20, first 2 shown]
	v_rcp_f64_e32 v[25:26], v[22:23]
	v_mov_b32_e32 v56, v52
	v_mov_b32_e32 v55, v51
	;; [unrolled: 1-line block ×23, first 2 shown]
	v_fma_f64 v[27:28], -v[22:23], v[25:26], 1.0
	v_mov_b32_e32 v81, v77
	v_mov_b32_e32 v78, v74
	;; [unrolled: 1-line block ×21, first 2 shown]
	v_fma_f64 v[25:26], v[25:26], v[27:28], v[25:26]
	v_mov_b32_e32 v32, v107
	v_mov_b32_e32 v42, v105
	v_mov_b32_e32 v105, v230
	v_mov_b32_e32 v106, v231
	v_mov_b32_e32 v231, v229
	v_mov_b32_e32 v230, v228
	v_mov_b32_e32 v229, v227
	v_mov_b32_e32 v228, v226
	v_mov_b32_e32 v227, v225
	v_mov_b32_e32 v226, v224
	v_mov_b32_e32 v104, v103
	v_mov_b32_e32 v103, v102
	v_mov_b32_e32 v224, v226
	v_mov_b32_e32 v225, v227
	v_mov_b32_e32 v226, v228
	v_mov_b32_e32 v227, v229
	v_mov_b32_e32 v228, v230
	v_mov_b32_e32 v229, v231
	v_mov_b32_e32 v231, v106
	v_fma_f64 v[27:28], -v[22:23], v[25:26], 1.0
	v_mov_b32_e32 v230, v105
	v_mov_b32_e32 v107, v32
	;; [unrolled: 1-line block ×21, first 2 shown]
	v_fma_f64 v[25:26], v[25:26], v[27:28], v[25:26]
	v_div_scale_f64 v[27:28], vcc_lo, 1.0, v[8:9], 1.0
	v_mov_b32_e32 v69, v73
	v_mov_b32_e32 v70, v74
	;; [unrolled: 1-line block ×14, first 2 shown]
	v_mul_f64 v[29:30], v[27:28], v[25:26]
	v_fma_f64 v[22:23], -v[22:23], v[29:30], v[27:28]
	v_div_fmas_f64 v[22:23], v[22:23], v[25:26], v[29:30]
	v_mov_b32_e32 v30, v35
	v_mov_b32_e32 v31, v36
	;; [unrolled: 1-line block ×21, first 2 shown]
	v_div_fixup_f64 v[8:9], v[22:23], v[8:9], 1.0
	v_mov_b32_e32 v68, v72
	v_mov_b32_e32 v71, v75
	;; [unrolled: 1-line block ×13, first 2 shown]
	ds_write_b64 v1, v[8:9]
.LBB105_259:
	s_or_b32 exec_lo, exec_lo, s1
	s_waitcnt lgkmcnt(0)
	s_barrier
	buffer_gl0_inv
	ds_read_b64 v[22:23], v1
	s_mov_b32 s1, exec_lo
	v_cmpx_lt_u32_e32 51, v0
	s_cbranch_execz .LBB105_261
; %bb.260:
	s_waitcnt lgkmcnt(0)
	v_mul_f64 v[110:111], v[22:23], v[110:111]
	ds_read_b64 v[8:9], v24 offset:416
	s_waitcnt lgkmcnt(0)
	v_fma_f64 v[214:215], -v[110:111], v[8:9], v[214:215]
.LBB105_261:
	s_or_b32 exec_lo, exec_lo, s1
	s_mov_b32 s1, exec_lo
	s_waitcnt lgkmcnt(0)
	s_barrier
	buffer_gl0_inv
	v_cmpx_eq_u32_e32 52, v0
	s_cbranch_execz .LBB105_264
; %bb.262:
	v_cmp_neq_f64_e32 vcc_lo, 0, v[214:215]
	ds_write_b64 v1, v[214:215]
	s_and_b32 exec_lo, exec_lo, vcc_lo
	s_cbranch_execz .LBB105_264
; %bb.263:
	v_div_scale_f64 v[8:9], null, v[214:215], v[214:215], 1.0
	v_rcp_f64_e32 v[24:25], v[8:9]
	v_fma_f64 v[26:27], -v[8:9], v[24:25], 1.0
	v_fma_f64 v[24:25], v[24:25], v[26:27], v[24:25]
	v_fma_f64 v[26:27], -v[8:9], v[24:25], 1.0
	v_fma_f64 v[24:25], v[24:25], v[26:27], v[24:25]
	v_div_scale_f64 v[26:27], vcc_lo, 1.0, v[214:215], 1.0
	v_mul_f64 v[28:29], v[26:27], v[24:25]
	v_fma_f64 v[8:9], -v[8:9], v[28:29], v[26:27]
	v_div_fmas_f64 v[8:9], v[8:9], v[24:25], v[28:29]
	v_div_fixup_f64 v[8:9], v[8:9], v[214:215], 1.0
	ds_write_b64 v1, v[8:9]
.LBB105_264:
	s_or_b32 exec_lo, exec_lo, s1
	s_waitcnt lgkmcnt(0)
	s_barrier
	buffer_gl0_inv
	ds_read_b64 v[8:9], v1
	s_waitcnt lgkmcnt(0)
	s_barrier
	buffer_gl0_inv
	s_and_saveexec_b32 s1, s0
	s_cbranch_execz .LBB105_267
; %bb.265:
	v_cmp_eq_f64_e32 vcc_lo, 0, v[43:44]
	v_cmp_neq_f64_e64 s0, 0, v[45:46]
	s_load_dwordx2 s[2:3], s[4:5], 0x28
	v_cndmask_b32_e64 v1, 0, 1, vcc_lo
	s_or_b32 vcc_lo, s0, vcc_lo
	v_cndmask_b32_e32 v1, 2, v1, vcc_lo
	v_cmp_eq_f64_e32 vcc_lo, 0, v[47:48]
	v_cmp_eq_u32_e64 s0, 0, v1
	s_and_b32 s0, vcc_lo, s0
	v_cmp_eq_f64_e32 vcc_lo, 0, v[49:50]
	v_cndmask_b32_e64 v1, v1, 3, s0
	v_cmp_eq_u32_e64 s0, 0, v1
	s_and_b32 s0, vcc_lo, s0
	v_cmp_eq_f64_e32 vcc_lo, 0, v[51:52]
	v_cndmask_b32_e64 v1, v1, 4, s0
	;; [unrolled: 4-line block ×50, first 2 shown]
	v_cmp_eq_u32_e64 s0, 0, v1
	s_and_b32 s0, vcc_lo, s0
	v_cndmask_b32_e64 v4, v1, 53, s0
	v_lshlrev_b64 v[1:2], 2, v[2:3]
	v_cmp_ne_u32_e64 s0, 0, v4
	s_waitcnt lgkmcnt(0)
	v_add_co_u32 v1, vcc_lo, s2, v1
	v_add_co_ci_u32_e64 v2, null, s3, v2, vcc_lo
	global_load_dword v3, v[1:2], off
	s_waitcnt vmcnt(0)
	v_cmp_eq_u32_e32 vcc_lo, 0, v3
	s_and_b32 s0, vcc_lo, s0
	s_and_b32 exec_lo, exec_lo, s0
	s_cbranch_execz .LBB105_267
; %bb.266:
	v_add_nc_u32_e32 v3, s9, v4
	global_store_dword v[1:2], v3, off
.LBB105_267:
	s_or_b32 exec_lo, exec_lo, s1
	s_clause 0x1
	buffer_load_dword v3, off, s[12:15], 0 offset:72
	buffer_load_dword v4, off, s[12:15], 0 offset:76
	v_mul_f64 v[1:2], v[8:9], v[214:215]
	v_cmp_lt_u32_e32 vcc_lo, 52, v0
	v_cndmask_b32_e32 v2, v215, v2, vcc_lo
	v_cndmask_b32_e32 v1, v214, v1, vcc_lo
	s_waitcnt vmcnt(0)
	flat_store_dwordx2 v[3:4], v[176:177]
	s_clause 0x1
	buffer_load_dword v3, off, s[12:15], 0 offset:80
	buffer_load_dword v4, off, s[12:15], 0 offset:84
	s_waitcnt vmcnt(0)
	flat_store_dwordx2 v[3:4], v[194:195]
	s_clause 0x1
	buffer_load_dword v3, off, s[12:15], 0
	buffer_load_dword v4, off, s[12:15], 0 offset:4
	s_waitcnt vmcnt(0)
	flat_store_dwordx2 v[3:4], v[212:213]
	s_clause 0x1
	buffer_load_dword v3, off, s[12:15], 0 offset:8
	buffer_load_dword v4, off, s[12:15], 0 offset:12
	s_waitcnt vmcnt(0)
	flat_store_dwordx2 v[3:4], v[192:193]
	s_clause 0x1
	buffer_load_dword v3, off, s[12:15], 0 offset:16
	;; [unrolled: 5-line block ×35, first 2 shown]
	buffer_load_dword v4, off, s[12:15], 0 offset:300
	s_waitcnt vmcnt(0)
	flat_store_dwordx2 v[3:4], v[124:125]
	flat_store_dwordx2 v[102:103], v[156:157]
	s_clause 0x1
	buffer_load_dword v3, off, s[12:15], 0 offset:304
	buffer_load_dword v4, off, s[12:15], 0 offset:308
	s_waitcnt vmcnt(0)
	flat_store_dwordx2 v[3:4], v[122:123]
	flat_store_dwordx2 v[108:109], v[154:155]
	;; [unrolled: 1-line block ×14, first 2 shown]
.LBB105_268:
	s_endpgm
	.section	.rodata,"a",@progbits
	.p2align	6, 0x0
	.amdhsa_kernel _ZN9rocsolver6v33100L23getf2_npvt_small_kernelILi53EdiiPKPdEEvT1_T3_lS5_lPT2_S5_S5_
		.amdhsa_group_segment_fixed_size 0
		.amdhsa_private_segment_fixed_size 316
		.amdhsa_kernarg_size 312
		.amdhsa_user_sgpr_count 6
		.amdhsa_user_sgpr_private_segment_buffer 1
		.amdhsa_user_sgpr_dispatch_ptr 0
		.amdhsa_user_sgpr_queue_ptr 0
		.amdhsa_user_sgpr_kernarg_segment_ptr 1
		.amdhsa_user_sgpr_dispatch_id 0
		.amdhsa_user_sgpr_flat_scratch_init 0
		.amdhsa_user_sgpr_private_segment_size 0
		.amdhsa_wavefront_size32 1
		.amdhsa_uses_dynamic_stack 0
		.amdhsa_system_sgpr_private_segment_wavefront_offset 1
		.amdhsa_system_sgpr_workgroup_id_x 1
		.amdhsa_system_sgpr_workgroup_id_y 1
		.amdhsa_system_sgpr_workgroup_id_z 0
		.amdhsa_system_sgpr_workgroup_info 0
		.amdhsa_system_vgpr_workitem_id 1
		.amdhsa_next_free_vgpr 256
		.amdhsa_next_free_sgpr 16
		.amdhsa_reserve_vcc 1
		.amdhsa_reserve_flat_scratch 1
		.amdhsa_float_round_mode_32 0
		.amdhsa_float_round_mode_16_64 0
		.amdhsa_float_denorm_mode_32 3
		.amdhsa_float_denorm_mode_16_64 3
		.amdhsa_dx10_clamp 1
		.amdhsa_ieee_mode 1
		.amdhsa_fp16_overflow 0
		.amdhsa_workgroup_processor_mode 1
		.amdhsa_memory_ordered 1
		.amdhsa_forward_progress 1
		.amdhsa_shared_vgpr_count 0
		.amdhsa_exception_fp_ieee_invalid_op 0
		.amdhsa_exception_fp_denorm_src 0
		.amdhsa_exception_fp_ieee_div_zero 0
		.amdhsa_exception_fp_ieee_overflow 0
		.amdhsa_exception_fp_ieee_underflow 0
		.amdhsa_exception_fp_ieee_inexact 0
		.amdhsa_exception_int_div_zero 0
	.end_amdhsa_kernel
	.section	.text._ZN9rocsolver6v33100L23getf2_npvt_small_kernelILi53EdiiPKPdEEvT1_T3_lS5_lPT2_S5_S5_,"axG",@progbits,_ZN9rocsolver6v33100L23getf2_npvt_small_kernelILi53EdiiPKPdEEvT1_T3_lS5_lPT2_S5_S5_,comdat
.Lfunc_end105:
	.size	_ZN9rocsolver6v33100L23getf2_npvt_small_kernelILi53EdiiPKPdEEvT1_T3_lS5_lPT2_S5_S5_, .Lfunc_end105-_ZN9rocsolver6v33100L23getf2_npvt_small_kernelILi53EdiiPKPdEEvT1_T3_lS5_lPT2_S5_S5_
                                        ; -- End function
	.set _ZN9rocsolver6v33100L23getf2_npvt_small_kernelILi53EdiiPKPdEEvT1_T3_lS5_lPT2_S5_S5_.num_vgpr, 256
	.set _ZN9rocsolver6v33100L23getf2_npvt_small_kernelILi53EdiiPKPdEEvT1_T3_lS5_lPT2_S5_S5_.num_agpr, 0
	.set _ZN9rocsolver6v33100L23getf2_npvt_small_kernelILi53EdiiPKPdEEvT1_T3_lS5_lPT2_S5_S5_.numbered_sgpr, 16
	.set _ZN9rocsolver6v33100L23getf2_npvt_small_kernelILi53EdiiPKPdEEvT1_T3_lS5_lPT2_S5_S5_.num_named_barrier, 0
	.set _ZN9rocsolver6v33100L23getf2_npvt_small_kernelILi53EdiiPKPdEEvT1_T3_lS5_lPT2_S5_S5_.private_seg_size, 316
	.set _ZN9rocsolver6v33100L23getf2_npvt_small_kernelILi53EdiiPKPdEEvT1_T3_lS5_lPT2_S5_S5_.uses_vcc, 1
	.set _ZN9rocsolver6v33100L23getf2_npvt_small_kernelILi53EdiiPKPdEEvT1_T3_lS5_lPT2_S5_S5_.uses_flat_scratch, 1
	.set _ZN9rocsolver6v33100L23getf2_npvt_small_kernelILi53EdiiPKPdEEvT1_T3_lS5_lPT2_S5_S5_.has_dyn_sized_stack, 0
	.set _ZN9rocsolver6v33100L23getf2_npvt_small_kernelILi53EdiiPKPdEEvT1_T3_lS5_lPT2_S5_S5_.has_recursion, 0
	.set _ZN9rocsolver6v33100L23getf2_npvt_small_kernelILi53EdiiPKPdEEvT1_T3_lS5_lPT2_S5_S5_.has_indirect_call, 0
	.section	.AMDGPU.csdata,"",@progbits
; Kernel info:
; codeLenInByte = 47936
; TotalNumSgprs: 18
; NumVgprs: 256
; ScratchSize: 316
; MemoryBound: 0
; FloatMode: 240
; IeeeMode: 1
; LDSByteSize: 0 bytes/workgroup (compile time only)
; SGPRBlocks: 0
; VGPRBlocks: 31
; NumSGPRsForWavesPerEU: 18
; NumVGPRsForWavesPerEU: 256
; Occupancy: 4
; WaveLimiterHint : 1
; COMPUTE_PGM_RSRC2:SCRATCH_EN: 1
; COMPUTE_PGM_RSRC2:USER_SGPR: 6
; COMPUTE_PGM_RSRC2:TRAP_HANDLER: 0
; COMPUTE_PGM_RSRC2:TGID_X_EN: 1
; COMPUTE_PGM_RSRC2:TGID_Y_EN: 1
; COMPUTE_PGM_RSRC2:TGID_Z_EN: 0
; COMPUTE_PGM_RSRC2:TIDIG_COMP_CNT: 1
	.section	.text._ZN9rocsolver6v33100L18getf2_small_kernelILi54EdiiPKPdEEvT1_T3_lS5_lPS5_llPT2_S5_S5_S7_l,"axG",@progbits,_ZN9rocsolver6v33100L18getf2_small_kernelILi54EdiiPKPdEEvT1_T3_lS5_lPS5_llPT2_S5_S5_S7_l,comdat
	.globl	_ZN9rocsolver6v33100L18getf2_small_kernelILi54EdiiPKPdEEvT1_T3_lS5_lPS5_llPT2_S5_S5_S7_l ; -- Begin function _ZN9rocsolver6v33100L18getf2_small_kernelILi54EdiiPKPdEEvT1_T3_lS5_lPS5_llPT2_S5_S5_S7_l
	.p2align	8
	.type	_ZN9rocsolver6v33100L18getf2_small_kernelILi54EdiiPKPdEEvT1_T3_lS5_lPS5_llPT2_S5_S5_S7_l,@function
_ZN9rocsolver6v33100L18getf2_small_kernelILi54EdiiPKPdEEvT1_T3_lS5_lPS5_llPT2_S5_S5_S7_l: ; @_ZN9rocsolver6v33100L18getf2_small_kernelILi54EdiiPKPdEEvT1_T3_lS5_lPS5_llPT2_S5_S5_S7_l
; %bb.0:
	s_clause 0x1
	s_load_dword s0, s[4:5], 0x6c
	s_load_dwordx2 s[12:13], s[4:5], 0x48
	s_waitcnt lgkmcnt(0)
	s_lshr_b32 s0, s0, 16
	v_mad_u64_u32 v[2:3], null, s7, s0, v[1:2]
	s_mov_b32 s0, exec_lo
	v_cmpx_gt_i32_e64 s12, v2
	s_cbranch_execz .LBB106_915
; %bb.1:
	s_clause 0x1
	s_load_dwordx4 s[0:3], s[4:5], 0x8
	s_load_dwordx4 s[8:11], s[4:5], 0x50
	v_ashrrev_i32_e32 v3, 31, v2
	v_lshlrev_b64 v[4:5], 3, v[2:3]
	s_waitcnt lgkmcnt(0)
	v_add_co_u32 v4, vcc_lo, s0, v4
	v_add_co_ci_u32_e64 v5, null, s1, v5, vcc_lo
	s_cmp_eq_u64 s[8:9], 0
	s_cselect_b32 s6, -1, 0
	global_load_dwordx2 v[6:7], v[4:5], off
	v_mov_b32_e32 v4, 0
	v_mov_b32_e32 v5, 0
	s_and_b32 vcc_lo, exec_lo, s6
	s_cbranch_vccnz .LBB106_3
; %bb.2:
	v_mul_lo_u32 v8, s11, v2
	v_mul_lo_u32 v9, s10, v3
	v_mad_u64_u32 v[4:5], null, s10, v2, 0
	v_add3_u32 v5, v5, v9, v8
	v_lshlrev_b64 v[4:5], 2, v[4:5]
	v_add_co_u32 v4, vcc_lo, s8, v4
	v_add_co_ci_u32_e64 v5, null, s9, v5, vcc_lo
.LBB106_3:
	s_clause 0x1
	s_load_dword s8, s[4:5], 0x18
	s_load_dword s7, s[4:5], 0x0
	s_lshl_b64 s[0:1], s[2:3], 3
	v_lshlrev_b32_e32 v166, 3, v0
	s_waitcnt vmcnt(0)
	v_add_co_u32 v118, vcc_lo, v6, s0
	v_add_co_ci_u32_e64 v119, null, s1, v7, vcc_lo
	s_waitcnt lgkmcnt(0)
	v_add3_u32 v8, s8, s8, v0
	s_ashr_i32 s9, s8, 31
	s_max_i32 s0, s7, 54
	s_lshl_b64 s[10:11], s[8:9], 3
	v_mul_lo_u32 v1, s0, v1
	v_add_nc_u32_e32 v10, s8, v8
	v_ashrrev_i32_e32 v9, 31, v8
	s_cmp_lt_i32 s7, 2
	v_ashrrev_i32_e32 v11, 31, v10
	v_add_nc_u32_e32 v12, s8, v10
	v_lshlrev_b64 v[8:9], 3, v[8:9]
	v_lshlrev_b64 v[6:7], 3, v[10:11]
	v_add_nc_u32_e32 v10, s8, v12
	v_ashrrev_i32_e32 v13, 31, v12
	v_add_co_u32 v8, vcc_lo, v118, v8
	v_add_co_ci_u32_e64 v9, null, v119, v9, vcc_lo
	v_add_nc_u32_e32 v14, s8, v10
	v_ashrrev_i32_e32 v11, 31, v10
	v_lshlrev_b64 v[12:13], 3, v[12:13]
	v_add_co_u32 v6, vcc_lo, v118, v6
	v_add_nc_u32_e32 v16, s8, v14
	v_ashrrev_i32_e32 v15, 31, v14
	v_lshlrev_b64 v[10:11], 3, v[10:11]
	v_add_co_ci_u32_e64 v7, null, v119, v7, vcc_lo
	v_add_nc_u32_e32 v18, s8, v16
	v_ashrrev_i32_e32 v17, 31, v16
	v_lshlrev_b64 v[14:15], 3, v[14:15]
	v_add_co_u32 v12, vcc_lo, v118, v12
	v_add_nc_u32_e32 v20, s8, v18
	v_ashrrev_i32_e32 v19, 31, v18
	v_lshlrev_b64 v[16:17], 3, v[16:17]
	v_add_co_ci_u32_e64 v13, null, v119, v13, vcc_lo
	v_add_nc_u32_e32 v22, s8, v20
	v_ashrrev_i32_e32 v21, 31, v20
	v_add_co_u32 v10, vcc_lo, v118, v10
	v_lshlrev_b64 v[18:19], 3, v[18:19]
	v_add_nc_u32_e32 v24, s8, v22
	v_ashrrev_i32_e32 v23, 31, v22
	v_add_co_ci_u32_e64 v11, null, v119, v11, vcc_lo
	v_add_co_u32 v14, vcc_lo, v118, v14
	v_add_nc_u32_e32 v26, s8, v24
	v_ashrrev_i32_e32 v25, 31, v24
	v_lshlrev_b64 v[20:21], 3, v[20:21]
	v_add_co_ci_u32_e64 v15, null, v119, v15, vcc_lo
	v_add_nc_u32_e32 v28, s8, v26
	v_ashrrev_i32_e32 v27, 31, v26
	v_add_co_u32 v16, vcc_lo, v118, v16
	v_lshlrev_b64 v[22:23], 3, v[22:23]
	v_add_nc_u32_e32 v30, s8, v28
	v_ashrrev_i32_e32 v29, 31, v28
	v_add_co_ci_u32_e64 v17, null, v119, v17, vcc_lo
	v_add_co_u32 v18, vcc_lo, v118, v18
	v_add_nc_u32_e32 v32, s8, v30
	v_lshlrev_b64 v[24:25], 3, v[24:25]
	v_ashrrev_i32_e32 v31, 31, v30
	v_add_co_ci_u32_e64 v19, null, v119, v19, vcc_lo
	v_add_nc_u32_e32 v34, s8, v32
	v_add_co_u32 v20, vcc_lo, v118, v20
	v_lshlrev_b64 v[26:27], 3, v[26:27]
	v_ashrrev_i32_e32 v33, 31, v32
	v_add_nc_u32_e32 v36, s8, v34
	v_add_co_ci_u32_e64 v21, null, v119, v21, vcc_lo
	v_add_co_u32 v22, vcc_lo, v118, v22
	v_add_nc_u32_e32 v38, s8, v36
	v_lshlrev_b64 v[28:29], 3, v[28:29]
	v_ashrrev_i32_e32 v35, 31, v34
	v_add_co_ci_u32_e64 v23, null, v119, v23, vcc_lo
	v_add_nc_u32_e32 v40, s8, v38
	v_add_co_u32 v24, vcc_lo, v118, v24
	v_lshlrev_b64 v[30:31], 3, v[30:31]
	v_ashrrev_i32_e32 v37, 31, v36
	v_add_nc_u32_e32 v42, s8, v40
	;; [unrolled: 11-line block ×4, first 2 shown]
	v_add_co_ci_u32_e64 v33, null, v119, v33, vcc_lo
	v_add_co_u32 v34, vcc_lo, v118, v34
	v_lshlrev_b64 v[40:41], 3, v[40:41]
	v_ashrrev_i32_e32 v47, 31, v46
	v_add_nc_u32_e32 v56, s8, v54
	v_add_co_ci_u32_e64 v35, null, v119, v35, vcc_lo
	v_add_co_u32 v36, vcc_lo, v118, v36
	v_lshlrev_b64 v[42:43], 3, v[42:43]
	v_ashrrev_i32_e32 v49, 31, v48
	v_add_co_ci_u32_e64 v37, null, v119, v37, vcc_lo
	v_add_co_u32 v38, vcc_lo, v118, v38
	v_lshlrev_b64 v[44:45], 3, v[44:45]
	v_ashrrev_i32_e32 v51, 31, v50
	v_add_co_ci_u32_e64 v39, null, v119, v39, vcc_lo
	v_add_co_u32 v40, vcc_lo, v118, v40
	v_lshlrev_b64 v[46:47], 3, v[46:47]
	v_add_nc_u32_e32 v58, s8, v56
	v_ashrrev_i32_e32 v53, 31, v52
	v_add_co_ci_u32_e64 v41, null, v119, v41, vcc_lo
	v_add_co_u32 v42, vcc_lo, v118, v42
	v_lshlrev_b64 v[48:49], 3, v[48:49]
	v_ashrrev_i32_e32 v55, 31, v54
	v_add_co_ci_u32_e64 v43, null, v119, v43, vcc_lo
	v_add_co_u32 v44, vcc_lo, v118, v44
	v_lshlrev_b64 v[50:51], 3, v[50:51]
	v_ashrrev_i32_e32 v57, 31, v56
	v_add_nc_u32_e32 v60, s8, v58
	v_add_co_ci_u32_e64 v45, null, v119, v45, vcc_lo
	v_add_co_u32 v46, vcc_lo, v118, v46
	v_lshlrev_b64 v[52:53], 3, v[52:53]
	v_ashrrev_i32_e32 v59, 31, v58
	v_add_co_ci_u32_e64 v47, null, v119, v47, vcc_lo
	v_add_co_u32 v48, vcc_lo, v118, v48
	v_lshlrev_b64 v[54:55], 3, v[54:55]
	v_add_co_ci_u32_e64 v49, null, v119, v49, vcc_lo
	v_add_co_u32 v50, vcc_lo, v118, v50
	v_lshlrev_b64 v[56:57], 3, v[56:57]
	v_add_nc_u32_e32 v62, s8, v60
	v_add_co_ci_u32_e64 v51, null, v119, v51, vcc_lo
	v_add_co_u32 v52, vcc_lo, v118, v52
	v_lshlrev_b64 v[58:59], 3, v[58:59]
	v_ashrrev_i32_e32 v61, 31, v60
	v_add_co_ci_u32_e64 v53, null, v119, v53, vcc_lo
	v_add_co_u32 v54, vcc_lo, v118, v54
	v_ashrrev_i32_e32 v63, 31, v62
	v_add_nc_u32_e32 v64, s8, v62
	v_add_co_ci_u32_e64 v55, null, v119, v55, vcc_lo
	v_add_co_u32 v56, vcc_lo, v118, v56
	v_lshlrev_b64 v[60:61], 3, v[60:61]
	v_add_co_ci_u32_e64 v57, null, v119, v57, vcc_lo
	v_add_co_u32 v112, vcc_lo, v118, v58
	v_add_co_ci_u32_e64 v113, null, v119, v59, vcc_lo
	v_lshlrev_b64 v[58:59], 3, v[62:63]
	v_ashrrev_i32_e32 v65, 31, v64
	v_add_nc_u32_e32 v62, s8, v64
	v_add_co_u32 v114, vcc_lo, v118, v60
	v_add_co_ci_u32_e64 v115, null, v119, v61, vcc_lo
	v_lshlrev_b64 v[60:61], 3, v[64:65]
	v_ashrrev_i32_e32 v63, 31, v62
	v_add_nc_u32_e32 v64, s8, v62
	;; [unrolled: 5-line block ×20, first 2 shown]
	v_add_co_u32 v154, vcc_lo, v118, v58
	v_add_co_ci_u32_e64 v155, null, v119, v59, vcc_lo
	v_lshlrev_b64 v[58:59], 3, v[62:63]
	v_add_nc_u32_e32 v62, s8, v64
	v_ashrrev_i32_e32 v65, 31, v64
	v_add_co_u32 v156, vcc_lo, v118, v60
	v_add_co_ci_u32_e64 v157, null, v119, v61, vcc_lo
	v_ashrrev_i32_e32 v63, 31, v62
	v_lshlrev_b64 v[60:61], 3, v[64:65]
	v_add_co_u32 v158, vcc_lo, v118, v58
	v_add_co_ci_u32_e64 v159, null, v119, v59, vcc_lo
	v_lshlrev_b64 v[58:59], 3, v[62:63]
	v_add_nc_u32_e32 v62, s8, v62
	v_add_co_u32 v160, vcc_lo, v118, v60
	v_add_co_ci_u32_e64 v161, null, v119, v61, vcc_lo
	v_ashrrev_i32_e32 v63, 31, v62
	v_add_co_u32 v162, vcc_lo, v118, v58
	v_add_co_ci_u32_e64 v163, null, v119, v59, vcc_lo
	v_add_co_u32 v60, vcc_lo, v118, v166
	v_add_co_ci_u32_e64 v61, null, 0, v119, vcc_lo
	v_lshlrev_b64 v[58:59], 3, v[62:63]
	v_add_co_u32 v62, vcc_lo, v60, s10
	v_add_co_ci_u32_e64 v63, null, s11, v61, vcc_lo
	v_add_co_u32 v164, vcc_lo, v118, v58
	v_add_co_ci_u32_e64 v165, null, v119, v59, vcc_lo
	s_clause 0x35
	flat_load_dwordx2 v[110:111], v[60:61]
	flat_load_dwordx2 v[108:109], v[62:63]
	;; [unrolled: 1-line block ×54, first 2 shown]
	v_lshl_add_u32 v120, v1, 3, 0
	v_lshlrev_b32_e32 v121, 3, v1
	v_mov_b32_e32 v116, 0
	v_add_nc_u32_e32 v114, v120, v166
	s_waitcnt vmcnt(53) lgkmcnt(53)
	ds_write_b64 v114, v[110:111]
	s_waitcnt vmcnt(0) lgkmcnt(0)
	s_barrier
	buffer_gl0_inv
	ds_read_b64 v[114:115], v120
	s_cbranch_scc1 .LBB106_6
; %bb.4:
	v_add3_u32 v1, v121, 0, 8
	v_mov_b32_e32 v116, 0
	s_mov_b32 s0, 1
.LBB106_5:                              ; =>This Inner Loop Header: Depth=1
	ds_read_b64 v[122:123], v1
	v_add_nc_u32_e32 v1, 8, v1
	s_waitcnt lgkmcnt(0)
	v_cmp_lt_f64_e64 vcc_lo, |v[114:115]|, |v[122:123]|
	v_cndmask_b32_e32 v115, v115, v123, vcc_lo
	v_cndmask_b32_e32 v114, v114, v122, vcc_lo
	v_cndmask_b32_e64 v116, v116, s0, vcc_lo
	s_add_i32 s0, s0, 1
	s_cmp_eq_u32 s7, s0
	s_cbranch_scc0 .LBB106_5
.LBB106_6:
	s_mov_b32 s0, exec_lo
                                        ; implicit-def: $vgpr123
	v_cmpx_ne_u32_e64 v0, v116
	s_xor_b32 s0, exec_lo, s0
	s_cbranch_execz .LBB106_12
; %bb.7:
	s_mov_b32 s1, exec_lo
	v_cmpx_eq_u32_e32 0, v0
	s_cbranch_execz .LBB106_11
; %bb.8:
	v_cmp_ne_u32_e32 vcc_lo, 0, v116
	s_xor_b32 s2, s6, -1
	s_and_b32 s3, s2, vcc_lo
	s_and_saveexec_b32 s2, s3
	s_cbranch_execz .LBB106_10
; %bb.9:
	v_ashrrev_i32_e32 v117, 31, v116
	v_lshlrev_b64 v[0:1], 2, v[116:117]
	v_add_co_u32 v0, vcc_lo, v4, v0
	v_add_co_ci_u32_e64 v1, null, v5, v1, vcc_lo
	s_clause 0x1
	global_load_dword v117, v[0:1], off
	global_load_dword v122, v[4:5], off
	s_waitcnt vmcnt(1)
	global_store_dword v[4:5], v117, off
	s_waitcnt vmcnt(0)
	global_store_dword v[0:1], v122, off
.LBB106_10:
	s_or_b32 exec_lo, exec_lo, s2
	v_mov_b32_e32 v0, v116
.LBB106_11:
	s_or_b32 exec_lo, exec_lo, s1
	v_mov_b32_e32 v123, v0
                                        ; implicit-def: $vgpr0
.LBB106_12:
	s_or_saveexec_b32 s0, s0
	v_mov_b32_e32 v122, v123
	s_xor_b32 exec_lo, exec_lo, s0
	s_cbranch_execz .LBB106_14
; %bb.13:
	v_mov_b32_e32 v123, 0
	v_mov_b32_e32 v122, v0
	ds_write2_b64 v120, v[108:109], v[106:107] offset0:1 offset1:2
	ds_write2_b64 v120, v[104:105], v[102:103] offset0:3 offset1:4
	;; [unrolled: 1-line block ×26, first 2 shown]
	ds_write_b64 v120, v[112:113] offset:424
.LBB106_14:
	s_or_b32 exec_lo, exec_lo, s0
	s_waitcnt lgkmcnt(0)
	v_cmp_eq_f64_e64 s0, 0, v[114:115]
	s_mov_b32 s1, exec_lo
	s_waitcnt_vscnt null, 0x0
	s_barrier
	buffer_gl0_inv
	v_cmpx_lt_i32_e32 0, v123
	s_cbranch_execz .LBB106_16
; %bb.15:
	v_div_scale_f64 v[0:1], null, v[114:115], v[114:115], 1.0
	v_div_scale_f64 v[126:127], vcc_lo, 1.0, v[114:115], 1.0
	v_rcp_f64_e32 v[116:117], v[0:1]
	v_fma_f64 v[124:125], -v[0:1], v[116:117], 1.0
	v_fma_f64 v[116:117], v[116:117], v[124:125], v[116:117]
	v_fma_f64 v[124:125], -v[0:1], v[116:117], 1.0
	v_fma_f64 v[116:117], v[116:117], v[124:125], v[116:117]
	v_mul_f64 v[124:125], v[126:127], v[116:117]
	v_fma_f64 v[0:1], -v[0:1], v[124:125], v[126:127]
	v_div_fmas_f64 v[0:1], v[0:1], v[116:117], v[124:125]
	v_div_fixup_f64 v[0:1], v[0:1], v[114:115], 1.0
	v_cndmask_b32_e64 v1, v1, v115, s0
	v_cndmask_b32_e64 v0, v0, v114, s0
	ds_read2_b64 v[114:117], v120 offset0:1 offset1:2
	ds_read2_b64 v[124:127], v120 offset0:3 offset1:4
	;; [unrolled: 1-line block ×18, first 2 shown]
	v_mul_f64 v[110:111], v[0:1], v[110:111]
	s_waitcnt lgkmcnt(17)
	v_fma_f64 v[108:109], -v[110:111], v[114:115], v[108:109]
	v_fma_f64 v[106:107], -v[110:111], v[116:117], v[106:107]
	ds_read2_b64 v[114:117], v120 offset0:37 offset1:38
	ds_read2_b64 v[192:195], v120 offset0:39 offset1:40
	s_waitcnt lgkmcnt(18)
	v_fma_f64 v[104:105], -v[110:111], v[124:125], v[104:105]
	v_fma_f64 v[102:103], -v[110:111], v[126:127], v[102:103]
	s_waitcnt lgkmcnt(17)
	v_fma_f64 v[98:99], -v[110:111], v[128:129], v[98:99]
	v_fma_f64 v[100:101], -v[110:111], v[130:131], v[100:101]
	ds_read2_b64 v[124:127], v120 offset0:41 offset1:42
	ds_read2_b64 v[128:131], v120 offset0:43 offset1:44
	s_waitcnt lgkmcnt(18)
	v_fma_f64 v[94:95], -v[110:111], v[132:133], v[94:95]
	v_fma_f64 v[96:97], -v[110:111], v[134:135], v[96:97]
	;; [unrolled: 8-line block ×3, first 2 shown]
	s_waitcnt lgkmcnt(17)
	v_fma_f64 v[84:85], -v[110:111], v[144:145], v[84:85]
	v_fma_f64 v[82:83], -v[110:111], v[146:147], v[82:83]
	ds_read2_b64 v[140:143], v120 offset0:49 offset1:50
	ds_read2_b64 v[144:147], v120 offset0:51 offset1:52
	ds_read_b64 v[0:1], v120 offset:424
	s_waitcnt lgkmcnt(19)
	v_fma_f64 v[78:79], -v[110:111], v[148:149], v[78:79]
	v_fma_f64 v[80:81], -v[110:111], v[150:151], v[80:81]
	s_waitcnt lgkmcnt(18)
	v_fma_f64 v[74:75], -v[110:111], v[152:153], v[74:75]
	v_fma_f64 v[76:77], -v[110:111], v[154:155], v[76:77]
	;; [unrolled: 3-line block ×19, first 2 shown]
	s_waitcnt lgkmcnt(0)
	v_fma_f64 v[112:113], -v[110:111], v[0:1], v[112:113]
.LBB106_16:
	s_or_b32 exec_lo, exec_lo, s1
	v_lshl_add_u32 v0, v123, 3, v120
	s_barrier
	buffer_gl0_inv
	v_mov_b32_e32 v114, 1
	ds_write_b64 v0, v[108:109]
	s_waitcnt lgkmcnt(0)
	s_barrier
	buffer_gl0_inv
	ds_read_b64 v[0:1], v120 offset:8
	s_cmp_lt_i32 s7, 3
	s_cbranch_scc1 .LBB106_19
; %bb.17:
	v_add3_u32 v115, v121, 0, 16
	v_mov_b32_e32 v114, 1
	s_mov_b32 s1, 2
.LBB106_18:                             ; =>This Inner Loop Header: Depth=1
	ds_read_b64 v[116:117], v115
	v_add_nc_u32_e32 v115, 8, v115
	s_waitcnt lgkmcnt(0)
	v_cmp_lt_f64_e64 vcc_lo, |v[0:1]|, |v[116:117]|
	v_cndmask_b32_e32 v1, v1, v117, vcc_lo
	v_cndmask_b32_e32 v0, v0, v116, vcc_lo
	v_cndmask_b32_e64 v114, v114, s1, vcc_lo
	s_add_i32 s1, s1, 1
	s_cmp_lg_u32 s7, s1
	s_cbranch_scc1 .LBB106_18
.LBB106_19:
	s_mov_b32 s1, exec_lo
	v_cmpx_ne_u32_e64 v123, v114
	s_xor_b32 s1, exec_lo, s1
	s_cbranch_execz .LBB106_25
; %bb.20:
	s_mov_b32 s2, exec_lo
	v_cmpx_eq_u32_e32 1, v123
	s_cbranch_execz .LBB106_24
; %bb.21:
	v_cmp_ne_u32_e32 vcc_lo, 1, v114
	s_xor_b32 s3, s6, -1
	s_and_b32 s9, s3, vcc_lo
	s_and_saveexec_b32 s3, s9
	s_cbranch_execz .LBB106_23
; %bb.22:
	v_ashrrev_i32_e32 v115, 31, v114
	v_lshlrev_b64 v[115:116], 2, v[114:115]
	v_add_co_u32 v115, vcc_lo, v4, v115
	v_add_co_ci_u32_e64 v116, null, v5, v116, vcc_lo
	s_clause 0x1
	global_load_dword v117, v[115:116], off
	global_load_dword v122, v[4:5], off offset:4
	s_waitcnt vmcnt(1)
	global_store_dword v[4:5], v117, off offset:4
	s_waitcnt vmcnt(0)
	global_store_dword v[115:116], v122, off
.LBB106_23:
	s_or_b32 exec_lo, exec_lo, s3
	v_mov_b32_e32 v122, v114
	v_mov_b32_e32 v123, v114
.LBB106_24:
	s_or_b32 exec_lo, exec_lo, s2
.LBB106_25:
	s_andn2_saveexec_b32 s1, s1
	s_cbranch_execz .LBB106_27
; %bb.26:
	v_mov_b32_e32 v114, v106
	v_mov_b32_e32 v115, v107
	;; [unrolled: 1-line block ×8, first 2 shown]
	ds_write2_b64 v120, v[114:115], v[116:117] offset0:2 offset1:3
	ds_write2_b64 v120, v[123:124], v[125:126] offset0:4 offset1:5
	v_mov_b32_e32 v114, v100
	v_mov_b32_e32 v115, v101
	v_mov_b32_e32 v116, v94
	v_mov_b32_e32 v117, v95
	v_mov_b32_e32 v123, v96
	v_mov_b32_e32 v124, v97
	v_mov_b32_e32 v125, v92
	v_mov_b32_e32 v126, v93
	v_mov_b32_e32 v127, v90
	v_mov_b32_e32 v128, v91
	v_mov_b32_e32 v129, v88
	v_mov_b32_e32 v130, v89
	v_mov_b32_e32 v131, v86
	v_mov_b32_e32 v132, v87
	v_mov_b32_e32 v133, v84
	v_mov_b32_e32 v134, v85
	v_mov_b32_e32 v135, v82
	v_mov_b32_e32 v136, v83
	v_mov_b32_e32 v137, v78
	v_mov_b32_e32 v138, v79
	ds_write2_b64 v120, v[114:115], v[116:117] offset0:6 offset1:7
	ds_write2_b64 v120, v[123:124], v[125:126] offset0:8 offset1:9
	ds_write2_b64 v120, v[127:128], v[129:130] offset0:10 offset1:11
	ds_write2_b64 v120, v[131:132], v[133:134] offset0:12 offset1:13
	ds_write2_b64 v120, v[135:136], v[137:138] offset0:14 offset1:15
	v_mov_b32_e32 v114, v80
	v_mov_b32_e32 v115, v81
	v_mov_b32_e32 v116, v74
	v_mov_b32_e32 v117, v75
	v_mov_b32_e32 v123, v76
	v_mov_b32_e32 v124, v77
	v_mov_b32_e32 v125, v72
	v_mov_b32_e32 v126, v73
	v_mov_b32_e32 v127, v70
	v_mov_b32_e32 v128, v71
	v_mov_b32_e32 v129, v68
	v_mov_b32_e32 v130, v69
	v_mov_b32_e32 v131, v66
	v_mov_b32_e32 v132, v67
	v_mov_b32_e32 v133, v64
	v_mov_b32_e32 v134, v65
	v_mov_b32_e32 v135, v62
	v_mov_b32_e32 v136, v63
	v_mov_b32_e32 v137, v58
	v_mov_b32_e32 v138, v59
	ds_write2_b64 v120, v[114:115], v[116:117] offset0:16 offset1:17
	ds_write2_b64 v120, v[123:124], v[125:126] offset0:18 offset1:19
	ds_write2_b64 v120, v[127:128], v[129:130] offset0:20 offset1:21
	;; [unrolled: 25-line block ×4, first 2 shown]
	ds_write2_b64 v120, v[131:132], v[133:134] offset0:42 offset1:43
	ds_write2_b64 v120, v[135:136], v[137:138] offset0:44 offset1:45
	v_mov_b32_e32 v114, v20
	v_mov_b32_e32 v115, v21
	;; [unrolled: 1-line block ×15, first 2 shown]
	ds_write2_b64 v120, v[114:115], v[116:117] offset0:46 offset1:47
	ds_write2_b64 v120, v[124:125], v[126:127] offset0:48 offset1:49
	;; [unrolled: 1-line block ×4, first 2 shown]
.LBB106_27:
	s_or_b32 exec_lo, exec_lo, s1
	s_waitcnt lgkmcnt(0)
	v_cmp_neq_f64_e64 s1, 0, v[0:1]
	s_mov_b32 s2, exec_lo
	s_waitcnt_vscnt null, 0x0
	s_barrier
	buffer_gl0_inv
	v_cmpx_lt_i32_e32 1, v123
	s_cbranch_execz .LBB106_29
; %bb.28:
	v_div_scale_f64 v[114:115], null, v[0:1], v[0:1], 1.0
	v_div_scale_f64 v[126:127], vcc_lo, 1.0, v[0:1], 1.0
	v_rcp_f64_e32 v[116:117], v[114:115]
	v_fma_f64 v[124:125], -v[114:115], v[116:117], 1.0
	v_fma_f64 v[116:117], v[116:117], v[124:125], v[116:117]
	v_fma_f64 v[124:125], -v[114:115], v[116:117], 1.0
	v_fma_f64 v[116:117], v[116:117], v[124:125], v[116:117]
	v_mul_f64 v[124:125], v[126:127], v[116:117]
	v_fma_f64 v[114:115], -v[114:115], v[124:125], v[126:127]
	v_div_fmas_f64 v[114:115], v[114:115], v[116:117], v[124:125]
	v_div_fixup_f64 v[114:115], v[114:115], v[0:1], 1.0
	v_cndmask_b32_e64 v1, v1, v115, s1
	v_cndmask_b32_e64 v0, v0, v114, s1
	ds_read2_b64 v[114:117], v120 offset0:2 offset1:3
	ds_read2_b64 v[124:127], v120 offset0:4 offset1:5
	ds_read2_b64 v[128:131], v120 offset0:6 offset1:7
	ds_read2_b64 v[132:135], v120 offset0:8 offset1:9
	ds_read2_b64 v[136:139], v120 offset0:10 offset1:11
	ds_read2_b64 v[140:143], v120 offset0:12 offset1:13
	ds_read2_b64 v[144:147], v120 offset0:14 offset1:15
	ds_read2_b64 v[148:151], v120 offset0:16 offset1:17
	ds_read2_b64 v[152:155], v120 offset0:18 offset1:19
	ds_read2_b64 v[156:159], v120 offset0:20 offset1:21
	ds_read2_b64 v[160:163], v120 offset0:22 offset1:23
	ds_read2_b64 v[164:167], v120 offset0:24 offset1:25
	ds_read2_b64 v[168:171], v120 offset0:26 offset1:27
	ds_read2_b64 v[172:175], v120 offset0:28 offset1:29
	ds_read2_b64 v[176:179], v120 offset0:30 offset1:31
	ds_read2_b64 v[180:183], v120 offset0:32 offset1:33
	ds_read2_b64 v[184:187], v120 offset0:34 offset1:35
	ds_read2_b64 v[188:191], v120 offset0:36 offset1:37
	ds_read2_b64 v[192:195], v120 offset0:38 offset1:39
	ds_read2_b64 v[196:199], v120 offset0:40 offset1:41
	ds_read2_b64 v[200:203], v120 offset0:42 offset1:43
	ds_read2_b64 v[204:207], v120 offset0:44 offset1:45
	ds_read2_b64 v[208:211], v120 offset0:46 offset1:47
	ds_read2_b64 v[212:215], v120 offset0:48 offset1:49
	ds_read2_b64 v[216:219], v120 offset0:50 offset1:51
	ds_read2_b64 v[220:223], v120 offset0:52 offset1:53
	v_mul_f64 v[108:109], v[0:1], v[108:109]
	s_waitcnt lgkmcnt(25)
	v_fma_f64 v[106:107], -v[108:109], v[114:115], v[106:107]
	v_fma_f64 v[104:105], -v[108:109], v[116:117], v[104:105]
	s_waitcnt lgkmcnt(24)
	v_fma_f64 v[102:103], -v[108:109], v[124:125], v[102:103]
	v_fma_f64 v[98:99], -v[108:109], v[126:127], v[98:99]
	;; [unrolled: 3-line block ×26, first 2 shown]
.LBB106_29:
	s_or_b32 exec_lo, exec_lo, s2
	v_lshl_add_u32 v0, v123, 3, v120
	s_barrier
	buffer_gl0_inv
	v_mov_b32_e32 v114, 2
	ds_write_b64 v0, v[106:107]
	s_waitcnt lgkmcnt(0)
	s_barrier
	buffer_gl0_inv
	ds_read_b64 v[0:1], v120 offset:16
	s_cmp_lt_i32 s7, 4
	s_mov_b32 s2, 3
	s_cbranch_scc1 .LBB106_32
; %bb.30:
	v_add3_u32 v115, v121, 0, 24
	v_mov_b32_e32 v114, 2
.LBB106_31:                             ; =>This Inner Loop Header: Depth=1
	ds_read_b64 v[116:117], v115
	v_add_nc_u32_e32 v115, 8, v115
	s_waitcnt lgkmcnt(0)
	v_cmp_lt_f64_e64 vcc_lo, |v[0:1]|, |v[116:117]|
	v_cndmask_b32_e32 v1, v1, v117, vcc_lo
	v_cndmask_b32_e32 v0, v0, v116, vcc_lo
	v_cndmask_b32_e64 v114, v114, s2, vcc_lo
	s_add_i32 s2, s2, 1
	s_cmp_lg_u32 s7, s2
	s_cbranch_scc1 .LBB106_31
.LBB106_32:
	v_cndmask_b32_e64 v115, 2, 1, s0
	v_cndmask_b32_e64 v116, 0, 1, s0
	s_mov_b32 s0, exec_lo
	v_cndmask_b32_e64 v117, v115, v116, s1
	s_waitcnt lgkmcnt(0)
	v_cmpx_eq_f64_e32 0, v[0:1]
	s_xor_b32 s0, exec_lo, s0
; %bb.33:
	v_cmp_ne_u32_e32 vcc_lo, 0, v117
	v_cndmask_b32_e32 v117, 3, v117, vcc_lo
; %bb.34:
	s_andn2_saveexec_b32 s0, s0
	s_cbranch_execz .LBB106_36
; %bb.35:
	v_div_scale_f64 v[115:116], null, v[0:1], v[0:1], 1.0
	v_rcp_f64_e32 v[124:125], v[115:116]
	v_fma_f64 v[126:127], -v[115:116], v[124:125], 1.0
	v_fma_f64 v[124:125], v[124:125], v[126:127], v[124:125]
	v_fma_f64 v[126:127], -v[115:116], v[124:125], 1.0
	v_fma_f64 v[124:125], v[124:125], v[126:127], v[124:125]
	v_div_scale_f64 v[126:127], vcc_lo, 1.0, v[0:1], 1.0
	v_mul_f64 v[128:129], v[126:127], v[124:125]
	v_fma_f64 v[115:116], -v[115:116], v[128:129], v[126:127]
	v_div_fmas_f64 v[115:116], v[115:116], v[124:125], v[128:129]
	v_div_fixup_f64 v[0:1], v[115:116], v[0:1], 1.0
.LBB106_36:
	s_or_b32 exec_lo, exec_lo, s0
	s_mov_b32 s0, exec_lo
	v_cmpx_ne_u32_e64 v123, v114
	s_xor_b32 s0, exec_lo, s0
	s_cbranch_execz .LBB106_42
; %bb.37:
	s_mov_b32 s1, exec_lo
	v_cmpx_eq_u32_e32 2, v123
	s_cbranch_execz .LBB106_41
; %bb.38:
	v_cmp_ne_u32_e32 vcc_lo, 2, v114
	s_xor_b32 s2, s6, -1
	s_and_b32 s3, s2, vcc_lo
	s_and_saveexec_b32 s2, s3
	s_cbranch_execz .LBB106_40
; %bb.39:
	v_ashrrev_i32_e32 v115, 31, v114
	v_lshlrev_b64 v[115:116], 2, v[114:115]
	v_add_co_u32 v115, vcc_lo, v4, v115
	v_add_co_ci_u32_e64 v116, null, v5, v116, vcc_lo
	s_clause 0x1
	global_load_dword v122, v[115:116], off
	global_load_dword v123, v[4:5], off offset:8
	s_waitcnt vmcnt(1)
	global_store_dword v[4:5], v122, off offset:8
	s_waitcnt vmcnt(0)
	global_store_dword v[115:116], v123, off
.LBB106_40:
	s_or_b32 exec_lo, exec_lo, s2
	v_mov_b32_e32 v122, v114
	v_mov_b32_e32 v123, v114
.LBB106_41:
	s_or_b32 exec_lo, exec_lo, s1
.LBB106_42:
	s_andn2_saveexec_b32 s0, s0
	s_cbranch_execz .LBB106_44
; %bb.43:
	v_mov_b32_e32 v123, 2
	ds_write2_b64 v120, v[104:105], v[102:103] offset0:3 offset1:4
	ds_write2_b64 v120, v[98:99], v[100:101] offset0:5 offset1:6
	;; [unrolled: 1-line block ×25, first 2 shown]
	ds_write_b64 v120, v[112:113] offset:424
.LBB106_44:
	s_or_b32 exec_lo, exec_lo, s0
	s_mov_b32 s0, exec_lo
	s_waitcnt lgkmcnt(0)
	s_waitcnt_vscnt null, 0x0
	s_barrier
	buffer_gl0_inv
	v_cmpx_lt_i32_e32 2, v123
	s_cbranch_execz .LBB106_46
; %bb.45:
	v_mul_f64 v[106:107], v[0:1], v[106:107]
	ds_read2_b64 v[124:127], v120 offset0:3 offset1:4
	ds_read2_b64 v[128:131], v120 offset0:5 offset1:6
	ds_read2_b64 v[132:135], v120 offset0:7 offset1:8
	ds_read2_b64 v[136:139], v120 offset0:9 offset1:10
	ds_read2_b64 v[140:143], v120 offset0:11 offset1:12
	ds_read2_b64 v[144:147], v120 offset0:13 offset1:14
	ds_read2_b64 v[148:151], v120 offset0:15 offset1:16
	ds_read2_b64 v[152:155], v120 offset0:17 offset1:18
	ds_read2_b64 v[156:159], v120 offset0:19 offset1:20
	ds_read2_b64 v[160:163], v120 offset0:21 offset1:22
	ds_read2_b64 v[164:167], v120 offset0:23 offset1:24
	ds_read2_b64 v[168:171], v120 offset0:25 offset1:26
	ds_read_b64 v[0:1], v120 offset:424
	s_waitcnt lgkmcnt(12)
	v_fma_f64 v[104:105], -v[106:107], v[124:125], v[104:105]
	v_fma_f64 v[102:103], -v[106:107], v[126:127], v[102:103]
	s_waitcnt lgkmcnt(11)
	v_fma_f64 v[98:99], -v[106:107], v[128:129], v[98:99]
	v_fma_f64 v[100:101], -v[106:107], v[130:131], v[100:101]
	;; [unrolled: 3-line block ×3, first 2 shown]
	ds_read2_b64 v[124:127], v120 offset0:27 offset1:28
	ds_read2_b64 v[128:131], v120 offset0:29 offset1:30
	;; [unrolled: 1-line block ×3, first 2 shown]
	s_waitcnt lgkmcnt(12)
	v_fma_f64 v[92:93], -v[106:107], v[136:137], v[92:93]
	v_fma_f64 v[90:91], -v[106:107], v[138:139], v[90:91]
	s_waitcnt lgkmcnt(11)
	v_fma_f64 v[88:89], -v[106:107], v[140:141], v[88:89]
	v_fma_f64 v[86:87], -v[106:107], v[142:143], v[86:87]
	;; [unrolled: 3-line block ×7, first 2 shown]
	ds_read2_b64 v[136:139], v120 offset0:33 offset1:34
	ds_read2_b64 v[140:143], v120 offset0:35 offset1:36
	;; [unrolled: 1-line block ×5, first 2 shown]
	s_waitcnt lgkmcnt(7)
	v_fma_f64 v[54:55], -v[106:107], v[124:125], v[54:55]
	v_fma_f64 v[56:57], -v[106:107], v[126:127], v[56:57]
	ds_read2_b64 v[124:127], v120 offset0:43 offset1:44
	ds_read2_b64 v[156:159], v120 offset0:45 offset1:46
	s_waitcnt lgkmcnt(8)
	v_fma_f64 v[52:53], -v[106:107], v[128:129], v[52:53]
	v_fma_f64 v[50:51], -v[106:107], v[130:131], v[50:51]
	ds_read2_b64 v[128:131], v120 offset0:47 offset1:48
	ds_read2_b64 v[160:163], v120 offset0:49 offset1:50
	s_waitcnt lgkmcnt(9)
	v_fma_f64 v[48:49], -v[106:107], v[132:133], v[48:49]
	v_fma_f64 v[46:47], -v[106:107], v[134:135], v[46:47]
	ds_read2_b64 v[132:135], v120 offset0:51 offset1:52
	v_fma_f64 v[64:65], -v[106:107], v[164:165], v[64:65]
	v_fma_f64 v[62:63], -v[106:107], v[166:167], v[62:63]
	;; [unrolled: 1-line block ×4, first 2 shown]
	s_waitcnt lgkmcnt(9)
	v_fma_f64 v[44:45], -v[106:107], v[136:137], v[44:45]
	v_fma_f64 v[42:43], -v[106:107], v[138:139], v[42:43]
	s_waitcnt lgkmcnt(8)
	v_fma_f64 v[38:39], -v[106:107], v[140:141], v[38:39]
	v_fma_f64 v[40:41], -v[106:107], v[142:143], v[40:41]
	s_waitcnt lgkmcnt(7)
	v_fma_f64 v[34:35], -v[106:107], v[144:145], v[34:35]
	v_fma_f64 v[36:37], -v[106:107], v[146:147], v[36:37]
	s_waitcnt lgkmcnt(6)
	v_fma_f64 v[32:33], -v[106:107], v[148:149], v[32:33]
	v_fma_f64 v[30:31], -v[106:107], v[150:151], v[30:31]
	s_waitcnt lgkmcnt(5)
	v_fma_f64 v[28:29], -v[106:107], v[152:153], v[28:29]
	v_fma_f64 v[26:27], -v[106:107], v[154:155], v[26:27]
	s_waitcnt lgkmcnt(4)
	v_fma_f64 v[24:25], -v[106:107], v[124:125], v[24:25]
	v_fma_f64 v[22:23], -v[106:107], v[126:127], v[22:23]
	s_waitcnt lgkmcnt(3)
	v_fma_f64 v[18:19], -v[106:107], v[156:157], v[18:19]
	v_fma_f64 v[20:21], -v[106:107], v[158:159], v[20:21]
	s_waitcnt lgkmcnt(2)
	v_fma_f64 v[16:17], -v[106:107], v[128:129], v[16:17]
	v_fma_f64 v[14:15], -v[106:107], v[130:131], v[14:15]
	s_waitcnt lgkmcnt(1)
	v_fma_f64 v[8:9], -v[106:107], v[160:161], v[8:9]
	v_fma_f64 v[12:13], -v[106:107], v[162:163], v[12:13]
	s_waitcnt lgkmcnt(0)
	v_fma_f64 v[6:7], -v[106:107], v[132:133], v[6:7]
	v_fma_f64 v[10:11], -v[106:107], v[134:135], v[10:11]
	v_fma_f64 v[112:113], -v[106:107], v[0:1], v[112:113]
.LBB106_46:
	s_or_b32 exec_lo, exec_lo, s0
	v_lshl_add_u32 v0, v123, 3, v120
	s_barrier
	buffer_gl0_inv
	v_mov_b32_e32 v114, 3
	ds_write_b64 v0, v[104:105]
	s_waitcnt lgkmcnt(0)
	s_barrier
	buffer_gl0_inv
	ds_read_b64 v[0:1], v120 offset:24
	s_cmp_lt_i32 s7, 5
	s_cbranch_scc1 .LBB106_49
; %bb.47:
	v_mov_b32_e32 v114, 3
	v_add3_u32 v115, v121, 0, 32
	s_mov_b32 s0, 4
.LBB106_48:                             ; =>This Inner Loop Header: Depth=1
	ds_read_b64 v[124:125], v115
	v_add_nc_u32_e32 v115, 8, v115
	s_waitcnt lgkmcnt(0)
	v_cmp_lt_f64_e64 vcc_lo, |v[0:1]|, |v[124:125]|
	v_cndmask_b32_e32 v1, v1, v125, vcc_lo
	v_cndmask_b32_e32 v0, v0, v124, vcc_lo
	v_cndmask_b32_e64 v114, v114, s0, vcc_lo
	s_add_i32 s0, s0, 1
	s_cmp_lg_u32 s7, s0
	s_cbranch_scc1 .LBB106_48
.LBB106_49:
	s_mov_b32 s0, exec_lo
	s_waitcnt lgkmcnt(0)
	v_cmpx_eq_f64_e32 0, v[0:1]
	s_xor_b32 s0, exec_lo, s0
; %bb.50:
	v_cmp_ne_u32_e32 vcc_lo, 0, v117
	v_cndmask_b32_e32 v117, 4, v117, vcc_lo
; %bb.51:
	s_andn2_saveexec_b32 s0, s0
	s_cbranch_execz .LBB106_53
; %bb.52:
	v_div_scale_f64 v[115:116], null, v[0:1], v[0:1], 1.0
	v_rcp_f64_e32 v[124:125], v[115:116]
	v_fma_f64 v[126:127], -v[115:116], v[124:125], 1.0
	v_fma_f64 v[124:125], v[124:125], v[126:127], v[124:125]
	v_fma_f64 v[126:127], -v[115:116], v[124:125], 1.0
	v_fma_f64 v[124:125], v[124:125], v[126:127], v[124:125]
	v_div_scale_f64 v[126:127], vcc_lo, 1.0, v[0:1], 1.0
	v_mul_f64 v[128:129], v[126:127], v[124:125]
	v_fma_f64 v[115:116], -v[115:116], v[128:129], v[126:127]
	v_div_fmas_f64 v[115:116], v[115:116], v[124:125], v[128:129]
	v_div_fixup_f64 v[0:1], v[115:116], v[0:1], 1.0
.LBB106_53:
	s_or_b32 exec_lo, exec_lo, s0
	s_mov_b32 s0, exec_lo
	v_cmpx_ne_u32_e64 v123, v114
	s_xor_b32 s0, exec_lo, s0
	s_cbranch_execz .LBB106_59
; %bb.54:
	s_mov_b32 s1, exec_lo
	v_cmpx_eq_u32_e32 3, v123
	s_cbranch_execz .LBB106_58
; %bb.55:
	v_cmp_ne_u32_e32 vcc_lo, 3, v114
	s_xor_b32 s2, s6, -1
	s_and_b32 s3, s2, vcc_lo
	s_and_saveexec_b32 s2, s3
	s_cbranch_execz .LBB106_57
; %bb.56:
	v_ashrrev_i32_e32 v115, 31, v114
	v_lshlrev_b64 v[115:116], 2, v[114:115]
	v_add_co_u32 v115, vcc_lo, v4, v115
	v_add_co_ci_u32_e64 v116, null, v5, v116, vcc_lo
	s_clause 0x1
	global_load_dword v122, v[115:116], off
	global_load_dword v123, v[4:5], off offset:12
	s_waitcnt vmcnt(1)
	global_store_dword v[4:5], v122, off offset:12
	s_waitcnt vmcnt(0)
	global_store_dword v[115:116], v123, off
.LBB106_57:
	s_or_b32 exec_lo, exec_lo, s2
	v_mov_b32_e32 v122, v114
	v_mov_b32_e32 v123, v114
.LBB106_58:
	s_or_b32 exec_lo, exec_lo, s1
.LBB106_59:
	s_andn2_saveexec_b32 s0, s0
	s_cbranch_execz .LBB106_61
; %bb.60:
	v_mov_b32_e32 v114, v102
	v_mov_b32_e32 v115, v103
	;; [unrolled: 1-line block ×8, first 2 shown]
	ds_write2_b64 v120, v[114:115], v[123:124] offset0:4 offset1:5
	v_mov_b32_e32 v114, v94
	v_mov_b32_e32 v115, v95
	v_mov_b32_e32 v123, v96
	v_mov_b32_e32 v124, v97
	v_mov_b32_e32 v129, v90
	v_mov_b32_e32 v130, v91
	v_mov_b32_e32 v131, v88
	v_mov_b32_e32 v132, v89
	v_mov_b32_e32 v133, v86
	v_mov_b32_e32 v134, v87
	v_mov_b32_e32 v135, v84
	v_mov_b32_e32 v136, v85
	v_mov_b32_e32 v137, v82
	v_mov_b32_e32 v138, v83
	v_mov_b32_e32 v139, v78
	v_mov_b32_e32 v140, v79
	ds_write2_b64 v120, v[125:126], v[114:115] offset0:6 offset1:7
	ds_write2_b64 v120, v[123:124], v[127:128] offset0:8 offset1:9
	ds_write2_b64 v120, v[129:130], v[131:132] offset0:10 offset1:11
	ds_write2_b64 v120, v[133:134], v[135:136] offset0:12 offset1:13
	ds_write2_b64 v120, v[137:138], v[139:140] offset0:14 offset1:15
	v_mov_b32_e32 v114, v80
	v_mov_b32_e32 v115, v81
	v_mov_b32_e32 v123, v74
	v_mov_b32_e32 v124, v75
	v_mov_b32_e32 v125, v76
	v_mov_b32_e32 v126, v77
	v_mov_b32_e32 v127, v72
	v_mov_b32_e32 v128, v73
	v_mov_b32_e32 v129, v70
	v_mov_b32_e32 v130, v71
	v_mov_b32_e32 v131, v68
	v_mov_b32_e32 v132, v69
	v_mov_b32_e32 v133, v66
	v_mov_b32_e32 v134, v67
	v_mov_b32_e32 v135, v64
	v_mov_b32_e32 v136, v65
	v_mov_b32_e32 v137, v62
	v_mov_b32_e32 v138, v63
	v_mov_b32_e32 v139, v58
	v_mov_b32_e32 v140, v59
	ds_write2_b64 v120, v[114:115], v[123:124] offset0:16 offset1:17
	ds_write2_b64 v120, v[125:126], v[127:128] offset0:18 offset1:19
	ds_write2_b64 v120, v[129:130], v[131:132] offset0:20 offset1:21
	ds_write2_b64 v120, v[133:134], v[135:136] offset0:22 offset1:23
	ds_write2_b64 v120, v[137:138], v[139:140] offset0:24 offset1:25
	v_mov_b32_e32 v114, v60
	v_mov_b32_e32 v115, v61
	v_mov_b32_e32 v123, v54
	v_mov_b32_e32 v124, v55
	;; [unrolled: 25-line block ×4, first 2 shown]
	v_mov_b32_e32 v123, 3
	v_mov_b32_e32 v126, v14
	;; [unrolled: 1-line block ×11, first 2 shown]
	ds_write2_b64 v120, v[114:115], v[124:125] offset0:46 offset1:47
	ds_write2_b64 v120, v[126:127], v[128:129] offset0:48 offset1:49
	;; [unrolled: 1-line block ×4, first 2 shown]
.LBB106_61:
	s_or_b32 exec_lo, exec_lo, s0
	s_mov_b32 s0, exec_lo
	s_waitcnt lgkmcnt(0)
	s_waitcnt_vscnt null, 0x0
	s_barrier
	buffer_gl0_inv
	v_cmpx_lt_i32_e32 3, v123
	s_cbranch_execz .LBB106_63
; %bb.62:
	v_mul_f64 v[104:105], v[0:1], v[104:105]
	ds_read2_b64 v[124:127], v120 offset0:4 offset1:5
	ds_read2_b64 v[128:131], v120 offset0:6 offset1:7
	;; [unrolled: 1-line block ×12, first 2 shown]
	s_waitcnt lgkmcnt(11)
	v_fma_f64 v[102:103], -v[104:105], v[124:125], v[102:103]
	v_fma_f64 v[98:99], -v[104:105], v[126:127], v[98:99]
	s_waitcnt lgkmcnt(10)
	v_fma_f64 v[100:101], -v[104:105], v[128:129], v[100:101]
	v_fma_f64 v[94:95], -v[104:105], v[130:131], v[94:95]
	ds_read2_b64 v[124:127], v120 offset0:28 offset1:29
	ds_read2_b64 v[128:131], v120 offset0:30 offset1:31
	s_waitcnt lgkmcnt(11)
	v_fma_f64 v[96:97], -v[104:105], v[132:133], v[96:97]
	v_fma_f64 v[92:93], -v[104:105], v[134:135], v[92:93]
	s_waitcnt lgkmcnt(10)
	v_fma_f64 v[90:91], -v[104:105], v[136:137], v[90:91]
	v_fma_f64 v[88:89], -v[104:105], v[138:139], v[88:89]
	;; [unrolled: 3-line block ×7, first 2 shown]
	ds_read2_b64 v[132:135], v120 offset0:32 offset1:33
	ds_read2_b64 v[136:139], v120 offset0:34 offset1:35
	s_waitcnt lgkmcnt(6)
	v_fma_f64 v[66:67], -v[104:105], v[160:161], v[66:67]
	v_fma_f64 v[64:65], -v[104:105], v[162:163], v[64:65]
	s_waitcnt lgkmcnt(5)
	v_fma_f64 v[62:63], -v[104:105], v[164:165], v[62:63]
	ds_read2_b64 v[140:143], v120 offset0:36 offset1:37
	ds_read2_b64 v[144:147], v120 offset0:38 offset1:39
	v_fma_f64 v[58:59], -v[104:105], v[166:167], v[58:59]
	ds_read2_b64 v[148:151], v120 offset0:40 offset1:41
	ds_read2_b64 v[152:155], v120 offset0:42 offset1:43
	s_waitcnt lgkmcnt(7)
	v_fma_f64 v[56:57], -v[104:105], v[124:125], v[56:57]
	ds_read2_b64 v[156:159], v120 offset0:44 offset1:45
	v_fma_f64 v[52:53], -v[104:105], v[126:127], v[52:53]
	ds_read2_b64 v[124:127], v120 offset0:46 offset1:47
	s_waitcnt lgkmcnt(8)
	v_fma_f64 v[50:51], -v[104:105], v[128:129], v[50:51]
	ds_read2_b64 v[160:163], v120 offset0:48 offset1:49
	v_fma_f64 v[48:49], -v[104:105], v[130:131], v[48:49]
	ds_read2_b64 v[128:131], v120 offset0:50 offset1:51
	ds_read2_b64 v[164:167], v120 offset0:52 offset1:53
	v_fma_f64 v[60:61], -v[104:105], v[168:169], v[60:61]
	v_fma_f64 v[54:55], -v[104:105], v[170:171], v[54:55]
	s_waitcnt lgkmcnt(10)
	v_fma_f64 v[46:47], -v[104:105], v[132:133], v[46:47]
	v_fma_f64 v[44:45], -v[104:105], v[134:135], v[44:45]
	s_waitcnt lgkmcnt(9)
	;; [unrolled: 3-line block ×11, first 2 shown]
	v_fma_f64 v[10:11], -v[104:105], v[164:165], v[10:11]
	v_fma_f64 v[112:113], -v[104:105], v[166:167], v[112:113]
.LBB106_63:
	s_or_b32 exec_lo, exec_lo, s0
	v_lshl_add_u32 v0, v123, 3, v120
	s_barrier
	buffer_gl0_inv
	v_mov_b32_e32 v114, 4
	ds_write_b64 v0, v[102:103]
	s_waitcnt lgkmcnt(0)
	s_barrier
	buffer_gl0_inv
	ds_read_b64 v[0:1], v120 offset:32
	s_cmp_lt_i32 s7, 6
	s_cbranch_scc1 .LBB106_66
; %bb.64:
	v_add3_u32 v115, v121, 0, 40
	v_mov_b32_e32 v114, 4
	s_mov_b32 s0, 5
.LBB106_65:                             ; =>This Inner Loop Header: Depth=1
	ds_read_b64 v[124:125], v115
	v_add_nc_u32_e32 v115, 8, v115
	s_waitcnt lgkmcnt(0)
	v_cmp_lt_f64_e64 vcc_lo, |v[0:1]|, |v[124:125]|
	v_cndmask_b32_e32 v1, v1, v125, vcc_lo
	v_cndmask_b32_e32 v0, v0, v124, vcc_lo
	v_cndmask_b32_e64 v114, v114, s0, vcc_lo
	s_add_i32 s0, s0, 1
	s_cmp_lg_u32 s7, s0
	s_cbranch_scc1 .LBB106_65
.LBB106_66:
	s_mov_b32 s0, exec_lo
	s_waitcnt lgkmcnt(0)
	v_cmpx_eq_f64_e32 0, v[0:1]
	s_xor_b32 s0, exec_lo, s0
; %bb.67:
	v_cmp_ne_u32_e32 vcc_lo, 0, v117
	v_cndmask_b32_e32 v117, 5, v117, vcc_lo
; %bb.68:
	s_andn2_saveexec_b32 s0, s0
	s_cbranch_execz .LBB106_70
; %bb.69:
	v_div_scale_f64 v[115:116], null, v[0:1], v[0:1], 1.0
	v_rcp_f64_e32 v[124:125], v[115:116]
	v_fma_f64 v[126:127], -v[115:116], v[124:125], 1.0
	v_fma_f64 v[124:125], v[124:125], v[126:127], v[124:125]
	v_fma_f64 v[126:127], -v[115:116], v[124:125], 1.0
	v_fma_f64 v[124:125], v[124:125], v[126:127], v[124:125]
	v_div_scale_f64 v[126:127], vcc_lo, 1.0, v[0:1], 1.0
	v_mul_f64 v[128:129], v[126:127], v[124:125]
	v_fma_f64 v[115:116], -v[115:116], v[128:129], v[126:127]
	v_div_fmas_f64 v[115:116], v[115:116], v[124:125], v[128:129]
	v_div_fixup_f64 v[0:1], v[115:116], v[0:1], 1.0
.LBB106_70:
	s_or_b32 exec_lo, exec_lo, s0
	s_mov_b32 s0, exec_lo
	v_cmpx_ne_u32_e64 v123, v114
	s_xor_b32 s0, exec_lo, s0
	s_cbranch_execz .LBB106_76
; %bb.71:
	s_mov_b32 s1, exec_lo
	v_cmpx_eq_u32_e32 4, v123
	s_cbranch_execz .LBB106_75
; %bb.72:
	v_cmp_ne_u32_e32 vcc_lo, 4, v114
	s_xor_b32 s2, s6, -1
	s_and_b32 s3, s2, vcc_lo
	s_and_saveexec_b32 s2, s3
	s_cbranch_execz .LBB106_74
; %bb.73:
	v_ashrrev_i32_e32 v115, 31, v114
	v_lshlrev_b64 v[115:116], 2, v[114:115]
	v_add_co_u32 v115, vcc_lo, v4, v115
	v_add_co_ci_u32_e64 v116, null, v5, v116, vcc_lo
	s_clause 0x1
	global_load_dword v122, v[115:116], off
	global_load_dword v123, v[4:5], off offset:16
	s_waitcnt vmcnt(1)
	global_store_dword v[4:5], v122, off offset:16
	s_waitcnt vmcnt(0)
	global_store_dword v[115:116], v123, off
.LBB106_74:
	s_or_b32 exec_lo, exec_lo, s2
	v_mov_b32_e32 v122, v114
	v_mov_b32_e32 v123, v114
.LBB106_75:
	s_or_b32 exec_lo, exec_lo, s1
.LBB106_76:
	s_andn2_saveexec_b32 s0, s0
	s_cbranch_execz .LBB106_78
; %bb.77:
	v_mov_b32_e32 v123, 4
	ds_write2_b64 v120, v[98:99], v[100:101] offset0:5 offset1:6
	ds_write2_b64 v120, v[94:95], v[96:97] offset0:7 offset1:8
	ds_write2_b64 v120, v[92:93], v[90:91] offset0:9 offset1:10
	ds_write2_b64 v120, v[88:89], v[86:87] offset0:11 offset1:12
	ds_write2_b64 v120, v[84:85], v[82:83] offset0:13 offset1:14
	ds_write2_b64 v120, v[78:79], v[80:81] offset0:15 offset1:16
	ds_write2_b64 v120, v[74:75], v[76:77] offset0:17 offset1:18
	ds_write2_b64 v120, v[72:73], v[70:71] offset0:19 offset1:20
	ds_write2_b64 v120, v[68:69], v[66:67] offset0:21 offset1:22
	ds_write2_b64 v120, v[64:65], v[62:63] offset0:23 offset1:24
	ds_write2_b64 v120, v[58:59], v[60:61] offset0:25 offset1:26
	ds_write2_b64 v120, v[54:55], v[56:57] offset0:27 offset1:28
	ds_write2_b64 v120, v[52:53], v[50:51] offset0:29 offset1:30
	ds_write2_b64 v120, v[48:49], v[46:47] offset0:31 offset1:32
	ds_write2_b64 v120, v[44:45], v[42:43] offset0:33 offset1:34
	ds_write2_b64 v120, v[38:39], v[40:41] offset0:35 offset1:36
	ds_write2_b64 v120, v[34:35], v[36:37] offset0:37 offset1:38
	ds_write2_b64 v120, v[32:33], v[30:31] offset0:39 offset1:40
	ds_write2_b64 v120, v[28:29], v[26:27] offset0:41 offset1:42
	ds_write2_b64 v120, v[24:25], v[22:23] offset0:43 offset1:44
	ds_write2_b64 v120, v[18:19], v[20:21] offset0:45 offset1:46
	ds_write2_b64 v120, v[16:17], v[14:15] offset0:47 offset1:48
	ds_write2_b64 v120, v[8:9], v[12:13] offset0:49 offset1:50
	ds_write2_b64 v120, v[6:7], v[10:11] offset0:51 offset1:52
	ds_write_b64 v120, v[112:113] offset:424
.LBB106_78:
	s_or_b32 exec_lo, exec_lo, s0
	s_mov_b32 s0, exec_lo
	s_waitcnt lgkmcnt(0)
	s_waitcnt_vscnt null, 0x0
	s_barrier
	buffer_gl0_inv
	v_cmpx_lt_i32_e32 4, v123
	s_cbranch_execz .LBB106_80
; %bb.79:
	v_mul_f64 v[102:103], v[0:1], v[102:103]
	ds_read2_b64 v[124:127], v120 offset0:5 offset1:6
	ds_read2_b64 v[128:131], v120 offset0:7 offset1:8
	;; [unrolled: 1-line block ×12, first 2 shown]
	ds_read_b64 v[0:1], v120 offset:424
	s_waitcnt lgkmcnt(12)
	v_fma_f64 v[98:99], -v[102:103], v[124:125], v[98:99]
	v_fma_f64 v[100:101], -v[102:103], v[126:127], v[100:101]
	s_waitcnt lgkmcnt(11)
	v_fma_f64 v[94:95], -v[102:103], v[128:129], v[94:95]
	v_fma_f64 v[96:97], -v[102:103], v[130:131], v[96:97]
	ds_read2_b64 v[124:127], v120 offset0:29 offset1:30
	ds_read2_b64 v[128:131], v120 offset0:31 offset1:32
	s_waitcnt lgkmcnt(12)
	v_fma_f64 v[92:93], -v[102:103], v[132:133], v[92:93]
	v_fma_f64 v[90:91], -v[102:103], v[134:135], v[90:91]
	s_waitcnt lgkmcnt(11)
	v_fma_f64 v[88:89], -v[102:103], v[136:137], v[88:89]
	v_fma_f64 v[86:87], -v[102:103], v[138:139], v[86:87]
	s_waitcnt lgkmcnt(10)
	v_fma_f64 v[84:85], -v[102:103], v[140:141], v[84:85]
	v_fma_f64 v[82:83], -v[102:103], v[142:143], v[82:83]
	s_waitcnt lgkmcnt(9)
	v_fma_f64 v[78:79], -v[102:103], v[144:145], v[78:79]
	v_fma_f64 v[80:81], -v[102:103], v[146:147], v[80:81]
	s_waitcnt lgkmcnt(8)
	v_fma_f64 v[74:75], -v[102:103], v[148:149], v[74:75]
	v_fma_f64 v[76:77], -v[102:103], v[150:151], v[76:77]
	s_waitcnt lgkmcnt(7)
	v_fma_f64 v[72:73], -v[102:103], v[152:153], v[72:73]
	v_fma_f64 v[70:71], -v[102:103], v[154:155], v[70:71]
	s_waitcnt lgkmcnt(6)
	v_fma_f64 v[68:69], -v[102:103], v[156:157], v[68:69]
	v_fma_f64 v[66:67], -v[102:103], v[158:159], v[66:67]
	ds_read2_b64 v[132:135], v120 offset0:33 offset1:34
	ds_read2_b64 v[136:139], v120 offset0:35 offset1:36
	s_waitcnt lgkmcnt(7)
	v_fma_f64 v[64:65], -v[102:103], v[160:161], v[64:65]
	v_fma_f64 v[62:63], -v[102:103], v[162:163], v[62:63]
	ds_read2_b64 v[140:143], v120 offset0:37 offset1:38
	ds_read2_b64 v[144:147], v120 offset0:39 offset1:40
	;; [unrolled: 1-line block ×4, first 2 shown]
	s_waitcnt lgkmcnt(7)
	v_fma_f64 v[52:53], -v[102:103], v[124:125], v[52:53]
	ds_read2_b64 v[156:159], v120 offset0:45 offset1:46
	v_fma_f64 v[50:51], -v[102:103], v[126:127], v[50:51]
	ds_read2_b64 v[124:127], v120 offset0:47 offset1:48
	s_waitcnt lgkmcnt(8)
	v_fma_f64 v[48:49], -v[102:103], v[128:129], v[48:49]
	ds_read2_b64 v[160:163], v120 offset0:49 offset1:50
	v_fma_f64 v[46:47], -v[102:103], v[130:131], v[46:47]
	ds_read2_b64 v[128:131], v120 offset0:51 offset1:52
	v_fma_f64 v[58:59], -v[102:103], v[164:165], v[58:59]
	v_fma_f64 v[60:61], -v[102:103], v[166:167], v[60:61]
	;; [unrolled: 1-line block ×4, first 2 shown]
	s_waitcnt lgkmcnt(9)
	v_fma_f64 v[44:45], -v[102:103], v[132:133], v[44:45]
	v_fma_f64 v[42:43], -v[102:103], v[134:135], v[42:43]
	s_waitcnt lgkmcnt(8)
	v_fma_f64 v[38:39], -v[102:103], v[136:137], v[38:39]
	v_fma_f64 v[40:41], -v[102:103], v[138:139], v[40:41]
	s_waitcnt lgkmcnt(7)
	v_fma_f64 v[34:35], -v[102:103], v[140:141], v[34:35]
	v_fma_f64 v[36:37], -v[102:103], v[142:143], v[36:37]
	s_waitcnt lgkmcnt(6)
	v_fma_f64 v[32:33], -v[102:103], v[144:145], v[32:33]
	v_fma_f64 v[30:31], -v[102:103], v[146:147], v[30:31]
	s_waitcnt lgkmcnt(5)
	v_fma_f64 v[28:29], -v[102:103], v[148:149], v[28:29]
	v_fma_f64 v[26:27], -v[102:103], v[150:151], v[26:27]
	s_waitcnt lgkmcnt(4)
	v_fma_f64 v[24:25], -v[102:103], v[152:153], v[24:25]
	v_fma_f64 v[22:23], -v[102:103], v[154:155], v[22:23]
	s_waitcnt lgkmcnt(3)
	v_fma_f64 v[18:19], -v[102:103], v[156:157], v[18:19]
	v_fma_f64 v[20:21], -v[102:103], v[158:159], v[20:21]
	s_waitcnt lgkmcnt(2)
	v_fma_f64 v[16:17], -v[102:103], v[124:125], v[16:17]
	v_fma_f64 v[14:15], -v[102:103], v[126:127], v[14:15]
	s_waitcnt lgkmcnt(1)
	v_fma_f64 v[8:9], -v[102:103], v[160:161], v[8:9]
	v_fma_f64 v[12:13], -v[102:103], v[162:163], v[12:13]
	s_waitcnt lgkmcnt(0)
	v_fma_f64 v[6:7], -v[102:103], v[128:129], v[6:7]
	v_fma_f64 v[10:11], -v[102:103], v[130:131], v[10:11]
	v_fma_f64 v[112:113], -v[102:103], v[0:1], v[112:113]
.LBB106_80:
	s_or_b32 exec_lo, exec_lo, s0
	v_lshl_add_u32 v0, v123, 3, v120
	s_barrier
	buffer_gl0_inv
	v_mov_b32_e32 v114, 5
	ds_write_b64 v0, v[98:99]
	s_waitcnt lgkmcnt(0)
	s_barrier
	buffer_gl0_inv
	ds_read_b64 v[0:1], v120 offset:40
	s_cmp_lt_i32 s7, 7
	s_cbranch_scc1 .LBB106_83
; %bb.81:
	v_add3_u32 v115, v121, 0, 48
	v_mov_b32_e32 v114, 5
	s_mov_b32 s0, 6
.LBB106_82:                             ; =>This Inner Loop Header: Depth=1
	ds_read_b64 v[124:125], v115
	v_add_nc_u32_e32 v115, 8, v115
	s_waitcnt lgkmcnt(0)
	v_cmp_lt_f64_e64 vcc_lo, |v[0:1]|, |v[124:125]|
	v_cndmask_b32_e32 v1, v1, v125, vcc_lo
	v_cndmask_b32_e32 v0, v0, v124, vcc_lo
	v_cndmask_b32_e64 v114, v114, s0, vcc_lo
	s_add_i32 s0, s0, 1
	s_cmp_lg_u32 s7, s0
	s_cbranch_scc1 .LBB106_82
.LBB106_83:
	s_mov_b32 s0, exec_lo
	s_waitcnt lgkmcnt(0)
	v_cmpx_eq_f64_e32 0, v[0:1]
	s_xor_b32 s0, exec_lo, s0
; %bb.84:
	v_cmp_ne_u32_e32 vcc_lo, 0, v117
	v_cndmask_b32_e32 v117, 6, v117, vcc_lo
; %bb.85:
	s_andn2_saveexec_b32 s0, s0
	s_cbranch_execz .LBB106_87
; %bb.86:
	v_div_scale_f64 v[115:116], null, v[0:1], v[0:1], 1.0
	v_rcp_f64_e32 v[124:125], v[115:116]
	v_fma_f64 v[126:127], -v[115:116], v[124:125], 1.0
	v_fma_f64 v[124:125], v[124:125], v[126:127], v[124:125]
	v_fma_f64 v[126:127], -v[115:116], v[124:125], 1.0
	v_fma_f64 v[124:125], v[124:125], v[126:127], v[124:125]
	v_div_scale_f64 v[126:127], vcc_lo, 1.0, v[0:1], 1.0
	v_mul_f64 v[128:129], v[126:127], v[124:125]
	v_fma_f64 v[115:116], -v[115:116], v[128:129], v[126:127]
	v_div_fmas_f64 v[115:116], v[115:116], v[124:125], v[128:129]
	v_div_fixup_f64 v[0:1], v[115:116], v[0:1], 1.0
.LBB106_87:
	s_or_b32 exec_lo, exec_lo, s0
	s_mov_b32 s0, exec_lo
	v_cmpx_ne_u32_e64 v123, v114
	s_xor_b32 s0, exec_lo, s0
	s_cbranch_execz .LBB106_93
; %bb.88:
	s_mov_b32 s1, exec_lo
	v_cmpx_eq_u32_e32 5, v123
	s_cbranch_execz .LBB106_92
; %bb.89:
	v_cmp_ne_u32_e32 vcc_lo, 5, v114
	s_xor_b32 s2, s6, -1
	s_and_b32 s3, s2, vcc_lo
	s_and_saveexec_b32 s2, s3
	s_cbranch_execz .LBB106_91
; %bb.90:
	v_ashrrev_i32_e32 v115, 31, v114
	v_lshlrev_b64 v[115:116], 2, v[114:115]
	v_add_co_u32 v115, vcc_lo, v4, v115
	v_add_co_ci_u32_e64 v116, null, v5, v116, vcc_lo
	s_clause 0x1
	global_load_dword v122, v[115:116], off
	global_load_dword v123, v[4:5], off offset:20
	s_waitcnt vmcnt(1)
	global_store_dword v[4:5], v122, off offset:20
	s_waitcnt vmcnt(0)
	global_store_dword v[115:116], v123, off
.LBB106_91:
	s_or_b32 exec_lo, exec_lo, s2
	v_mov_b32_e32 v122, v114
	v_mov_b32_e32 v123, v114
.LBB106_92:
	s_or_b32 exec_lo, exec_lo, s1
.LBB106_93:
	s_andn2_saveexec_b32 s0, s0
	s_cbranch_execz .LBB106_95
; %bb.94:
	v_mov_b32_e32 v114, v100
	v_mov_b32_e32 v115, v101
	v_mov_b32_e32 v123, v94
	v_mov_b32_e32 v124, v95
	v_mov_b32_e32 v125, v96
	v_mov_b32_e32 v126, v97
	v_mov_b32_e32 v127, v92
	v_mov_b32_e32 v128, v93
	v_mov_b32_e32 v129, v90
	v_mov_b32_e32 v130, v91
	v_mov_b32_e32 v131, v88
	v_mov_b32_e32 v132, v89
	v_mov_b32_e32 v133, v86
	v_mov_b32_e32 v134, v87
	v_mov_b32_e32 v135, v84
	v_mov_b32_e32 v136, v85
	v_mov_b32_e32 v137, v82
	v_mov_b32_e32 v138, v83
	v_mov_b32_e32 v139, v78
	v_mov_b32_e32 v140, v79
	ds_write2_b64 v120, v[114:115], v[123:124] offset0:6 offset1:7
	ds_write2_b64 v120, v[125:126], v[127:128] offset0:8 offset1:9
	ds_write2_b64 v120, v[129:130], v[131:132] offset0:10 offset1:11
	ds_write2_b64 v120, v[133:134], v[135:136] offset0:12 offset1:13
	ds_write2_b64 v120, v[137:138], v[139:140] offset0:14 offset1:15
	v_mov_b32_e32 v114, v80
	v_mov_b32_e32 v115, v81
	v_mov_b32_e32 v123, v74
	v_mov_b32_e32 v124, v75
	v_mov_b32_e32 v125, v76
	v_mov_b32_e32 v126, v77
	v_mov_b32_e32 v127, v72
	v_mov_b32_e32 v128, v73
	v_mov_b32_e32 v129, v70
	v_mov_b32_e32 v130, v71
	v_mov_b32_e32 v131, v68
	v_mov_b32_e32 v132, v69
	v_mov_b32_e32 v133, v66
	v_mov_b32_e32 v134, v67
	v_mov_b32_e32 v135, v64
	v_mov_b32_e32 v136, v65
	v_mov_b32_e32 v137, v62
	v_mov_b32_e32 v138, v63
	v_mov_b32_e32 v139, v58
	v_mov_b32_e32 v140, v59
	ds_write2_b64 v120, v[114:115], v[123:124] offset0:16 offset1:17
	ds_write2_b64 v120, v[125:126], v[127:128] offset0:18 offset1:19
	ds_write2_b64 v120, v[129:130], v[131:132] offset0:20 offset1:21
	ds_write2_b64 v120, v[133:134], v[135:136] offset0:22 offset1:23
	ds_write2_b64 v120, v[137:138], v[139:140] offset0:24 offset1:25
	;; [unrolled: 25-line block ×4, first 2 shown]
	v_mov_b32_e32 v114, v20
	v_mov_b32_e32 v115, v21
	;; [unrolled: 1-line block ×15, first 2 shown]
	ds_write2_b64 v120, v[114:115], v[124:125] offset0:46 offset1:47
	ds_write2_b64 v120, v[126:127], v[128:129] offset0:48 offset1:49
	;; [unrolled: 1-line block ×4, first 2 shown]
.LBB106_95:
	s_or_b32 exec_lo, exec_lo, s0
	s_mov_b32 s0, exec_lo
	s_waitcnt lgkmcnt(0)
	s_waitcnt_vscnt null, 0x0
	s_barrier
	buffer_gl0_inv
	v_cmpx_lt_i32_e32 5, v123
	s_cbranch_execz .LBB106_97
; %bb.96:
	v_mul_f64 v[98:99], v[0:1], v[98:99]
	ds_read2_b64 v[124:127], v120 offset0:6 offset1:7
	ds_read2_b64 v[128:131], v120 offset0:8 offset1:9
	;; [unrolled: 1-line block ×12, first 2 shown]
	s_waitcnt lgkmcnt(11)
	v_fma_f64 v[100:101], -v[98:99], v[124:125], v[100:101]
	v_fma_f64 v[94:95], -v[98:99], v[126:127], v[94:95]
	ds_read2_b64 v[124:127], v120 offset0:30 offset1:31
	s_waitcnt lgkmcnt(11)
	v_fma_f64 v[96:97], -v[98:99], v[128:129], v[96:97]
	v_fma_f64 v[92:93], -v[98:99], v[130:131], v[92:93]
	s_waitcnt lgkmcnt(10)
	v_fma_f64 v[90:91], -v[98:99], v[132:133], v[90:91]
	v_fma_f64 v[88:89], -v[98:99], v[134:135], v[88:89]
	;; [unrolled: 3-line block ×7, first 2 shown]
	ds_read2_b64 v[128:131], v120 offset0:32 offset1:33
	s_waitcnt lgkmcnt(5)
	v_fma_f64 v[66:67], -v[98:99], v[156:157], v[66:67]
	v_fma_f64 v[64:65], -v[98:99], v[158:159], v[64:65]
	ds_read2_b64 v[132:135], v120 offset0:34 offset1:35
	ds_read2_b64 v[136:139], v120 offset0:36 offset1:37
	s_waitcnt lgkmcnt(6)
	v_fma_f64 v[62:63], -v[98:99], v[160:161], v[62:63]
	v_fma_f64 v[58:59], -v[98:99], v[162:163], v[58:59]
	ds_read2_b64 v[140:143], v120 offset0:38 offset1:39
	;; [unrolled: 5-line block ×3, first 2 shown]
	ds_read2_b64 v[152:155], v120 offset0:44 offset1:45
	ds_read2_b64 v[156:159], v120 offset0:46 offset1:47
	;; [unrolled: 1-line block ×3, first 2 shown]
	s_waitcnt lgkmcnt(9)
	v_fma_f64 v[50:51], -v[98:99], v[124:125], v[50:51]
	v_fma_f64 v[48:49], -v[98:99], v[126:127], v[48:49]
	ds_read2_b64 v[124:127], v120 offset0:50 offset1:51
	ds_read2_b64 v[164:167], v120 offset0:52 offset1:53
	v_fma_f64 v[56:57], -v[98:99], v[168:169], v[56:57]
	v_fma_f64 v[52:53], -v[98:99], v[170:171], v[52:53]
	s_waitcnt lgkmcnt(10)
	v_fma_f64 v[46:47], -v[98:99], v[128:129], v[46:47]
	v_fma_f64 v[44:45], -v[98:99], v[130:131], v[44:45]
	s_waitcnt lgkmcnt(9)
	;; [unrolled: 3-line block ×11, first 2 shown]
	v_fma_f64 v[10:11], -v[98:99], v[164:165], v[10:11]
	v_fma_f64 v[112:113], -v[98:99], v[166:167], v[112:113]
.LBB106_97:
	s_or_b32 exec_lo, exec_lo, s0
	v_lshl_add_u32 v0, v123, 3, v120
	s_barrier
	buffer_gl0_inv
	v_mov_b32_e32 v114, 6
	ds_write_b64 v0, v[100:101]
	s_waitcnt lgkmcnt(0)
	s_barrier
	buffer_gl0_inv
	ds_read_b64 v[0:1], v120 offset:48
	s_cmp_lt_i32 s7, 8
	s_cbranch_scc1 .LBB106_100
; %bb.98:
	v_add3_u32 v115, v121, 0, 56
	v_mov_b32_e32 v114, 6
	s_mov_b32 s0, 7
.LBB106_99:                             ; =>This Inner Loop Header: Depth=1
	ds_read_b64 v[124:125], v115
	v_add_nc_u32_e32 v115, 8, v115
	s_waitcnt lgkmcnt(0)
	v_cmp_lt_f64_e64 vcc_lo, |v[0:1]|, |v[124:125]|
	v_cndmask_b32_e32 v1, v1, v125, vcc_lo
	v_cndmask_b32_e32 v0, v0, v124, vcc_lo
	v_cndmask_b32_e64 v114, v114, s0, vcc_lo
	s_add_i32 s0, s0, 1
	s_cmp_lg_u32 s7, s0
	s_cbranch_scc1 .LBB106_99
.LBB106_100:
	s_mov_b32 s0, exec_lo
	s_waitcnt lgkmcnt(0)
	v_cmpx_eq_f64_e32 0, v[0:1]
	s_xor_b32 s0, exec_lo, s0
; %bb.101:
	v_cmp_ne_u32_e32 vcc_lo, 0, v117
	v_cndmask_b32_e32 v117, 7, v117, vcc_lo
; %bb.102:
	s_andn2_saveexec_b32 s0, s0
	s_cbranch_execz .LBB106_104
; %bb.103:
	v_div_scale_f64 v[115:116], null, v[0:1], v[0:1], 1.0
	v_rcp_f64_e32 v[124:125], v[115:116]
	v_fma_f64 v[126:127], -v[115:116], v[124:125], 1.0
	v_fma_f64 v[124:125], v[124:125], v[126:127], v[124:125]
	v_fma_f64 v[126:127], -v[115:116], v[124:125], 1.0
	v_fma_f64 v[124:125], v[124:125], v[126:127], v[124:125]
	v_div_scale_f64 v[126:127], vcc_lo, 1.0, v[0:1], 1.0
	v_mul_f64 v[128:129], v[126:127], v[124:125]
	v_fma_f64 v[115:116], -v[115:116], v[128:129], v[126:127]
	v_div_fmas_f64 v[115:116], v[115:116], v[124:125], v[128:129]
	v_div_fixup_f64 v[0:1], v[115:116], v[0:1], 1.0
.LBB106_104:
	s_or_b32 exec_lo, exec_lo, s0
	s_mov_b32 s0, exec_lo
	v_cmpx_ne_u32_e64 v123, v114
	s_xor_b32 s0, exec_lo, s0
	s_cbranch_execz .LBB106_110
; %bb.105:
	s_mov_b32 s1, exec_lo
	v_cmpx_eq_u32_e32 6, v123
	s_cbranch_execz .LBB106_109
; %bb.106:
	v_cmp_ne_u32_e32 vcc_lo, 6, v114
	s_xor_b32 s2, s6, -1
	s_and_b32 s3, s2, vcc_lo
	s_and_saveexec_b32 s2, s3
	s_cbranch_execz .LBB106_108
; %bb.107:
	v_ashrrev_i32_e32 v115, 31, v114
	v_lshlrev_b64 v[115:116], 2, v[114:115]
	v_add_co_u32 v115, vcc_lo, v4, v115
	v_add_co_ci_u32_e64 v116, null, v5, v116, vcc_lo
	s_clause 0x1
	global_load_dword v122, v[115:116], off
	global_load_dword v123, v[4:5], off offset:24
	s_waitcnt vmcnt(1)
	global_store_dword v[4:5], v122, off offset:24
	s_waitcnt vmcnt(0)
	global_store_dword v[115:116], v123, off
.LBB106_108:
	s_or_b32 exec_lo, exec_lo, s2
	v_mov_b32_e32 v122, v114
	v_mov_b32_e32 v123, v114
.LBB106_109:
	s_or_b32 exec_lo, exec_lo, s1
.LBB106_110:
	s_andn2_saveexec_b32 s0, s0
	s_cbranch_execz .LBB106_112
; %bb.111:
	v_mov_b32_e32 v123, 6
	ds_write2_b64 v120, v[94:95], v[96:97] offset0:7 offset1:8
	ds_write2_b64 v120, v[92:93], v[90:91] offset0:9 offset1:10
	;; [unrolled: 1-line block ×23, first 2 shown]
	ds_write_b64 v120, v[112:113] offset:424
.LBB106_112:
	s_or_b32 exec_lo, exec_lo, s0
	s_mov_b32 s0, exec_lo
	s_waitcnt lgkmcnt(0)
	s_waitcnt_vscnt null, 0x0
	s_barrier
	buffer_gl0_inv
	v_cmpx_lt_i32_e32 6, v123
	s_cbranch_execz .LBB106_114
; %bb.113:
	v_mul_f64 v[100:101], v[0:1], v[100:101]
	ds_read2_b64 v[124:127], v120 offset0:7 offset1:8
	ds_read2_b64 v[128:131], v120 offset0:9 offset1:10
	ds_read2_b64 v[132:135], v120 offset0:11 offset1:12
	ds_read2_b64 v[136:139], v120 offset0:13 offset1:14
	ds_read2_b64 v[140:143], v120 offset0:15 offset1:16
	ds_read2_b64 v[144:147], v120 offset0:17 offset1:18
	ds_read2_b64 v[148:151], v120 offset0:19 offset1:20
	ds_read2_b64 v[152:155], v120 offset0:21 offset1:22
	ds_read2_b64 v[156:159], v120 offset0:23 offset1:24
	ds_read2_b64 v[160:163], v120 offset0:25 offset1:26
	ds_read2_b64 v[164:167], v120 offset0:27 offset1:28
	ds_read2_b64 v[168:171], v120 offset0:29 offset1:30
	ds_read_b64 v[0:1], v120 offset:424
	s_waitcnt lgkmcnt(12)
	v_fma_f64 v[94:95], -v[100:101], v[124:125], v[94:95]
	v_fma_f64 v[96:97], -v[100:101], v[126:127], v[96:97]
	ds_read2_b64 v[124:127], v120 offset0:31 offset1:32
	s_waitcnt lgkmcnt(12)
	v_fma_f64 v[92:93], -v[100:101], v[128:129], v[92:93]
	v_fma_f64 v[90:91], -v[100:101], v[130:131], v[90:91]
	s_waitcnt lgkmcnt(11)
	v_fma_f64 v[88:89], -v[100:101], v[132:133], v[88:89]
	v_fma_f64 v[86:87], -v[100:101], v[134:135], v[86:87]
	;; [unrolled: 3-line block ×7, first 2 shown]
	ds_read2_b64 v[128:131], v120 offset0:33 offset1:34
	s_waitcnt lgkmcnt(6)
	v_fma_f64 v[64:65], -v[100:101], v[156:157], v[64:65]
	v_fma_f64 v[62:63], -v[100:101], v[158:159], v[62:63]
	ds_read2_b64 v[132:135], v120 offset0:35 offset1:36
	ds_read2_b64 v[136:139], v120 offset0:37 offset1:38
	s_waitcnt lgkmcnt(7)
	v_fma_f64 v[58:59], -v[100:101], v[160:161], v[58:59]
	v_fma_f64 v[60:61], -v[100:101], v[162:163], v[60:61]
	ds_read2_b64 v[140:143], v120 offset0:39 offset1:40
	ds_read2_b64 v[144:147], v120 offset0:41 offset1:42
	;; [unrolled: 1-line block ×6, first 2 shown]
	s_waitcnt lgkmcnt(9)
	v_fma_f64 v[48:49], -v[100:101], v[124:125], v[48:49]
	v_fma_f64 v[46:47], -v[100:101], v[126:127], v[46:47]
	ds_read2_b64 v[124:127], v120 offset0:51 offset1:52
	v_fma_f64 v[54:55], -v[100:101], v[164:165], v[54:55]
	v_fma_f64 v[56:57], -v[100:101], v[166:167], v[56:57]
	;; [unrolled: 1-line block ×4, first 2 shown]
	s_waitcnt lgkmcnt(9)
	v_fma_f64 v[44:45], -v[100:101], v[128:129], v[44:45]
	v_fma_f64 v[42:43], -v[100:101], v[130:131], v[42:43]
	;; [unrolled: 1-line block ×3, first 2 shown]
	s_waitcnt lgkmcnt(8)
	v_fma_f64 v[38:39], -v[100:101], v[132:133], v[38:39]
	v_fma_f64 v[40:41], -v[100:101], v[134:135], v[40:41]
	s_waitcnt lgkmcnt(7)
	v_fma_f64 v[34:35], -v[100:101], v[136:137], v[34:35]
	v_fma_f64 v[36:37], -v[100:101], v[138:139], v[36:37]
	s_waitcnt lgkmcnt(6)
	v_fma_f64 v[32:33], -v[100:101], v[140:141], v[32:33]
	v_fma_f64 v[30:31], -v[100:101], v[142:143], v[30:31]
	s_waitcnt lgkmcnt(5)
	v_fma_f64 v[28:29], -v[100:101], v[144:145], v[28:29]
	v_fma_f64 v[26:27], -v[100:101], v[146:147], v[26:27]
	s_waitcnt lgkmcnt(4)
	v_fma_f64 v[24:25], -v[100:101], v[148:149], v[24:25]
	v_fma_f64 v[22:23], -v[100:101], v[150:151], v[22:23]
	s_waitcnt lgkmcnt(3)
	v_fma_f64 v[18:19], -v[100:101], v[152:153], v[18:19]
	v_fma_f64 v[20:21], -v[100:101], v[154:155], v[20:21]
	s_waitcnt lgkmcnt(2)
	v_fma_f64 v[16:17], -v[100:101], v[156:157], v[16:17]
	v_fma_f64 v[14:15], -v[100:101], v[158:159], v[14:15]
	s_waitcnt lgkmcnt(1)
	v_fma_f64 v[8:9], -v[100:101], v[160:161], v[8:9]
	v_fma_f64 v[12:13], -v[100:101], v[162:163], v[12:13]
	s_waitcnt lgkmcnt(0)
	v_fma_f64 v[6:7], -v[100:101], v[124:125], v[6:7]
	v_fma_f64 v[10:11], -v[100:101], v[126:127], v[10:11]
.LBB106_114:
	s_or_b32 exec_lo, exec_lo, s0
	v_lshl_add_u32 v0, v123, 3, v120
	s_barrier
	buffer_gl0_inv
	v_mov_b32_e32 v114, 7
	ds_write_b64 v0, v[94:95]
	s_waitcnt lgkmcnt(0)
	s_barrier
	buffer_gl0_inv
	ds_read_b64 v[0:1], v120 offset:56
	s_cmp_lt_i32 s7, 9
	s_cbranch_scc1 .LBB106_117
; %bb.115:
	v_add3_u32 v115, v121, 0, 64
	v_mov_b32_e32 v114, 7
	s_mov_b32 s0, 8
.LBB106_116:                            ; =>This Inner Loop Header: Depth=1
	ds_read_b64 v[124:125], v115
	v_add_nc_u32_e32 v115, 8, v115
	s_waitcnt lgkmcnt(0)
	v_cmp_lt_f64_e64 vcc_lo, |v[0:1]|, |v[124:125]|
	v_cndmask_b32_e32 v1, v1, v125, vcc_lo
	v_cndmask_b32_e32 v0, v0, v124, vcc_lo
	v_cndmask_b32_e64 v114, v114, s0, vcc_lo
	s_add_i32 s0, s0, 1
	s_cmp_lg_u32 s7, s0
	s_cbranch_scc1 .LBB106_116
.LBB106_117:
	s_mov_b32 s0, exec_lo
	s_waitcnt lgkmcnt(0)
	v_cmpx_eq_f64_e32 0, v[0:1]
	s_xor_b32 s0, exec_lo, s0
; %bb.118:
	v_cmp_ne_u32_e32 vcc_lo, 0, v117
	v_cndmask_b32_e32 v117, 8, v117, vcc_lo
; %bb.119:
	s_andn2_saveexec_b32 s0, s0
	s_cbranch_execz .LBB106_121
; %bb.120:
	v_div_scale_f64 v[115:116], null, v[0:1], v[0:1], 1.0
	v_rcp_f64_e32 v[124:125], v[115:116]
	v_fma_f64 v[126:127], -v[115:116], v[124:125], 1.0
	v_fma_f64 v[124:125], v[124:125], v[126:127], v[124:125]
	v_fma_f64 v[126:127], -v[115:116], v[124:125], 1.0
	v_fma_f64 v[124:125], v[124:125], v[126:127], v[124:125]
	v_div_scale_f64 v[126:127], vcc_lo, 1.0, v[0:1], 1.0
	v_mul_f64 v[128:129], v[126:127], v[124:125]
	v_fma_f64 v[115:116], -v[115:116], v[128:129], v[126:127]
	v_div_fmas_f64 v[115:116], v[115:116], v[124:125], v[128:129]
	v_div_fixup_f64 v[0:1], v[115:116], v[0:1], 1.0
.LBB106_121:
	s_or_b32 exec_lo, exec_lo, s0
	s_mov_b32 s0, exec_lo
	v_cmpx_ne_u32_e64 v123, v114
	s_xor_b32 s0, exec_lo, s0
	s_cbranch_execz .LBB106_127
; %bb.122:
	s_mov_b32 s1, exec_lo
	v_cmpx_eq_u32_e32 7, v123
	s_cbranch_execz .LBB106_126
; %bb.123:
	v_cmp_ne_u32_e32 vcc_lo, 7, v114
	s_xor_b32 s2, s6, -1
	s_and_b32 s3, s2, vcc_lo
	s_and_saveexec_b32 s2, s3
	s_cbranch_execz .LBB106_125
; %bb.124:
	v_ashrrev_i32_e32 v115, 31, v114
	v_lshlrev_b64 v[115:116], 2, v[114:115]
	v_add_co_u32 v115, vcc_lo, v4, v115
	v_add_co_ci_u32_e64 v116, null, v5, v116, vcc_lo
	s_clause 0x1
	global_load_dword v122, v[115:116], off
	global_load_dword v123, v[4:5], off offset:28
	s_waitcnt vmcnt(1)
	global_store_dword v[4:5], v122, off offset:28
	s_waitcnt vmcnt(0)
	global_store_dword v[115:116], v123, off
.LBB106_125:
	s_or_b32 exec_lo, exec_lo, s2
	v_mov_b32_e32 v122, v114
	v_mov_b32_e32 v123, v114
.LBB106_126:
	s_or_b32 exec_lo, exec_lo, s1
.LBB106_127:
	s_andn2_saveexec_b32 s0, s0
	s_cbranch_execz .LBB106_129
; %bb.128:
	v_mov_b32_e32 v114, v96
	v_mov_b32_e32 v115, v97
	;; [unrolled: 1-line block ×16, first 2 shown]
	ds_write2_b64 v120, v[114:115], v[123:124] offset0:8 offset1:9
	ds_write2_b64 v120, v[125:126], v[127:128] offset0:10 offset1:11
	ds_write2_b64 v120, v[129:130], v[131:132] offset0:12 offset1:13
	ds_write2_b64 v120, v[133:134], v[135:136] offset0:14 offset1:15
	v_mov_b32_e32 v114, v80
	v_mov_b32_e32 v115, v81
	v_mov_b32_e32 v123, v74
	v_mov_b32_e32 v124, v75
	v_mov_b32_e32 v125, v76
	v_mov_b32_e32 v126, v77
	v_mov_b32_e32 v127, v72
	v_mov_b32_e32 v128, v73
	v_mov_b32_e32 v129, v70
	v_mov_b32_e32 v130, v71
	v_mov_b32_e32 v131, v68
	v_mov_b32_e32 v132, v69
	v_mov_b32_e32 v133, v66
	v_mov_b32_e32 v134, v67
	v_mov_b32_e32 v135, v64
	v_mov_b32_e32 v136, v65
	v_mov_b32_e32 v137, v62
	v_mov_b32_e32 v138, v63
	v_mov_b32_e32 v139, v58
	v_mov_b32_e32 v140, v59
	ds_write2_b64 v120, v[114:115], v[123:124] offset0:16 offset1:17
	ds_write2_b64 v120, v[125:126], v[127:128] offset0:18 offset1:19
	ds_write2_b64 v120, v[129:130], v[131:132] offset0:20 offset1:21
	ds_write2_b64 v120, v[133:134], v[135:136] offset0:22 offset1:23
	ds_write2_b64 v120, v[137:138], v[139:140] offset0:24 offset1:25
	v_mov_b32_e32 v114, v60
	v_mov_b32_e32 v115, v61
	v_mov_b32_e32 v123, v54
	v_mov_b32_e32 v124, v55
	v_mov_b32_e32 v125, v56
	v_mov_b32_e32 v126, v57
	v_mov_b32_e32 v127, v52
	v_mov_b32_e32 v128, v53
	v_mov_b32_e32 v129, v50
	v_mov_b32_e32 v130, v51
	v_mov_b32_e32 v131, v48
	v_mov_b32_e32 v132, v49
	v_mov_b32_e32 v133, v46
	v_mov_b32_e32 v134, v47
	v_mov_b32_e32 v135, v44
	v_mov_b32_e32 v136, v45
	v_mov_b32_e32 v137, v42
	v_mov_b32_e32 v138, v43
	v_mov_b32_e32 v139, v38
	v_mov_b32_e32 v140, v39
	ds_write2_b64 v120, v[114:115], v[123:124] offset0:26 offset1:27
	;; [unrolled: 25-line block ×3, first 2 shown]
	ds_write2_b64 v120, v[125:126], v[127:128] offset0:38 offset1:39
	ds_write2_b64 v120, v[129:130], v[131:132] offset0:40 offset1:41
	;; [unrolled: 1-line block ×4, first 2 shown]
	v_mov_b32_e32 v114, v20
	v_mov_b32_e32 v115, v21
	;; [unrolled: 1-line block ×15, first 2 shown]
	ds_write2_b64 v120, v[114:115], v[124:125] offset0:46 offset1:47
	ds_write2_b64 v120, v[126:127], v[128:129] offset0:48 offset1:49
	;; [unrolled: 1-line block ×4, first 2 shown]
.LBB106_129:
	s_or_b32 exec_lo, exec_lo, s0
	s_mov_b32 s0, exec_lo
	s_waitcnt lgkmcnt(0)
	s_waitcnt_vscnt null, 0x0
	s_barrier
	buffer_gl0_inv
	v_cmpx_lt_i32_e32 7, v123
	s_cbranch_execz .LBB106_131
; %bb.130:
	v_mul_f64 v[94:95], v[0:1], v[94:95]
	ds_read2_b64 v[124:127], v120 offset0:8 offset1:9
	ds_read2_b64 v[128:131], v120 offset0:10 offset1:11
	;; [unrolled: 1-line block ×11, first 2 shown]
	s_waitcnt lgkmcnt(10)
	v_fma_f64 v[96:97], -v[94:95], v[124:125], v[96:97]
	v_fma_f64 v[92:93], -v[94:95], v[126:127], v[92:93]
	ds_read2_b64 v[124:127], v120 offset0:30 offset1:31
	s_waitcnt lgkmcnt(10)
	v_fma_f64 v[90:91], -v[94:95], v[128:129], v[90:91]
	v_fma_f64 v[88:89], -v[94:95], v[130:131], v[88:89]
	s_waitcnt lgkmcnt(9)
	v_fma_f64 v[86:87], -v[94:95], v[132:133], v[86:87]
	v_fma_f64 v[84:85], -v[94:95], v[134:135], v[84:85]
	;; [unrolled: 3-line block ×6, first 2 shown]
	ds_read2_b64 v[128:131], v120 offset0:32 offset1:33
	s_waitcnt lgkmcnt(5)
	v_fma_f64 v[66:67], -v[94:95], v[152:153], v[66:67]
	v_fma_f64 v[64:65], -v[94:95], v[154:155], v[64:65]
	ds_read2_b64 v[132:135], v120 offset0:34 offset1:35
	ds_read2_b64 v[136:139], v120 offset0:36 offset1:37
	s_waitcnt lgkmcnt(6)
	v_fma_f64 v[62:63], -v[94:95], v[156:157], v[62:63]
	v_fma_f64 v[58:59], -v[94:95], v[158:159], v[58:59]
	ds_read2_b64 v[140:143], v120 offset0:38 offset1:39
	;; [unrolled: 5-line block ×5, first 2 shown]
	ds_read2_b64 v[164:167], v120 offset0:52 offset1:53
	s_waitcnt lgkmcnt(10)
	v_fma_f64 v[46:47], -v[94:95], v[128:129], v[46:47]
	v_fma_f64 v[44:45], -v[94:95], v[130:131], v[44:45]
	s_waitcnt lgkmcnt(9)
	v_fma_f64 v[42:43], -v[94:95], v[132:133], v[42:43]
	v_fma_f64 v[38:39], -v[94:95], v[134:135], v[38:39]
	;; [unrolled: 3-line block ×11, first 2 shown]
.LBB106_131:
	s_or_b32 exec_lo, exec_lo, s0
	v_lshl_add_u32 v0, v123, 3, v120
	s_barrier
	buffer_gl0_inv
	v_mov_b32_e32 v114, 8
	ds_write_b64 v0, v[96:97]
	s_waitcnt lgkmcnt(0)
	s_barrier
	buffer_gl0_inv
	ds_read_b64 v[0:1], v120 offset:64
	s_cmp_lt_i32 s7, 10
	s_cbranch_scc1 .LBB106_134
; %bb.132:
	v_add3_u32 v115, v121, 0, 0x48
	v_mov_b32_e32 v114, 8
	s_mov_b32 s0, 9
.LBB106_133:                            ; =>This Inner Loop Header: Depth=1
	ds_read_b64 v[124:125], v115
	v_add_nc_u32_e32 v115, 8, v115
	s_waitcnt lgkmcnt(0)
	v_cmp_lt_f64_e64 vcc_lo, |v[0:1]|, |v[124:125]|
	v_cndmask_b32_e32 v1, v1, v125, vcc_lo
	v_cndmask_b32_e32 v0, v0, v124, vcc_lo
	v_cndmask_b32_e64 v114, v114, s0, vcc_lo
	s_add_i32 s0, s0, 1
	s_cmp_lg_u32 s7, s0
	s_cbranch_scc1 .LBB106_133
.LBB106_134:
	s_mov_b32 s0, exec_lo
	s_waitcnt lgkmcnt(0)
	v_cmpx_eq_f64_e32 0, v[0:1]
	s_xor_b32 s0, exec_lo, s0
; %bb.135:
	v_cmp_ne_u32_e32 vcc_lo, 0, v117
	v_cndmask_b32_e32 v117, 9, v117, vcc_lo
; %bb.136:
	s_andn2_saveexec_b32 s0, s0
	s_cbranch_execz .LBB106_138
; %bb.137:
	v_div_scale_f64 v[115:116], null, v[0:1], v[0:1], 1.0
	v_rcp_f64_e32 v[124:125], v[115:116]
	v_fma_f64 v[126:127], -v[115:116], v[124:125], 1.0
	v_fma_f64 v[124:125], v[124:125], v[126:127], v[124:125]
	v_fma_f64 v[126:127], -v[115:116], v[124:125], 1.0
	v_fma_f64 v[124:125], v[124:125], v[126:127], v[124:125]
	v_div_scale_f64 v[126:127], vcc_lo, 1.0, v[0:1], 1.0
	v_mul_f64 v[128:129], v[126:127], v[124:125]
	v_fma_f64 v[115:116], -v[115:116], v[128:129], v[126:127]
	v_div_fmas_f64 v[115:116], v[115:116], v[124:125], v[128:129]
	v_div_fixup_f64 v[0:1], v[115:116], v[0:1], 1.0
.LBB106_138:
	s_or_b32 exec_lo, exec_lo, s0
	s_mov_b32 s0, exec_lo
	v_cmpx_ne_u32_e64 v123, v114
	s_xor_b32 s0, exec_lo, s0
	s_cbranch_execz .LBB106_144
; %bb.139:
	s_mov_b32 s1, exec_lo
	v_cmpx_eq_u32_e32 8, v123
	s_cbranch_execz .LBB106_143
; %bb.140:
	v_cmp_ne_u32_e32 vcc_lo, 8, v114
	s_xor_b32 s2, s6, -1
	s_and_b32 s3, s2, vcc_lo
	s_and_saveexec_b32 s2, s3
	s_cbranch_execz .LBB106_142
; %bb.141:
	v_ashrrev_i32_e32 v115, 31, v114
	v_lshlrev_b64 v[115:116], 2, v[114:115]
	v_add_co_u32 v115, vcc_lo, v4, v115
	v_add_co_ci_u32_e64 v116, null, v5, v116, vcc_lo
	s_clause 0x1
	global_load_dword v122, v[115:116], off
	global_load_dword v123, v[4:5], off offset:32
	s_waitcnt vmcnt(1)
	global_store_dword v[4:5], v122, off offset:32
	s_waitcnt vmcnt(0)
	global_store_dword v[115:116], v123, off
.LBB106_142:
	s_or_b32 exec_lo, exec_lo, s2
	v_mov_b32_e32 v122, v114
	v_mov_b32_e32 v123, v114
.LBB106_143:
	s_or_b32 exec_lo, exec_lo, s1
.LBB106_144:
	s_andn2_saveexec_b32 s0, s0
	s_cbranch_execz .LBB106_146
; %bb.145:
	v_mov_b32_e32 v123, 8
	ds_write2_b64 v120, v[92:93], v[90:91] offset0:9 offset1:10
	ds_write2_b64 v120, v[88:89], v[86:87] offset0:11 offset1:12
	;; [unrolled: 1-line block ×22, first 2 shown]
	ds_write_b64 v120, v[112:113] offset:424
.LBB106_146:
	s_or_b32 exec_lo, exec_lo, s0
	s_mov_b32 s0, exec_lo
	s_waitcnt lgkmcnt(0)
	s_waitcnt_vscnt null, 0x0
	s_barrier
	buffer_gl0_inv
	v_cmpx_lt_i32_e32 8, v123
	s_cbranch_execz .LBB106_148
; %bb.147:
	v_mul_f64 v[96:97], v[0:1], v[96:97]
	ds_read2_b64 v[124:127], v120 offset0:9 offset1:10
	ds_read2_b64 v[128:131], v120 offset0:11 offset1:12
	;; [unrolled: 1-line block ×11, first 2 shown]
	ds_read_b64 v[0:1], v120 offset:424
	s_waitcnt lgkmcnt(11)
	v_fma_f64 v[92:93], -v[96:97], v[124:125], v[92:93]
	v_fma_f64 v[90:91], -v[96:97], v[126:127], v[90:91]
	ds_read2_b64 v[124:127], v120 offset0:31 offset1:32
	s_waitcnt lgkmcnt(11)
	v_fma_f64 v[88:89], -v[96:97], v[128:129], v[88:89]
	v_fma_f64 v[86:87], -v[96:97], v[130:131], v[86:87]
	s_waitcnt lgkmcnt(10)
	v_fma_f64 v[84:85], -v[96:97], v[132:133], v[84:85]
	v_fma_f64 v[82:83], -v[96:97], v[134:135], v[82:83]
	;; [unrolled: 3-line block ×6, first 2 shown]
	ds_read2_b64 v[128:131], v120 offset0:33 offset1:34
	s_waitcnt lgkmcnt(6)
	v_fma_f64 v[64:65], -v[96:97], v[152:153], v[64:65]
	v_fma_f64 v[62:63], -v[96:97], v[154:155], v[62:63]
	ds_read2_b64 v[132:135], v120 offset0:35 offset1:36
	ds_read2_b64 v[136:139], v120 offset0:37 offset1:38
	s_waitcnt lgkmcnt(7)
	v_fma_f64 v[58:59], -v[96:97], v[156:157], v[58:59]
	v_fma_f64 v[60:61], -v[96:97], v[158:159], v[60:61]
	ds_read2_b64 v[140:143], v120 offset0:39 offset1:40
	;; [unrolled: 5-line block ×3, first 2 shown]
	ds_read2_b64 v[152:155], v120 offset0:45 offset1:46
	ds_read2_b64 v[156:159], v120 offset0:47 offset1:48
	;; [unrolled: 1-line block ×3, first 2 shown]
	s_waitcnt lgkmcnt(9)
	v_fma_f64 v[48:49], -v[96:97], v[124:125], v[48:49]
	v_fma_f64 v[46:47], -v[96:97], v[126:127], v[46:47]
	ds_read2_b64 v[124:127], v120 offset0:51 offset1:52
	v_fma_f64 v[52:53], -v[96:97], v[164:165], v[52:53]
	v_fma_f64 v[50:51], -v[96:97], v[166:167], v[50:51]
	s_waitcnt lgkmcnt(9)
	v_fma_f64 v[44:45], -v[96:97], v[128:129], v[44:45]
	v_fma_f64 v[42:43], -v[96:97], v[130:131], v[42:43]
	;; [unrolled: 1-line block ×3, first 2 shown]
	s_waitcnt lgkmcnt(8)
	v_fma_f64 v[38:39], -v[96:97], v[132:133], v[38:39]
	v_fma_f64 v[40:41], -v[96:97], v[134:135], v[40:41]
	s_waitcnt lgkmcnt(7)
	v_fma_f64 v[34:35], -v[96:97], v[136:137], v[34:35]
	v_fma_f64 v[36:37], -v[96:97], v[138:139], v[36:37]
	;; [unrolled: 3-line block ×9, first 2 shown]
.LBB106_148:
	s_or_b32 exec_lo, exec_lo, s0
	v_lshl_add_u32 v0, v123, 3, v120
	s_barrier
	buffer_gl0_inv
	v_mov_b32_e32 v114, 9
	ds_write_b64 v0, v[92:93]
	s_waitcnt lgkmcnt(0)
	s_barrier
	buffer_gl0_inv
	ds_read_b64 v[0:1], v120 offset:72
	s_cmp_lt_i32 s7, 11
	s_cbranch_scc1 .LBB106_151
; %bb.149:
	v_add3_u32 v115, v121, 0, 0x50
	v_mov_b32_e32 v114, 9
	s_mov_b32 s0, 10
.LBB106_150:                            ; =>This Inner Loop Header: Depth=1
	ds_read_b64 v[124:125], v115
	v_add_nc_u32_e32 v115, 8, v115
	s_waitcnt lgkmcnt(0)
	v_cmp_lt_f64_e64 vcc_lo, |v[0:1]|, |v[124:125]|
	v_cndmask_b32_e32 v1, v1, v125, vcc_lo
	v_cndmask_b32_e32 v0, v0, v124, vcc_lo
	v_cndmask_b32_e64 v114, v114, s0, vcc_lo
	s_add_i32 s0, s0, 1
	s_cmp_lg_u32 s7, s0
	s_cbranch_scc1 .LBB106_150
.LBB106_151:
	s_mov_b32 s0, exec_lo
	s_waitcnt lgkmcnt(0)
	v_cmpx_eq_f64_e32 0, v[0:1]
	s_xor_b32 s0, exec_lo, s0
; %bb.152:
	v_cmp_ne_u32_e32 vcc_lo, 0, v117
	v_cndmask_b32_e32 v117, 10, v117, vcc_lo
; %bb.153:
	s_andn2_saveexec_b32 s0, s0
	s_cbranch_execz .LBB106_155
; %bb.154:
	v_div_scale_f64 v[115:116], null, v[0:1], v[0:1], 1.0
	v_rcp_f64_e32 v[124:125], v[115:116]
	v_fma_f64 v[126:127], -v[115:116], v[124:125], 1.0
	v_fma_f64 v[124:125], v[124:125], v[126:127], v[124:125]
	v_fma_f64 v[126:127], -v[115:116], v[124:125], 1.0
	v_fma_f64 v[124:125], v[124:125], v[126:127], v[124:125]
	v_div_scale_f64 v[126:127], vcc_lo, 1.0, v[0:1], 1.0
	v_mul_f64 v[128:129], v[126:127], v[124:125]
	v_fma_f64 v[115:116], -v[115:116], v[128:129], v[126:127]
	v_div_fmas_f64 v[115:116], v[115:116], v[124:125], v[128:129]
	v_div_fixup_f64 v[0:1], v[115:116], v[0:1], 1.0
.LBB106_155:
	s_or_b32 exec_lo, exec_lo, s0
	s_mov_b32 s0, exec_lo
	v_cmpx_ne_u32_e64 v123, v114
	s_xor_b32 s0, exec_lo, s0
	s_cbranch_execz .LBB106_161
; %bb.156:
	s_mov_b32 s1, exec_lo
	v_cmpx_eq_u32_e32 9, v123
	s_cbranch_execz .LBB106_160
; %bb.157:
	v_cmp_ne_u32_e32 vcc_lo, 9, v114
	s_xor_b32 s2, s6, -1
	s_and_b32 s3, s2, vcc_lo
	s_and_saveexec_b32 s2, s3
	s_cbranch_execz .LBB106_159
; %bb.158:
	v_ashrrev_i32_e32 v115, 31, v114
	v_lshlrev_b64 v[115:116], 2, v[114:115]
	v_add_co_u32 v115, vcc_lo, v4, v115
	v_add_co_ci_u32_e64 v116, null, v5, v116, vcc_lo
	s_clause 0x1
	global_load_dword v122, v[115:116], off
	global_load_dword v123, v[4:5], off offset:36
	s_waitcnt vmcnt(1)
	global_store_dword v[4:5], v122, off offset:36
	s_waitcnt vmcnt(0)
	global_store_dword v[115:116], v123, off
.LBB106_159:
	s_or_b32 exec_lo, exec_lo, s2
	v_mov_b32_e32 v122, v114
	v_mov_b32_e32 v123, v114
.LBB106_160:
	s_or_b32 exec_lo, exec_lo, s1
.LBB106_161:
	s_andn2_saveexec_b32 s0, s0
	s_cbranch_execz .LBB106_163
; %bb.162:
	v_mov_b32_e32 v114, v90
	v_mov_b32_e32 v115, v91
	;; [unrolled: 1-line block ×12, first 2 shown]
	ds_write2_b64 v120, v[114:115], v[123:124] offset0:10 offset1:11
	ds_write2_b64 v120, v[125:126], v[127:128] offset0:12 offset1:13
	ds_write2_b64 v120, v[129:130], v[131:132] offset0:14 offset1:15
	v_mov_b32_e32 v114, v80
	v_mov_b32_e32 v115, v81
	v_mov_b32_e32 v123, v74
	v_mov_b32_e32 v124, v75
	v_mov_b32_e32 v125, v76
	v_mov_b32_e32 v126, v77
	v_mov_b32_e32 v127, v72
	v_mov_b32_e32 v128, v73
	v_mov_b32_e32 v129, v70
	v_mov_b32_e32 v130, v71
	v_mov_b32_e32 v131, v68
	v_mov_b32_e32 v132, v69
	v_mov_b32_e32 v133, v66
	v_mov_b32_e32 v134, v67
	v_mov_b32_e32 v135, v64
	v_mov_b32_e32 v136, v65
	v_mov_b32_e32 v137, v62
	v_mov_b32_e32 v138, v63
	v_mov_b32_e32 v139, v58
	v_mov_b32_e32 v140, v59
	ds_write2_b64 v120, v[114:115], v[123:124] offset0:16 offset1:17
	ds_write2_b64 v120, v[125:126], v[127:128] offset0:18 offset1:19
	ds_write2_b64 v120, v[129:130], v[131:132] offset0:20 offset1:21
	ds_write2_b64 v120, v[133:134], v[135:136] offset0:22 offset1:23
	ds_write2_b64 v120, v[137:138], v[139:140] offset0:24 offset1:25
	v_mov_b32_e32 v114, v60
	v_mov_b32_e32 v115, v61
	v_mov_b32_e32 v123, v54
	v_mov_b32_e32 v124, v55
	v_mov_b32_e32 v125, v56
	v_mov_b32_e32 v126, v57
	v_mov_b32_e32 v127, v52
	v_mov_b32_e32 v128, v53
	v_mov_b32_e32 v129, v50
	v_mov_b32_e32 v130, v51
	v_mov_b32_e32 v131, v48
	v_mov_b32_e32 v132, v49
	v_mov_b32_e32 v133, v46
	v_mov_b32_e32 v134, v47
	v_mov_b32_e32 v135, v44
	v_mov_b32_e32 v136, v45
	v_mov_b32_e32 v137, v42
	v_mov_b32_e32 v138, v43
	v_mov_b32_e32 v139, v38
	v_mov_b32_e32 v140, v39
	ds_write2_b64 v120, v[114:115], v[123:124] offset0:26 offset1:27
	ds_write2_b64 v120, v[125:126], v[127:128] offset0:28 offset1:29
	;; [unrolled: 25-line block ×3, first 2 shown]
	ds_write2_b64 v120, v[129:130], v[131:132] offset0:40 offset1:41
	ds_write2_b64 v120, v[133:134], v[135:136] offset0:42 offset1:43
	;; [unrolled: 1-line block ×3, first 2 shown]
	v_mov_b32_e32 v114, v20
	v_mov_b32_e32 v115, v21
	;; [unrolled: 1-line block ×15, first 2 shown]
	ds_write2_b64 v120, v[114:115], v[124:125] offset0:46 offset1:47
	ds_write2_b64 v120, v[126:127], v[128:129] offset0:48 offset1:49
	;; [unrolled: 1-line block ×4, first 2 shown]
.LBB106_163:
	s_or_b32 exec_lo, exec_lo, s0
	s_mov_b32 s0, exec_lo
	s_waitcnt lgkmcnt(0)
	s_waitcnt_vscnt null, 0x0
	s_barrier
	buffer_gl0_inv
	v_cmpx_lt_i32_e32 9, v123
	s_cbranch_execz .LBB106_165
; %bb.164:
	v_mul_f64 v[92:93], v[0:1], v[92:93]
	ds_read2_b64 v[124:127], v120 offset0:10 offset1:11
	ds_read2_b64 v[128:131], v120 offset0:12 offset1:13
	;; [unrolled: 1-line block ×11, first 2 shown]
	s_waitcnt lgkmcnt(10)
	v_fma_f64 v[90:91], -v[92:93], v[124:125], v[90:91]
	v_fma_f64 v[88:89], -v[92:93], v[126:127], v[88:89]
	s_waitcnt lgkmcnt(9)
	v_fma_f64 v[86:87], -v[92:93], v[128:129], v[86:87]
	v_fma_f64 v[84:85], -v[92:93], v[130:131], v[84:85]
	;; [unrolled: 3-line block ×6, first 2 shown]
	ds_read2_b64 v[124:127], v120 offset0:32 offset1:33
	ds_read2_b64 v[128:131], v120 offset0:34 offset1:35
	s_waitcnt lgkmcnt(6)
	v_fma_f64 v[66:67], -v[92:93], v[148:149], v[66:67]
	v_fma_f64 v[64:65], -v[92:93], v[150:151], v[64:65]
	s_waitcnt lgkmcnt(5)
	v_fma_f64 v[62:63], -v[92:93], v[152:153], v[62:63]
	ds_read2_b64 v[132:135], v120 offset0:36 offset1:37
	ds_read2_b64 v[136:139], v120 offset0:38 offset1:39
	v_fma_f64 v[58:59], -v[92:93], v[154:155], v[58:59]
	s_waitcnt lgkmcnt(6)
	v_fma_f64 v[60:61], -v[92:93], v[156:157], v[60:61]
	ds_read2_b64 v[140:143], v120 offset0:40 offset1:41
	ds_read2_b64 v[144:147], v120 offset0:42 offset1:43
	;; [unrolled: 5-line block ×4, first 2 shown]
	v_fma_f64 v[48:49], -v[92:93], v[166:167], v[48:49]
	ds_read2_b64 v[164:167], v120 offset0:52 offset1:53
	s_waitcnt lgkmcnt(10)
	v_fma_f64 v[46:47], -v[92:93], v[124:125], v[46:47]
	v_fma_f64 v[44:45], -v[92:93], v[126:127], v[44:45]
	s_waitcnt lgkmcnt(9)
	v_fma_f64 v[42:43], -v[92:93], v[128:129], v[42:43]
	v_fma_f64 v[38:39], -v[92:93], v[130:131], v[38:39]
	;; [unrolled: 3-line block ×11, first 2 shown]
.LBB106_165:
	s_or_b32 exec_lo, exec_lo, s0
	v_lshl_add_u32 v0, v123, 3, v120
	s_barrier
	buffer_gl0_inv
	v_mov_b32_e32 v114, 10
	ds_write_b64 v0, v[90:91]
	s_waitcnt lgkmcnt(0)
	s_barrier
	buffer_gl0_inv
	ds_read_b64 v[0:1], v120 offset:80
	s_cmp_lt_i32 s7, 12
	s_cbranch_scc1 .LBB106_168
; %bb.166:
	v_add3_u32 v115, v121, 0, 0x58
	v_mov_b32_e32 v114, 10
	s_mov_b32 s0, 11
.LBB106_167:                            ; =>This Inner Loop Header: Depth=1
	ds_read_b64 v[124:125], v115
	v_add_nc_u32_e32 v115, 8, v115
	s_waitcnt lgkmcnt(0)
	v_cmp_lt_f64_e64 vcc_lo, |v[0:1]|, |v[124:125]|
	v_cndmask_b32_e32 v1, v1, v125, vcc_lo
	v_cndmask_b32_e32 v0, v0, v124, vcc_lo
	v_cndmask_b32_e64 v114, v114, s0, vcc_lo
	s_add_i32 s0, s0, 1
	s_cmp_lg_u32 s7, s0
	s_cbranch_scc1 .LBB106_167
.LBB106_168:
	s_mov_b32 s0, exec_lo
	s_waitcnt lgkmcnt(0)
	v_cmpx_eq_f64_e32 0, v[0:1]
	s_xor_b32 s0, exec_lo, s0
; %bb.169:
	v_cmp_ne_u32_e32 vcc_lo, 0, v117
	v_cndmask_b32_e32 v117, 11, v117, vcc_lo
; %bb.170:
	s_andn2_saveexec_b32 s0, s0
	s_cbranch_execz .LBB106_172
; %bb.171:
	v_div_scale_f64 v[115:116], null, v[0:1], v[0:1], 1.0
	v_rcp_f64_e32 v[124:125], v[115:116]
	v_fma_f64 v[126:127], -v[115:116], v[124:125], 1.0
	v_fma_f64 v[124:125], v[124:125], v[126:127], v[124:125]
	v_fma_f64 v[126:127], -v[115:116], v[124:125], 1.0
	v_fma_f64 v[124:125], v[124:125], v[126:127], v[124:125]
	v_div_scale_f64 v[126:127], vcc_lo, 1.0, v[0:1], 1.0
	v_mul_f64 v[128:129], v[126:127], v[124:125]
	v_fma_f64 v[115:116], -v[115:116], v[128:129], v[126:127]
	v_div_fmas_f64 v[115:116], v[115:116], v[124:125], v[128:129]
	v_div_fixup_f64 v[0:1], v[115:116], v[0:1], 1.0
.LBB106_172:
	s_or_b32 exec_lo, exec_lo, s0
	s_mov_b32 s0, exec_lo
	v_cmpx_ne_u32_e64 v123, v114
	s_xor_b32 s0, exec_lo, s0
	s_cbranch_execz .LBB106_178
; %bb.173:
	s_mov_b32 s1, exec_lo
	v_cmpx_eq_u32_e32 10, v123
	s_cbranch_execz .LBB106_177
; %bb.174:
	v_cmp_ne_u32_e32 vcc_lo, 10, v114
	s_xor_b32 s2, s6, -1
	s_and_b32 s3, s2, vcc_lo
	s_and_saveexec_b32 s2, s3
	s_cbranch_execz .LBB106_176
; %bb.175:
	v_ashrrev_i32_e32 v115, 31, v114
	v_lshlrev_b64 v[115:116], 2, v[114:115]
	v_add_co_u32 v115, vcc_lo, v4, v115
	v_add_co_ci_u32_e64 v116, null, v5, v116, vcc_lo
	s_clause 0x1
	global_load_dword v122, v[115:116], off
	global_load_dword v123, v[4:5], off offset:40
	s_waitcnt vmcnt(1)
	global_store_dword v[4:5], v122, off offset:40
	s_waitcnt vmcnt(0)
	global_store_dword v[115:116], v123, off
.LBB106_176:
	s_or_b32 exec_lo, exec_lo, s2
	v_mov_b32_e32 v122, v114
	v_mov_b32_e32 v123, v114
.LBB106_177:
	s_or_b32 exec_lo, exec_lo, s1
.LBB106_178:
	s_andn2_saveexec_b32 s0, s0
	s_cbranch_execz .LBB106_180
; %bb.179:
	v_mov_b32_e32 v123, 10
	ds_write2_b64 v120, v[88:89], v[86:87] offset0:11 offset1:12
	ds_write2_b64 v120, v[84:85], v[82:83] offset0:13 offset1:14
	;; [unrolled: 1-line block ×21, first 2 shown]
	ds_write_b64 v120, v[112:113] offset:424
.LBB106_180:
	s_or_b32 exec_lo, exec_lo, s0
	s_mov_b32 s0, exec_lo
	s_waitcnt lgkmcnt(0)
	s_waitcnt_vscnt null, 0x0
	s_barrier
	buffer_gl0_inv
	v_cmpx_lt_i32_e32 10, v123
	s_cbranch_execz .LBB106_182
; %bb.181:
	v_mul_f64 v[90:91], v[0:1], v[90:91]
	ds_read2_b64 v[124:127], v120 offset0:11 offset1:12
	ds_read2_b64 v[128:131], v120 offset0:13 offset1:14
	;; [unrolled: 1-line block ×11, first 2 shown]
	ds_read_b64 v[0:1], v120 offset:424
	s_waitcnt lgkmcnt(11)
	v_fma_f64 v[88:89], -v[90:91], v[124:125], v[88:89]
	v_fma_f64 v[86:87], -v[90:91], v[126:127], v[86:87]
	s_waitcnt lgkmcnt(10)
	v_fma_f64 v[84:85], -v[90:91], v[128:129], v[84:85]
	v_fma_f64 v[82:83], -v[90:91], v[130:131], v[82:83]
	;; [unrolled: 3-line block ×6, first 2 shown]
	ds_read2_b64 v[124:127], v120 offset0:33 offset1:34
	ds_read2_b64 v[128:131], v120 offset0:35 offset1:36
	s_waitcnt lgkmcnt(7)
	v_fma_f64 v[64:65], -v[90:91], v[148:149], v[64:65]
	v_fma_f64 v[62:63], -v[90:91], v[150:151], v[62:63]
	s_waitcnt lgkmcnt(6)
	v_fma_f64 v[58:59], -v[90:91], v[152:153], v[58:59]
	ds_read2_b64 v[132:135], v120 offset0:37 offset1:38
	ds_read2_b64 v[136:139], v120 offset0:39 offset1:40
	v_fma_f64 v[60:61], -v[90:91], v[154:155], v[60:61]
	s_waitcnt lgkmcnt(7)
	v_fma_f64 v[54:55], -v[90:91], v[156:157], v[54:55]
	ds_read2_b64 v[140:143], v120 offset0:41 offset1:42
	ds_read2_b64 v[144:147], v120 offset0:43 offset1:44
	;; [unrolled: 5-line block ×3, first 2 shown]
	v_fma_f64 v[50:51], -v[90:91], v[162:163], v[50:51]
	ds_read2_b64 v[156:159], v120 offset0:49 offset1:50
	ds_read2_b64 v[160:163], v120 offset0:51 offset1:52
	s_waitcnt lgkmcnt(11)
	v_fma_f64 v[48:49], -v[90:91], v[164:165], v[48:49]
	v_fma_f64 v[46:47], -v[90:91], v[166:167], v[46:47]
	s_waitcnt lgkmcnt(9)
	v_fma_f64 v[44:45], -v[90:91], v[124:125], v[44:45]
	v_fma_f64 v[42:43], -v[90:91], v[126:127], v[42:43]
	;; [unrolled: 3-line block ×3, first 2 shown]
	v_fma_f64 v[112:113], -v[90:91], v[0:1], v[112:113]
	s_waitcnt lgkmcnt(7)
	v_fma_f64 v[34:35], -v[90:91], v[132:133], v[34:35]
	v_fma_f64 v[36:37], -v[90:91], v[134:135], v[36:37]
	s_waitcnt lgkmcnt(6)
	v_fma_f64 v[32:33], -v[90:91], v[136:137], v[32:33]
	;; [unrolled: 3-line block ×8, first 2 shown]
	v_fma_f64 v[10:11], -v[90:91], v[162:163], v[10:11]
.LBB106_182:
	s_or_b32 exec_lo, exec_lo, s0
	v_lshl_add_u32 v0, v123, 3, v120
	s_barrier
	buffer_gl0_inv
	v_mov_b32_e32 v114, 11
	ds_write_b64 v0, v[88:89]
	s_waitcnt lgkmcnt(0)
	s_barrier
	buffer_gl0_inv
	ds_read_b64 v[0:1], v120 offset:88
	s_cmp_lt_i32 s7, 13
	s_cbranch_scc1 .LBB106_185
; %bb.183:
	v_add3_u32 v115, v121, 0, 0x60
	v_mov_b32_e32 v114, 11
	s_mov_b32 s0, 12
.LBB106_184:                            ; =>This Inner Loop Header: Depth=1
	ds_read_b64 v[124:125], v115
	v_add_nc_u32_e32 v115, 8, v115
	s_waitcnt lgkmcnt(0)
	v_cmp_lt_f64_e64 vcc_lo, |v[0:1]|, |v[124:125]|
	v_cndmask_b32_e32 v1, v1, v125, vcc_lo
	v_cndmask_b32_e32 v0, v0, v124, vcc_lo
	v_cndmask_b32_e64 v114, v114, s0, vcc_lo
	s_add_i32 s0, s0, 1
	s_cmp_lg_u32 s7, s0
	s_cbranch_scc1 .LBB106_184
.LBB106_185:
	s_mov_b32 s0, exec_lo
	s_waitcnt lgkmcnt(0)
	v_cmpx_eq_f64_e32 0, v[0:1]
	s_xor_b32 s0, exec_lo, s0
; %bb.186:
	v_cmp_ne_u32_e32 vcc_lo, 0, v117
	v_cndmask_b32_e32 v117, 12, v117, vcc_lo
; %bb.187:
	s_andn2_saveexec_b32 s0, s0
	s_cbranch_execz .LBB106_189
; %bb.188:
	v_div_scale_f64 v[115:116], null, v[0:1], v[0:1], 1.0
	v_rcp_f64_e32 v[124:125], v[115:116]
	v_fma_f64 v[126:127], -v[115:116], v[124:125], 1.0
	v_fma_f64 v[124:125], v[124:125], v[126:127], v[124:125]
	v_fma_f64 v[126:127], -v[115:116], v[124:125], 1.0
	v_fma_f64 v[124:125], v[124:125], v[126:127], v[124:125]
	v_div_scale_f64 v[126:127], vcc_lo, 1.0, v[0:1], 1.0
	v_mul_f64 v[128:129], v[126:127], v[124:125]
	v_fma_f64 v[115:116], -v[115:116], v[128:129], v[126:127]
	v_div_fmas_f64 v[115:116], v[115:116], v[124:125], v[128:129]
	v_div_fixup_f64 v[0:1], v[115:116], v[0:1], 1.0
.LBB106_189:
	s_or_b32 exec_lo, exec_lo, s0
	s_mov_b32 s0, exec_lo
	v_cmpx_ne_u32_e64 v123, v114
	s_xor_b32 s0, exec_lo, s0
	s_cbranch_execz .LBB106_195
; %bb.190:
	s_mov_b32 s1, exec_lo
	v_cmpx_eq_u32_e32 11, v123
	s_cbranch_execz .LBB106_194
; %bb.191:
	v_cmp_ne_u32_e32 vcc_lo, 11, v114
	s_xor_b32 s2, s6, -1
	s_and_b32 s3, s2, vcc_lo
	s_and_saveexec_b32 s2, s3
	s_cbranch_execz .LBB106_193
; %bb.192:
	v_ashrrev_i32_e32 v115, 31, v114
	v_lshlrev_b64 v[115:116], 2, v[114:115]
	v_add_co_u32 v115, vcc_lo, v4, v115
	v_add_co_ci_u32_e64 v116, null, v5, v116, vcc_lo
	s_clause 0x1
	global_load_dword v122, v[115:116], off
	global_load_dword v123, v[4:5], off offset:44
	s_waitcnt vmcnt(1)
	global_store_dword v[4:5], v122, off offset:44
	s_waitcnt vmcnt(0)
	global_store_dword v[115:116], v123, off
.LBB106_193:
	s_or_b32 exec_lo, exec_lo, s2
	v_mov_b32_e32 v122, v114
	v_mov_b32_e32 v123, v114
.LBB106_194:
	s_or_b32 exec_lo, exec_lo, s1
.LBB106_195:
	s_andn2_saveexec_b32 s0, s0
	s_cbranch_execz .LBB106_197
; %bb.196:
	v_mov_b32_e32 v114, v86
	v_mov_b32_e32 v115, v87
	;; [unrolled: 1-line block ×8, first 2 shown]
	ds_write2_b64 v120, v[114:115], v[123:124] offset0:12 offset1:13
	ds_write2_b64 v120, v[125:126], v[127:128] offset0:14 offset1:15
	v_mov_b32_e32 v114, v80
	v_mov_b32_e32 v115, v81
	v_mov_b32_e32 v123, v74
	v_mov_b32_e32 v124, v75
	v_mov_b32_e32 v125, v76
	v_mov_b32_e32 v126, v77
	v_mov_b32_e32 v127, v72
	v_mov_b32_e32 v128, v73
	v_mov_b32_e32 v129, v70
	v_mov_b32_e32 v130, v71
	v_mov_b32_e32 v131, v68
	v_mov_b32_e32 v132, v69
	v_mov_b32_e32 v133, v66
	v_mov_b32_e32 v134, v67
	v_mov_b32_e32 v135, v64
	v_mov_b32_e32 v136, v65
	v_mov_b32_e32 v137, v62
	v_mov_b32_e32 v138, v63
	v_mov_b32_e32 v139, v58
	v_mov_b32_e32 v140, v59
	ds_write2_b64 v120, v[114:115], v[123:124] offset0:16 offset1:17
	ds_write2_b64 v120, v[125:126], v[127:128] offset0:18 offset1:19
	ds_write2_b64 v120, v[129:130], v[131:132] offset0:20 offset1:21
	ds_write2_b64 v120, v[133:134], v[135:136] offset0:22 offset1:23
	ds_write2_b64 v120, v[137:138], v[139:140] offset0:24 offset1:25
	v_mov_b32_e32 v114, v60
	v_mov_b32_e32 v115, v61
	v_mov_b32_e32 v123, v54
	v_mov_b32_e32 v124, v55
	v_mov_b32_e32 v125, v56
	v_mov_b32_e32 v126, v57
	v_mov_b32_e32 v127, v52
	v_mov_b32_e32 v128, v53
	v_mov_b32_e32 v129, v50
	v_mov_b32_e32 v130, v51
	v_mov_b32_e32 v131, v48
	v_mov_b32_e32 v132, v49
	v_mov_b32_e32 v133, v46
	v_mov_b32_e32 v134, v47
	v_mov_b32_e32 v135, v44
	v_mov_b32_e32 v136, v45
	v_mov_b32_e32 v137, v42
	v_mov_b32_e32 v138, v43
	v_mov_b32_e32 v139, v38
	v_mov_b32_e32 v140, v39
	ds_write2_b64 v120, v[114:115], v[123:124] offset0:26 offset1:27
	ds_write2_b64 v120, v[125:126], v[127:128] offset0:28 offset1:29
	ds_write2_b64 v120, v[129:130], v[131:132] offset0:30 offset1:31
	;; [unrolled: 25-line block ×3, first 2 shown]
	ds_write2_b64 v120, v[133:134], v[135:136] offset0:42 offset1:43
	ds_write2_b64 v120, v[137:138], v[139:140] offset0:44 offset1:45
	v_mov_b32_e32 v114, v20
	v_mov_b32_e32 v115, v21
	v_mov_b32_e32 v124, v16
	v_mov_b32_e32 v125, v17
	v_mov_b32_e32 v123, 11
	v_mov_b32_e32 v126, v14
	v_mov_b32_e32 v127, v15
	v_mov_b32_e32 v128, v8
	v_mov_b32_e32 v129, v9
	v_mov_b32_e32 v130, v12
	v_mov_b32_e32 v131, v13
	v_mov_b32_e32 v132, v6
	v_mov_b32_e32 v133, v7
	v_mov_b32_e32 v134, v10
	v_mov_b32_e32 v135, v11
	ds_write2_b64 v120, v[114:115], v[124:125] offset0:46 offset1:47
	ds_write2_b64 v120, v[126:127], v[128:129] offset0:48 offset1:49
	;; [unrolled: 1-line block ×4, first 2 shown]
.LBB106_197:
	s_or_b32 exec_lo, exec_lo, s0
	s_mov_b32 s0, exec_lo
	s_waitcnt lgkmcnt(0)
	s_waitcnt_vscnt null, 0x0
	s_barrier
	buffer_gl0_inv
	v_cmpx_lt_i32_e32 11, v123
	s_cbranch_execz .LBB106_199
; %bb.198:
	v_mul_f64 v[88:89], v[0:1], v[88:89]
	ds_read2_b64 v[124:127], v120 offset0:12 offset1:13
	ds_read2_b64 v[128:131], v120 offset0:14 offset1:15
	;; [unrolled: 1-line block ×11, first 2 shown]
	s_waitcnt lgkmcnt(10)
	v_fma_f64 v[86:87], -v[88:89], v[124:125], v[86:87]
	v_fma_f64 v[84:85], -v[88:89], v[126:127], v[84:85]
	s_waitcnt lgkmcnt(9)
	v_fma_f64 v[82:83], -v[88:89], v[128:129], v[82:83]
	v_fma_f64 v[78:79], -v[88:89], v[130:131], v[78:79]
	;; [unrolled: 3-line block ×6, first 2 shown]
	ds_read2_b64 v[124:127], v120 offset0:34 offset1:35
	ds_read2_b64 v[128:131], v120 offset0:36 offset1:37
	s_waitcnt lgkmcnt(6)
	v_fma_f64 v[62:63], -v[88:89], v[148:149], v[62:63]
	v_fma_f64 v[58:59], -v[88:89], v[150:151], v[58:59]
	ds_read2_b64 v[132:135], v120 offset0:38 offset1:39
	ds_read2_b64 v[136:139], v120 offset0:40 offset1:41
	s_waitcnt lgkmcnt(7)
	v_fma_f64 v[60:61], -v[88:89], v[152:153], v[60:61]
	v_fma_f64 v[54:55], -v[88:89], v[154:155], v[54:55]
	;; [unrolled: 5-line block ×5, first 2 shown]
	s_waitcnt lgkmcnt(9)
	v_fma_f64 v[42:43], -v[88:89], v[124:125], v[42:43]
	v_fma_f64 v[38:39], -v[88:89], v[126:127], v[38:39]
	s_waitcnt lgkmcnt(8)
	v_fma_f64 v[40:41], -v[88:89], v[128:129], v[40:41]
	v_fma_f64 v[34:35], -v[88:89], v[130:131], v[34:35]
	;; [unrolled: 3-line block ×10, first 2 shown]
.LBB106_199:
	s_or_b32 exec_lo, exec_lo, s0
	v_lshl_add_u32 v0, v123, 3, v120
	s_barrier
	buffer_gl0_inv
	v_mov_b32_e32 v114, 12
	ds_write_b64 v0, v[86:87]
	s_waitcnt lgkmcnt(0)
	s_barrier
	buffer_gl0_inv
	ds_read_b64 v[0:1], v120 offset:96
	s_cmp_lt_i32 s7, 14
	s_cbranch_scc1 .LBB106_202
; %bb.200:
	v_add3_u32 v115, v121, 0, 0x68
	v_mov_b32_e32 v114, 12
	s_mov_b32 s0, 13
.LBB106_201:                            ; =>This Inner Loop Header: Depth=1
	ds_read_b64 v[124:125], v115
	v_add_nc_u32_e32 v115, 8, v115
	s_waitcnt lgkmcnt(0)
	v_cmp_lt_f64_e64 vcc_lo, |v[0:1]|, |v[124:125]|
	v_cndmask_b32_e32 v1, v1, v125, vcc_lo
	v_cndmask_b32_e32 v0, v0, v124, vcc_lo
	v_cndmask_b32_e64 v114, v114, s0, vcc_lo
	s_add_i32 s0, s0, 1
	s_cmp_lg_u32 s7, s0
	s_cbranch_scc1 .LBB106_201
.LBB106_202:
	s_mov_b32 s0, exec_lo
	s_waitcnt lgkmcnt(0)
	v_cmpx_eq_f64_e32 0, v[0:1]
	s_xor_b32 s0, exec_lo, s0
; %bb.203:
	v_cmp_ne_u32_e32 vcc_lo, 0, v117
	v_cndmask_b32_e32 v117, 13, v117, vcc_lo
; %bb.204:
	s_andn2_saveexec_b32 s0, s0
	s_cbranch_execz .LBB106_206
; %bb.205:
	v_div_scale_f64 v[115:116], null, v[0:1], v[0:1], 1.0
	v_rcp_f64_e32 v[124:125], v[115:116]
	v_fma_f64 v[126:127], -v[115:116], v[124:125], 1.0
	v_fma_f64 v[124:125], v[124:125], v[126:127], v[124:125]
	v_fma_f64 v[126:127], -v[115:116], v[124:125], 1.0
	v_fma_f64 v[124:125], v[124:125], v[126:127], v[124:125]
	v_div_scale_f64 v[126:127], vcc_lo, 1.0, v[0:1], 1.0
	v_mul_f64 v[128:129], v[126:127], v[124:125]
	v_fma_f64 v[115:116], -v[115:116], v[128:129], v[126:127]
	v_div_fmas_f64 v[115:116], v[115:116], v[124:125], v[128:129]
	v_div_fixup_f64 v[0:1], v[115:116], v[0:1], 1.0
.LBB106_206:
	s_or_b32 exec_lo, exec_lo, s0
	s_mov_b32 s0, exec_lo
	v_cmpx_ne_u32_e64 v123, v114
	s_xor_b32 s0, exec_lo, s0
	s_cbranch_execz .LBB106_212
; %bb.207:
	s_mov_b32 s1, exec_lo
	v_cmpx_eq_u32_e32 12, v123
	s_cbranch_execz .LBB106_211
; %bb.208:
	v_cmp_ne_u32_e32 vcc_lo, 12, v114
	s_xor_b32 s2, s6, -1
	s_and_b32 s3, s2, vcc_lo
	s_and_saveexec_b32 s2, s3
	s_cbranch_execz .LBB106_210
; %bb.209:
	v_ashrrev_i32_e32 v115, 31, v114
	v_lshlrev_b64 v[115:116], 2, v[114:115]
	v_add_co_u32 v115, vcc_lo, v4, v115
	v_add_co_ci_u32_e64 v116, null, v5, v116, vcc_lo
	s_clause 0x1
	global_load_dword v122, v[115:116], off
	global_load_dword v123, v[4:5], off offset:48
	s_waitcnt vmcnt(1)
	global_store_dword v[4:5], v122, off offset:48
	s_waitcnt vmcnt(0)
	global_store_dword v[115:116], v123, off
.LBB106_210:
	s_or_b32 exec_lo, exec_lo, s2
	v_mov_b32_e32 v122, v114
	v_mov_b32_e32 v123, v114
.LBB106_211:
	s_or_b32 exec_lo, exec_lo, s1
.LBB106_212:
	s_andn2_saveexec_b32 s0, s0
	s_cbranch_execz .LBB106_214
; %bb.213:
	v_mov_b32_e32 v123, 12
	ds_write2_b64 v120, v[84:85], v[82:83] offset0:13 offset1:14
	ds_write2_b64 v120, v[78:79], v[80:81] offset0:15 offset1:16
	;; [unrolled: 1-line block ×20, first 2 shown]
	ds_write_b64 v120, v[112:113] offset:424
.LBB106_214:
	s_or_b32 exec_lo, exec_lo, s0
	s_mov_b32 s0, exec_lo
	s_waitcnt lgkmcnt(0)
	s_waitcnt_vscnt null, 0x0
	s_barrier
	buffer_gl0_inv
	v_cmpx_lt_i32_e32 12, v123
	s_cbranch_execz .LBB106_216
; %bb.215:
	v_mul_f64 v[86:87], v[0:1], v[86:87]
	ds_read2_b64 v[124:127], v120 offset0:13 offset1:14
	ds_read2_b64 v[128:131], v120 offset0:15 offset1:16
	;; [unrolled: 1-line block ×11, first 2 shown]
	ds_read_b64 v[0:1], v120 offset:424
	s_waitcnt lgkmcnt(11)
	v_fma_f64 v[84:85], -v[86:87], v[124:125], v[84:85]
	v_fma_f64 v[82:83], -v[86:87], v[126:127], v[82:83]
	s_waitcnt lgkmcnt(10)
	v_fma_f64 v[78:79], -v[86:87], v[128:129], v[78:79]
	v_fma_f64 v[80:81], -v[86:87], v[130:131], v[80:81]
	;; [unrolled: 3-line block ×6, first 2 shown]
	ds_read2_b64 v[124:127], v120 offset0:35 offset1:36
	ds_read2_b64 v[128:131], v120 offset0:37 offset1:38
	s_waitcnt lgkmcnt(7)
	v_fma_f64 v[58:59], -v[86:87], v[148:149], v[58:59]
	v_fma_f64 v[60:61], -v[86:87], v[150:151], v[60:61]
	ds_read2_b64 v[132:135], v120 offset0:39 offset1:40
	ds_read2_b64 v[136:139], v120 offset0:41 offset1:42
	s_waitcnt lgkmcnt(8)
	v_fma_f64 v[54:55], -v[86:87], v[152:153], v[54:55]
	v_fma_f64 v[56:57], -v[86:87], v[154:155], v[56:57]
	;; [unrolled: 5-line block ×3, first 2 shown]
	ds_read2_b64 v[148:151], v120 offset0:47 offset1:48
	ds_read2_b64 v[152:155], v120 offset0:49 offset1:50
	;; [unrolled: 1-line block ×3, first 2 shown]
	s_waitcnt lgkmcnt(11)
	v_fma_f64 v[48:49], -v[86:87], v[160:161], v[48:49]
	v_fma_f64 v[46:47], -v[86:87], v[162:163], v[46:47]
	s_waitcnt lgkmcnt(10)
	v_fma_f64 v[44:45], -v[86:87], v[164:165], v[44:45]
	v_fma_f64 v[42:43], -v[86:87], v[166:167], v[42:43]
	s_waitcnt lgkmcnt(9)
	v_fma_f64 v[112:113], -v[86:87], v[0:1], v[112:113]
	s_waitcnt lgkmcnt(8)
	v_fma_f64 v[38:39], -v[86:87], v[124:125], v[38:39]
	v_fma_f64 v[40:41], -v[86:87], v[126:127], v[40:41]
	s_waitcnt lgkmcnt(7)
	v_fma_f64 v[34:35], -v[86:87], v[128:129], v[34:35]
	;; [unrolled: 3-line block ×9, first 2 shown]
	v_fma_f64 v[10:11], -v[86:87], v[158:159], v[10:11]
.LBB106_216:
	s_or_b32 exec_lo, exec_lo, s0
	v_lshl_add_u32 v0, v123, 3, v120
	s_barrier
	buffer_gl0_inv
	v_mov_b32_e32 v114, 13
	ds_write_b64 v0, v[84:85]
	s_waitcnt lgkmcnt(0)
	s_barrier
	buffer_gl0_inv
	ds_read_b64 v[0:1], v120 offset:104
	s_cmp_lt_i32 s7, 15
	s_cbranch_scc1 .LBB106_219
; %bb.217:
	v_add3_u32 v115, v121, 0, 0x70
	v_mov_b32_e32 v114, 13
	s_mov_b32 s0, 14
.LBB106_218:                            ; =>This Inner Loop Header: Depth=1
	ds_read_b64 v[124:125], v115
	v_add_nc_u32_e32 v115, 8, v115
	s_waitcnt lgkmcnt(0)
	v_cmp_lt_f64_e64 vcc_lo, |v[0:1]|, |v[124:125]|
	v_cndmask_b32_e32 v1, v1, v125, vcc_lo
	v_cndmask_b32_e32 v0, v0, v124, vcc_lo
	v_cndmask_b32_e64 v114, v114, s0, vcc_lo
	s_add_i32 s0, s0, 1
	s_cmp_lg_u32 s7, s0
	s_cbranch_scc1 .LBB106_218
.LBB106_219:
	s_mov_b32 s0, exec_lo
	s_waitcnt lgkmcnt(0)
	v_cmpx_eq_f64_e32 0, v[0:1]
	s_xor_b32 s0, exec_lo, s0
; %bb.220:
	v_cmp_ne_u32_e32 vcc_lo, 0, v117
	v_cndmask_b32_e32 v117, 14, v117, vcc_lo
; %bb.221:
	s_andn2_saveexec_b32 s0, s0
	s_cbranch_execz .LBB106_223
; %bb.222:
	v_div_scale_f64 v[115:116], null, v[0:1], v[0:1], 1.0
	v_rcp_f64_e32 v[124:125], v[115:116]
	v_fma_f64 v[126:127], -v[115:116], v[124:125], 1.0
	v_fma_f64 v[124:125], v[124:125], v[126:127], v[124:125]
	v_fma_f64 v[126:127], -v[115:116], v[124:125], 1.0
	v_fma_f64 v[124:125], v[124:125], v[126:127], v[124:125]
	v_div_scale_f64 v[126:127], vcc_lo, 1.0, v[0:1], 1.0
	v_mul_f64 v[128:129], v[126:127], v[124:125]
	v_fma_f64 v[115:116], -v[115:116], v[128:129], v[126:127]
	v_div_fmas_f64 v[115:116], v[115:116], v[124:125], v[128:129]
	v_div_fixup_f64 v[0:1], v[115:116], v[0:1], 1.0
.LBB106_223:
	s_or_b32 exec_lo, exec_lo, s0
	s_mov_b32 s0, exec_lo
	v_cmpx_ne_u32_e64 v123, v114
	s_xor_b32 s0, exec_lo, s0
	s_cbranch_execz .LBB106_229
; %bb.224:
	s_mov_b32 s1, exec_lo
	v_cmpx_eq_u32_e32 13, v123
	s_cbranch_execz .LBB106_228
; %bb.225:
	v_cmp_ne_u32_e32 vcc_lo, 13, v114
	s_xor_b32 s2, s6, -1
	s_and_b32 s3, s2, vcc_lo
	s_and_saveexec_b32 s2, s3
	s_cbranch_execz .LBB106_227
; %bb.226:
	v_ashrrev_i32_e32 v115, 31, v114
	v_lshlrev_b64 v[115:116], 2, v[114:115]
	v_add_co_u32 v115, vcc_lo, v4, v115
	v_add_co_ci_u32_e64 v116, null, v5, v116, vcc_lo
	s_clause 0x1
	global_load_dword v122, v[115:116], off
	global_load_dword v123, v[4:5], off offset:52
	s_waitcnt vmcnt(1)
	global_store_dword v[4:5], v122, off offset:52
	s_waitcnt vmcnt(0)
	global_store_dword v[115:116], v123, off
.LBB106_227:
	s_or_b32 exec_lo, exec_lo, s2
	v_mov_b32_e32 v122, v114
	v_mov_b32_e32 v123, v114
.LBB106_228:
	s_or_b32 exec_lo, exec_lo, s1
.LBB106_229:
	s_andn2_saveexec_b32 s0, s0
	s_cbranch_execz .LBB106_231
; %bb.230:
	v_mov_b32_e32 v114, v82
	v_mov_b32_e32 v115, v83
	;; [unrolled: 1-line block ×8, first 2 shown]
	ds_write2_b64 v120, v[114:115], v[123:124] offset0:14 offset1:15
	v_mov_b32_e32 v114, v74
	v_mov_b32_e32 v115, v75
	v_mov_b32_e32 v123, v76
	v_mov_b32_e32 v124, v77
	v_mov_b32_e32 v129, v70
	v_mov_b32_e32 v130, v71
	v_mov_b32_e32 v131, v68
	v_mov_b32_e32 v132, v69
	v_mov_b32_e32 v133, v66
	v_mov_b32_e32 v134, v67
	v_mov_b32_e32 v135, v64
	v_mov_b32_e32 v136, v65
	v_mov_b32_e32 v137, v62
	v_mov_b32_e32 v138, v63
	v_mov_b32_e32 v139, v58
	v_mov_b32_e32 v140, v59
	ds_write2_b64 v120, v[125:126], v[114:115] offset0:16 offset1:17
	ds_write2_b64 v120, v[123:124], v[127:128] offset0:18 offset1:19
	ds_write2_b64 v120, v[129:130], v[131:132] offset0:20 offset1:21
	ds_write2_b64 v120, v[133:134], v[135:136] offset0:22 offset1:23
	ds_write2_b64 v120, v[137:138], v[139:140] offset0:24 offset1:25
	v_mov_b32_e32 v114, v60
	v_mov_b32_e32 v115, v61
	v_mov_b32_e32 v123, v54
	v_mov_b32_e32 v124, v55
	v_mov_b32_e32 v125, v56
	v_mov_b32_e32 v126, v57
	v_mov_b32_e32 v127, v52
	v_mov_b32_e32 v128, v53
	v_mov_b32_e32 v129, v50
	v_mov_b32_e32 v130, v51
	v_mov_b32_e32 v131, v48
	v_mov_b32_e32 v132, v49
	v_mov_b32_e32 v133, v46
	v_mov_b32_e32 v134, v47
	v_mov_b32_e32 v135, v44
	v_mov_b32_e32 v136, v45
	v_mov_b32_e32 v137, v42
	v_mov_b32_e32 v138, v43
	v_mov_b32_e32 v139, v38
	v_mov_b32_e32 v140, v39
	ds_write2_b64 v120, v[114:115], v[123:124] offset0:26 offset1:27
	ds_write2_b64 v120, v[125:126], v[127:128] offset0:28 offset1:29
	ds_write2_b64 v120, v[129:130], v[131:132] offset0:30 offset1:31
	ds_write2_b64 v120, v[133:134], v[135:136] offset0:32 offset1:33
	ds_write2_b64 v120, v[137:138], v[139:140] offset0:34 offset1:35
	v_mov_b32_e32 v114, v40
	v_mov_b32_e32 v115, v41
	v_mov_b32_e32 v123, v34
	v_mov_b32_e32 v124, v35
	;; [unrolled: 25-line block ×3, first 2 shown]
	v_mov_b32_e32 v123, 13
	v_mov_b32_e32 v126, v14
	;; [unrolled: 1-line block ×11, first 2 shown]
	ds_write2_b64 v120, v[114:115], v[124:125] offset0:46 offset1:47
	ds_write2_b64 v120, v[126:127], v[128:129] offset0:48 offset1:49
	;; [unrolled: 1-line block ×4, first 2 shown]
.LBB106_231:
	s_or_b32 exec_lo, exec_lo, s0
	s_mov_b32 s0, exec_lo
	s_waitcnt lgkmcnt(0)
	s_waitcnt_vscnt null, 0x0
	s_barrier
	buffer_gl0_inv
	v_cmpx_lt_i32_e32 13, v123
	s_cbranch_execz .LBB106_233
; %bb.232:
	v_mul_f64 v[84:85], v[0:1], v[84:85]
	ds_read2_b64 v[124:127], v120 offset0:14 offset1:15
	ds_read2_b64 v[128:131], v120 offset0:16 offset1:17
	;; [unrolled: 1-line block ×11, first 2 shown]
	s_waitcnt lgkmcnt(10)
	v_fma_f64 v[82:83], -v[84:85], v[124:125], v[82:83]
	v_fma_f64 v[78:79], -v[84:85], v[126:127], v[78:79]
	s_waitcnt lgkmcnt(9)
	v_fma_f64 v[80:81], -v[84:85], v[128:129], v[80:81]
	v_fma_f64 v[74:75], -v[84:85], v[130:131], v[74:75]
	;; [unrolled: 3-line block ×5, first 2 shown]
	s_waitcnt lgkmcnt(5)
	v_fma_f64 v[62:63], -v[84:85], v[144:145], v[62:63]
	ds_read2_b64 v[124:127], v120 offset0:36 offset1:37
	ds_read2_b64 v[128:131], v120 offset0:38 offset1:39
	v_fma_f64 v[58:59], -v[84:85], v[146:147], v[58:59]
	s_waitcnt lgkmcnt(6)
	v_fma_f64 v[60:61], -v[84:85], v[148:149], v[60:61]
	ds_read2_b64 v[132:135], v120 offset0:40 offset1:41
	ds_read2_b64 v[136:139], v120 offset0:42 offset1:43
	v_fma_f64 v[54:55], -v[84:85], v[150:151], v[54:55]
	;; [unrolled: 5-line block ×4, first 2 shown]
	ds_read2_b64 v[156:159], v120 offset0:52 offset1:53
	s_waitcnt lgkmcnt(10)
	v_fma_f64 v[46:47], -v[84:85], v[160:161], v[46:47]
	v_fma_f64 v[44:45], -v[84:85], v[162:163], v[44:45]
	s_waitcnt lgkmcnt(9)
	v_fma_f64 v[42:43], -v[84:85], v[164:165], v[42:43]
	v_fma_f64 v[38:39], -v[84:85], v[166:167], v[38:39]
	;; [unrolled: 3-line block ×11, first 2 shown]
.LBB106_233:
	s_or_b32 exec_lo, exec_lo, s0
	v_lshl_add_u32 v0, v123, 3, v120
	s_barrier
	buffer_gl0_inv
	v_mov_b32_e32 v114, 14
	ds_write_b64 v0, v[82:83]
	s_waitcnt lgkmcnt(0)
	s_barrier
	buffer_gl0_inv
	ds_read_b64 v[0:1], v120 offset:112
	s_cmp_lt_i32 s7, 16
	s_cbranch_scc1 .LBB106_236
; %bb.234:
	v_add3_u32 v115, v121, 0, 0x78
	v_mov_b32_e32 v114, 14
	s_mov_b32 s0, 15
.LBB106_235:                            ; =>This Inner Loop Header: Depth=1
	ds_read_b64 v[124:125], v115
	v_add_nc_u32_e32 v115, 8, v115
	s_waitcnt lgkmcnt(0)
	v_cmp_lt_f64_e64 vcc_lo, |v[0:1]|, |v[124:125]|
	v_cndmask_b32_e32 v1, v1, v125, vcc_lo
	v_cndmask_b32_e32 v0, v0, v124, vcc_lo
	v_cndmask_b32_e64 v114, v114, s0, vcc_lo
	s_add_i32 s0, s0, 1
	s_cmp_lg_u32 s7, s0
	s_cbranch_scc1 .LBB106_235
.LBB106_236:
	s_mov_b32 s0, exec_lo
	s_waitcnt lgkmcnt(0)
	v_cmpx_eq_f64_e32 0, v[0:1]
	s_xor_b32 s0, exec_lo, s0
; %bb.237:
	v_cmp_ne_u32_e32 vcc_lo, 0, v117
	v_cndmask_b32_e32 v117, 15, v117, vcc_lo
; %bb.238:
	s_andn2_saveexec_b32 s0, s0
	s_cbranch_execz .LBB106_240
; %bb.239:
	v_div_scale_f64 v[115:116], null, v[0:1], v[0:1], 1.0
	v_rcp_f64_e32 v[124:125], v[115:116]
	v_fma_f64 v[126:127], -v[115:116], v[124:125], 1.0
	v_fma_f64 v[124:125], v[124:125], v[126:127], v[124:125]
	v_fma_f64 v[126:127], -v[115:116], v[124:125], 1.0
	v_fma_f64 v[124:125], v[124:125], v[126:127], v[124:125]
	v_div_scale_f64 v[126:127], vcc_lo, 1.0, v[0:1], 1.0
	v_mul_f64 v[128:129], v[126:127], v[124:125]
	v_fma_f64 v[115:116], -v[115:116], v[128:129], v[126:127]
	v_div_fmas_f64 v[115:116], v[115:116], v[124:125], v[128:129]
	v_div_fixup_f64 v[0:1], v[115:116], v[0:1], 1.0
.LBB106_240:
	s_or_b32 exec_lo, exec_lo, s0
	s_mov_b32 s0, exec_lo
	v_cmpx_ne_u32_e64 v123, v114
	s_xor_b32 s0, exec_lo, s0
	s_cbranch_execz .LBB106_246
; %bb.241:
	s_mov_b32 s1, exec_lo
	v_cmpx_eq_u32_e32 14, v123
	s_cbranch_execz .LBB106_245
; %bb.242:
	v_cmp_ne_u32_e32 vcc_lo, 14, v114
	s_xor_b32 s2, s6, -1
	s_and_b32 s3, s2, vcc_lo
	s_and_saveexec_b32 s2, s3
	s_cbranch_execz .LBB106_244
; %bb.243:
	v_ashrrev_i32_e32 v115, 31, v114
	v_lshlrev_b64 v[115:116], 2, v[114:115]
	v_add_co_u32 v115, vcc_lo, v4, v115
	v_add_co_ci_u32_e64 v116, null, v5, v116, vcc_lo
	s_clause 0x1
	global_load_dword v122, v[115:116], off
	global_load_dword v123, v[4:5], off offset:56
	s_waitcnt vmcnt(1)
	global_store_dword v[4:5], v122, off offset:56
	s_waitcnt vmcnt(0)
	global_store_dword v[115:116], v123, off
.LBB106_244:
	s_or_b32 exec_lo, exec_lo, s2
	v_mov_b32_e32 v122, v114
	v_mov_b32_e32 v123, v114
.LBB106_245:
	s_or_b32 exec_lo, exec_lo, s1
.LBB106_246:
	s_andn2_saveexec_b32 s0, s0
	s_cbranch_execz .LBB106_248
; %bb.247:
	v_mov_b32_e32 v123, 14
	ds_write2_b64 v120, v[78:79], v[80:81] offset0:15 offset1:16
	ds_write2_b64 v120, v[74:75], v[76:77] offset0:17 offset1:18
	;; [unrolled: 1-line block ×19, first 2 shown]
	ds_write_b64 v120, v[112:113] offset:424
.LBB106_248:
	s_or_b32 exec_lo, exec_lo, s0
	s_mov_b32 s0, exec_lo
	s_waitcnt lgkmcnt(0)
	s_waitcnt_vscnt null, 0x0
	s_barrier
	buffer_gl0_inv
	v_cmpx_lt_i32_e32 14, v123
	s_cbranch_execz .LBB106_250
; %bb.249:
	v_mul_f64 v[82:83], v[0:1], v[82:83]
	ds_read2_b64 v[124:127], v120 offset0:15 offset1:16
	ds_read2_b64 v[128:131], v120 offset0:17 offset1:18
	;; [unrolled: 1-line block ×11, first 2 shown]
	ds_read_b64 v[0:1], v120 offset:424
	s_waitcnt lgkmcnt(11)
	v_fma_f64 v[78:79], -v[82:83], v[124:125], v[78:79]
	v_fma_f64 v[80:81], -v[82:83], v[126:127], v[80:81]
	s_waitcnt lgkmcnt(10)
	v_fma_f64 v[74:75], -v[82:83], v[128:129], v[74:75]
	v_fma_f64 v[76:77], -v[82:83], v[130:131], v[76:77]
	s_waitcnt lgkmcnt(9)
	v_fma_f64 v[72:73], -v[82:83], v[132:133], v[72:73]
	v_fma_f64 v[70:71], -v[82:83], v[134:135], v[70:71]
	s_waitcnt lgkmcnt(8)
	v_fma_f64 v[68:69], -v[82:83], v[136:137], v[68:69]
	v_fma_f64 v[66:67], -v[82:83], v[138:139], v[66:67]
	s_waitcnt lgkmcnt(7)
	v_fma_f64 v[64:65], -v[82:83], v[140:141], v[64:65]
	v_fma_f64 v[62:63], -v[82:83], v[142:143], v[62:63]
	s_waitcnt lgkmcnt(6)
	v_fma_f64 v[58:59], -v[82:83], v[144:145], v[58:59]
	ds_read2_b64 v[124:127], v120 offset0:37 offset1:38
	ds_read2_b64 v[128:131], v120 offset0:39 offset1:40
	v_fma_f64 v[60:61], -v[82:83], v[146:147], v[60:61]
	s_waitcnt lgkmcnt(7)
	v_fma_f64 v[54:55], -v[82:83], v[148:149], v[54:55]
	ds_read2_b64 v[132:135], v120 offset0:41 offset1:42
	ds_read2_b64 v[136:139], v120 offset0:43 offset1:44
	v_fma_f64 v[56:57], -v[82:83], v[150:151], v[56:57]
	;; [unrolled: 5-line block ×3, first 2 shown]
	ds_read2_b64 v[148:151], v120 offset0:49 offset1:50
	ds_read2_b64 v[152:155], v120 offset0:51 offset1:52
	s_waitcnt lgkmcnt(11)
	v_fma_f64 v[48:49], -v[82:83], v[156:157], v[48:49]
	v_fma_f64 v[46:47], -v[82:83], v[158:159], v[46:47]
	s_waitcnt lgkmcnt(10)
	v_fma_f64 v[44:45], -v[82:83], v[160:161], v[44:45]
	v_fma_f64 v[42:43], -v[82:83], v[162:163], v[42:43]
	;; [unrolled: 3-line block ×3, first 2 shown]
	s_waitcnt lgkmcnt(8)
	v_fma_f64 v[112:113], -v[82:83], v[0:1], v[112:113]
	s_waitcnt lgkmcnt(7)
	v_fma_f64 v[34:35], -v[82:83], v[124:125], v[34:35]
	v_fma_f64 v[36:37], -v[82:83], v[126:127], v[36:37]
	s_waitcnt lgkmcnt(6)
	v_fma_f64 v[32:33], -v[82:83], v[128:129], v[32:33]
	;; [unrolled: 3-line block ×8, first 2 shown]
	v_fma_f64 v[10:11], -v[82:83], v[154:155], v[10:11]
.LBB106_250:
	s_or_b32 exec_lo, exec_lo, s0
	v_lshl_add_u32 v0, v123, 3, v120
	s_barrier
	buffer_gl0_inv
	v_mov_b32_e32 v114, 15
	ds_write_b64 v0, v[78:79]
	s_waitcnt lgkmcnt(0)
	s_barrier
	buffer_gl0_inv
	ds_read_b64 v[0:1], v120 offset:120
	s_cmp_lt_i32 s7, 17
	s_cbranch_scc1 .LBB106_253
; %bb.251:
	v_add3_u32 v115, v121, 0, 0x80
	v_mov_b32_e32 v114, 15
	s_mov_b32 s0, 16
.LBB106_252:                            ; =>This Inner Loop Header: Depth=1
	ds_read_b64 v[124:125], v115
	v_add_nc_u32_e32 v115, 8, v115
	s_waitcnt lgkmcnt(0)
	v_cmp_lt_f64_e64 vcc_lo, |v[0:1]|, |v[124:125]|
	v_cndmask_b32_e32 v1, v1, v125, vcc_lo
	v_cndmask_b32_e32 v0, v0, v124, vcc_lo
	v_cndmask_b32_e64 v114, v114, s0, vcc_lo
	s_add_i32 s0, s0, 1
	s_cmp_lg_u32 s7, s0
	s_cbranch_scc1 .LBB106_252
.LBB106_253:
	s_mov_b32 s0, exec_lo
	s_waitcnt lgkmcnt(0)
	v_cmpx_eq_f64_e32 0, v[0:1]
	s_xor_b32 s0, exec_lo, s0
; %bb.254:
	v_cmp_ne_u32_e32 vcc_lo, 0, v117
	v_cndmask_b32_e32 v117, 16, v117, vcc_lo
; %bb.255:
	s_andn2_saveexec_b32 s0, s0
	s_cbranch_execz .LBB106_257
; %bb.256:
	v_div_scale_f64 v[115:116], null, v[0:1], v[0:1], 1.0
	v_rcp_f64_e32 v[124:125], v[115:116]
	v_fma_f64 v[126:127], -v[115:116], v[124:125], 1.0
	v_fma_f64 v[124:125], v[124:125], v[126:127], v[124:125]
	v_fma_f64 v[126:127], -v[115:116], v[124:125], 1.0
	v_fma_f64 v[124:125], v[124:125], v[126:127], v[124:125]
	v_div_scale_f64 v[126:127], vcc_lo, 1.0, v[0:1], 1.0
	v_mul_f64 v[128:129], v[126:127], v[124:125]
	v_fma_f64 v[115:116], -v[115:116], v[128:129], v[126:127]
	v_div_fmas_f64 v[115:116], v[115:116], v[124:125], v[128:129]
	v_div_fixup_f64 v[0:1], v[115:116], v[0:1], 1.0
.LBB106_257:
	s_or_b32 exec_lo, exec_lo, s0
	s_mov_b32 s0, exec_lo
	v_cmpx_ne_u32_e64 v123, v114
	s_xor_b32 s0, exec_lo, s0
	s_cbranch_execz .LBB106_263
; %bb.258:
	s_mov_b32 s1, exec_lo
	v_cmpx_eq_u32_e32 15, v123
	s_cbranch_execz .LBB106_262
; %bb.259:
	v_cmp_ne_u32_e32 vcc_lo, 15, v114
	s_xor_b32 s2, s6, -1
	s_and_b32 s3, s2, vcc_lo
	s_and_saveexec_b32 s2, s3
	s_cbranch_execz .LBB106_261
; %bb.260:
	v_ashrrev_i32_e32 v115, 31, v114
	v_lshlrev_b64 v[115:116], 2, v[114:115]
	v_add_co_u32 v115, vcc_lo, v4, v115
	v_add_co_ci_u32_e64 v116, null, v5, v116, vcc_lo
	s_clause 0x1
	global_load_dword v122, v[115:116], off
	global_load_dword v123, v[4:5], off offset:60
	s_waitcnt vmcnt(1)
	global_store_dword v[4:5], v122, off offset:60
	s_waitcnt vmcnt(0)
	global_store_dword v[115:116], v123, off
.LBB106_261:
	s_or_b32 exec_lo, exec_lo, s2
	v_mov_b32_e32 v122, v114
	v_mov_b32_e32 v123, v114
.LBB106_262:
	s_or_b32 exec_lo, exec_lo, s1
.LBB106_263:
	s_andn2_saveexec_b32 s0, s0
	s_cbranch_execz .LBB106_265
; %bb.264:
	v_mov_b32_e32 v114, v80
	v_mov_b32_e32 v115, v81
	v_mov_b32_e32 v123, v74
	v_mov_b32_e32 v124, v75
	v_mov_b32_e32 v125, v76
	v_mov_b32_e32 v126, v77
	v_mov_b32_e32 v127, v72
	v_mov_b32_e32 v128, v73
	v_mov_b32_e32 v129, v70
	v_mov_b32_e32 v130, v71
	v_mov_b32_e32 v131, v68
	v_mov_b32_e32 v132, v69
	v_mov_b32_e32 v133, v66
	v_mov_b32_e32 v134, v67
	v_mov_b32_e32 v135, v64
	v_mov_b32_e32 v136, v65
	v_mov_b32_e32 v137, v62
	v_mov_b32_e32 v138, v63
	v_mov_b32_e32 v139, v58
	v_mov_b32_e32 v140, v59
	ds_write2_b64 v120, v[114:115], v[123:124] offset0:16 offset1:17
	ds_write2_b64 v120, v[125:126], v[127:128] offset0:18 offset1:19
	ds_write2_b64 v120, v[129:130], v[131:132] offset0:20 offset1:21
	ds_write2_b64 v120, v[133:134], v[135:136] offset0:22 offset1:23
	ds_write2_b64 v120, v[137:138], v[139:140] offset0:24 offset1:25
	v_mov_b32_e32 v114, v60
	v_mov_b32_e32 v115, v61
	v_mov_b32_e32 v123, v54
	v_mov_b32_e32 v124, v55
	v_mov_b32_e32 v125, v56
	v_mov_b32_e32 v126, v57
	v_mov_b32_e32 v127, v52
	v_mov_b32_e32 v128, v53
	v_mov_b32_e32 v129, v50
	v_mov_b32_e32 v130, v51
	v_mov_b32_e32 v131, v48
	v_mov_b32_e32 v132, v49
	v_mov_b32_e32 v133, v46
	v_mov_b32_e32 v134, v47
	v_mov_b32_e32 v135, v44
	v_mov_b32_e32 v136, v45
	v_mov_b32_e32 v137, v42
	v_mov_b32_e32 v138, v43
	v_mov_b32_e32 v139, v38
	v_mov_b32_e32 v140, v39
	ds_write2_b64 v120, v[114:115], v[123:124] offset0:26 offset1:27
	ds_write2_b64 v120, v[125:126], v[127:128] offset0:28 offset1:29
	ds_write2_b64 v120, v[129:130], v[131:132] offset0:30 offset1:31
	ds_write2_b64 v120, v[133:134], v[135:136] offset0:32 offset1:33
	ds_write2_b64 v120, v[137:138], v[139:140] offset0:34 offset1:35
	;; [unrolled: 25-line block ×3, first 2 shown]
	v_mov_b32_e32 v114, v20
	v_mov_b32_e32 v115, v21
	;; [unrolled: 1-line block ×15, first 2 shown]
	ds_write2_b64 v120, v[114:115], v[124:125] offset0:46 offset1:47
	ds_write2_b64 v120, v[126:127], v[128:129] offset0:48 offset1:49
	;; [unrolled: 1-line block ×4, first 2 shown]
.LBB106_265:
	s_or_b32 exec_lo, exec_lo, s0
	s_mov_b32 s0, exec_lo
	s_waitcnt lgkmcnt(0)
	s_waitcnt_vscnt null, 0x0
	s_barrier
	buffer_gl0_inv
	v_cmpx_lt_i32_e32 15, v123
	s_cbranch_execz .LBB106_267
; %bb.266:
	v_mul_f64 v[78:79], v[0:1], v[78:79]
	ds_read2_b64 v[124:127], v120 offset0:16 offset1:17
	ds_read2_b64 v[128:131], v120 offset0:18 offset1:19
	;; [unrolled: 1-line block ×12, first 2 shown]
	s_waitcnt lgkmcnt(11)
	v_fma_f64 v[80:81], -v[78:79], v[124:125], v[80:81]
	v_fma_f64 v[74:75], -v[78:79], v[126:127], v[74:75]
	s_waitcnt lgkmcnt(10)
	v_fma_f64 v[76:77], -v[78:79], v[128:129], v[76:77]
	v_fma_f64 v[72:73], -v[78:79], v[130:131], v[72:73]
	s_waitcnt lgkmcnt(9)
	v_fma_f64 v[70:71], -v[78:79], v[132:133], v[70:71]
	v_fma_f64 v[68:69], -v[78:79], v[134:135], v[68:69]
	s_waitcnt lgkmcnt(8)
	v_fma_f64 v[66:67], -v[78:79], v[136:137], v[66:67]
	v_fma_f64 v[64:65], -v[78:79], v[138:139], v[64:65]
	s_waitcnt lgkmcnt(7)
	v_fma_f64 v[62:63], -v[78:79], v[140:141], v[62:63]
	v_fma_f64 v[58:59], -v[78:79], v[142:143], v[58:59]
	s_waitcnt lgkmcnt(6)
	v_fma_f64 v[60:61], -v[78:79], v[144:145], v[60:61]
	ds_read2_b64 v[124:127], v120 offset0:40 offset1:41
	ds_read2_b64 v[128:131], v120 offset0:42 offset1:43
	v_fma_f64 v[54:55], -v[78:79], v[146:147], v[54:55]
	s_waitcnt lgkmcnt(7)
	v_fma_f64 v[56:57], -v[78:79], v[148:149], v[56:57]
	ds_read2_b64 v[132:135], v120 offset0:44 offset1:45
	ds_read2_b64 v[136:139], v120 offset0:46 offset1:47
	v_fma_f64 v[52:53], -v[78:79], v[150:151], v[52:53]
	ds_read2_b64 v[140:143], v120 offset0:48 offset1:49
	ds_read2_b64 v[144:147], v120 offset0:50 offset1:51
	;; [unrolled: 1-line block ×3, first 2 shown]
	s_waitcnt lgkmcnt(11)
	v_fma_f64 v[50:51], -v[78:79], v[152:153], v[50:51]
	v_fma_f64 v[48:49], -v[78:79], v[154:155], v[48:49]
	s_waitcnt lgkmcnt(10)
	v_fma_f64 v[46:47], -v[78:79], v[156:157], v[46:47]
	v_fma_f64 v[44:45], -v[78:79], v[158:159], v[44:45]
	;; [unrolled: 3-line block ×12, first 2 shown]
.LBB106_267:
	s_or_b32 exec_lo, exec_lo, s0
	v_lshl_add_u32 v0, v123, 3, v120
	s_barrier
	buffer_gl0_inv
	v_mov_b32_e32 v114, 16
	ds_write_b64 v0, v[80:81]
	s_waitcnt lgkmcnt(0)
	s_barrier
	buffer_gl0_inv
	ds_read_b64 v[0:1], v120 offset:128
	s_cmp_lt_i32 s7, 18
	s_cbranch_scc1 .LBB106_270
; %bb.268:
	v_add3_u32 v115, v121, 0, 0x88
	v_mov_b32_e32 v114, 16
	s_mov_b32 s0, 17
.LBB106_269:                            ; =>This Inner Loop Header: Depth=1
	ds_read_b64 v[124:125], v115
	v_add_nc_u32_e32 v115, 8, v115
	s_waitcnt lgkmcnt(0)
	v_cmp_lt_f64_e64 vcc_lo, |v[0:1]|, |v[124:125]|
	v_cndmask_b32_e32 v1, v1, v125, vcc_lo
	v_cndmask_b32_e32 v0, v0, v124, vcc_lo
	v_cndmask_b32_e64 v114, v114, s0, vcc_lo
	s_add_i32 s0, s0, 1
	s_cmp_lg_u32 s7, s0
	s_cbranch_scc1 .LBB106_269
.LBB106_270:
	s_mov_b32 s0, exec_lo
	s_waitcnt lgkmcnt(0)
	v_cmpx_eq_f64_e32 0, v[0:1]
	s_xor_b32 s0, exec_lo, s0
; %bb.271:
	v_cmp_ne_u32_e32 vcc_lo, 0, v117
	v_cndmask_b32_e32 v117, 17, v117, vcc_lo
; %bb.272:
	s_andn2_saveexec_b32 s0, s0
	s_cbranch_execz .LBB106_274
; %bb.273:
	v_div_scale_f64 v[115:116], null, v[0:1], v[0:1], 1.0
	v_rcp_f64_e32 v[124:125], v[115:116]
	v_fma_f64 v[126:127], -v[115:116], v[124:125], 1.0
	v_fma_f64 v[124:125], v[124:125], v[126:127], v[124:125]
	v_fma_f64 v[126:127], -v[115:116], v[124:125], 1.0
	v_fma_f64 v[124:125], v[124:125], v[126:127], v[124:125]
	v_div_scale_f64 v[126:127], vcc_lo, 1.0, v[0:1], 1.0
	v_mul_f64 v[128:129], v[126:127], v[124:125]
	v_fma_f64 v[115:116], -v[115:116], v[128:129], v[126:127]
	v_div_fmas_f64 v[115:116], v[115:116], v[124:125], v[128:129]
	v_div_fixup_f64 v[0:1], v[115:116], v[0:1], 1.0
.LBB106_274:
	s_or_b32 exec_lo, exec_lo, s0
	s_mov_b32 s0, exec_lo
	v_cmpx_ne_u32_e64 v123, v114
	s_xor_b32 s0, exec_lo, s0
	s_cbranch_execz .LBB106_280
; %bb.275:
	s_mov_b32 s1, exec_lo
	v_cmpx_eq_u32_e32 16, v123
	s_cbranch_execz .LBB106_279
; %bb.276:
	v_cmp_ne_u32_e32 vcc_lo, 16, v114
	s_xor_b32 s2, s6, -1
	s_and_b32 s3, s2, vcc_lo
	s_and_saveexec_b32 s2, s3
	s_cbranch_execz .LBB106_278
; %bb.277:
	v_ashrrev_i32_e32 v115, 31, v114
	v_lshlrev_b64 v[115:116], 2, v[114:115]
	v_add_co_u32 v115, vcc_lo, v4, v115
	v_add_co_ci_u32_e64 v116, null, v5, v116, vcc_lo
	s_clause 0x1
	global_load_dword v122, v[115:116], off
	global_load_dword v123, v[4:5], off offset:64
	s_waitcnt vmcnt(1)
	global_store_dword v[4:5], v122, off offset:64
	s_waitcnt vmcnt(0)
	global_store_dword v[115:116], v123, off
.LBB106_278:
	s_or_b32 exec_lo, exec_lo, s2
	v_mov_b32_e32 v122, v114
	v_mov_b32_e32 v123, v114
.LBB106_279:
	s_or_b32 exec_lo, exec_lo, s1
.LBB106_280:
	s_andn2_saveexec_b32 s0, s0
	s_cbranch_execz .LBB106_282
; %bb.281:
	v_mov_b32_e32 v123, 16
	ds_write2_b64 v120, v[74:75], v[76:77] offset0:17 offset1:18
	ds_write2_b64 v120, v[72:73], v[70:71] offset0:19 offset1:20
	;; [unrolled: 1-line block ×18, first 2 shown]
	ds_write_b64 v120, v[112:113] offset:424
.LBB106_282:
	s_or_b32 exec_lo, exec_lo, s0
	s_mov_b32 s0, exec_lo
	s_waitcnt lgkmcnt(0)
	s_waitcnt_vscnt null, 0x0
	s_barrier
	buffer_gl0_inv
	v_cmpx_lt_i32_e32 16, v123
	s_cbranch_execz .LBB106_284
; %bb.283:
	v_mul_f64 v[80:81], v[0:1], v[80:81]
	ds_read2_b64 v[124:127], v120 offset0:17 offset1:18
	ds_read2_b64 v[128:131], v120 offset0:19 offset1:20
	;; [unrolled: 1-line block ×12, first 2 shown]
	ds_read_b64 v[0:1], v120 offset:424
	s_waitcnt lgkmcnt(12)
	v_fma_f64 v[74:75], -v[80:81], v[124:125], v[74:75]
	v_fma_f64 v[76:77], -v[80:81], v[126:127], v[76:77]
	s_waitcnt lgkmcnt(11)
	v_fma_f64 v[72:73], -v[80:81], v[128:129], v[72:73]
	v_fma_f64 v[70:71], -v[80:81], v[130:131], v[70:71]
	;; [unrolled: 3-line block ×5, first 2 shown]
	s_waitcnt lgkmcnt(7)
	v_fma_f64 v[54:55], -v[80:81], v[144:145], v[54:55]
	ds_read2_b64 v[124:127], v120 offset0:41 offset1:42
	ds_read2_b64 v[128:131], v120 offset0:43 offset1:44
	v_fma_f64 v[56:57], -v[80:81], v[146:147], v[56:57]
	ds_read2_b64 v[132:135], v120 offset0:45 offset1:46
	ds_read2_b64 v[136:139], v120 offset0:47 offset1:48
	;; [unrolled: 1-line block ×4, first 2 shown]
	s_waitcnt lgkmcnt(12)
	v_fma_f64 v[52:53], -v[80:81], v[148:149], v[52:53]
	v_fma_f64 v[50:51], -v[80:81], v[150:151], v[50:51]
	s_waitcnt lgkmcnt(11)
	v_fma_f64 v[48:49], -v[80:81], v[152:153], v[48:49]
	v_fma_f64 v[46:47], -v[80:81], v[154:155], v[46:47]
	;; [unrolled: 3-line block ×6, first 2 shown]
	s_waitcnt lgkmcnt(6)
	v_fma_f64 v[112:113], -v[80:81], v[0:1], v[112:113]
	s_waitcnt lgkmcnt(5)
	v_fma_f64 v[28:29], -v[80:81], v[124:125], v[28:29]
	v_fma_f64 v[26:27], -v[80:81], v[126:127], v[26:27]
	s_waitcnt lgkmcnt(4)
	v_fma_f64 v[24:25], -v[80:81], v[128:129], v[24:25]
	;; [unrolled: 3-line block ×6, first 2 shown]
	v_fma_f64 v[10:11], -v[80:81], v[146:147], v[10:11]
.LBB106_284:
	s_or_b32 exec_lo, exec_lo, s0
	v_lshl_add_u32 v0, v123, 3, v120
	s_barrier
	buffer_gl0_inv
	v_mov_b32_e32 v114, 17
	ds_write_b64 v0, v[74:75]
	s_waitcnt lgkmcnt(0)
	s_barrier
	buffer_gl0_inv
	ds_read_b64 v[0:1], v120 offset:136
	s_cmp_lt_i32 s7, 19
	s_cbranch_scc1 .LBB106_287
; %bb.285:
	v_add3_u32 v115, v121, 0, 0x90
	v_mov_b32_e32 v114, 17
	s_mov_b32 s0, 18
.LBB106_286:                            ; =>This Inner Loop Header: Depth=1
	ds_read_b64 v[124:125], v115
	v_add_nc_u32_e32 v115, 8, v115
	s_waitcnt lgkmcnt(0)
	v_cmp_lt_f64_e64 vcc_lo, |v[0:1]|, |v[124:125]|
	v_cndmask_b32_e32 v1, v1, v125, vcc_lo
	v_cndmask_b32_e32 v0, v0, v124, vcc_lo
	v_cndmask_b32_e64 v114, v114, s0, vcc_lo
	s_add_i32 s0, s0, 1
	s_cmp_lg_u32 s7, s0
	s_cbranch_scc1 .LBB106_286
.LBB106_287:
	s_mov_b32 s0, exec_lo
	s_waitcnt lgkmcnt(0)
	v_cmpx_eq_f64_e32 0, v[0:1]
	s_xor_b32 s0, exec_lo, s0
; %bb.288:
	v_cmp_ne_u32_e32 vcc_lo, 0, v117
	v_cndmask_b32_e32 v117, 18, v117, vcc_lo
; %bb.289:
	s_andn2_saveexec_b32 s0, s0
	s_cbranch_execz .LBB106_291
; %bb.290:
	v_div_scale_f64 v[115:116], null, v[0:1], v[0:1], 1.0
	v_rcp_f64_e32 v[124:125], v[115:116]
	v_fma_f64 v[126:127], -v[115:116], v[124:125], 1.0
	v_fma_f64 v[124:125], v[124:125], v[126:127], v[124:125]
	v_fma_f64 v[126:127], -v[115:116], v[124:125], 1.0
	v_fma_f64 v[124:125], v[124:125], v[126:127], v[124:125]
	v_div_scale_f64 v[126:127], vcc_lo, 1.0, v[0:1], 1.0
	v_mul_f64 v[128:129], v[126:127], v[124:125]
	v_fma_f64 v[115:116], -v[115:116], v[128:129], v[126:127]
	v_div_fmas_f64 v[115:116], v[115:116], v[124:125], v[128:129]
	v_div_fixup_f64 v[0:1], v[115:116], v[0:1], 1.0
.LBB106_291:
	s_or_b32 exec_lo, exec_lo, s0
	s_mov_b32 s0, exec_lo
	v_cmpx_ne_u32_e64 v123, v114
	s_xor_b32 s0, exec_lo, s0
	s_cbranch_execz .LBB106_297
; %bb.292:
	s_mov_b32 s1, exec_lo
	v_cmpx_eq_u32_e32 17, v123
	s_cbranch_execz .LBB106_296
; %bb.293:
	v_cmp_ne_u32_e32 vcc_lo, 17, v114
	s_xor_b32 s2, s6, -1
	s_and_b32 s3, s2, vcc_lo
	s_and_saveexec_b32 s2, s3
	s_cbranch_execz .LBB106_295
; %bb.294:
	v_ashrrev_i32_e32 v115, 31, v114
	v_lshlrev_b64 v[115:116], 2, v[114:115]
	v_add_co_u32 v115, vcc_lo, v4, v115
	v_add_co_ci_u32_e64 v116, null, v5, v116, vcc_lo
	s_clause 0x1
	global_load_dword v122, v[115:116], off
	global_load_dword v123, v[4:5], off offset:68
	s_waitcnt vmcnt(1)
	global_store_dword v[4:5], v122, off offset:68
	s_waitcnt vmcnt(0)
	global_store_dword v[115:116], v123, off
.LBB106_295:
	s_or_b32 exec_lo, exec_lo, s2
	v_mov_b32_e32 v122, v114
	v_mov_b32_e32 v123, v114
.LBB106_296:
	s_or_b32 exec_lo, exec_lo, s1
.LBB106_297:
	s_andn2_saveexec_b32 s0, s0
	s_cbranch_execz .LBB106_299
; %bb.298:
	v_mov_b32_e32 v114, v76
	v_mov_b32_e32 v115, v77
	;; [unrolled: 1-line block ×16, first 2 shown]
	ds_write2_b64 v120, v[114:115], v[123:124] offset0:18 offset1:19
	ds_write2_b64 v120, v[125:126], v[127:128] offset0:20 offset1:21
	;; [unrolled: 1-line block ×4, first 2 shown]
	v_mov_b32_e32 v114, v60
	v_mov_b32_e32 v115, v61
	;; [unrolled: 1-line block ×20, first 2 shown]
	ds_write2_b64 v120, v[114:115], v[123:124] offset0:26 offset1:27
	ds_write2_b64 v120, v[125:126], v[127:128] offset0:28 offset1:29
	;; [unrolled: 1-line block ×5, first 2 shown]
	v_mov_b32_e32 v114, v40
	v_mov_b32_e32 v115, v41
	v_mov_b32_e32 v123, v34
	v_mov_b32_e32 v124, v35
	v_mov_b32_e32 v125, v36
	v_mov_b32_e32 v126, v37
	v_mov_b32_e32 v127, v32
	v_mov_b32_e32 v128, v33
	v_mov_b32_e32 v129, v30
	v_mov_b32_e32 v130, v31
	v_mov_b32_e32 v131, v28
	v_mov_b32_e32 v132, v29
	v_mov_b32_e32 v133, v26
	v_mov_b32_e32 v134, v27
	v_mov_b32_e32 v135, v24
	v_mov_b32_e32 v136, v25
	v_mov_b32_e32 v137, v22
	v_mov_b32_e32 v138, v23
	v_mov_b32_e32 v139, v18
	v_mov_b32_e32 v140, v19
	ds_write2_b64 v120, v[114:115], v[123:124] offset0:36 offset1:37
	ds_write2_b64 v120, v[125:126], v[127:128] offset0:38 offset1:39
	;; [unrolled: 1-line block ×5, first 2 shown]
	v_mov_b32_e32 v114, v20
	v_mov_b32_e32 v115, v21
	;; [unrolled: 1-line block ×15, first 2 shown]
	ds_write2_b64 v120, v[114:115], v[124:125] offset0:46 offset1:47
	ds_write2_b64 v120, v[126:127], v[128:129] offset0:48 offset1:49
	;; [unrolled: 1-line block ×4, first 2 shown]
.LBB106_299:
	s_or_b32 exec_lo, exec_lo, s0
	s_mov_b32 s0, exec_lo
	s_waitcnt lgkmcnt(0)
	s_waitcnt_vscnt null, 0x0
	s_barrier
	buffer_gl0_inv
	v_cmpx_lt_i32_e32 17, v123
	s_cbranch_execz .LBB106_301
; %bb.300:
	v_mul_f64 v[74:75], v[0:1], v[74:75]
	ds_read2_b64 v[124:127], v120 offset0:18 offset1:19
	ds_read2_b64 v[128:131], v120 offset0:20 offset1:21
	;; [unrolled: 1-line block ×12, first 2 shown]
	s_waitcnt lgkmcnt(11)
	v_fma_f64 v[76:77], -v[74:75], v[124:125], v[76:77]
	v_fma_f64 v[72:73], -v[74:75], v[126:127], v[72:73]
	s_waitcnt lgkmcnt(10)
	v_fma_f64 v[70:71], -v[74:75], v[128:129], v[70:71]
	v_fma_f64 v[68:69], -v[74:75], v[130:131], v[68:69]
	;; [unrolled: 3-line block ×5, first 2 shown]
	ds_read2_b64 v[124:127], v120 offset0:42 offset1:43
	ds_read2_b64 v[128:131], v120 offset0:44 offset1:45
	s_waitcnt lgkmcnt(8)
	v_fma_f64 v[56:57], -v[74:75], v[144:145], v[56:57]
	v_fma_f64 v[52:53], -v[74:75], v[146:147], v[52:53]
	ds_read2_b64 v[132:135], v120 offset0:46 offset1:47
	ds_read2_b64 v[136:139], v120 offset0:48 offset1:49
	ds_read2_b64 v[140:143], v120 offset0:50 offset1:51
	ds_read2_b64 v[144:147], v120 offset0:52 offset1:53
	s_waitcnt lgkmcnt(11)
	v_fma_f64 v[50:51], -v[74:75], v[148:149], v[50:51]
	v_fma_f64 v[48:49], -v[74:75], v[150:151], v[48:49]
	s_waitcnt lgkmcnt(10)
	v_fma_f64 v[46:47], -v[74:75], v[152:153], v[46:47]
	v_fma_f64 v[44:45], -v[74:75], v[154:155], v[44:45]
	;; [unrolled: 3-line block ×12, first 2 shown]
.LBB106_301:
	s_or_b32 exec_lo, exec_lo, s0
	v_lshl_add_u32 v0, v123, 3, v120
	s_barrier
	buffer_gl0_inv
	v_mov_b32_e32 v114, 18
	ds_write_b64 v0, v[76:77]
	s_waitcnt lgkmcnt(0)
	s_barrier
	buffer_gl0_inv
	ds_read_b64 v[0:1], v120 offset:144
	s_cmp_lt_i32 s7, 20
	s_cbranch_scc1 .LBB106_304
; %bb.302:
	v_add3_u32 v115, v121, 0, 0x98
	v_mov_b32_e32 v114, 18
	s_mov_b32 s0, 19
.LBB106_303:                            ; =>This Inner Loop Header: Depth=1
	ds_read_b64 v[124:125], v115
	v_add_nc_u32_e32 v115, 8, v115
	s_waitcnt lgkmcnt(0)
	v_cmp_lt_f64_e64 vcc_lo, |v[0:1]|, |v[124:125]|
	v_cndmask_b32_e32 v1, v1, v125, vcc_lo
	v_cndmask_b32_e32 v0, v0, v124, vcc_lo
	v_cndmask_b32_e64 v114, v114, s0, vcc_lo
	s_add_i32 s0, s0, 1
	s_cmp_lg_u32 s7, s0
	s_cbranch_scc1 .LBB106_303
.LBB106_304:
	s_mov_b32 s0, exec_lo
	s_waitcnt lgkmcnt(0)
	v_cmpx_eq_f64_e32 0, v[0:1]
	s_xor_b32 s0, exec_lo, s0
; %bb.305:
	v_cmp_ne_u32_e32 vcc_lo, 0, v117
	v_cndmask_b32_e32 v117, 19, v117, vcc_lo
; %bb.306:
	s_andn2_saveexec_b32 s0, s0
	s_cbranch_execz .LBB106_308
; %bb.307:
	v_div_scale_f64 v[115:116], null, v[0:1], v[0:1], 1.0
	v_rcp_f64_e32 v[124:125], v[115:116]
	v_fma_f64 v[126:127], -v[115:116], v[124:125], 1.0
	v_fma_f64 v[124:125], v[124:125], v[126:127], v[124:125]
	v_fma_f64 v[126:127], -v[115:116], v[124:125], 1.0
	v_fma_f64 v[124:125], v[124:125], v[126:127], v[124:125]
	v_div_scale_f64 v[126:127], vcc_lo, 1.0, v[0:1], 1.0
	v_mul_f64 v[128:129], v[126:127], v[124:125]
	v_fma_f64 v[115:116], -v[115:116], v[128:129], v[126:127]
	v_div_fmas_f64 v[115:116], v[115:116], v[124:125], v[128:129]
	v_div_fixup_f64 v[0:1], v[115:116], v[0:1], 1.0
.LBB106_308:
	s_or_b32 exec_lo, exec_lo, s0
	s_mov_b32 s0, exec_lo
	v_cmpx_ne_u32_e64 v123, v114
	s_xor_b32 s0, exec_lo, s0
	s_cbranch_execz .LBB106_314
; %bb.309:
	s_mov_b32 s1, exec_lo
	v_cmpx_eq_u32_e32 18, v123
	s_cbranch_execz .LBB106_313
; %bb.310:
	v_cmp_ne_u32_e32 vcc_lo, 18, v114
	s_xor_b32 s2, s6, -1
	s_and_b32 s3, s2, vcc_lo
	s_and_saveexec_b32 s2, s3
	s_cbranch_execz .LBB106_312
; %bb.311:
	v_ashrrev_i32_e32 v115, 31, v114
	v_lshlrev_b64 v[115:116], 2, v[114:115]
	v_add_co_u32 v115, vcc_lo, v4, v115
	v_add_co_ci_u32_e64 v116, null, v5, v116, vcc_lo
	s_clause 0x1
	global_load_dword v122, v[115:116], off
	global_load_dword v123, v[4:5], off offset:72
	s_waitcnt vmcnt(1)
	global_store_dword v[4:5], v122, off offset:72
	s_waitcnt vmcnt(0)
	global_store_dword v[115:116], v123, off
.LBB106_312:
	s_or_b32 exec_lo, exec_lo, s2
	v_mov_b32_e32 v122, v114
	v_mov_b32_e32 v123, v114
.LBB106_313:
	s_or_b32 exec_lo, exec_lo, s1
.LBB106_314:
	s_andn2_saveexec_b32 s0, s0
	s_cbranch_execz .LBB106_316
; %bb.315:
	v_mov_b32_e32 v123, 18
	ds_write2_b64 v120, v[72:73], v[70:71] offset0:19 offset1:20
	ds_write2_b64 v120, v[68:69], v[66:67] offset0:21 offset1:22
	;; [unrolled: 1-line block ×17, first 2 shown]
	ds_write_b64 v120, v[112:113] offset:424
.LBB106_316:
	s_or_b32 exec_lo, exec_lo, s0
	s_mov_b32 s0, exec_lo
	s_waitcnt lgkmcnt(0)
	s_waitcnt_vscnt null, 0x0
	s_barrier
	buffer_gl0_inv
	v_cmpx_lt_i32_e32 18, v123
	s_cbranch_execz .LBB106_318
; %bb.317:
	v_mul_f64 v[76:77], v[0:1], v[76:77]
	ds_read2_b64 v[124:127], v120 offset0:19 offset1:20
	ds_read2_b64 v[128:131], v120 offset0:21 offset1:22
	;; [unrolled: 1-line block ×12, first 2 shown]
	ds_read_b64 v[0:1], v120 offset:424
	s_waitcnt lgkmcnt(12)
	v_fma_f64 v[72:73], -v[76:77], v[124:125], v[72:73]
	v_fma_f64 v[70:71], -v[76:77], v[126:127], v[70:71]
	s_waitcnt lgkmcnt(11)
	v_fma_f64 v[68:69], -v[76:77], v[128:129], v[68:69]
	v_fma_f64 v[66:67], -v[76:77], v[130:131], v[66:67]
	;; [unrolled: 3-line block ×5, first 2 shown]
	ds_read2_b64 v[124:127], v120 offset0:43 offset1:44
	ds_read2_b64 v[128:131], v120 offset0:45 offset1:46
	;; [unrolled: 1-line block ×5, first 2 shown]
	s_waitcnt lgkmcnt(12)
	v_fma_f64 v[52:53], -v[76:77], v[144:145], v[52:53]
	v_fma_f64 v[50:51], -v[76:77], v[146:147], v[50:51]
	s_waitcnt lgkmcnt(11)
	v_fma_f64 v[48:49], -v[76:77], v[148:149], v[48:49]
	v_fma_f64 v[46:47], -v[76:77], v[150:151], v[46:47]
	;; [unrolled: 3-line block ×7, first 2 shown]
	s_waitcnt lgkmcnt(5)
	v_fma_f64 v[112:113], -v[76:77], v[0:1], v[112:113]
	s_waitcnt lgkmcnt(4)
	v_fma_f64 v[24:25], -v[76:77], v[124:125], v[24:25]
	v_fma_f64 v[22:23], -v[76:77], v[126:127], v[22:23]
	s_waitcnt lgkmcnt(3)
	v_fma_f64 v[18:19], -v[76:77], v[128:129], v[18:19]
	;; [unrolled: 3-line block ×5, first 2 shown]
	v_fma_f64 v[10:11], -v[76:77], v[142:143], v[10:11]
.LBB106_318:
	s_or_b32 exec_lo, exec_lo, s0
	v_lshl_add_u32 v0, v123, 3, v120
	s_barrier
	buffer_gl0_inv
	v_mov_b32_e32 v114, 19
	ds_write_b64 v0, v[72:73]
	s_waitcnt lgkmcnt(0)
	s_barrier
	buffer_gl0_inv
	ds_read_b64 v[0:1], v120 offset:152
	s_cmp_lt_i32 s7, 21
	s_cbranch_scc1 .LBB106_321
; %bb.319:
	v_add3_u32 v115, v121, 0, 0xa0
	v_mov_b32_e32 v114, 19
	s_mov_b32 s0, 20
.LBB106_320:                            ; =>This Inner Loop Header: Depth=1
	ds_read_b64 v[124:125], v115
	v_add_nc_u32_e32 v115, 8, v115
	s_waitcnt lgkmcnt(0)
	v_cmp_lt_f64_e64 vcc_lo, |v[0:1]|, |v[124:125]|
	v_cndmask_b32_e32 v1, v1, v125, vcc_lo
	v_cndmask_b32_e32 v0, v0, v124, vcc_lo
	v_cndmask_b32_e64 v114, v114, s0, vcc_lo
	s_add_i32 s0, s0, 1
	s_cmp_lg_u32 s7, s0
	s_cbranch_scc1 .LBB106_320
.LBB106_321:
	s_mov_b32 s0, exec_lo
	s_waitcnt lgkmcnt(0)
	v_cmpx_eq_f64_e32 0, v[0:1]
	s_xor_b32 s0, exec_lo, s0
; %bb.322:
	v_cmp_ne_u32_e32 vcc_lo, 0, v117
	v_cndmask_b32_e32 v117, 20, v117, vcc_lo
; %bb.323:
	s_andn2_saveexec_b32 s0, s0
	s_cbranch_execz .LBB106_325
; %bb.324:
	v_div_scale_f64 v[115:116], null, v[0:1], v[0:1], 1.0
	v_rcp_f64_e32 v[124:125], v[115:116]
	v_fma_f64 v[126:127], -v[115:116], v[124:125], 1.0
	v_fma_f64 v[124:125], v[124:125], v[126:127], v[124:125]
	v_fma_f64 v[126:127], -v[115:116], v[124:125], 1.0
	v_fma_f64 v[124:125], v[124:125], v[126:127], v[124:125]
	v_div_scale_f64 v[126:127], vcc_lo, 1.0, v[0:1], 1.0
	v_mul_f64 v[128:129], v[126:127], v[124:125]
	v_fma_f64 v[115:116], -v[115:116], v[128:129], v[126:127]
	v_div_fmas_f64 v[115:116], v[115:116], v[124:125], v[128:129]
	v_div_fixup_f64 v[0:1], v[115:116], v[0:1], 1.0
.LBB106_325:
	s_or_b32 exec_lo, exec_lo, s0
	s_mov_b32 s0, exec_lo
	v_cmpx_ne_u32_e64 v123, v114
	s_xor_b32 s0, exec_lo, s0
	s_cbranch_execz .LBB106_331
; %bb.326:
	s_mov_b32 s1, exec_lo
	v_cmpx_eq_u32_e32 19, v123
	s_cbranch_execz .LBB106_330
; %bb.327:
	v_cmp_ne_u32_e32 vcc_lo, 19, v114
	s_xor_b32 s2, s6, -1
	s_and_b32 s3, s2, vcc_lo
	s_and_saveexec_b32 s2, s3
	s_cbranch_execz .LBB106_329
; %bb.328:
	v_ashrrev_i32_e32 v115, 31, v114
	v_lshlrev_b64 v[115:116], 2, v[114:115]
	v_add_co_u32 v115, vcc_lo, v4, v115
	v_add_co_ci_u32_e64 v116, null, v5, v116, vcc_lo
	s_clause 0x1
	global_load_dword v122, v[115:116], off
	global_load_dword v123, v[4:5], off offset:76
	s_waitcnt vmcnt(1)
	global_store_dword v[4:5], v122, off offset:76
	s_waitcnt vmcnt(0)
	global_store_dword v[115:116], v123, off
.LBB106_329:
	s_or_b32 exec_lo, exec_lo, s2
	v_mov_b32_e32 v122, v114
	v_mov_b32_e32 v123, v114
.LBB106_330:
	s_or_b32 exec_lo, exec_lo, s1
.LBB106_331:
	s_andn2_saveexec_b32 s0, s0
	s_cbranch_execz .LBB106_333
; %bb.332:
	v_mov_b32_e32 v114, v70
	v_mov_b32_e32 v115, v71
	v_mov_b32_e32 v123, v68
	v_mov_b32_e32 v124, v69
	v_mov_b32_e32 v125, v66
	v_mov_b32_e32 v126, v67
	v_mov_b32_e32 v127, v64
	v_mov_b32_e32 v128, v65
	v_mov_b32_e32 v129, v62
	v_mov_b32_e32 v130, v63
	v_mov_b32_e32 v131, v58
	v_mov_b32_e32 v132, v59
	ds_write2_b64 v120, v[114:115], v[123:124] offset0:20 offset1:21
	ds_write2_b64 v120, v[125:126], v[127:128] offset0:22 offset1:23
	;; [unrolled: 1-line block ×3, first 2 shown]
	v_mov_b32_e32 v114, v60
	v_mov_b32_e32 v115, v61
	v_mov_b32_e32 v123, v54
	v_mov_b32_e32 v124, v55
	v_mov_b32_e32 v125, v56
	v_mov_b32_e32 v126, v57
	v_mov_b32_e32 v127, v52
	v_mov_b32_e32 v128, v53
	v_mov_b32_e32 v129, v50
	v_mov_b32_e32 v130, v51
	v_mov_b32_e32 v131, v48
	v_mov_b32_e32 v132, v49
	v_mov_b32_e32 v133, v46
	v_mov_b32_e32 v134, v47
	v_mov_b32_e32 v135, v44
	v_mov_b32_e32 v136, v45
	v_mov_b32_e32 v137, v42
	v_mov_b32_e32 v138, v43
	v_mov_b32_e32 v139, v38
	v_mov_b32_e32 v140, v39
	ds_write2_b64 v120, v[114:115], v[123:124] offset0:26 offset1:27
	ds_write2_b64 v120, v[125:126], v[127:128] offset0:28 offset1:29
	;; [unrolled: 1-line block ×5, first 2 shown]
	v_mov_b32_e32 v114, v40
	v_mov_b32_e32 v115, v41
	;; [unrolled: 1-line block ×20, first 2 shown]
	ds_write2_b64 v120, v[114:115], v[123:124] offset0:36 offset1:37
	ds_write2_b64 v120, v[125:126], v[127:128] offset0:38 offset1:39
	;; [unrolled: 1-line block ×5, first 2 shown]
	v_mov_b32_e32 v114, v20
	v_mov_b32_e32 v115, v21
	;; [unrolled: 1-line block ×15, first 2 shown]
	ds_write2_b64 v120, v[114:115], v[124:125] offset0:46 offset1:47
	ds_write2_b64 v120, v[126:127], v[128:129] offset0:48 offset1:49
	;; [unrolled: 1-line block ×4, first 2 shown]
.LBB106_333:
	s_or_b32 exec_lo, exec_lo, s0
	s_mov_b32 s0, exec_lo
	s_waitcnt lgkmcnt(0)
	s_waitcnt_vscnt null, 0x0
	s_barrier
	buffer_gl0_inv
	v_cmpx_lt_i32_e32 19, v123
	s_cbranch_execz .LBB106_335
; %bb.334:
	v_mul_f64 v[72:73], v[0:1], v[72:73]
	ds_read2_b64 v[124:127], v120 offset0:20 offset1:21
	ds_read2_b64 v[128:131], v120 offset0:22 offset1:23
	;; [unrolled: 1-line block ×13, first 2 shown]
	s_waitcnt lgkmcnt(12)
	v_fma_f64 v[70:71], -v[72:73], v[124:125], v[70:71]
	v_fma_f64 v[68:69], -v[72:73], v[126:127], v[68:69]
	s_waitcnt lgkmcnt(11)
	v_fma_f64 v[66:67], -v[72:73], v[128:129], v[66:67]
	v_fma_f64 v[64:65], -v[72:73], v[130:131], v[64:65]
	;; [unrolled: 3-line block ×4, first 2 shown]
	ds_read2_b64 v[124:127], v120 offset0:46 offset1:47
	ds_read2_b64 v[128:131], v120 offset0:48 offset1:49
	;; [unrolled: 1-line block ×4, first 2 shown]
	s_waitcnt lgkmcnt(12)
	v_fma_f64 v[56:57], -v[72:73], v[140:141], v[56:57]
	v_fma_f64 v[52:53], -v[72:73], v[142:143], v[52:53]
	s_waitcnt lgkmcnt(11)
	v_fma_f64 v[50:51], -v[72:73], v[144:145], v[50:51]
	v_fma_f64 v[48:49], -v[72:73], v[146:147], v[48:49]
	s_waitcnt lgkmcnt(10)
	v_fma_f64 v[46:47], -v[72:73], v[148:149], v[46:47]
	v_fma_f64 v[44:45], -v[72:73], v[150:151], v[44:45]
	s_waitcnt lgkmcnt(9)
	v_fma_f64 v[42:43], -v[72:73], v[152:153], v[42:43]
	v_fma_f64 v[38:39], -v[72:73], v[154:155], v[38:39]
	s_waitcnt lgkmcnt(8)
	v_fma_f64 v[40:41], -v[72:73], v[156:157], v[40:41]
	v_fma_f64 v[34:35], -v[72:73], v[158:159], v[34:35]
	s_waitcnt lgkmcnt(7)
	v_fma_f64 v[36:37], -v[72:73], v[160:161], v[36:37]
	v_fma_f64 v[32:33], -v[72:73], v[162:163], v[32:33]
	s_waitcnt lgkmcnt(6)
	v_fma_f64 v[30:31], -v[72:73], v[164:165], v[30:31]
	v_fma_f64 v[28:29], -v[72:73], v[166:167], v[28:29]
	s_waitcnt lgkmcnt(5)
	v_fma_f64 v[26:27], -v[72:73], v[168:169], v[26:27]
	v_fma_f64 v[24:25], -v[72:73], v[170:171], v[24:25]
	s_waitcnt lgkmcnt(4)
	v_fma_f64 v[22:23], -v[72:73], v[172:173], v[22:23]
	v_fma_f64 v[18:19], -v[72:73], v[174:175], v[18:19]
	s_waitcnt lgkmcnt(3)
	v_fma_f64 v[20:21], -v[72:73], v[124:125], v[20:21]
	v_fma_f64 v[16:17], -v[72:73], v[126:127], v[16:17]
	s_waitcnt lgkmcnt(2)
	v_fma_f64 v[14:15], -v[72:73], v[128:129], v[14:15]
	v_fma_f64 v[8:9], -v[72:73], v[130:131], v[8:9]
	s_waitcnt lgkmcnt(1)
	v_fma_f64 v[12:13], -v[72:73], v[132:133], v[12:13]
	v_fma_f64 v[6:7], -v[72:73], v[134:135], v[6:7]
	s_waitcnt lgkmcnt(0)
	v_fma_f64 v[10:11], -v[72:73], v[136:137], v[10:11]
	v_fma_f64 v[112:113], -v[72:73], v[138:139], v[112:113]
.LBB106_335:
	s_or_b32 exec_lo, exec_lo, s0
	v_lshl_add_u32 v0, v123, 3, v120
	s_barrier
	buffer_gl0_inv
	v_mov_b32_e32 v114, 20
	ds_write_b64 v0, v[70:71]
	s_waitcnt lgkmcnt(0)
	s_barrier
	buffer_gl0_inv
	ds_read_b64 v[0:1], v120 offset:160
	s_cmp_lt_i32 s7, 22
	s_cbranch_scc1 .LBB106_338
; %bb.336:
	v_add3_u32 v115, v121, 0, 0xa8
	v_mov_b32_e32 v114, 20
	s_mov_b32 s0, 21
.LBB106_337:                            ; =>This Inner Loop Header: Depth=1
	ds_read_b64 v[124:125], v115
	v_add_nc_u32_e32 v115, 8, v115
	s_waitcnt lgkmcnt(0)
	v_cmp_lt_f64_e64 vcc_lo, |v[0:1]|, |v[124:125]|
	v_cndmask_b32_e32 v1, v1, v125, vcc_lo
	v_cndmask_b32_e32 v0, v0, v124, vcc_lo
	v_cndmask_b32_e64 v114, v114, s0, vcc_lo
	s_add_i32 s0, s0, 1
	s_cmp_lg_u32 s7, s0
	s_cbranch_scc1 .LBB106_337
.LBB106_338:
	s_mov_b32 s0, exec_lo
	s_waitcnt lgkmcnt(0)
	v_cmpx_eq_f64_e32 0, v[0:1]
	s_xor_b32 s0, exec_lo, s0
; %bb.339:
	v_cmp_ne_u32_e32 vcc_lo, 0, v117
	v_cndmask_b32_e32 v117, 21, v117, vcc_lo
; %bb.340:
	s_andn2_saveexec_b32 s0, s0
	s_cbranch_execz .LBB106_342
; %bb.341:
	v_div_scale_f64 v[115:116], null, v[0:1], v[0:1], 1.0
	v_rcp_f64_e32 v[124:125], v[115:116]
	v_fma_f64 v[126:127], -v[115:116], v[124:125], 1.0
	v_fma_f64 v[124:125], v[124:125], v[126:127], v[124:125]
	v_fma_f64 v[126:127], -v[115:116], v[124:125], 1.0
	v_fma_f64 v[124:125], v[124:125], v[126:127], v[124:125]
	v_div_scale_f64 v[126:127], vcc_lo, 1.0, v[0:1], 1.0
	v_mul_f64 v[128:129], v[126:127], v[124:125]
	v_fma_f64 v[115:116], -v[115:116], v[128:129], v[126:127]
	v_div_fmas_f64 v[115:116], v[115:116], v[124:125], v[128:129]
	v_div_fixup_f64 v[0:1], v[115:116], v[0:1], 1.0
.LBB106_342:
	s_or_b32 exec_lo, exec_lo, s0
	s_mov_b32 s0, exec_lo
	v_cmpx_ne_u32_e64 v123, v114
	s_xor_b32 s0, exec_lo, s0
	s_cbranch_execz .LBB106_348
; %bb.343:
	s_mov_b32 s1, exec_lo
	v_cmpx_eq_u32_e32 20, v123
	s_cbranch_execz .LBB106_347
; %bb.344:
	v_cmp_ne_u32_e32 vcc_lo, 20, v114
	s_xor_b32 s2, s6, -1
	s_and_b32 s3, s2, vcc_lo
	s_and_saveexec_b32 s2, s3
	s_cbranch_execz .LBB106_346
; %bb.345:
	v_ashrrev_i32_e32 v115, 31, v114
	v_lshlrev_b64 v[115:116], 2, v[114:115]
	v_add_co_u32 v115, vcc_lo, v4, v115
	v_add_co_ci_u32_e64 v116, null, v5, v116, vcc_lo
	s_clause 0x1
	global_load_dword v122, v[115:116], off
	global_load_dword v123, v[4:5], off offset:80
	s_waitcnt vmcnt(1)
	global_store_dword v[4:5], v122, off offset:80
	s_waitcnt vmcnt(0)
	global_store_dword v[115:116], v123, off
.LBB106_346:
	s_or_b32 exec_lo, exec_lo, s2
	v_mov_b32_e32 v122, v114
	v_mov_b32_e32 v123, v114
.LBB106_347:
	s_or_b32 exec_lo, exec_lo, s1
.LBB106_348:
	s_andn2_saveexec_b32 s0, s0
	s_cbranch_execz .LBB106_350
; %bb.349:
	v_mov_b32_e32 v123, 20
	ds_write2_b64 v120, v[68:69], v[66:67] offset0:21 offset1:22
	ds_write2_b64 v120, v[64:65], v[62:63] offset0:23 offset1:24
	;; [unrolled: 1-line block ×16, first 2 shown]
	ds_write_b64 v120, v[112:113] offset:424
.LBB106_350:
	s_or_b32 exec_lo, exec_lo, s0
	s_mov_b32 s0, exec_lo
	s_waitcnt lgkmcnt(0)
	s_waitcnt_vscnt null, 0x0
	s_barrier
	buffer_gl0_inv
	v_cmpx_lt_i32_e32 20, v123
	s_cbranch_execz .LBB106_352
; %bb.351:
	v_mul_f64 v[70:71], v[0:1], v[70:71]
	ds_read2_b64 v[124:127], v120 offset0:21 offset1:22
	ds_read2_b64 v[128:131], v120 offset0:23 offset1:24
	;; [unrolled: 1-line block ×13, first 2 shown]
	ds_read_b64 v[0:1], v120 offset:424
	s_waitcnt lgkmcnt(13)
	v_fma_f64 v[68:69], -v[70:71], v[124:125], v[68:69]
	v_fma_f64 v[66:67], -v[70:71], v[126:127], v[66:67]
	s_waitcnt lgkmcnt(12)
	v_fma_f64 v[64:65], -v[70:71], v[128:129], v[64:65]
	v_fma_f64 v[62:63], -v[70:71], v[130:131], v[62:63]
	;; [unrolled: 3-line block ×3, first 2 shown]
	ds_read2_b64 v[124:127], v120 offset0:47 offset1:48
	ds_read2_b64 v[128:131], v120 offset0:49 offset1:50
	;; [unrolled: 1-line block ×3, first 2 shown]
	s_waitcnt lgkmcnt(13)
	v_fma_f64 v[54:55], -v[70:71], v[136:137], v[54:55]
	v_fma_f64 v[56:57], -v[70:71], v[138:139], v[56:57]
	s_waitcnt lgkmcnt(12)
	v_fma_f64 v[52:53], -v[70:71], v[140:141], v[52:53]
	v_fma_f64 v[50:51], -v[70:71], v[142:143], v[50:51]
	;; [unrolled: 3-line block ×13, first 2 shown]
	v_fma_f64 v[112:113], -v[70:71], v[0:1], v[112:113]
.LBB106_352:
	s_or_b32 exec_lo, exec_lo, s0
	v_lshl_add_u32 v0, v123, 3, v120
	s_barrier
	buffer_gl0_inv
	v_mov_b32_e32 v114, 21
	ds_write_b64 v0, v[68:69]
	s_waitcnt lgkmcnt(0)
	s_barrier
	buffer_gl0_inv
	ds_read_b64 v[0:1], v120 offset:168
	s_cmp_lt_i32 s7, 23
	s_cbranch_scc1 .LBB106_355
; %bb.353:
	v_add3_u32 v115, v121, 0, 0xb0
	v_mov_b32_e32 v114, 21
	s_mov_b32 s0, 22
.LBB106_354:                            ; =>This Inner Loop Header: Depth=1
	ds_read_b64 v[124:125], v115
	v_add_nc_u32_e32 v115, 8, v115
	s_waitcnt lgkmcnt(0)
	v_cmp_lt_f64_e64 vcc_lo, |v[0:1]|, |v[124:125]|
	v_cndmask_b32_e32 v1, v1, v125, vcc_lo
	v_cndmask_b32_e32 v0, v0, v124, vcc_lo
	v_cndmask_b32_e64 v114, v114, s0, vcc_lo
	s_add_i32 s0, s0, 1
	s_cmp_lg_u32 s7, s0
	s_cbranch_scc1 .LBB106_354
.LBB106_355:
	s_mov_b32 s0, exec_lo
	s_waitcnt lgkmcnt(0)
	v_cmpx_eq_f64_e32 0, v[0:1]
	s_xor_b32 s0, exec_lo, s0
; %bb.356:
	v_cmp_ne_u32_e32 vcc_lo, 0, v117
	v_cndmask_b32_e32 v117, 22, v117, vcc_lo
; %bb.357:
	s_andn2_saveexec_b32 s0, s0
	s_cbranch_execz .LBB106_359
; %bb.358:
	v_div_scale_f64 v[115:116], null, v[0:1], v[0:1], 1.0
	v_rcp_f64_e32 v[124:125], v[115:116]
	v_fma_f64 v[126:127], -v[115:116], v[124:125], 1.0
	v_fma_f64 v[124:125], v[124:125], v[126:127], v[124:125]
	v_fma_f64 v[126:127], -v[115:116], v[124:125], 1.0
	v_fma_f64 v[124:125], v[124:125], v[126:127], v[124:125]
	v_div_scale_f64 v[126:127], vcc_lo, 1.0, v[0:1], 1.0
	v_mul_f64 v[128:129], v[126:127], v[124:125]
	v_fma_f64 v[115:116], -v[115:116], v[128:129], v[126:127]
	v_div_fmas_f64 v[115:116], v[115:116], v[124:125], v[128:129]
	v_div_fixup_f64 v[0:1], v[115:116], v[0:1], 1.0
.LBB106_359:
	s_or_b32 exec_lo, exec_lo, s0
	s_mov_b32 s0, exec_lo
	v_cmpx_ne_u32_e64 v123, v114
	s_xor_b32 s0, exec_lo, s0
	s_cbranch_execz .LBB106_365
; %bb.360:
	s_mov_b32 s1, exec_lo
	v_cmpx_eq_u32_e32 21, v123
	s_cbranch_execz .LBB106_364
; %bb.361:
	v_cmp_ne_u32_e32 vcc_lo, 21, v114
	s_xor_b32 s2, s6, -1
	s_and_b32 s3, s2, vcc_lo
	s_and_saveexec_b32 s2, s3
	s_cbranch_execz .LBB106_363
; %bb.362:
	v_ashrrev_i32_e32 v115, 31, v114
	v_lshlrev_b64 v[115:116], 2, v[114:115]
	v_add_co_u32 v115, vcc_lo, v4, v115
	v_add_co_ci_u32_e64 v116, null, v5, v116, vcc_lo
	s_clause 0x1
	global_load_dword v122, v[115:116], off
	global_load_dword v123, v[4:5], off offset:84
	s_waitcnt vmcnt(1)
	global_store_dword v[4:5], v122, off offset:84
	s_waitcnt vmcnt(0)
	global_store_dword v[115:116], v123, off
.LBB106_363:
	s_or_b32 exec_lo, exec_lo, s2
	v_mov_b32_e32 v122, v114
	v_mov_b32_e32 v123, v114
.LBB106_364:
	s_or_b32 exec_lo, exec_lo, s1
.LBB106_365:
	s_andn2_saveexec_b32 s0, s0
	s_cbranch_execz .LBB106_367
; %bb.366:
	v_mov_b32_e32 v114, v66
	v_mov_b32_e32 v115, v67
	;; [unrolled: 1-line block ×8, first 2 shown]
	ds_write2_b64 v120, v[114:115], v[123:124] offset0:22 offset1:23
	ds_write2_b64 v120, v[125:126], v[127:128] offset0:24 offset1:25
	v_mov_b32_e32 v114, v60
	v_mov_b32_e32 v115, v61
	;; [unrolled: 1-line block ×20, first 2 shown]
	ds_write2_b64 v120, v[114:115], v[123:124] offset0:26 offset1:27
	ds_write2_b64 v120, v[125:126], v[127:128] offset0:28 offset1:29
	;; [unrolled: 1-line block ×5, first 2 shown]
	v_mov_b32_e32 v114, v40
	v_mov_b32_e32 v115, v41
	;; [unrolled: 1-line block ×20, first 2 shown]
	ds_write2_b64 v120, v[114:115], v[123:124] offset0:36 offset1:37
	ds_write2_b64 v120, v[125:126], v[127:128] offset0:38 offset1:39
	;; [unrolled: 1-line block ×5, first 2 shown]
	v_mov_b32_e32 v114, v20
	v_mov_b32_e32 v115, v21
	;; [unrolled: 1-line block ×15, first 2 shown]
	ds_write2_b64 v120, v[114:115], v[124:125] offset0:46 offset1:47
	ds_write2_b64 v120, v[126:127], v[128:129] offset0:48 offset1:49
	;; [unrolled: 1-line block ×4, first 2 shown]
.LBB106_367:
	s_or_b32 exec_lo, exec_lo, s0
	s_mov_b32 s0, exec_lo
	s_waitcnt lgkmcnt(0)
	s_waitcnt_vscnt null, 0x0
	s_barrier
	buffer_gl0_inv
	v_cmpx_lt_i32_e32 21, v123
	s_cbranch_execz .LBB106_369
; %bb.368:
	v_mul_f64 v[68:69], v[0:1], v[68:69]
	ds_read2_b64 v[124:127], v120 offset0:22 offset1:23
	ds_read2_b64 v[128:131], v120 offset0:24 offset1:25
	;; [unrolled: 1-line block ×13, first 2 shown]
	s_waitcnt lgkmcnt(12)
	v_fma_f64 v[66:67], -v[68:69], v[124:125], v[66:67]
	v_fma_f64 v[64:65], -v[68:69], v[126:127], v[64:65]
	s_waitcnt lgkmcnt(11)
	v_fma_f64 v[62:63], -v[68:69], v[128:129], v[62:63]
	v_fma_f64 v[58:59], -v[68:69], v[130:131], v[58:59]
	;; [unrolled: 3-line block ×3, first 2 shown]
	ds_read2_b64 v[124:127], v120 offset0:48 offset1:49
	ds_read2_b64 v[128:131], v120 offset0:50 offset1:51
	;; [unrolled: 1-line block ×3, first 2 shown]
	s_waitcnt lgkmcnt(12)
	v_fma_f64 v[56:57], -v[68:69], v[136:137], v[56:57]
	v_fma_f64 v[52:53], -v[68:69], v[138:139], v[52:53]
	s_waitcnt lgkmcnt(11)
	v_fma_f64 v[50:51], -v[68:69], v[140:141], v[50:51]
	v_fma_f64 v[48:49], -v[68:69], v[142:143], v[48:49]
	;; [unrolled: 3-line block ×13, first 2 shown]
.LBB106_369:
	s_or_b32 exec_lo, exec_lo, s0
	v_lshl_add_u32 v0, v123, 3, v120
	s_barrier
	buffer_gl0_inv
	v_mov_b32_e32 v114, 22
	ds_write_b64 v0, v[66:67]
	s_waitcnt lgkmcnt(0)
	s_barrier
	buffer_gl0_inv
	ds_read_b64 v[0:1], v120 offset:176
	s_cmp_lt_i32 s7, 24
	s_cbranch_scc1 .LBB106_372
; %bb.370:
	v_add3_u32 v115, v121, 0, 0xb8
	v_mov_b32_e32 v114, 22
	s_mov_b32 s0, 23
.LBB106_371:                            ; =>This Inner Loop Header: Depth=1
	ds_read_b64 v[124:125], v115
	v_add_nc_u32_e32 v115, 8, v115
	s_waitcnt lgkmcnt(0)
	v_cmp_lt_f64_e64 vcc_lo, |v[0:1]|, |v[124:125]|
	v_cndmask_b32_e32 v1, v1, v125, vcc_lo
	v_cndmask_b32_e32 v0, v0, v124, vcc_lo
	v_cndmask_b32_e64 v114, v114, s0, vcc_lo
	s_add_i32 s0, s0, 1
	s_cmp_lg_u32 s7, s0
	s_cbranch_scc1 .LBB106_371
.LBB106_372:
	s_mov_b32 s0, exec_lo
	s_waitcnt lgkmcnt(0)
	v_cmpx_eq_f64_e32 0, v[0:1]
	s_xor_b32 s0, exec_lo, s0
; %bb.373:
	v_cmp_ne_u32_e32 vcc_lo, 0, v117
	v_cndmask_b32_e32 v117, 23, v117, vcc_lo
; %bb.374:
	s_andn2_saveexec_b32 s0, s0
	s_cbranch_execz .LBB106_376
; %bb.375:
	v_div_scale_f64 v[115:116], null, v[0:1], v[0:1], 1.0
	v_rcp_f64_e32 v[124:125], v[115:116]
	v_fma_f64 v[126:127], -v[115:116], v[124:125], 1.0
	v_fma_f64 v[124:125], v[124:125], v[126:127], v[124:125]
	v_fma_f64 v[126:127], -v[115:116], v[124:125], 1.0
	v_fma_f64 v[124:125], v[124:125], v[126:127], v[124:125]
	v_div_scale_f64 v[126:127], vcc_lo, 1.0, v[0:1], 1.0
	v_mul_f64 v[128:129], v[126:127], v[124:125]
	v_fma_f64 v[115:116], -v[115:116], v[128:129], v[126:127]
	v_div_fmas_f64 v[115:116], v[115:116], v[124:125], v[128:129]
	v_div_fixup_f64 v[0:1], v[115:116], v[0:1], 1.0
.LBB106_376:
	s_or_b32 exec_lo, exec_lo, s0
	s_mov_b32 s0, exec_lo
	v_cmpx_ne_u32_e64 v123, v114
	s_xor_b32 s0, exec_lo, s0
	s_cbranch_execz .LBB106_382
; %bb.377:
	s_mov_b32 s1, exec_lo
	v_cmpx_eq_u32_e32 22, v123
	s_cbranch_execz .LBB106_381
; %bb.378:
	v_cmp_ne_u32_e32 vcc_lo, 22, v114
	s_xor_b32 s2, s6, -1
	s_and_b32 s3, s2, vcc_lo
	s_and_saveexec_b32 s2, s3
	s_cbranch_execz .LBB106_380
; %bb.379:
	v_ashrrev_i32_e32 v115, 31, v114
	v_lshlrev_b64 v[115:116], 2, v[114:115]
	v_add_co_u32 v115, vcc_lo, v4, v115
	v_add_co_ci_u32_e64 v116, null, v5, v116, vcc_lo
	s_clause 0x1
	global_load_dword v122, v[115:116], off
	global_load_dword v123, v[4:5], off offset:88
	s_waitcnt vmcnt(1)
	global_store_dword v[4:5], v122, off offset:88
	s_waitcnt vmcnt(0)
	global_store_dword v[115:116], v123, off
.LBB106_380:
	s_or_b32 exec_lo, exec_lo, s2
	v_mov_b32_e32 v122, v114
	v_mov_b32_e32 v123, v114
.LBB106_381:
	s_or_b32 exec_lo, exec_lo, s1
.LBB106_382:
	s_andn2_saveexec_b32 s0, s0
	s_cbranch_execz .LBB106_384
; %bb.383:
	v_mov_b32_e32 v123, 22
	ds_write2_b64 v120, v[64:65], v[62:63] offset0:23 offset1:24
	ds_write2_b64 v120, v[58:59], v[60:61] offset0:25 offset1:26
	;; [unrolled: 1-line block ×15, first 2 shown]
	ds_write_b64 v120, v[112:113] offset:424
.LBB106_384:
	s_or_b32 exec_lo, exec_lo, s0
	s_mov_b32 s0, exec_lo
	s_waitcnt lgkmcnt(0)
	s_waitcnt_vscnt null, 0x0
	s_barrier
	buffer_gl0_inv
	v_cmpx_lt_i32_e32 22, v123
	s_cbranch_execz .LBB106_386
; %bb.385:
	v_mul_f64 v[66:67], v[0:1], v[66:67]
	ds_read2_b64 v[124:127], v120 offset0:23 offset1:24
	ds_read2_b64 v[128:131], v120 offset0:25 offset1:26
	;; [unrolled: 1-line block ×13, first 2 shown]
	ds_read_b64 v[0:1], v120 offset:424
	s_waitcnt lgkmcnt(13)
	v_fma_f64 v[64:65], -v[66:67], v[124:125], v[64:65]
	v_fma_f64 v[62:63], -v[66:67], v[126:127], v[62:63]
	s_waitcnt lgkmcnt(12)
	v_fma_f64 v[58:59], -v[66:67], v[128:129], v[58:59]
	v_fma_f64 v[60:61], -v[66:67], v[130:131], v[60:61]
	ds_read2_b64 v[124:127], v120 offset0:49 offset1:50
	ds_read2_b64 v[128:131], v120 offset0:51 offset1:52
	s_waitcnt lgkmcnt(13)
	v_fma_f64 v[54:55], -v[66:67], v[132:133], v[54:55]
	v_fma_f64 v[56:57], -v[66:67], v[134:135], v[56:57]
	s_waitcnt lgkmcnt(12)
	v_fma_f64 v[52:53], -v[66:67], v[136:137], v[52:53]
	v_fma_f64 v[50:51], -v[66:67], v[138:139], v[50:51]
	;; [unrolled: 3-line block ×13, first 2 shown]
	v_fma_f64 v[112:113], -v[66:67], v[0:1], v[112:113]
.LBB106_386:
	s_or_b32 exec_lo, exec_lo, s0
	v_lshl_add_u32 v0, v123, 3, v120
	s_barrier
	buffer_gl0_inv
	v_mov_b32_e32 v114, 23
	ds_write_b64 v0, v[64:65]
	s_waitcnt lgkmcnt(0)
	s_barrier
	buffer_gl0_inv
	ds_read_b64 v[0:1], v120 offset:184
	s_cmp_lt_i32 s7, 25
	s_cbranch_scc1 .LBB106_389
; %bb.387:
	v_add3_u32 v115, v121, 0, 0xc0
	v_mov_b32_e32 v114, 23
	s_mov_b32 s0, 24
.LBB106_388:                            ; =>This Inner Loop Header: Depth=1
	ds_read_b64 v[124:125], v115
	v_add_nc_u32_e32 v115, 8, v115
	s_waitcnt lgkmcnt(0)
	v_cmp_lt_f64_e64 vcc_lo, |v[0:1]|, |v[124:125]|
	v_cndmask_b32_e32 v1, v1, v125, vcc_lo
	v_cndmask_b32_e32 v0, v0, v124, vcc_lo
	v_cndmask_b32_e64 v114, v114, s0, vcc_lo
	s_add_i32 s0, s0, 1
	s_cmp_lg_u32 s7, s0
	s_cbranch_scc1 .LBB106_388
.LBB106_389:
	s_mov_b32 s0, exec_lo
	s_waitcnt lgkmcnt(0)
	v_cmpx_eq_f64_e32 0, v[0:1]
	s_xor_b32 s0, exec_lo, s0
; %bb.390:
	v_cmp_ne_u32_e32 vcc_lo, 0, v117
	v_cndmask_b32_e32 v117, 24, v117, vcc_lo
; %bb.391:
	s_andn2_saveexec_b32 s0, s0
	s_cbranch_execz .LBB106_393
; %bb.392:
	v_div_scale_f64 v[115:116], null, v[0:1], v[0:1], 1.0
	v_rcp_f64_e32 v[124:125], v[115:116]
	v_fma_f64 v[126:127], -v[115:116], v[124:125], 1.0
	v_fma_f64 v[124:125], v[124:125], v[126:127], v[124:125]
	v_fma_f64 v[126:127], -v[115:116], v[124:125], 1.0
	v_fma_f64 v[124:125], v[124:125], v[126:127], v[124:125]
	v_div_scale_f64 v[126:127], vcc_lo, 1.0, v[0:1], 1.0
	v_mul_f64 v[128:129], v[126:127], v[124:125]
	v_fma_f64 v[115:116], -v[115:116], v[128:129], v[126:127]
	v_div_fmas_f64 v[115:116], v[115:116], v[124:125], v[128:129]
	v_div_fixup_f64 v[0:1], v[115:116], v[0:1], 1.0
.LBB106_393:
	s_or_b32 exec_lo, exec_lo, s0
	s_mov_b32 s0, exec_lo
	v_cmpx_ne_u32_e64 v123, v114
	s_xor_b32 s0, exec_lo, s0
	s_cbranch_execz .LBB106_399
; %bb.394:
	s_mov_b32 s1, exec_lo
	v_cmpx_eq_u32_e32 23, v123
	s_cbranch_execz .LBB106_398
; %bb.395:
	v_cmp_ne_u32_e32 vcc_lo, 23, v114
	s_xor_b32 s2, s6, -1
	s_and_b32 s3, s2, vcc_lo
	s_and_saveexec_b32 s2, s3
	s_cbranch_execz .LBB106_397
; %bb.396:
	v_ashrrev_i32_e32 v115, 31, v114
	v_lshlrev_b64 v[115:116], 2, v[114:115]
	v_add_co_u32 v115, vcc_lo, v4, v115
	v_add_co_ci_u32_e64 v116, null, v5, v116, vcc_lo
	s_clause 0x1
	global_load_dword v122, v[115:116], off
	global_load_dword v123, v[4:5], off offset:92
	s_waitcnt vmcnt(1)
	global_store_dword v[4:5], v122, off offset:92
	s_waitcnt vmcnt(0)
	global_store_dword v[115:116], v123, off
.LBB106_397:
	s_or_b32 exec_lo, exec_lo, s2
	v_mov_b32_e32 v122, v114
	v_mov_b32_e32 v123, v114
.LBB106_398:
	s_or_b32 exec_lo, exec_lo, s1
.LBB106_399:
	s_andn2_saveexec_b32 s0, s0
	s_cbranch_execz .LBB106_401
; %bb.400:
	v_mov_b32_e32 v114, v62
	v_mov_b32_e32 v115, v63
	;; [unrolled: 1-line block ×8, first 2 shown]
	ds_write2_b64 v120, v[114:115], v[123:124] offset0:24 offset1:25
	v_mov_b32_e32 v114, v54
	v_mov_b32_e32 v115, v55
	v_mov_b32_e32 v123, v56
	v_mov_b32_e32 v124, v57
	v_mov_b32_e32 v129, v50
	v_mov_b32_e32 v130, v51
	v_mov_b32_e32 v131, v48
	v_mov_b32_e32 v132, v49
	v_mov_b32_e32 v133, v46
	v_mov_b32_e32 v134, v47
	v_mov_b32_e32 v135, v44
	v_mov_b32_e32 v136, v45
	v_mov_b32_e32 v137, v42
	v_mov_b32_e32 v138, v43
	v_mov_b32_e32 v139, v38
	v_mov_b32_e32 v140, v39
	ds_write2_b64 v120, v[125:126], v[114:115] offset0:26 offset1:27
	ds_write2_b64 v120, v[123:124], v[127:128] offset0:28 offset1:29
	ds_write2_b64 v120, v[129:130], v[131:132] offset0:30 offset1:31
	ds_write2_b64 v120, v[133:134], v[135:136] offset0:32 offset1:33
	ds_write2_b64 v120, v[137:138], v[139:140] offset0:34 offset1:35
	v_mov_b32_e32 v114, v40
	v_mov_b32_e32 v115, v41
	;; [unrolled: 1-line block ×20, first 2 shown]
	ds_write2_b64 v120, v[114:115], v[123:124] offset0:36 offset1:37
	ds_write2_b64 v120, v[125:126], v[127:128] offset0:38 offset1:39
	ds_write2_b64 v120, v[129:130], v[131:132] offset0:40 offset1:41
	ds_write2_b64 v120, v[133:134], v[135:136] offset0:42 offset1:43
	ds_write2_b64 v120, v[137:138], v[139:140] offset0:44 offset1:45
	v_mov_b32_e32 v114, v20
	v_mov_b32_e32 v115, v21
	;; [unrolled: 1-line block ×15, first 2 shown]
	ds_write2_b64 v120, v[114:115], v[124:125] offset0:46 offset1:47
	ds_write2_b64 v120, v[126:127], v[128:129] offset0:48 offset1:49
	;; [unrolled: 1-line block ×4, first 2 shown]
.LBB106_401:
	s_or_b32 exec_lo, exec_lo, s0
	s_mov_b32 s0, exec_lo
	s_waitcnt lgkmcnt(0)
	s_waitcnt_vscnt null, 0x0
	s_barrier
	buffer_gl0_inv
	v_cmpx_lt_i32_e32 23, v123
	s_cbranch_execz .LBB106_403
; %bb.402:
	v_mul_f64 v[64:65], v[0:1], v[64:65]
	ds_read2_b64 v[124:127], v120 offset0:24 offset1:25
	ds_read2_b64 v[128:131], v120 offset0:26 offset1:27
	;; [unrolled: 1-line block ×14, first 2 shown]
	s_waitcnt lgkmcnt(13)
	v_fma_f64 v[62:63], -v[64:65], v[124:125], v[62:63]
	v_fma_f64 v[58:59], -v[64:65], v[126:127], v[58:59]
	ds_read2_b64 v[124:127], v120 offset0:52 offset1:53
	s_waitcnt lgkmcnt(13)
	v_fma_f64 v[60:61], -v[64:65], v[128:129], v[60:61]
	v_fma_f64 v[54:55], -v[64:65], v[130:131], v[54:55]
	s_waitcnt lgkmcnt(12)
	v_fma_f64 v[56:57], -v[64:65], v[132:133], v[56:57]
	v_fma_f64 v[52:53], -v[64:65], v[134:135], v[52:53]
	;; [unrolled: 3-line block ×14, first 2 shown]
.LBB106_403:
	s_or_b32 exec_lo, exec_lo, s0
	v_lshl_add_u32 v0, v123, 3, v120
	s_barrier
	buffer_gl0_inv
	v_mov_b32_e32 v114, 24
	ds_write_b64 v0, v[62:63]
	s_waitcnt lgkmcnt(0)
	s_barrier
	buffer_gl0_inv
	ds_read_b64 v[0:1], v120 offset:192
	s_cmp_lt_i32 s7, 26
	s_cbranch_scc1 .LBB106_406
; %bb.404:
	v_add3_u32 v115, v121, 0, 0xc8
	v_mov_b32_e32 v114, 24
	s_mov_b32 s0, 25
.LBB106_405:                            ; =>This Inner Loop Header: Depth=1
	ds_read_b64 v[124:125], v115
	v_add_nc_u32_e32 v115, 8, v115
	s_waitcnt lgkmcnt(0)
	v_cmp_lt_f64_e64 vcc_lo, |v[0:1]|, |v[124:125]|
	v_cndmask_b32_e32 v1, v1, v125, vcc_lo
	v_cndmask_b32_e32 v0, v0, v124, vcc_lo
	v_cndmask_b32_e64 v114, v114, s0, vcc_lo
	s_add_i32 s0, s0, 1
	s_cmp_lg_u32 s7, s0
	s_cbranch_scc1 .LBB106_405
.LBB106_406:
	s_mov_b32 s0, exec_lo
	s_waitcnt lgkmcnt(0)
	v_cmpx_eq_f64_e32 0, v[0:1]
	s_xor_b32 s0, exec_lo, s0
; %bb.407:
	v_cmp_ne_u32_e32 vcc_lo, 0, v117
	v_cndmask_b32_e32 v117, 25, v117, vcc_lo
; %bb.408:
	s_andn2_saveexec_b32 s0, s0
	s_cbranch_execz .LBB106_410
; %bb.409:
	v_div_scale_f64 v[115:116], null, v[0:1], v[0:1], 1.0
	v_rcp_f64_e32 v[124:125], v[115:116]
	v_fma_f64 v[126:127], -v[115:116], v[124:125], 1.0
	v_fma_f64 v[124:125], v[124:125], v[126:127], v[124:125]
	v_fma_f64 v[126:127], -v[115:116], v[124:125], 1.0
	v_fma_f64 v[124:125], v[124:125], v[126:127], v[124:125]
	v_div_scale_f64 v[126:127], vcc_lo, 1.0, v[0:1], 1.0
	v_mul_f64 v[128:129], v[126:127], v[124:125]
	v_fma_f64 v[115:116], -v[115:116], v[128:129], v[126:127]
	v_div_fmas_f64 v[115:116], v[115:116], v[124:125], v[128:129]
	v_div_fixup_f64 v[0:1], v[115:116], v[0:1], 1.0
.LBB106_410:
	s_or_b32 exec_lo, exec_lo, s0
	s_mov_b32 s0, exec_lo
	v_cmpx_ne_u32_e64 v123, v114
	s_xor_b32 s0, exec_lo, s0
	s_cbranch_execz .LBB106_416
; %bb.411:
	s_mov_b32 s1, exec_lo
	v_cmpx_eq_u32_e32 24, v123
	s_cbranch_execz .LBB106_415
; %bb.412:
	v_cmp_ne_u32_e32 vcc_lo, 24, v114
	s_xor_b32 s2, s6, -1
	s_and_b32 s3, s2, vcc_lo
	s_and_saveexec_b32 s2, s3
	s_cbranch_execz .LBB106_414
; %bb.413:
	v_ashrrev_i32_e32 v115, 31, v114
	v_lshlrev_b64 v[115:116], 2, v[114:115]
	v_add_co_u32 v115, vcc_lo, v4, v115
	v_add_co_ci_u32_e64 v116, null, v5, v116, vcc_lo
	s_clause 0x1
	global_load_dword v122, v[115:116], off
	global_load_dword v123, v[4:5], off offset:96
	s_waitcnt vmcnt(1)
	global_store_dword v[4:5], v122, off offset:96
	s_waitcnt vmcnt(0)
	global_store_dword v[115:116], v123, off
.LBB106_414:
	s_or_b32 exec_lo, exec_lo, s2
	v_mov_b32_e32 v122, v114
	v_mov_b32_e32 v123, v114
.LBB106_415:
	s_or_b32 exec_lo, exec_lo, s1
.LBB106_416:
	s_andn2_saveexec_b32 s0, s0
	s_cbranch_execz .LBB106_418
; %bb.417:
	v_mov_b32_e32 v123, 24
	ds_write2_b64 v120, v[58:59], v[60:61] offset0:25 offset1:26
	ds_write2_b64 v120, v[54:55], v[56:57] offset0:27 offset1:28
	;; [unrolled: 1-line block ×14, first 2 shown]
	ds_write_b64 v120, v[112:113] offset:424
.LBB106_418:
	s_or_b32 exec_lo, exec_lo, s0
	s_mov_b32 s0, exec_lo
	s_waitcnt lgkmcnt(0)
	s_waitcnt_vscnt null, 0x0
	s_barrier
	buffer_gl0_inv
	v_cmpx_lt_i32_e32 24, v123
	s_cbranch_execz .LBB106_420
; %bb.419:
	v_mul_f64 v[62:63], v[0:1], v[62:63]
	ds_read2_b64 v[124:127], v120 offset0:25 offset1:26
	ds_read2_b64 v[128:131], v120 offset0:27 offset1:28
	;; [unrolled: 1-line block ×14, first 2 shown]
	ds_read_b64 v[0:1], v120 offset:424
	s_waitcnt lgkmcnt(14)
	v_fma_f64 v[58:59], -v[62:63], v[124:125], v[58:59]
	v_fma_f64 v[60:61], -v[62:63], v[126:127], v[60:61]
	s_waitcnt lgkmcnt(13)
	v_fma_f64 v[54:55], -v[62:63], v[128:129], v[54:55]
	v_fma_f64 v[56:57], -v[62:63], v[130:131], v[56:57]
	;; [unrolled: 3-line block ×14, first 2 shown]
	s_waitcnt lgkmcnt(0)
	v_fma_f64 v[112:113], -v[62:63], v[0:1], v[112:113]
.LBB106_420:
	s_or_b32 exec_lo, exec_lo, s0
	v_lshl_add_u32 v0, v123, 3, v120
	s_barrier
	buffer_gl0_inv
	v_mov_b32_e32 v114, 25
	ds_write_b64 v0, v[58:59]
	s_waitcnt lgkmcnt(0)
	s_barrier
	buffer_gl0_inv
	ds_read_b64 v[0:1], v120 offset:200
	s_cmp_lt_i32 s7, 27
	s_cbranch_scc1 .LBB106_423
; %bb.421:
	v_add3_u32 v115, v121, 0, 0xd0
	v_mov_b32_e32 v114, 25
	s_mov_b32 s0, 26
.LBB106_422:                            ; =>This Inner Loop Header: Depth=1
	ds_read_b64 v[124:125], v115
	v_add_nc_u32_e32 v115, 8, v115
	s_waitcnt lgkmcnt(0)
	v_cmp_lt_f64_e64 vcc_lo, |v[0:1]|, |v[124:125]|
	v_cndmask_b32_e32 v1, v1, v125, vcc_lo
	v_cndmask_b32_e32 v0, v0, v124, vcc_lo
	v_cndmask_b32_e64 v114, v114, s0, vcc_lo
	s_add_i32 s0, s0, 1
	s_cmp_lg_u32 s7, s0
	s_cbranch_scc1 .LBB106_422
.LBB106_423:
	s_mov_b32 s0, exec_lo
	s_waitcnt lgkmcnt(0)
	v_cmpx_eq_f64_e32 0, v[0:1]
	s_xor_b32 s0, exec_lo, s0
; %bb.424:
	v_cmp_ne_u32_e32 vcc_lo, 0, v117
	v_cndmask_b32_e32 v117, 26, v117, vcc_lo
; %bb.425:
	s_andn2_saveexec_b32 s0, s0
	s_cbranch_execz .LBB106_427
; %bb.426:
	v_div_scale_f64 v[115:116], null, v[0:1], v[0:1], 1.0
	v_rcp_f64_e32 v[124:125], v[115:116]
	v_fma_f64 v[126:127], -v[115:116], v[124:125], 1.0
	v_fma_f64 v[124:125], v[124:125], v[126:127], v[124:125]
	v_fma_f64 v[126:127], -v[115:116], v[124:125], 1.0
	v_fma_f64 v[124:125], v[124:125], v[126:127], v[124:125]
	v_div_scale_f64 v[126:127], vcc_lo, 1.0, v[0:1], 1.0
	v_mul_f64 v[128:129], v[126:127], v[124:125]
	v_fma_f64 v[115:116], -v[115:116], v[128:129], v[126:127]
	v_div_fmas_f64 v[115:116], v[115:116], v[124:125], v[128:129]
	v_div_fixup_f64 v[0:1], v[115:116], v[0:1], 1.0
.LBB106_427:
	s_or_b32 exec_lo, exec_lo, s0
	s_mov_b32 s0, exec_lo
	v_cmpx_ne_u32_e64 v123, v114
	s_xor_b32 s0, exec_lo, s0
	s_cbranch_execz .LBB106_433
; %bb.428:
	s_mov_b32 s1, exec_lo
	v_cmpx_eq_u32_e32 25, v123
	s_cbranch_execz .LBB106_432
; %bb.429:
	v_cmp_ne_u32_e32 vcc_lo, 25, v114
	s_xor_b32 s2, s6, -1
	s_and_b32 s3, s2, vcc_lo
	s_and_saveexec_b32 s2, s3
	s_cbranch_execz .LBB106_431
; %bb.430:
	v_ashrrev_i32_e32 v115, 31, v114
	v_lshlrev_b64 v[115:116], 2, v[114:115]
	v_add_co_u32 v115, vcc_lo, v4, v115
	v_add_co_ci_u32_e64 v116, null, v5, v116, vcc_lo
	s_clause 0x1
	global_load_dword v122, v[115:116], off
	global_load_dword v123, v[4:5], off offset:100
	s_waitcnt vmcnt(1)
	global_store_dword v[4:5], v122, off offset:100
	s_waitcnt vmcnt(0)
	global_store_dword v[115:116], v123, off
.LBB106_431:
	s_or_b32 exec_lo, exec_lo, s2
	v_mov_b32_e32 v122, v114
	v_mov_b32_e32 v123, v114
.LBB106_432:
	s_or_b32 exec_lo, exec_lo, s1
.LBB106_433:
	s_andn2_saveexec_b32 s0, s0
	s_cbranch_execz .LBB106_435
; %bb.434:
	v_mov_b32_e32 v114, v60
	v_mov_b32_e32 v115, v61
	;; [unrolled: 1-line block ×20, first 2 shown]
	ds_write2_b64 v120, v[114:115], v[123:124] offset0:26 offset1:27
	ds_write2_b64 v120, v[125:126], v[127:128] offset0:28 offset1:29
	;; [unrolled: 1-line block ×5, first 2 shown]
	v_mov_b32_e32 v114, v40
	v_mov_b32_e32 v115, v41
	;; [unrolled: 1-line block ×20, first 2 shown]
	ds_write2_b64 v120, v[114:115], v[123:124] offset0:36 offset1:37
	ds_write2_b64 v120, v[125:126], v[127:128] offset0:38 offset1:39
	;; [unrolled: 1-line block ×5, first 2 shown]
	v_mov_b32_e32 v114, v20
	v_mov_b32_e32 v115, v21
	;; [unrolled: 1-line block ×15, first 2 shown]
	ds_write2_b64 v120, v[114:115], v[124:125] offset0:46 offset1:47
	ds_write2_b64 v120, v[126:127], v[128:129] offset0:48 offset1:49
	;; [unrolled: 1-line block ×4, first 2 shown]
.LBB106_435:
	s_or_b32 exec_lo, exec_lo, s0
	s_mov_b32 s0, exec_lo
	s_waitcnt lgkmcnt(0)
	s_waitcnt_vscnt null, 0x0
	s_barrier
	buffer_gl0_inv
	v_cmpx_lt_i32_e32 25, v123
	s_cbranch_execz .LBB106_437
; %bb.436:
	v_mul_f64 v[58:59], v[0:1], v[58:59]
	ds_read2_b64 v[124:127], v120 offset0:26 offset1:27
	ds_read2_b64 v[128:131], v120 offset0:28 offset1:29
	;; [unrolled: 1-line block ×14, first 2 shown]
	s_waitcnt lgkmcnt(13)
	v_fma_f64 v[60:61], -v[58:59], v[124:125], v[60:61]
	v_fma_f64 v[54:55], -v[58:59], v[126:127], v[54:55]
	s_waitcnt lgkmcnt(12)
	v_fma_f64 v[56:57], -v[58:59], v[128:129], v[56:57]
	v_fma_f64 v[52:53], -v[58:59], v[130:131], v[52:53]
	;; [unrolled: 3-line block ×14, first 2 shown]
.LBB106_437:
	s_or_b32 exec_lo, exec_lo, s0
	v_lshl_add_u32 v0, v123, 3, v120
	s_barrier
	buffer_gl0_inv
	v_mov_b32_e32 v114, 26
	ds_write_b64 v0, v[60:61]
	s_waitcnt lgkmcnt(0)
	s_barrier
	buffer_gl0_inv
	ds_read_b64 v[0:1], v120 offset:208
	s_cmp_lt_i32 s7, 28
	s_cbranch_scc1 .LBB106_440
; %bb.438:
	v_add3_u32 v115, v121, 0, 0xd8
	v_mov_b32_e32 v114, 26
	s_mov_b32 s0, 27
.LBB106_439:                            ; =>This Inner Loop Header: Depth=1
	ds_read_b64 v[124:125], v115
	v_add_nc_u32_e32 v115, 8, v115
	s_waitcnt lgkmcnt(0)
	v_cmp_lt_f64_e64 vcc_lo, |v[0:1]|, |v[124:125]|
	v_cndmask_b32_e32 v1, v1, v125, vcc_lo
	v_cndmask_b32_e32 v0, v0, v124, vcc_lo
	v_cndmask_b32_e64 v114, v114, s0, vcc_lo
	s_add_i32 s0, s0, 1
	s_cmp_lg_u32 s7, s0
	s_cbranch_scc1 .LBB106_439
.LBB106_440:
	s_mov_b32 s0, exec_lo
	s_waitcnt lgkmcnt(0)
	v_cmpx_eq_f64_e32 0, v[0:1]
	s_xor_b32 s0, exec_lo, s0
; %bb.441:
	v_cmp_ne_u32_e32 vcc_lo, 0, v117
	v_cndmask_b32_e32 v117, 27, v117, vcc_lo
; %bb.442:
	s_andn2_saveexec_b32 s0, s0
	s_cbranch_execz .LBB106_444
; %bb.443:
	v_div_scale_f64 v[115:116], null, v[0:1], v[0:1], 1.0
	v_rcp_f64_e32 v[124:125], v[115:116]
	v_fma_f64 v[126:127], -v[115:116], v[124:125], 1.0
	v_fma_f64 v[124:125], v[124:125], v[126:127], v[124:125]
	v_fma_f64 v[126:127], -v[115:116], v[124:125], 1.0
	v_fma_f64 v[124:125], v[124:125], v[126:127], v[124:125]
	v_div_scale_f64 v[126:127], vcc_lo, 1.0, v[0:1], 1.0
	v_mul_f64 v[128:129], v[126:127], v[124:125]
	v_fma_f64 v[115:116], -v[115:116], v[128:129], v[126:127]
	v_div_fmas_f64 v[115:116], v[115:116], v[124:125], v[128:129]
	v_div_fixup_f64 v[0:1], v[115:116], v[0:1], 1.0
.LBB106_444:
	s_or_b32 exec_lo, exec_lo, s0
	s_mov_b32 s0, exec_lo
	v_cmpx_ne_u32_e64 v123, v114
	s_xor_b32 s0, exec_lo, s0
	s_cbranch_execz .LBB106_450
; %bb.445:
	s_mov_b32 s1, exec_lo
	v_cmpx_eq_u32_e32 26, v123
	s_cbranch_execz .LBB106_449
; %bb.446:
	v_cmp_ne_u32_e32 vcc_lo, 26, v114
	s_xor_b32 s2, s6, -1
	s_and_b32 s3, s2, vcc_lo
	s_and_saveexec_b32 s2, s3
	s_cbranch_execz .LBB106_448
; %bb.447:
	v_ashrrev_i32_e32 v115, 31, v114
	v_lshlrev_b64 v[115:116], 2, v[114:115]
	v_add_co_u32 v115, vcc_lo, v4, v115
	v_add_co_ci_u32_e64 v116, null, v5, v116, vcc_lo
	s_clause 0x1
	global_load_dword v122, v[115:116], off
	global_load_dword v123, v[4:5], off offset:104
	s_waitcnt vmcnt(1)
	global_store_dword v[4:5], v122, off offset:104
	s_waitcnt vmcnt(0)
	global_store_dword v[115:116], v123, off
.LBB106_448:
	s_or_b32 exec_lo, exec_lo, s2
	v_mov_b32_e32 v122, v114
	v_mov_b32_e32 v123, v114
.LBB106_449:
	s_or_b32 exec_lo, exec_lo, s1
.LBB106_450:
	s_andn2_saveexec_b32 s0, s0
	s_cbranch_execz .LBB106_452
; %bb.451:
	v_mov_b32_e32 v123, 26
	ds_write2_b64 v120, v[54:55], v[56:57] offset0:27 offset1:28
	ds_write2_b64 v120, v[52:53], v[50:51] offset0:29 offset1:30
	;; [unrolled: 1-line block ×13, first 2 shown]
	ds_write_b64 v120, v[112:113] offset:424
.LBB106_452:
	s_or_b32 exec_lo, exec_lo, s0
	s_mov_b32 s0, exec_lo
	s_waitcnt lgkmcnt(0)
	s_waitcnt_vscnt null, 0x0
	s_barrier
	buffer_gl0_inv
	v_cmpx_lt_i32_e32 26, v123
	s_cbranch_execz .LBB106_454
; %bb.453:
	v_mul_f64 v[60:61], v[0:1], v[60:61]
	ds_read2_b64 v[124:127], v120 offset0:27 offset1:28
	ds_read2_b64 v[128:131], v120 offset0:29 offset1:30
	;; [unrolled: 1-line block ×13, first 2 shown]
	ds_read_b64 v[0:1], v120 offset:424
	s_waitcnt lgkmcnt(13)
	v_fma_f64 v[54:55], -v[60:61], v[124:125], v[54:55]
	v_fma_f64 v[56:57], -v[60:61], v[126:127], v[56:57]
	s_waitcnt lgkmcnt(12)
	v_fma_f64 v[52:53], -v[60:61], v[128:129], v[52:53]
	v_fma_f64 v[50:51], -v[60:61], v[130:131], v[50:51]
	;; [unrolled: 3-line block ×13, first 2 shown]
	s_waitcnt lgkmcnt(0)
	v_fma_f64 v[112:113], -v[60:61], v[0:1], v[112:113]
.LBB106_454:
	s_or_b32 exec_lo, exec_lo, s0
	v_lshl_add_u32 v0, v123, 3, v120
	s_barrier
	buffer_gl0_inv
	v_mov_b32_e32 v114, 27
	ds_write_b64 v0, v[54:55]
	s_waitcnt lgkmcnt(0)
	s_barrier
	buffer_gl0_inv
	ds_read_b64 v[0:1], v120 offset:216
	s_cmp_lt_i32 s7, 29
	s_cbranch_scc1 .LBB106_457
; %bb.455:
	v_add3_u32 v115, v121, 0, 0xe0
	v_mov_b32_e32 v114, 27
	s_mov_b32 s0, 28
.LBB106_456:                            ; =>This Inner Loop Header: Depth=1
	ds_read_b64 v[124:125], v115
	v_add_nc_u32_e32 v115, 8, v115
	s_waitcnt lgkmcnt(0)
	v_cmp_lt_f64_e64 vcc_lo, |v[0:1]|, |v[124:125]|
	v_cndmask_b32_e32 v1, v1, v125, vcc_lo
	v_cndmask_b32_e32 v0, v0, v124, vcc_lo
	v_cndmask_b32_e64 v114, v114, s0, vcc_lo
	s_add_i32 s0, s0, 1
	s_cmp_lg_u32 s7, s0
	s_cbranch_scc1 .LBB106_456
.LBB106_457:
	s_mov_b32 s0, exec_lo
	s_waitcnt lgkmcnt(0)
	v_cmpx_eq_f64_e32 0, v[0:1]
	s_xor_b32 s0, exec_lo, s0
; %bb.458:
	v_cmp_ne_u32_e32 vcc_lo, 0, v117
	v_cndmask_b32_e32 v117, 28, v117, vcc_lo
; %bb.459:
	s_andn2_saveexec_b32 s0, s0
	s_cbranch_execz .LBB106_461
; %bb.460:
	v_div_scale_f64 v[115:116], null, v[0:1], v[0:1], 1.0
	v_rcp_f64_e32 v[124:125], v[115:116]
	v_fma_f64 v[126:127], -v[115:116], v[124:125], 1.0
	v_fma_f64 v[124:125], v[124:125], v[126:127], v[124:125]
	v_fma_f64 v[126:127], -v[115:116], v[124:125], 1.0
	v_fma_f64 v[124:125], v[124:125], v[126:127], v[124:125]
	v_div_scale_f64 v[126:127], vcc_lo, 1.0, v[0:1], 1.0
	v_mul_f64 v[128:129], v[126:127], v[124:125]
	v_fma_f64 v[115:116], -v[115:116], v[128:129], v[126:127]
	v_div_fmas_f64 v[115:116], v[115:116], v[124:125], v[128:129]
	v_div_fixup_f64 v[0:1], v[115:116], v[0:1], 1.0
.LBB106_461:
	s_or_b32 exec_lo, exec_lo, s0
	s_mov_b32 s0, exec_lo
	v_cmpx_ne_u32_e64 v123, v114
	s_xor_b32 s0, exec_lo, s0
	s_cbranch_execz .LBB106_467
; %bb.462:
	s_mov_b32 s1, exec_lo
	v_cmpx_eq_u32_e32 27, v123
	s_cbranch_execz .LBB106_466
; %bb.463:
	v_cmp_ne_u32_e32 vcc_lo, 27, v114
	s_xor_b32 s2, s6, -1
	s_and_b32 s3, s2, vcc_lo
	s_and_saveexec_b32 s2, s3
	s_cbranch_execz .LBB106_465
; %bb.464:
	v_ashrrev_i32_e32 v115, 31, v114
	v_lshlrev_b64 v[115:116], 2, v[114:115]
	v_add_co_u32 v115, vcc_lo, v4, v115
	v_add_co_ci_u32_e64 v116, null, v5, v116, vcc_lo
	s_clause 0x1
	global_load_dword v122, v[115:116], off
	global_load_dword v123, v[4:5], off offset:108
	s_waitcnt vmcnt(1)
	global_store_dword v[4:5], v122, off offset:108
	s_waitcnt vmcnt(0)
	global_store_dword v[115:116], v123, off
.LBB106_465:
	s_or_b32 exec_lo, exec_lo, s2
	v_mov_b32_e32 v122, v114
	v_mov_b32_e32 v123, v114
.LBB106_466:
	s_or_b32 exec_lo, exec_lo, s1
.LBB106_467:
	s_andn2_saveexec_b32 s0, s0
	s_cbranch_execz .LBB106_469
; %bb.468:
	v_mov_b32_e32 v114, v56
	v_mov_b32_e32 v115, v57
	;; [unrolled: 1-line block ×16, first 2 shown]
	ds_write2_b64 v120, v[114:115], v[123:124] offset0:28 offset1:29
	ds_write2_b64 v120, v[125:126], v[127:128] offset0:30 offset1:31
	;; [unrolled: 1-line block ×4, first 2 shown]
	v_mov_b32_e32 v114, v40
	v_mov_b32_e32 v115, v41
	;; [unrolled: 1-line block ×20, first 2 shown]
	ds_write2_b64 v120, v[114:115], v[123:124] offset0:36 offset1:37
	ds_write2_b64 v120, v[125:126], v[127:128] offset0:38 offset1:39
	;; [unrolled: 1-line block ×5, first 2 shown]
	v_mov_b32_e32 v114, v20
	v_mov_b32_e32 v115, v21
	;; [unrolled: 1-line block ×15, first 2 shown]
	ds_write2_b64 v120, v[114:115], v[124:125] offset0:46 offset1:47
	ds_write2_b64 v120, v[126:127], v[128:129] offset0:48 offset1:49
	;; [unrolled: 1-line block ×4, first 2 shown]
.LBB106_469:
	s_or_b32 exec_lo, exec_lo, s0
	s_mov_b32 s0, exec_lo
	s_waitcnt lgkmcnt(0)
	s_waitcnt_vscnt null, 0x0
	s_barrier
	buffer_gl0_inv
	v_cmpx_lt_i32_e32 27, v123
	s_cbranch_execz .LBB106_471
; %bb.470:
	v_mul_f64 v[54:55], v[0:1], v[54:55]
	ds_read2_b64 v[124:127], v120 offset0:28 offset1:29
	ds_read2_b64 v[128:131], v120 offset0:30 offset1:31
	;; [unrolled: 1-line block ×13, first 2 shown]
	s_waitcnt lgkmcnt(12)
	v_fma_f64 v[56:57], -v[54:55], v[124:125], v[56:57]
	v_fma_f64 v[52:53], -v[54:55], v[126:127], v[52:53]
	s_waitcnt lgkmcnt(11)
	v_fma_f64 v[50:51], -v[54:55], v[128:129], v[50:51]
	v_fma_f64 v[48:49], -v[54:55], v[130:131], v[48:49]
	;; [unrolled: 3-line block ×13, first 2 shown]
.LBB106_471:
	s_or_b32 exec_lo, exec_lo, s0
	v_lshl_add_u32 v0, v123, 3, v120
	s_barrier
	buffer_gl0_inv
	v_mov_b32_e32 v114, 28
	ds_write_b64 v0, v[56:57]
	s_waitcnt lgkmcnt(0)
	s_barrier
	buffer_gl0_inv
	ds_read_b64 v[0:1], v120 offset:224
	s_cmp_lt_i32 s7, 30
	s_cbranch_scc1 .LBB106_474
; %bb.472:
	v_add3_u32 v115, v121, 0, 0xe8
	v_mov_b32_e32 v114, 28
	s_mov_b32 s0, 29
.LBB106_473:                            ; =>This Inner Loop Header: Depth=1
	ds_read_b64 v[124:125], v115
	v_add_nc_u32_e32 v115, 8, v115
	s_waitcnt lgkmcnt(0)
	v_cmp_lt_f64_e64 vcc_lo, |v[0:1]|, |v[124:125]|
	v_cndmask_b32_e32 v1, v1, v125, vcc_lo
	v_cndmask_b32_e32 v0, v0, v124, vcc_lo
	v_cndmask_b32_e64 v114, v114, s0, vcc_lo
	s_add_i32 s0, s0, 1
	s_cmp_lg_u32 s7, s0
	s_cbranch_scc1 .LBB106_473
.LBB106_474:
	s_mov_b32 s0, exec_lo
	s_waitcnt lgkmcnt(0)
	v_cmpx_eq_f64_e32 0, v[0:1]
	s_xor_b32 s0, exec_lo, s0
; %bb.475:
	v_cmp_ne_u32_e32 vcc_lo, 0, v117
	v_cndmask_b32_e32 v117, 29, v117, vcc_lo
; %bb.476:
	s_andn2_saveexec_b32 s0, s0
	s_cbranch_execz .LBB106_478
; %bb.477:
	v_div_scale_f64 v[115:116], null, v[0:1], v[0:1], 1.0
	v_rcp_f64_e32 v[124:125], v[115:116]
	v_fma_f64 v[126:127], -v[115:116], v[124:125], 1.0
	v_fma_f64 v[124:125], v[124:125], v[126:127], v[124:125]
	v_fma_f64 v[126:127], -v[115:116], v[124:125], 1.0
	v_fma_f64 v[124:125], v[124:125], v[126:127], v[124:125]
	v_div_scale_f64 v[126:127], vcc_lo, 1.0, v[0:1], 1.0
	v_mul_f64 v[128:129], v[126:127], v[124:125]
	v_fma_f64 v[115:116], -v[115:116], v[128:129], v[126:127]
	v_div_fmas_f64 v[115:116], v[115:116], v[124:125], v[128:129]
	v_div_fixup_f64 v[0:1], v[115:116], v[0:1], 1.0
.LBB106_478:
	s_or_b32 exec_lo, exec_lo, s0
	s_mov_b32 s0, exec_lo
	v_cmpx_ne_u32_e64 v123, v114
	s_xor_b32 s0, exec_lo, s0
	s_cbranch_execz .LBB106_484
; %bb.479:
	s_mov_b32 s1, exec_lo
	v_cmpx_eq_u32_e32 28, v123
	s_cbranch_execz .LBB106_483
; %bb.480:
	v_cmp_ne_u32_e32 vcc_lo, 28, v114
	s_xor_b32 s2, s6, -1
	s_and_b32 s3, s2, vcc_lo
	s_and_saveexec_b32 s2, s3
	s_cbranch_execz .LBB106_482
; %bb.481:
	v_ashrrev_i32_e32 v115, 31, v114
	v_lshlrev_b64 v[115:116], 2, v[114:115]
	v_add_co_u32 v115, vcc_lo, v4, v115
	v_add_co_ci_u32_e64 v116, null, v5, v116, vcc_lo
	s_clause 0x1
	global_load_dword v122, v[115:116], off
	global_load_dword v123, v[4:5], off offset:112
	s_waitcnt vmcnt(1)
	global_store_dword v[4:5], v122, off offset:112
	s_waitcnt vmcnt(0)
	global_store_dword v[115:116], v123, off
.LBB106_482:
	s_or_b32 exec_lo, exec_lo, s2
	v_mov_b32_e32 v122, v114
	v_mov_b32_e32 v123, v114
.LBB106_483:
	s_or_b32 exec_lo, exec_lo, s1
.LBB106_484:
	s_andn2_saveexec_b32 s0, s0
	s_cbranch_execz .LBB106_486
; %bb.485:
	v_mov_b32_e32 v123, 28
	ds_write2_b64 v120, v[52:53], v[50:51] offset0:29 offset1:30
	ds_write2_b64 v120, v[48:49], v[46:47] offset0:31 offset1:32
	;; [unrolled: 1-line block ×12, first 2 shown]
	ds_write_b64 v120, v[112:113] offset:424
.LBB106_486:
	s_or_b32 exec_lo, exec_lo, s0
	s_mov_b32 s0, exec_lo
	s_waitcnt lgkmcnt(0)
	s_waitcnt_vscnt null, 0x0
	s_barrier
	buffer_gl0_inv
	v_cmpx_lt_i32_e32 28, v123
	s_cbranch_execz .LBB106_488
; %bb.487:
	v_mul_f64 v[56:57], v[0:1], v[56:57]
	ds_read2_b64 v[124:127], v120 offset0:29 offset1:30
	ds_read2_b64 v[128:131], v120 offset0:31 offset1:32
	;; [unrolled: 1-line block ×12, first 2 shown]
	ds_read_b64 v[0:1], v120 offset:424
	s_waitcnt lgkmcnt(12)
	v_fma_f64 v[52:53], -v[56:57], v[124:125], v[52:53]
	v_fma_f64 v[50:51], -v[56:57], v[126:127], v[50:51]
	s_waitcnt lgkmcnt(11)
	v_fma_f64 v[48:49], -v[56:57], v[128:129], v[48:49]
	v_fma_f64 v[46:47], -v[56:57], v[130:131], v[46:47]
	;; [unrolled: 3-line block ×12, first 2 shown]
	s_waitcnt lgkmcnt(0)
	v_fma_f64 v[112:113], -v[56:57], v[0:1], v[112:113]
.LBB106_488:
	s_or_b32 exec_lo, exec_lo, s0
	v_lshl_add_u32 v0, v123, 3, v120
	s_barrier
	buffer_gl0_inv
	v_mov_b32_e32 v114, 29
	ds_write_b64 v0, v[52:53]
	s_waitcnt lgkmcnt(0)
	s_barrier
	buffer_gl0_inv
	ds_read_b64 v[0:1], v120 offset:232
	s_cmp_lt_i32 s7, 31
	s_cbranch_scc1 .LBB106_491
; %bb.489:
	v_add3_u32 v115, v121, 0, 0xf0
	v_mov_b32_e32 v114, 29
	s_mov_b32 s0, 30
.LBB106_490:                            ; =>This Inner Loop Header: Depth=1
	ds_read_b64 v[124:125], v115
	v_add_nc_u32_e32 v115, 8, v115
	s_waitcnt lgkmcnt(0)
	v_cmp_lt_f64_e64 vcc_lo, |v[0:1]|, |v[124:125]|
	v_cndmask_b32_e32 v1, v1, v125, vcc_lo
	v_cndmask_b32_e32 v0, v0, v124, vcc_lo
	v_cndmask_b32_e64 v114, v114, s0, vcc_lo
	s_add_i32 s0, s0, 1
	s_cmp_lg_u32 s7, s0
	s_cbranch_scc1 .LBB106_490
.LBB106_491:
	s_mov_b32 s0, exec_lo
	s_waitcnt lgkmcnt(0)
	v_cmpx_eq_f64_e32 0, v[0:1]
	s_xor_b32 s0, exec_lo, s0
; %bb.492:
	v_cmp_ne_u32_e32 vcc_lo, 0, v117
	v_cndmask_b32_e32 v117, 30, v117, vcc_lo
; %bb.493:
	s_andn2_saveexec_b32 s0, s0
	s_cbranch_execz .LBB106_495
; %bb.494:
	v_div_scale_f64 v[115:116], null, v[0:1], v[0:1], 1.0
	v_rcp_f64_e32 v[124:125], v[115:116]
	v_fma_f64 v[126:127], -v[115:116], v[124:125], 1.0
	v_fma_f64 v[124:125], v[124:125], v[126:127], v[124:125]
	v_fma_f64 v[126:127], -v[115:116], v[124:125], 1.0
	v_fma_f64 v[124:125], v[124:125], v[126:127], v[124:125]
	v_div_scale_f64 v[126:127], vcc_lo, 1.0, v[0:1], 1.0
	v_mul_f64 v[128:129], v[126:127], v[124:125]
	v_fma_f64 v[115:116], -v[115:116], v[128:129], v[126:127]
	v_div_fmas_f64 v[115:116], v[115:116], v[124:125], v[128:129]
	v_div_fixup_f64 v[0:1], v[115:116], v[0:1], 1.0
.LBB106_495:
	s_or_b32 exec_lo, exec_lo, s0
	s_mov_b32 s0, exec_lo
	v_cmpx_ne_u32_e64 v123, v114
	s_xor_b32 s0, exec_lo, s0
	s_cbranch_execz .LBB106_501
; %bb.496:
	s_mov_b32 s1, exec_lo
	v_cmpx_eq_u32_e32 29, v123
	s_cbranch_execz .LBB106_500
; %bb.497:
	v_cmp_ne_u32_e32 vcc_lo, 29, v114
	s_xor_b32 s2, s6, -1
	s_and_b32 s3, s2, vcc_lo
	s_and_saveexec_b32 s2, s3
	s_cbranch_execz .LBB106_499
; %bb.498:
	v_ashrrev_i32_e32 v115, 31, v114
	v_lshlrev_b64 v[115:116], 2, v[114:115]
	v_add_co_u32 v115, vcc_lo, v4, v115
	v_add_co_ci_u32_e64 v116, null, v5, v116, vcc_lo
	s_clause 0x1
	global_load_dword v122, v[115:116], off
	global_load_dword v123, v[4:5], off offset:116
	s_waitcnt vmcnt(1)
	global_store_dword v[4:5], v122, off offset:116
	s_waitcnt vmcnt(0)
	global_store_dword v[115:116], v123, off
.LBB106_499:
	s_or_b32 exec_lo, exec_lo, s2
	v_mov_b32_e32 v122, v114
	v_mov_b32_e32 v123, v114
.LBB106_500:
	s_or_b32 exec_lo, exec_lo, s1
.LBB106_501:
	s_andn2_saveexec_b32 s0, s0
	s_cbranch_execz .LBB106_503
; %bb.502:
	v_mov_b32_e32 v114, v50
	v_mov_b32_e32 v115, v51
	;; [unrolled: 1-line block ×12, first 2 shown]
	ds_write2_b64 v120, v[114:115], v[123:124] offset0:30 offset1:31
	ds_write2_b64 v120, v[125:126], v[127:128] offset0:32 offset1:33
	;; [unrolled: 1-line block ×3, first 2 shown]
	v_mov_b32_e32 v114, v40
	v_mov_b32_e32 v115, v41
	;; [unrolled: 1-line block ×20, first 2 shown]
	ds_write2_b64 v120, v[114:115], v[123:124] offset0:36 offset1:37
	ds_write2_b64 v120, v[125:126], v[127:128] offset0:38 offset1:39
	;; [unrolled: 1-line block ×5, first 2 shown]
	v_mov_b32_e32 v114, v20
	v_mov_b32_e32 v115, v21
	;; [unrolled: 1-line block ×15, first 2 shown]
	ds_write2_b64 v120, v[114:115], v[124:125] offset0:46 offset1:47
	ds_write2_b64 v120, v[126:127], v[128:129] offset0:48 offset1:49
	ds_write2_b64 v120, v[130:131], v[132:133] offset0:50 offset1:51
	ds_write2_b64 v120, v[134:135], v[112:113] offset0:52 offset1:53
.LBB106_503:
	s_or_b32 exec_lo, exec_lo, s0
	s_mov_b32 s0, exec_lo
	s_waitcnt lgkmcnt(0)
	s_waitcnt_vscnt null, 0x0
	s_barrier
	buffer_gl0_inv
	v_cmpx_lt_i32_e32 29, v123
	s_cbranch_execz .LBB106_505
; %bb.504:
	v_mul_f64 v[52:53], v[0:1], v[52:53]
	ds_read2_b64 v[124:127], v120 offset0:30 offset1:31
	ds_read2_b64 v[128:131], v120 offset0:32 offset1:33
	;; [unrolled: 1-line block ×12, first 2 shown]
	s_waitcnt lgkmcnt(11)
	v_fma_f64 v[50:51], -v[52:53], v[124:125], v[50:51]
	v_fma_f64 v[48:49], -v[52:53], v[126:127], v[48:49]
	s_waitcnt lgkmcnt(10)
	v_fma_f64 v[46:47], -v[52:53], v[128:129], v[46:47]
	v_fma_f64 v[44:45], -v[52:53], v[130:131], v[44:45]
	;; [unrolled: 3-line block ×12, first 2 shown]
.LBB106_505:
	s_or_b32 exec_lo, exec_lo, s0
	v_lshl_add_u32 v0, v123, 3, v120
	s_barrier
	buffer_gl0_inv
	v_mov_b32_e32 v114, 30
	ds_write_b64 v0, v[50:51]
	s_waitcnt lgkmcnt(0)
	s_barrier
	buffer_gl0_inv
	ds_read_b64 v[0:1], v120 offset:240
	s_cmp_lt_i32 s7, 32
	s_cbranch_scc1 .LBB106_508
; %bb.506:
	v_add3_u32 v115, v121, 0, 0xf8
	v_mov_b32_e32 v114, 30
	s_mov_b32 s0, 31
.LBB106_507:                            ; =>This Inner Loop Header: Depth=1
	ds_read_b64 v[124:125], v115
	v_add_nc_u32_e32 v115, 8, v115
	s_waitcnt lgkmcnt(0)
	v_cmp_lt_f64_e64 vcc_lo, |v[0:1]|, |v[124:125]|
	v_cndmask_b32_e32 v1, v1, v125, vcc_lo
	v_cndmask_b32_e32 v0, v0, v124, vcc_lo
	v_cndmask_b32_e64 v114, v114, s0, vcc_lo
	s_add_i32 s0, s0, 1
	s_cmp_lg_u32 s7, s0
	s_cbranch_scc1 .LBB106_507
.LBB106_508:
	s_mov_b32 s0, exec_lo
	s_waitcnt lgkmcnt(0)
	v_cmpx_eq_f64_e32 0, v[0:1]
	s_xor_b32 s0, exec_lo, s0
; %bb.509:
	v_cmp_ne_u32_e32 vcc_lo, 0, v117
	v_cndmask_b32_e32 v117, 31, v117, vcc_lo
; %bb.510:
	s_andn2_saveexec_b32 s0, s0
	s_cbranch_execz .LBB106_512
; %bb.511:
	v_div_scale_f64 v[115:116], null, v[0:1], v[0:1], 1.0
	v_rcp_f64_e32 v[124:125], v[115:116]
	v_fma_f64 v[126:127], -v[115:116], v[124:125], 1.0
	v_fma_f64 v[124:125], v[124:125], v[126:127], v[124:125]
	v_fma_f64 v[126:127], -v[115:116], v[124:125], 1.0
	v_fma_f64 v[124:125], v[124:125], v[126:127], v[124:125]
	v_div_scale_f64 v[126:127], vcc_lo, 1.0, v[0:1], 1.0
	v_mul_f64 v[128:129], v[126:127], v[124:125]
	v_fma_f64 v[115:116], -v[115:116], v[128:129], v[126:127]
	v_div_fmas_f64 v[115:116], v[115:116], v[124:125], v[128:129]
	v_div_fixup_f64 v[0:1], v[115:116], v[0:1], 1.0
.LBB106_512:
	s_or_b32 exec_lo, exec_lo, s0
	s_mov_b32 s0, exec_lo
	v_cmpx_ne_u32_e64 v123, v114
	s_xor_b32 s0, exec_lo, s0
	s_cbranch_execz .LBB106_518
; %bb.513:
	s_mov_b32 s1, exec_lo
	v_cmpx_eq_u32_e32 30, v123
	s_cbranch_execz .LBB106_517
; %bb.514:
	v_cmp_ne_u32_e32 vcc_lo, 30, v114
	s_xor_b32 s2, s6, -1
	s_and_b32 s3, s2, vcc_lo
	s_and_saveexec_b32 s2, s3
	s_cbranch_execz .LBB106_516
; %bb.515:
	v_ashrrev_i32_e32 v115, 31, v114
	v_lshlrev_b64 v[115:116], 2, v[114:115]
	v_add_co_u32 v115, vcc_lo, v4, v115
	v_add_co_ci_u32_e64 v116, null, v5, v116, vcc_lo
	s_clause 0x1
	global_load_dword v122, v[115:116], off
	global_load_dword v123, v[4:5], off offset:120
	s_waitcnt vmcnt(1)
	global_store_dword v[4:5], v122, off offset:120
	s_waitcnt vmcnt(0)
	global_store_dword v[115:116], v123, off
.LBB106_516:
	s_or_b32 exec_lo, exec_lo, s2
	v_mov_b32_e32 v122, v114
	v_mov_b32_e32 v123, v114
.LBB106_517:
	s_or_b32 exec_lo, exec_lo, s1
.LBB106_518:
	s_andn2_saveexec_b32 s0, s0
	s_cbranch_execz .LBB106_520
; %bb.519:
	v_mov_b32_e32 v123, 30
	ds_write2_b64 v120, v[48:49], v[46:47] offset0:31 offset1:32
	ds_write2_b64 v120, v[44:45], v[42:43] offset0:33 offset1:34
	ds_write2_b64 v120, v[38:39], v[40:41] offset0:35 offset1:36
	ds_write2_b64 v120, v[34:35], v[36:37] offset0:37 offset1:38
	ds_write2_b64 v120, v[32:33], v[30:31] offset0:39 offset1:40
	ds_write2_b64 v120, v[28:29], v[26:27] offset0:41 offset1:42
	ds_write2_b64 v120, v[24:25], v[22:23] offset0:43 offset1:44
	ds_write2_b64 v120, v[18:19], v[20:21] offset0:45 offset1:46
	ds_write2_b64 v120, v[16:17], v[14:15] offset0:47 offset1:48
	ds_write2_b64 v120, v[8:9], v[12:13] offset0:49 offset1:50
	ds_write2_b64 v120, v[6:7], v[10:11] offset0:51 offset1:52
	ds_write_b64 v120, v[112:113] offset:424
.LBB106_520:
	s_or_b32 exec_lo, exec_lo, s0
	s_mov_b32 s0, exec_lo
	s_waitcnt lgkmcnt(0)
	s_waitcnt_vscnt null, 0x0
	s_barrier
	buffer_gl0_inv
	v_cmpx_lt_i32_e32 30, v123
	s_cbranch_execz .LBB106_522
; %bb.521:
	v_mul_f64 v[50:51], v[0:1], v[50:51]
	ds_read2_b64 v[124:127], v120 offset0:31 offset1:32
	ds_read2_b64 v[128:131], v120 offset0:33 offset1:34
	;; [unrolled: 1-line block ×11, first 2 shown]
	ds_read_b64 v[0:1], v120 offset:424
	s_waitcnt lgkmcnt(11)
	v_fma_f64 v[48:49], -v[50:51], v[124:125], v[48:49]
	v_fma_f64 v[46:47], -v[50:51], v[126:127], v[46:47]
	s_waitcnt lgkmcnt(10)
	v_fma_f64 v[44:45], -v[50:51], v[128:129], v[44:45]
	v_fma_f64 v[42:43], -v[50:51], v[130:131], v[42:43]
	;; [unrolled: 3-line block ×11, first 2 shown]
	s_waitcnt lgkmcnt(0)
	v_fma_f64 v[112:113], -v[50:51], v[0:1], v[112:113]
.LBB106_522:
	s_or_b32 exec_lo, exec_lo, s0
	v_lshl_add_u32 v0, v123, 3, v120
	s_barrier
	buffer_gl0_inv
	v_mov_b32_e32 v114, 31
	ds_write_b64 v0, v[48:49]
	s_waitcnt lgkmcnt(0)
	s_barrier
	buffer_gl0_inv
	ds_read_b64 v[0:1], v120 offset:248
	s_cmp_lt_i32 s7, 33
	s_cbranch_scc1 .LBB106_525
; %bb.523:
	v_add3_u32 v115, v121, 0, 0x100
	v_mov_b32_e32 v114, 31
	s_mov_b32 s0, 32
.LBB106_524:                            ; =>This Inner Loop Header: Depth=1
	ds_read_b64 v[124:125], v115
	v_add_nc_u32_e32 v115, 8, v115
	s_waitcnt lgkmcnt(0)
	v_cmp_lt_f64_e64 vcc_lo, |v[0:1]|, |v[124:125]|
	v_cndmask_b32_e32 v1, v1, v125, vcc_lo
	v_cndmask_b32_e32 v0, v0, v124, vcc_lo
	v_cndmask_b32_e64 v114, v114, s0, vcc_lo
	s_add_i32 s0, s0, 1
	s_cmp_lg_u32 s7, s0
	s_cbranch_scc1 .LBB106_524
.LBB106_525:
	s_mov_b32 s0, exec_lo
	s_waitcnt lgkmcnt(0)
	v_cmpx_eq_f64_e32 0, v[0:1]
	s_xor_b32 s0, exec_lo, s0
; %bb.526:
	v_cmp_ne_u32_e32 vcc_lo, 0, v117
	v_cndmask_b32_e32 v117, 32, v117, vcc_lo
; %bb.527:
	s_andn2_saveexec_b32 s0, s0
	s_cbranch_execz .LBB106_529
; %bb.528:
	v_div_scale_f64 v[115:116], null, v[0:1], v[0:1], 1.0
	v_rcp_f64_e32 v[124:125], v[115:116]
	v_fma_f64 v[126:127], -v[115:116], v[124:125], 1.0
	v_fma_f64 v[124:125], v[124:125], v[126:127], v[124:125]
	v_fma_f64 v[126:127], -v[115:116], v[124:125], 1.0
	v_fma_f64 v[124:125], v[124:125], v[126:127], v[124:125]
	v_div_scale_f64 v[126:127], vcc_lo, 1.0, v[0:1], 1.0
	v_mul_f64 v[128:129], v[126:127], v[124:125]
	v_fma_f64 v[115:116], -v[115:116], v[128:129], v[126:127]
	v_div_fmas_f64 v[115:116], v[115:116], v[124:125], v[128:129]
	v_div_fixup_f64 v[0:1], v[115:116], v[0:1], 1.0
.LBB106_529:
	s_or_b32 exec_lo, exec_lo, s0
	s_mov_b32 s0, exec_lo
	v_cmpx_ne_u32_e64 v123, v114
	s_xor_b32 s0, exec_lo, s0
	s_cbranch_execz .LBB106_535
; %bb.530:
	s_mov_b32 s1, exec_lo
	v_cmpx_eq_u32_e32 31, v123
	s_cbranch_execz .LBB106_534
; %bb.531:
	v_cmp_ne_u32_e32 vcc_lo, 31, v114
	s_xor_b32 s2, s6, -1
	s_and_b32 s3, s2, vcc_lo
	s_and_saveexec_b32 s2, s3
	s_cbranch_execz .LBB106_533
; %bb.532:
	v_ashrrev_i32_e32 v115, 31, v114
	v_lshlrev_b64 v[115:116], 2, v[114:115]
	v_add_co_u32 v115, vcc_lo, v4, v115
	v_add_co_ci_u32_e64 v116, null, v5, v116, vcc_lo
	s_clause 0x1
	global_load_dword v122, v[115:116], off
	global_load_dword v123, v[4:5], off offset:124
	s_waitcnt vmcnt(1)
	global_store_dword v[4:5], v122, off offset:124
	s_waitcnt vmcnt(0)
	global_store_dword v[115:116], v123, off
.LBB106_533:
	s_or_b32 exec_lo, exec_lo, s2
	v_mov_b32_e32 v122, v114
	v_mov_b32_e32 v123, v114
.LBB106_534:
	s_or_b32 exec_lo, exec_lo, s1
.LBB106_535:
	s_andn2_saveexec_b32 s0, s0
	s_cbranch_execz .LBB106_537
; %bb.536:
	v_mov_b32_e32 v114, v46
	v_mov_b32_e32 v115, v47
	;; [unrolled: 1-line block ×8, first 2 shown]
	ds_write2_b64 v120, v[114:115], v[123:124] offset0:32 offset1:33
	ds_write2_b64 v120, v[125:126], v[127:128] offset0:34 offset1:35
	v_mov_b32_e32 v114, v40
	v_mov_b32_e32 v115, v41
	;; [unrolled: 1-line block ×20, first 2 shown]
	ds_write2_b64 v120, v[114:115], v[123:124] offset0:36 offset1:37
	ds_write2_b64 v120, v[125:126], v[127:128] offset0:38 offset1:39
	;; [unrolled: 1-line block ×5, first 2 shown]
	v_mov_b32_e32 v114, v20
	v_mov_b32_e32 v115, v21
	;; [unrolled: 1-line block ×15, first 2 shown]
	ds_write2_b64 v120, v[114:115], v[124:125] offset0:46 offset1:47
	ds_write2_b64 v120, v[126:127], v[128:129] offset0:48 offset1:49
	;; [unrolled: 1-line block ×4, first 2 shown]
.LBB106_537:
	s_or_b32 exec_lo, exec_lo, s0
	s_mov_b32 s0, exec_lo
	s_waitcnt lgkmcnt(0)
	s_waitcnt_vscnt null, 0x0
	s_barrier
	buffer_gl0_inv
	v_cmpx_lt_i32_e32 31, v123
	s_cbranch_execz .LBB106_539
; %bb.538:
	v_mul_f64 v[48:49], v[0:1], v[48:49]
	ds_read2_b64 v[124:127], v120 offset0:32 offset1:33
	ds_read2_b64 v[128:131], v120 offset0:34 offset1:35
	;; [unrolled: 1-line block ×11, first 2 shown]
	s_waitcnt lgkmcnt(10)
	v_fma_f64 v[46:47], -v[48:49], v[124:125], v[46:47]
	v_fma_f64 v[44:45], -v[48:49], v[126:127], v[44:45]
	s_waitcnt lgkmcnt(9)
	v_fma_f64 v[42:43], -v[48:49], v[128:129], v[42:43]
	v_fma_f64 v[38:39], -v[48:49], v[130:131], v[38:39]
	;; [unrolled: 3-line block ×11, first 2 shown]
.LBB106_539:
	s_or_b32 exec_lo, exec_lo, s0
	v_lshl_add_u32 v0, v123, 3, v120
	s_barrier
	buffer_gl0_inv
	v_mov_b32_e32 v114, 32
	ds_write_b64 v0, v[46:47]
	s_waitcnt lgkmcnt(0)
	s_barrier
	buffer_gl0_inv
	ds_read_b64 v[0:1], v120 offset:256
	s_cmp_lt_i32 s7, 34
	s_cbranch_scc1 .LBB106_542
; %bb.540:
	v_add3_u32 v115, v121, 0, 0x108
	v_mov_b32_e32 v114, 32
	s_mov_b32 s0, 33
.LBB106_541:                            ; =>This Inner Loop Header: Depth=1
	ds_read_b64 v[124:125], v115
	v_add_nc_u32_e32 v115, 8, v115
	s_waitcnt lgkmcnt(0)
	v_cmp_lt_f64_e64 vcc_lo, |v[0:1]|, |v[124:125]|
	v_cndmask_b32_e32 v1, v1, v125, vcc_lo
	v_cndmask_b32_e32 v0, v0, v124, vcc_lo
	v_cndmask_b32_e64 v114, v114, s0, vcc_lo
	s_add_i32 s0, s0, 1
	s_cmp_lg_u32 s7, s0
	s_cbranch_scc1 .LBB106_541
.LBB106_542:
	s_mov_b32 s0, exec_lo
	s_waitcnt lgkmcnt(0)
	v_cmpx_eq_f64_e32 0, v[0:1]
	s_xor_b32 s0, exec_lo, s0
; %bb.543:
	v_cmp_ne_u32_e32 vcc_lo, 0, v117
	v_cndmask_b32_e32 v117, 33, v117, vcc_lo
; %bb.544:
	s_andn2_saveexec_b32 s0, s0
	s_cbranch_execz .LBB106_546
; %bb.545:
	v_div_scale_f64 v[115:116], null, v[0:1], v[0:1], 1.0
	v_rcp_f64_e32 v[124:125], v[115:116]
	v_fma_f64 v[126:127], -v[115:116], v[124:125], 1.0
	v_fma_f64 v[124:125], v[124:125], v[126:127], v[124:125]
	v_fma_f64 v[126:127], -v[115:116], v[124:125], 1.0
	v_fma_f64 v[124:125], v[124:125], v[126:127], v[124:125]
	v_div_scale_f64 v[126:127], vcc_lo, 1.0, v[0:1], 1.0
	v_mul_f64 v[128:129], v[126:127], v[124:125]
	v_fma_f64 v[115:116], -v[115:116], v[128:129], v[126:127]
	v_div_fmas_f64 v[115:116], v[115:116], v[124:125], v[128:129]
	v_div_fixup_f64 v[0:1], v[115:116], v[0:1], 1.0
.LBB106_546:
	s_or_b32 exec_lo, exec_lo, s0
	s_mov_b32 s0, exec_lo
	v_cmpx_ne_u32_e64 v123, v114
	s_xor_b32 s0, exec_lo, s0
	s_cbranch_execz .LBB106_552
; %bb.547:
	s_mov_b32 s1, exec_lo
	v_cmpx_eq_u32_e32 32, v123
	s_cbranch_execz .LBB106_551
; %bb.548:
	v_cmp_ne_u32_e32 vcc_lo, 32, v114
	s_xor_b32 s2, s6, -1
	s_and_b32 s3, s2, vcc_lo
	s_and_saveexec_b32 s2, s3
	s_cbranch_execz .LBB106_550
; %bb.549:
	v_ashrrev_i32_e32 v115, 31, v114
	v_lshlrev_b64 v[115:116], 2, v[114:115]
	v_add_co_u32 v115, vcc_lo, v4, v115
	v_add_co_ci_u32_e64 v116, null, v5, v116, vcc_lo
	s_clause 0x1
	global_load_dword v122, v[115:116], off
	global_load_dword v123, v[4:5], off offset:128
	s_waitcnt vmcnt(1)
	global_store_dword v[4:5], v122, off offset:128
	s_waitcnt vmcnt(0)
	global_store_dword v[115:116], v123, off
.LBB106_550:
	s_or_b32 exec_lo, exec_lo, s2
	v_mov_b32_e32 v122, v114
	v_mov_b32_e32 v123, v114
.LBB106_551:
	s_or_b32 exec_lo, exec_lo, s1
.LBB106_552:
	s_andn2_saveexec_b32 s0, s0
	s_cbranch_execz .LBB106_554
; %bb.553:
	v_mov_b32_e32 v123, 32
	ds_write2_b64 v120, v[44:45], v[42:43] offset0:33 offset1:34
	ds_write2_b64 v120, v[38:39], v[40:41] offset0:35 offset1:36
	;; [unrolled: 1-line block ×10, first 2 shown]
	ds_write_b64 v120, v[112:113] offset:424
.LBB106_554:
	s_or_b32 exec_lo, exec_lo, s0
	s_mov_b32 s0, exec_lo
	s_waitcnt lgkmcnt(0)
	s_waitcnt_vscnt null, 0x0
	s_barrier
	buffer_gl0_inv
	v_cmpx_lt_i32_e32 32, v123
	s_cbranch_execz .LBB106_556
; %bb.555:
	v_mul_f64 v[46:47], v[0:1], v[46:47]
	ds_read2_b64 v[124:127], v120 offset0:33 offset1:34
	ds_read2_b64 v[128:131], v120 offset0:35 offset1:36
	;; [unrolled: 1-line block ×10, first 2 shown]
	ds_read_b64 v[0:1], v120 offset:424
	s_waitcnt lgkmcnt(10)
	v_fma_f64 v[44:45], -v[46:47], v[124:125], v[44:45]
	v_fma_f64 v[42:43], -v[46:47], v[126:127], v[42:43]
	s_waitcnt lgkmcnt(9)
	v_fma_f64 v[38:39], -v[46:47], v[128:129], v[38:39]
	v_fma_f64 v[40:41], -v[46:47], v[130:131], v[40:41]
	;; [unrolled: 3-line block ×10, first 2 shown]
	s_waitcnt lgkmcnt(0)
	v_fma_f64 v[112:113], -v[46:47], v[0:1], v[112:113]
.LBB106_556:
	s_or_b32 exec_lo, exec_lo, s0
	v_lshl_add_u32 v0, v123, 3, v120
	s_barrier
	buffer_gl0_inv
	v_mov_b32_e32 v114, 33
	ds_write_b64 v0, v[44:45]
	s_waitcnt lgkmcnt(0)
	s_barrier
	buffer_gl0_inv
	ds_read_b64 v[0:1], v120 offset:264
	s_cmp_lt_i32 s7, 35
	s_cbranch_scc1 .LBB106_559
; %bb.557:
	v_add3_u32 v115, v121, 0, 0x110
	v_mov_b32_e32 v114, 33
	s_mov_b32 s0, 34
.LBB106_558:                            ; =>This Inner Loop Header: Depth=1
	ds_read_b64 v[124:125], v115
	v_add_nc_u32_e32 v115, 8, v115
	s_waitcnt lgkmcnt(0)
	v_cmp_lt_f64_e64 vcc_lo, |v[0:1]|, |v[124:125]|
	v_cndmask_b32_e32 v1, v1, v125, vcc_lo
	v_cndmask_b32_e32 v0, v0, v124, vcc_lo
	v_cndmask_b32_e64 v114, v114, s0, vcc_lo
	s_add_i32 s0, s0, 1
	s_cmp_lg_u32 s7, s0
	s_cbranch_scc1 .LBB106_558
.LBB106_559:
	s_mov_b32 s0, exec_lo
	s_waitcnt lgkmcnt(0)
	v_cmpx_eq_f64_e32 0, v[0:1]
	s_xor_b32 s0, exec_lo, s0
; %bb.560:
	v_cmp_ne_u32_e32 vcc_lo, 0, v117
	v_cndmask_b32_e32 v117, 34, v117, vcc_lo
; %bb.561:
	s_andn2_saveexec_b32 s0, s0
	s_cbranch_execz .LBB106_563
; %bb.562:
	v_div_scale_f64 v[115:116], null, v[0:1], v[0:1], 1.0
	v_rcp_f64_e32 v[124:125], v[115:116]
	v_fma_f64 v[126:127], -v[115:116], v[124:125], 1.0
	v_fma_f64 v[124:125], v[124:125], v[126:127], v[124:125]
	v_fma_f64 v[126:127], -v[115:116], v[124:125], 1.0
	v_fma_f64 v[124:125], v[124:125], v[126:127], v[124:125]
	v_div_scale_f64 v[126:127], vcc_lo, 1.0, v[0:1], 1.0
	v_mul_f64 v[128:129], v[126:127], v[124:125]
	v_fma_f64 v[115:116], -v[115:116], v[128:129], v[126:127]
	v_div_fmas_f64 v[115:116], v[115:116], v[124:125], v[128:129]
	v_div_fixup_f64 v[0:1], v[115:116], v[0:1], 1.0
.LBB106_563:
	s_or_b32 exec_lo, exec_lo, s0
	s_mov_b32 s0, exec_lo
	v_cmpx_ne_u32_e64 v123, v114
	s_xor_b32 s0, exec_lo, s0
	s_cbranch_execz .LBB106_569
; %bb.564:
	s_mov_b32 s1, exec_lo
	v_cmpx_eq_u32_e32 33, v123
	s_cbranch_execz .LBB106_568
; %bb.565:
	v_cmp_ne_u32_e32 vcc_lo, 33, v114
	s_xor_b32 s2, s6, -1
	s_and_b32 s3, s2, vcc_lo
	s_and_saveexec_b32 s2, s3
	s_cbranch_execz .LBB106_567
; %bb.566:
	v_ashrrev_i32_e32 v115, 31, v114
	v_lshlrev_b64 v[115:116], 2, v[114:115]
	v_add_co_u32 v115, vcc_lo, v4, v115
	v_add_co_ci_u32_e64 v116, null, v5, v116, vcc_lo
	s_clause 0x1
	global_load_dword v122, v[115:116], off
	global_load_dword v123, v[4:5], off offset:132
	s_waitcnt vmcnt(1)
	global_store_dword v[4:5], v122, off offset:132
	s_waitcnt vmcnt(0)
	global_store_dword v[115:116], v123, off
.LBB106_567:
	s_or_b32 exec_lo, exec_lo, s2
	v_mov_b32_e32 v122, v114
	v_mov_b32_e32 v123, v114
.LBB106_568:
	s_or_b32 exec_lo, exec_lo, s1
.LBB106_569:
	s_andn2_saveexec_b32 s0, s0
	s_cbranch_execz .LBB106_571
; %bb.570:
	v_mov_b32_e32 v114, v42
	v_mov_b32_e32 v115, v43
	;; [unrolled: 1-line block ×8, first 2 shown]
	ds_write2_b64 v120, v[114:115], v[123:124] offset0:34 offset1:35
	v_mov_b32_e32 v114, v34
	v_mov_b32_e32 v115, v35
	;; [unrolled: 1-line block ×16, first 2 shown]
	ds_write2_b64 v120, v[125:126], v[114:115] offset0:36 offset1:37
	ds_write2_b64 v120, v[123:124], v[127:128] offset0:38 offset1:39
	;; [unrolled: 1-line block ×5, first 2 shown]
	v_mov_b32_e32 v114, v20
	v_mov_b32_e32 v115, v21
	;; [unrolled: 1-line block ×15, first 2 shown]
	ds_write2_b64 v120, v[114:115], v[124:125] offset0:46 offset1:47
	ds_write2_b64 v120, v[126:127], v[128:129] offset0:48 offset1:49
	;; [unrolled: 1-line block ×4, first 2 shown]
.LBB106_571:
	s_or_b32 exec_lo, exec_lo, s0
	s_mov_b32 s0, exec_lo
	s_waitcnt lgkmcnt(0)
	s_waitcnt_vscnt null, 0x0
	s_barrier
	buffer_gl0_inv
	v_cmpx_lt_i32_e32 33, v123
	s_cbranch_execz .LBB106_573
; %bb.572:
	v_mul_f64 v[44:45], v[0:1], v[44:45]
	ds_read2_b64 v[124:127], v120 offset0:34 offset1:35
	ds_read2_b64 v[128:131], v120 offset0:36 offset1:37
	;; [unrolled: 1-line block ×10, first 2 shown]
	s_waitcnt lgkmcnt(9)
	v_fma_f64 v[42:43], -v[44:45], v[124:125], v[42:43]
	v_fma_f64 v[38:39], -v[44:45], v[126:127], v[38:39]
	s_waitcnt lgkmcnt(8)
	v_fma_f64 v[40:41], -v[44:45], v[128:129], v[40:41]
	v_fma_f64 v[34:35], -v[44:45], v[130:131], v[34:35]
	;; [unrolled: 3-line block ×10, first 2 shown]
.LBB106_573:
	s_or_b32 exec_lo, exec_lo, s0
	v_lshl_add_u32 v0, v123, 3, v120
	s_barrier
	buffer_gl0_inv
	v_mov_b32_e32 v114, 34
	ds_write_b64 v0, v[42:43]
	s_waitcnt lgkmcnt(0)
	s_barrier
	buffer_gl0_inv
	ds_read_b64 v[0:1], v120 offset:272
	s_cmp_lt_i32 s7, 36
	s_cbranch_scc1 .LBB106_576
; %bb.574:
	v_add3_u32 v115, v121, 0, 0x118
	v_mov_b32_e32 v114, 34
	s_mov_b32 s0, 35
.LBB106_575:                            ; =>This Inner Loop Header: Depth=1
	ds_read_b64 v[124:125], v115
	v_add_nc_u32_e32 v115, 8, v115
	s_waitcnt lgkmcnt(0)
	v_cmp_lt_f64_e64 vcc_lo, |v[0:1]|, |v[124:125]|
	v_cndmask_b32_e32 v1, v1, v125, vcc_lo
	v_cndmask_b32_e32 v0, v0, v124, vcc_lo
	v_cndmask_b32_e64 v114, v114, s0, vcc_lo
	s_add_i32 s0, s0, 1
	s_cmp_lg_u32 s7, s0
	s_cbranch_scc1 .LBB106_575
.LBB106_576:
	s_mov_b32 s0, exec_lo
	s_waitcnt lgkmcnt(0)
	v_cmpx_eq_f64_e32 0, v[0:1]
	s_xor_b32 s0, exec_lo, s0
; %bb.577:
	v_cmp_ne_u32_e32 vcc_lo, 0, v117
	v_cndmask_b32_e32 v117, 35, v117, vcc_lo
; %bb.578:
	s_andn2_saveexec_b32 s0, s0
	s_cbranch_execz .LBB106_580
; %bb.579:
	v_div_scale_f64 v[115:116], null, v[0:1], v[0:1], 1.0
	v_rcp_f64_e32 v[124:125], v[115:116]
	v_fma_f64 v[126:127], -v[115:116], v[124:125], 1.0
	v_fma_f64 v[124:125], v[124:125], v[126:127], v[124:125]
	v_fma_f64 v[126:127], -v[115:116], v[124:125], 1.0
	v_fma_f64 v[124:125], v[124:125], v[126:127], v[124:125]
	v_div_scale_f64 v[126:127], vcc_lo, 1.0, v[0:1], 1.0
	v_mul_f64 v[128:129], v[126:127], v[124:125]
	v_fma_f64 v[115:116], -v[115:116], v[128:129], v[126:127]
	v_div_fmas_f64 v[115:116], v[115:116], v[124:125], v[128:129]
	v_div_fixup_f64 v[0:1], v[115:116], v[0:1], 1.0
.LBB106_580:
	s_or_b32 exec_lo, exec_lo, s0
	s_mov_b32 s0, exec_lo
	v_cmpx_ne_u32_e64 v123, v114
	s_xor_b32 s0, exec_lo, s0
	s_cbranch_execz .LBB106_586
; %bb.581:
	s_mov_b32 s1, exec_lo
	v_cmpx_eq_u32_e32 34, v123
	s_cbranch_execz .LBB106_585
; %bb.582:
	v_cmp_ne_u32_e32 vcc_lo, 34, v114
	s_xor_b32 s2, s6, -1
	s_and_b32 s3, s2, vcc_lo
	s_and_saveexec_b32 s2, s3
	s_cbranch_execz .LBB106_584
; %bb.583:
	v_ashrrev_i32_e32 v115, 31, v114
	v_lshlrev_b64 v[115:116], 2, v[114:115]
	v_add_co_u32 v115, vcc_lo, v4, v115
	v_add_co_ci_u32_e64 v116, null, v5, v116, vcc_lo
	s_clause 0x1
	global_load_dword v122, v[115:116], off
	global_load_dword v123, v[4:5], off offset:136
	s_waitcnt vmcnt(1)
	global_store_dword v[4:5], v122, off offset:136
	s_waitcnt vmcnt(0)
	global_store_dword v[115:116], v123, off
.LBB106_584:
	s_or_b32 exec_lo, exec_lo, s2
	v_mov_b32_e32 v122, v114
	v_mov_b32_e32 v123, v114
.LBB106_585:
	s_or_b32 exec_lo, exec_lo, s1
.LBB106_586:
	s_andn2_saveexec_b32 s0, s0
	s_cbranch_execz .LBB106_588
; %bb.587:
	v_mov_b32_e32 v123, 34
	ds_write2_b64 v120, v[38:39], v[40:41] offset0:35 offset1:36
	ds_write2_b64 v120, v[34:35], v[36:37] offset0:37 offset1:38
	;; [unrolled: 1-line block ×9, first 2 shown]
	ds_write_b64 v120, v[112:113] offset:424
.LBB106_588:
	s_or_b32 exec_lo, exec_lo, s0
	s_mov_b32 s0, exec_lo
	s_waitcnt lgkmcnt(0)
	s_waitcnt_vscnt null, 0x0
	s_barrier
	buffer_gl0_inv
	v_cmpx_lt_i32_e32 34, v123
	s_cbranch_execz .LBB106_590
; %bb.589:
	v_mul_f64 v[42:43], v[0:1], v[42:43]
	ds_read2_b64 v[124:127], v120 offset0:35 offset1:36
	ds_read2_b64 v[128:131], v120 offset0:37 offset1:38
	;; [unrolled: 1-line block ×9, first 2 shown]
	ds_read_b64 v[0:1], v120 offset:424
	s_waitcnt lgkmcnt(9)
	v_fma_f64 v[38:39], -v[42:43], v[124:125], v[38:39]
	v_fma_f64 v[40:41], -v[42:43], v[126:127], v[40:41]
	s_waitcnt lgkmcnt(8)
	v_fma_f64 v[34:35], -v[42:43], v[128:129], v[34:35]
	v_fma_f64 v[36:37], -v[42:43], v[130:131], v[36:37]
	;; [unrolled: 3-line block ×9, first 2 shown]
	s_waitcnt lgkmcnt(0)
	v_fma_f64 v[112:113], -v[42:43], v[0:1], v[112:113]
.LBB106_590:
	s_or_b32 exec_lo, exec_lo, s0
	v_lshl_add_u32 v0, v123, 3, v120
	s_barrier
	buffer_gl0_inv
	v_mov_b32_e32 v114, 35
	ds_write_b64 v0, v[38:39]
	s_waitcnt lgkmcnt(0)
	s_barrier
	buffer_gl0_inv
	ds_read_b64 v[0:1], v120 offset:280
	s_cmp_lt_i32 s7, 37
	s_cbranch_scc1 .LBB106_593
; %bb.591:
	v_add3_u32 v115, v121, 0, 0x120
	v_mov_b32_e32 v114, 35
	s_mov_b32 s0, 36
.LBB106_592:                            ; =>This Inner Loop Header: Depth=1
	ds_read_b64 v[124:125], v115
	v_add_nc_u32_e32 v115, 8, v115
	s_waitcnt lgkmcnt(0)
	v_cmp_lt_f64_e64 vcc_lo, |v[0:1]|, |v[124:125]|
	v_cndmask_b32_e32 v1, v1, v125, vcc_lo
	v_cndmask_b32_e32 v0, v0, v124, vcc_lo
	v_cndmask_b32_e64 v114, v114, s0, vcc_lo
	s_add_i32 s0, s0, 1
	s_cmp_lg_u32 s7, s0
	s_cbranch_scc1 .LBB106_592
.LBB106_593:
	s_mov_b32 s0, exec_lo
	s_waitcnt lgkmcnt(0)
	v_cmpx_eq_f64_e32 0, v[0:1]
	s_xor_b32 s0, exec_lo, s0
; %bb.594:
	v_cmp_ne_u32_e32 vcc_lo, 0, v117
	v_cndmask_b32_e32 v117, 36, v117, vcc_lo
; %bb.595:
	s_andn2_saveexec_b32 s0, s0
	s_cbranch_execz .LBB106_597
; %bb.596:
	v_div_scale_f64 v[115:116], null, v[0:1], v[0:1], 1.0
	v_rcp_f64_e32 v[124:125], v[115:116]
	v_fma_f64 v[126:127], -v[115:116], v[124:125], 1.0
	v_fma_f64 v[124:125], v[124:125], v[126:127], v[124:125]
	v_fma_f64 v[126:127], -v[115:116], v[124:125], 1.0
	v_fma_f64 v[124:125], v[124:125], v[126:127], v[124:125]
	v_div_scale_f64 v[126:127], vcc_lo, 1.0, v[0:1], 1.0
	v_mul_f64 v[128:129], v[126:127], v[124:125]
	v_fma_f64 v[115:116], -v[115:116], v[128:129], v[126:127]
	v_div_fmas_f64 v[115:116], v[115:116], v[124:125], v[128:129]
	v_div_fixup_f64 v[0:1], v[115:116], v[0:1], 1.0
.LBB106_597:
	s_or_b32 exec_lo, exec_lo, s0
	s_mov_b32 s0, exec_lo
	v_cmpx_ne_u32_e64 v123, v114
	s_xor_b32 s0, exec_lo, s0
	s_cbranch_execz .LBB106_603
; %bb.598:
	s_mov_b32 s1, exec_lo
	v_cmpx_eq_u32_e32 35, v123
	s_cbranch_execz .LBB106_602
; %bb.599:
	v_cmp_ne_u32_e32 vcc_lo, 35, v114
	s_xor_b32 s2, s6, -1
	s_and_b32 s3, s2, vcc_lo
	s_and_saveexec_b32 s2, s3
	s_cbranch_execz .LBB106_601
; %bb.600:
	v_ashrrev_i32_e32 v115, 31, v114
	v_lshlrev_b64 v[115:116], 2, v[114:115]
	v_add_co_u32 v115, vcc_lo, v4, v115
	v_add_co_ci_u32_e64 v116, null, v5, v116, vcc_lo
	s_clause 0x1
	global_load_dword v122, v[115:116], off
	global_load_dword v123, v[4:5], off offset:140
	s_waitcnt vmcnt(1)
	global_store_dword v[4:5], v122, off offset:140
	s_waitcnt vmcnt(0)
	global_store_dword v[115:116], v123, off
.LBB106_601:
	s_or_b32 exec_lo, exec_lo, s2
	v_mov_b32_e32 v122, v114
	v_mov_b32_e32 v123, v114
.LBB106_602:
	s_or_b32 exec_lo, exec_lo, s1
.LBB106_603:
	s_andn2_saveexec_b32 s0, s0
	s_cbranch_execz .LBB106_605
; %bb.604:
	v_mov_b32_e32 v114, v40
	v_mov_b32_e32 v115, v41
	v_mov_b32_e32 v123, v34
	v_mov_b32_e32 v124, v35
	v_mov_b32_e32 v125, v36
	v_mov_b32_e32 v126, v37
	v_mov_b32_e32 v127, v32
	v_mov_b32_e32 v128, v33
	v_mov_b32_e32 v129, v30
	v_mov_b32_e32 v130, v31
	v_mov_b32_e32 v131, v28
	v_mov_b32_e32 v132, v29
	v_mov_b32_e32 v133, v26
	v_mov_b32_e32 v134, v27
	v_mov_b32_e32 v135, v24
	v_mov_b32_e32 v136, v25
	v_mov_b32_e32 v137, v22
	v_mov_b32_e32 v138, v23
	v_mov_b32_e32 v139, v18
	v_mov_b32_e32 v140, v19
	ds_write2_b64 v120, v[114:115], v[123:124] offset0:36 offset1:37
	ds_write2_b64 v120, v[125:126], v[127:128] offset0:38 offset1:39
	ds_write2_b64 v120, v[129:130], v[131:132] offset0:40 offset1:41
	ds_write2_b64 v120, v[133:134], v[135:136] offset0:42 offset1:43
	ds_write2_b64 v120, v[137:138], v[139:140] offset0:44 offset1:45
	v_mov_b32_e32 v114, v20
	v_mov_b32_e32 v115, v21
	;; [unrolled: 1-line block ×15, first 2 shown]
	ds_write2_b64 v120, v[114:115], v[124:125] offset0:46 offset1:47
	ds_write2_b64 v120, v[126:127], v[128:129] offset0:48 offset1:49
	;; [unrolled: 1-line block ×4, first 2 shown]
.LBB106_605:
	s_or_b32 exec_lo, exec_lo, s0
	s_mov_b32 s0, exec_lo
	s_waitcnt lgkmcnt(0)
	s_waitcnt_vscnt null, 0x0
	s_barrier
	buffer_gl0_inv
	v_cmpx_lt_i32_e32 35, v123
	s_cbranch_execz .LBB106_607
; %bb.606:
	v_mul_f64 v[38:39], v[0:1], v[38:39]
	ds_read2_b64 v[124:127], v120 offset0:36 offset1:37
	ds_read2_b64 v[128:131], v120 offset0:38 offset1:39
	;; [unrolled: 1-line block ×9, first 2 shown]
	s_waitcnt lgkmcnt(8)
	v_fma_f64 v[40:41], -v[38:39], v[124:125], v[40:41]
	v_fma_f64 v[34:35], -v[38:39], v[126:127], v[34:35]
	s_waitcnt lgkmcnt(7)
	v_fma_f64 v[36:37], -v[38:39], v[128:129], v[36:37]
	v_fma_f64 v[32:33], -v[38:39], v[130:131], v[32:33]
	;; [unrolled: 3-line block ×9, first 2 shown]
.LBB106_607:
	s_or_b32 exec_lo, exec_lo, s0
	v_lshl_add_u32 v0, v123, 3, v120
	s_barrier
	buffer_gl0_inv
	v_mov_b32_e32 v114, 36
	ds_write_b64 v0, v[40:41]
	s_waitcnt lgkmcnt(0)
	s_barrier
	buffer_gl0_inv
	ds_read_b64 v[0:1], v120 offset:288
	s_cmp_lt_i32 s7, 38
	s_cbranch_scc1 .LBB106_610
; %bb.608:
	v_add3_u32 v115, v121, 0, 0x128
	v_mov_b32_e32 v114, 36
	s_mov_b32 s0, 37
.LBB106_609:                            ; =>This Inner Loop Header: Depth=1
	ds_read_b64 v[124:125], v115
	v_add_nc_u32_e32 v115, 8, v115
	s_waitcnt lgkmcnt(0)
	v_cmp_lt_f64_e64 vcc_lo, |v[0:1]|, |v[124:125]|
	v_cndmask_b32_e32 v1, v1, v125, vcc_lo
	v_cndmask_b32_e32 v0, v0, v124, vcc_lo
	v_cndmask_b32_e64 v114, v114, s0, vcc_lo
	s_add_i32 s0, s0, 1
	s_cmp_lg_u32 s7, s0
	s_cbranch_scc1 .LBB106_609
.LBB106_610:
	s_mov_b32 s0, exec_lo
	s_waitcnt lgkmcnt(0)
	v_cmpx_eq_f64_e32 0, v[0:1]
	s_xor_b32 s0, exec_lo, s0
; %bb.611:
	v_cmp_ne_u32_e32 vcc_lo, 0, v117
	v_cndmask_b32_e32 v117, 37, v117, vcc_lo
; %bb.612:
	s_andn2_saveexec_b32 s0, s0
	s_cbranch_execz .LBB106_614
; %bb.613:
	v_div_scale_f64 v[115:116], null, v[0:1], v[0:1], 1.0
	v_rcp_f64_e32 v[124:125], v[115:116]
	v_fma_f64 v[126:127], -v[115:116], v[124:125], 1.0
	v_fma_f64 v[124:125], v[124:125], v[126:127], v[124:125]
	v_fma_f64 v[126:127], -v[115:116], v[124:125], 1.0
	v_fma_f64 v[124:125], v[124:125], v[126:127], v[124:125]
	v_div_scale_f64 v[126:127], vcc_lo, 1.0, v[0:1], 1.0
	v_mul_f64 v[128:129], v[126:127], v[124:125]
	v_fma_f64 v[115:116], -v[115:116], v[128:129], v[126:127]
	v_div_fmas_f64 v[115:116], v[115:116], v[124:125], v[128:129]
	v_div_fixup_f64 v[0:1], v[115:116], v[0:1], 1.0
.LBB106_614:
	s_or_b32 exec_lo, exec_lo, s0
	s_mov_b32 s0, exec_lo
	v_cmpx_ne_u32_e64 v123, v114
	s_xor_b32 s0, exec_lo, s0
	s_cbranch_execz .LBB106_620
; %bb.615:
	s_mov_b32 s1, exec_lo
	v_cmpx_eq_u32_e32 36, v123
	s_cbranch_execz .LBB106_619
; %bb.616:
	v_cmp_ne_u32_e32 vcc_lo, 36, v114
	s_xor_b32 s2, s6, -1
	s_and_b32 s3, s2, vcc_lo
	s_and_saveexec_b32 s2, s3
	s_cbranch_execz .LBB106_618
; %bb.617:
	v_ashrrev_i32_e32 v115, 31, v114
	v_lshlrev_b64 v[115:116], 2, v[114:115]
	v_add_co_u32 v115, vcc_lo, v4, v115
	v_add_co_ci_u32_e64 v116, null, v5, v116, vcc_lo
	s_clause 0x1
	global_load_dword v122, v[115:116], off
	global_load_dword v123, v[4:5], off offset:144
	s_waitcnt vmcnt(1)
	global_store_dword v[4:5], v122, off offset:144
	s_waitcnt vmcnt(0)
	global_store_dword v[115:116], v123, off
.LBB106_618:
	s_or_b32 exec_lo, exec_lo, s2
	v_mov_b32_e32 v122, v114
	v_mov_b32_e32 v123, v114
.LBB106_619:
	s_or_b32 exec_lo, exec_lo, s1
.LBB106_620:
	s_andn2_saveexec_b32 s0, s0
	s_cbranch_execz .LBB106_622
; %bb.621:
	v_mov_b32_e32 v123, 36
	ds_write2_b64 v120, v[34:35], v[36:37] offset0:37 offset1:38
	ds_write2_b64 v120, v[32:33], v[30:31] offset0:39 offset1:40
	ds_write2_b64 v120, v[28:29], v[26:27] offset0:41 offset1:42
	ds_write2_b64 v120, v[24:25], v[22:23] offset0:43 offset1:44
	ds_write2_b64 v120, v[18:19], v[20:21] offset0:45 offset1:46
	ds_write2_b64 v120, v[16:17], v[14:15] offset0:47 offset1:48
	ds_write2_b64 v120, v[8:9], v[12:13] offset0:49 offset1:50
	ds_write2_b64 v120, v[6:7], v[10:11] offset0:51 offset1:52
	ds_write_b64 v120, v[112:113] offset:424
.LBB106_622:
	s_or_b32 exec_lo, exec_lo, s0
	s_mov_b32 s0, exec_lo
	s_waitcnt lgkmcnt(0)
	s_waitcnt_vscnt null, 0x0
	s_barrier
	buffer_gl0_inv
	v_cmpx_lt_i32_e32 36, v123
	s_cbranch_execz .LBB106_624
; %bb.623:
	v_mul_f64 v[40:41], v[0:1], v[40:41]
	ds_read2_b64 v[124:127], v120 offset0:37 offset1:38
	ds_read2_b64 v[128:131], v120 offset0:39 offset1:40
	;; [unrolled: 1-line block ×8, first 2 shown]
	ds_read_b64 v[0:1], v120 offset:424
	s_waitcnt lgkmcnt(8)
	v_fma_f64 v[34:35], -v[40:41], v[124:125], v[34:35]
	v_fma_f64 v[36:37], -v[40:41], v[126:127], v[36:37]
	s_waitcnt lgkmcnt(7)
	v_fma_f64 v[32:33], -v[40:41], v[128:129], v[32:33]
	v_fma_f64 v[30:31], -v[40:41], v[130:131], v[30:31]
	;; [unrolled: 3-line block ×8, first 2 shown]
	s_waitcnt lgkmcnt(0)
	v_fma_f64 v[112:113], -v[40:41], v[0:1], v[112:113]
.LBB106_624:
	s_or_b32 exec_lo, exec_lo, s0
	v_lshl_add_u32 v0, v123, 3, v120
	s_barrier
	buffer_gl0_inv
	v_mov_b32_e32 v114, 37
	ds_write_b64 v0, v[34:35]
	s_waitcnt lgkmcnt(0)
	s_barrier
	buffer_gl0_inv
	ds_read_b64 v[0:1], v120 offset:296
	s_cmp_lt_i32 s7, 39
	s_cbranch_scc1 .LBB106_627
; %bb.625:
	v_add3_u32 v115, v121, 0, 0x130
	v_mov_b32_e32 v114, 37
	s_mov_b32 s0, 38
.LBB106_626:                            ; =>This Inner Loop Header: Depth=1
	ds_read_b64 v[124:125], v115
	v_add_nc_u32_e32 v115, 8, v115
	s_waitcnt lgkmcnt(0)
	v_cmp_lt_f64_e64 vcc_lo, |v[0:1]|, |v[124:125]|
	v_cndmask_b32_e32 v1, v1, v125, vcc_lo
	v_cndmask_b32_e32 v0, v0, v124, vcc_lo
	v_cndmask_b32_e64 v114, v114, s0, vcc_lo
	s_add_i32 s0, s0, 1
	s_cmp_lg_u32 s7, s0
	s_cbranch_scc1 .LBB106_626
.LBB106_627:
	s_mov_b32 s0, exec_lo
	s_waitcnt lgkmcnt(0)
	v_cmpx_eq_f64_e32 0, v[0:1]
	s_xor_b32 s0, exec_lo, s0
; %bb.628:
	v_cmp_ne_u32_e32 vcc_lo, 0, v117
	v_cndmask_b32_e32 v117, 38, v117, vcc_lo
; %bb.629:
	s_andn2_saveexec_b32 s0, s0
	s_cbranch_execz .LBB106_631
; %bb.630:
	v_div_scale_f64 v[115:116], null, v[0:1], v[0:1], 1.0
	v_rcp_f64_e32 v[124:125], v[115:116]
	v_fma_f64 v[126:127], -v[115:116], v[124:125], 1.0
	v_fma_f64 v[124:125], v[124:125], v[126:127], v[124:125]
	v_fma_f64 v[126:127], -v[115:116], v[124:125], 1.0
	v_fma_f64 v[124:125], v[124:125], v[126:127], v[124:125]
	v_div_scale_f64 v[126:127], vcc_lo, 1.0, v[0:1], 1.0
	v_mul_f64 v[128:129], v[126:127], v[124:125]
	v_fma_f64 v[115:116], -v[115:116], v[128:129], v[126:127]
	v_div_fmas_f64 v[115:116], v[115:116], v[124:125], v[128:129]
	v_div_fixup_f64 v[0:1], v[115:116], v[0:1], 1.0
.LBB106_631:
	s_or_b32 exec_lo, exec_lo, s0
	s_mov_b32 s0, exec_lo
	v_cmpx_ne_u32_e64 v123, v114
	s_xor_b32 s0, exec_lo, s0
	s_cbranch_execz .LBB106_637
; %bb.632:
	s_mov_b32 s1, exec_lo
	v_cmpx_eq_u32_e32 37, v123
	s_cbranch_execz .LBB106_636
; %bb.633:
	v_cmp_ne_u32_e32 vcc_lo, 37, v114
	s_xor_b32 s2, s6, -1
	s_and_b32 s3, s2, vcc_lo
	s_and_saveexec_b32 s2, s3
	s_cbranch_execz .LBB106_635
; %bb.634:
	v_ashrrev_i32_e32 v115, 31, v114
	v_lshlrev_b64 v[115:116], 2, v[114:115]
	v_add_co_u32 v115, vcc_lo, v4, v115
	v_add_co_ci_u32_e64 v116, null, v5, v116, vcc_lo
	s_clause 0x1
	global_load_dword v122, v[115:116], off
	global_load_dword v123, v[4:5], off offset:148
	s_waitcnt vmcnt(1)
	global_store_dword v[4:5], v122, off offset:148
	s_waitcnt vmcnt(0)
	global_store_dword v[115:116], v123, off
.LBB106_635:
	s_or_b32 exec_lo, exec_lo, s2
	v_mov_b32_e32 v122, v114
	v_mov_b32_e32 v123, v114
.LBB106_636:
	s_or_b32 exec_lo, exec_lo, s1
.LBB106_637:
	s_andn2_saveexec_b32 s0, s0
	s_cbranch_execz .LBB106_639
; %bb.638:
	v_mov_b32_e32 v114, v36
	v_mov_b32_e32 v115, v37
	;; [unrolled: 1-line block ×16, first 2 shown]
	ds_write2_b64 v120, v[114:115], v[123:124] offset0:38 offset1:39
	ds_write2_b64 v120, v[125:126], v[127:128] offset0:40 offset1:41
	;; [unrolled: 1-line block ×4, first 2 shown]
	v_mov_b32_e32 v114, v20
	v_mov_b32_e32 v115, v21
	;; [unrolled: 1-line block ×15, first 2 shown]
	ds_write2_b64 v120, v[114:115], v[124:125] offset0:46 offset1:47
	ds_write2_b64 v120, v[126:127], v[128:129] offset0:48 offset1:49
	;; [unrolled: 1-line block ×4, first 2 shown]
.LBB106_639:
	s_or_b32 exec_lo, exec_lo, s0
	s_mov_b32 s0, exec_lo
	s_waitcnt lgkmcnt(0)
	s_waitcnt_vscnt null, 0x0
	s_barrier
	buffer_gl0_inv
	v_cmpx_lt_i32_e32 37, v123
	s_cbranch_execz .LBB106_641
; %bb.640:
	v_mul_f64 v[34:35], v[0:1], v[34:35]
	ds_read2_b64 v[124:127], v120 offset0:38 offset1:39
	ds_read2_b64 v[128:131], v120 offset0:40 offset1:41
	;; [unrolled: 1-line block ×8, first 2 shown]
	s_waitcnt lgkmcnt(7)
	v_fma_f64 v[36:37], -v[34:35], v[124:125], v[36:37]
	v_fma_f64 v[32:33], -v[34:35], v[126:127], v[32:33]
	s_waitcnt lgkmcnt(6)
	v_fma_f64 v[30:31], -v[34:35], v[128:129], v[30:31]
	v_fma_f64 v[28:29], -v[34:35], v[130:131], v[28:29]
	;; [unrolled: 3-line block ×8, first 2 shown]
.LBB106_641:
	s_or_b32 exec_lo, exec_lo, s0
	v_lshl_add_u32 v0, v123, 3, v120
	s_barrier
	buffer_gl0_inv
	v_mov_b32_e32 v114, 38
	ds_write_b64 v0, v[36:37]
	s_waitcnt lgkmcnt(0)
	s_barrier
	buffer_gl0_inv
	ds_read_b64 v[0:1], v120 offset:304
	s_cmp_lt_i32 s7, 40
	s_cbranch_scc1 .LBB106_644
; %bb.642:
	v_add3_u32 v115, v121, 0, 0x138
	v_mov_b32_e32 v114, 38
	s_mov_b32 s0, 39
.LBB106_643:                            ; =>This Inner Loop Header: Depth=1
	ds_read_b64 v[124:125], v115
	v_add_nc_u32_e32 v115, 8, v115
	s_waitcnt lgkmcnt(0)
	v_cmp_lt_f64_e64 vcc_lo, |v[0:1]|, |v[124:125]|
	v_cndmask_b32_e32 v1, v1, v125, vcc_lo
	v_cndmask_b32_e32 v0, v0, v124, vcc_lo
	v_cndmask_b32_e64 v114, v114, s0, vcc_lo
	s_add_i32 s0, s0, 1
	s_cmp_lg_u32 s7, s0
	s_cbranch_scc1 .LBB106_643
.LBB106_644:
	s_mov_b32 s0, exec_lo
	s_waitcnt lgkmcnt(0)
	v_cmpx_eq_f64_e32 0, v[0:1]
	s_xor_b32 s0, exec_lo, s0
; %bb.645:
	v_cmp_ne_u32_e32 vcc_lo, 0, v117
	v_cndmask_b32_e32 v117, 39, v117, vcc_lo
; %bb.646:
	s_andn2_saveexec_b32 s0, s0
	s_cbranch_execz .LBB106_648
; %bb.647:
	v_div_scale_f64 v[115:116], null, v[0:1], v[0:1], 1.0
	v_rcp_f64_e32 v[124:125], v[115:116]
	v_fma_f64 v[126:127], -v[115:116], v[124:125], 1.0
	v_fma_f64 v[124:125], v[124:125], v[126:127], v[124:125]
	v_fma_f64 v[126:127], -v[115:116], v[124:125], 1.0
	v_fma_f64 v[124:125], v[124:125], v[126:127], v[124:125]
	v_div_scale_f64 v[126:127], vcc_lo, 1.0, v[0:1], 1.0
	v_mul_f64 v[128:129], v[126:127], v[124:125]
	v_fma_f64 v[115:116], -v[115:116], v[128:129], v[126:127]
	v_div_fmas_f64 v[115:116], v[115:116], v[124:125], v[128:129]
	v_div_fixup_f64 v[0:1], v[115:116], v[0:1], 1.0
.LBB106_648:
	s_or_b32 exec_lo, exec_lo, s0
	s_mov_b32 s0, exec_lo
	v_cmpx_ne_u32_e64 v123, v114
	s_xor_b32 s0, exec_lo, s0
	s_cbranch_execz .LBB106_654
; %bb.649:
	s_mov_b32 s1, exec_lo
	v_cmpx_eq_u32_e32 38, v123
	s_cbranch_execz .LBB106_653
; %bb.650:
	v_cmp_ne_u32_e32 vcc_lo, 38, v114
	s_xor_b32 s2, s6, -1
	s_and_b32 s3, s2, vcc_lo
	s_and_saveexec_b32 s2, s3
	s_cbranch_execz .LBB106_652
; %bb.651:
	v_ashrrev_i32_e32 v115, 31, v114
	v_lshlrev_b64 v[115:116], 2, v[114:115]
	v_add_co_u32 v115, vcc_lo, v4, v115
	v_add_co_ci_u32_e64 v116, null, v5, v116, vcc_lo
	s_clause 0x1
	global_load_dword v122, v[115:116], off
	global_load_dword v123, v[4:5], off offset:152
	s_waitcnt vmcnt(1)
	global_store_dword v[4:5], v122, off offset:152
	s_waitcnt vmcnt(0)
	global_store_dword v[115:116], v123, off
.LBB106_652:
	s_or_b32 exec_lo, exec_lo, s2
	v_mov_b32_e32 v122, v114
	v_mov_b32_e32 v123, v114
.LBB106_653:
	s_or_b32 exec_lo, exec_lo, s1
.LBB106_654:
	s_andn2_saveexec_b32 s0, s0
	s_cbranch_execz .LBB106_656
; %bb.655:
	v_mov_b32_e32 v123, 38
	ds_write2_b64 v120, v[32:33], v[30:31] offset0:39 offset1:40
	ds_write2_b64 v120, v[28:29], v[26:27] offset0:41 offset1:42
	;; [unrolled: 1-line block ×7, first 2 shown]
	ds_write_b64 v120, v[112:113] offset:424
.LBB106_656:
	s_or_b32 exec_lo, exec_lo, s0
	s_mov_b32 s0, exec_lo
	s_waitcnt lgkmcnt(0)
	s_waitcnt_vscnt null, 0x0
	s_barrier
	buffer_gl0_inv
	v_cmpx_lt_i32_e32 38, v123
	s_cbranch_execz .LBB106_658
; %bb.657:
	v_mul_f64 v[36:37], v[0:1], v[36:37]
	ds_read2_b64 v[124:127], v120 offset0:39 offset1:40
	ds_read2_b64 v[128:131], v120 offset0:41 offset1:42
	;; [unrolled: 1-line block ×7, first 2 shown]
	ds_read_b64 v[0:1], v120 offset:424
	s_waitcnt lgkmcnt(7)
	v_fma_f64 v[32:33], -v[36:37], v[124:125], v[32:33]
	v_fma_f64 v[30:31], -v[36:37], v[126:127], v[30:31]
	s_waitcnt lgkmcnt(6)
	v_fma_f64 v[28:29], -v[36:37], v[128:129], v[28:29]
	v_fma_f64 v[26:27], -v[36:37], v[130:131], v[26:27]
	;; [unrolled: 3-line block ×7, first 2 shown]
	s_waitcnt lgkmcnt(0)
	v_fma_f64 v[112:113], -v[36:37], v[0:1], v[112:113]
.LBB106_658:
	s_or_b32 exec_lo, exec_lo, s0
	v_lshl_add_u32 v0, v123, 3, v120
	s_barrier
	buffer_gl0_inv
	v_mov_b32_e32 v114, 39
	ds_write_b64 v0, v[32:33]
	s_waitcnt lgkmcnt(0)
	s_barrier
	buffer_gl0_inv
	ds_read_b64 v[0:1], v120 offset:312
	s_cmp_lt_i32 s7, 41
	s_cbranch_scc1 .LBB106_661
; %bb.659:
	v_add3_u32 v115, v121, 0, 0x140
	v_mov_b32_e32 v114, 39
	s_mov_b32 s0, 40
.LBB106_660:                            ; =>This Inner Loop Header: Depth=1
	ds_read_b64 v[124:125], v115
	v_add_nc_u32_e32 v115, 8, v115
	s_waitcnt lgkmcnt(0)
	v_cmp_lt_f64_e64 vcc_lo, |v[0:1]|, |v[124:125]|
	v_cndmask_b32_e32 v1, v1, v125, vcc_lo
	v_cndmask_b32_e32 v0, v0, v124, vcc_lo
	v_cndmask_b32_e64 v114, v114, s0, vcc_lo
	s_add_i32 s0, s0, 1
	s_cmp_lg_u32 s7, s0
	s_cbranch_scc1 .LBB106_660
.LBB106_661:
	s_mov_b32 s0, exec_lo
	s_waitcnt lgkmcnt(0)
	v_cmpx_eq_f64_e32 0, v[0:1]
	s_xor_b32 s0, exec_lo, s0
; %bb.662:
	v_cmp_ne_u32_e32 vcc_lo, 0, v117
	v_cndmask_b32_e32 v117, 40, v117, vcc_lo
; %bb.663:
	s_andn2_saveexec_b32 s0, s0
	s_cbranch_execz .LBB106_665
; %bb.664:
	v_div_scale_f64 v[115:116], null, v[0:1], v[0:1], 1.0
	v_rcp_f64_e32 v[124:125], v[115:116]
	v_fma_f64 v[126:127], -v[115:116], v[124:125], 1.0
	v_fma_f64 v[124:125], v[124:125], v[126:127], v[124:125]
	v_fma_f64 v[126:127], -v[115:116], v[124:125], 1.0
	v_fma_f64 v[124:125], v[124:125], v[126:127], v[124:125]
	v_div_scale_f64 v[126:127], vcc_lo, 1.0, v[0:1], 1.0
	v_mul_f64 v[128:129], v[126:127], v[124:125]
	v_fma_f64 v[115:116], -v[115:116], v[128:129], v[126:127]
	v_div_fmas_f64 v[115:116], v[115:116], v[124:125], v[128:129]
	v_div_fixup_f64 v[0:1], v[115:116], v[0:1], 1.0
.LBB106_665:
	s_or_b32 exec_lo, exec_lo, s0
	s_mov_b32 s0, exec_lo
	v_cmpx_ne_u32_e64 v123, v114
	s_xor_b32 s0, exec_lo, s0
	s_cbranch_execz .LBB106_671
; %bb.666:
	s_mov_b32 s1, exec_lo
	v_cmpx_eq_u32_e32 39, v123
	s_cbranch_execz .LBB106_670
; %bb.667:
	v_cmp_ne_u32_e32 vcc_lo, 39, v114
	s_xor_b32 s2, s6, -1
	s_and_b32 s3, s2, vcc_lo
	s_and_saveexec_b32 s2, s3
	s_cbranch_execz .LBB106_669
; %bb.668:
	v_ashrrev_i32_e32 v115, 31, v114
	v_lshlrev_b64 v[115:116], 2, v[114:115]
	v_add_co_u32 v115, vcc_lo, v4, v115
	v_add_co_ci_u32_e64 v116, null, v5, v116, vcc_lo
	s_clause 0x1
	global_load_dword v122, v[115:116], off
	global_load_dword v123, v[4:5], off offset:156
	s_waitcnt vmcnt(1)
	global_store_dword v[4:5], v122, off offset:156
	s_waitcnt vmcnt(0)
	global_store_dword v[115:116], v123, off
.LBB106_669:
	s_or_b32 exec_lo, exec_lo, s2
	v_mov_b32_e32 v122, v114
	v_mov_b32_e32 v123, v114
.LBB106_670:
	s_or_b32 exec_lo, exec_lo, s1
.LBB106_671:
	s_andn2_saveexec_b32 s0, s0
	s_cbranch_execz .LBB106_673
; %bb.672:
	v_mov_b32_e32 v114, v30
	v_mov_b32_e32 v115, v31
	;; [unrolled: 1-line block ×12, first 2 shown]
	ds_write2_b64 v120, v[114:115], v[123:124] offset0:40 offset1:41
	ds_write2_b64 v120, v[125:126], v[127:128] offset0:42 offset1:43
	ds_write2_b64 v120, v[129:130], v[131:132] offset0:44 offset1:45
	v_mov_b32_e32 v114, v20
	v_mov_b32_e32 v115, v21
	v_mov_b32_e32 v124, v16
	v_mov_b32_e32 v125, v17
	v_mov_b32_e32 v123, 39
	v_mov_b32_e32 v126, v14
	v_mov_b32_e32 v127, v15
	v_mov_b32_e32 v128, v8
	v_mov_b32_e32 v129, v9
	v_mov_b32_e32 v130, v12
	v_mov_b32_e32 v131, v13
	v_mov_b32_e32 v132, v6
	v_mov_b32_e32 v133, v7
	v_mov_b32_e32 v134, v10
	v_mov_b32_e32 v135, v11
	ds_write2_b64 v120, v[114:115], v[124:125] offset0:46 offset1:47
	ds_write2_b64 v120, v[126:127], v[128:129] offset0:48 offset1:49
	;; [unrolled: 1-line block ×4, first 2 shown]
.LBB106_673:
	s_or_b32 exec_lo, exec_lo, s0
	s_mov_b32 s0, exec_lo
	s_waitcnt lgkmcnt(0)
	s_waitcnt_vscnt null, 0x0
	s_barrier
	buffer_gl0_inv
	v_cmpx_lt_i32_e32 39, v123
	s_cbranch_execz .LBB106_675
; %bb.674:
	v_mul_f64 v[32:33], v[0:1], v[32:33]
	ds_read2_b64 v[124:127], v120 offset0:40 offset1:41
	ds_read2_b64 v[128:131], v120 offset0:42 offset1:43
	;; [unrolled: 1-line block ×7, first 2 shown]
	s_waitcnt lgkmcnt(6)
	v_fma_f64 v[30:31], -v[32:33], v[124:125], v[30:31]
	v_fma_f64 v[28:29], -v[32:33], v[126:127], v[28:29]
	s_waitcnt lgkmcnt(5)
	v_fma_f64 v[26:27], -v[32:33], v[128:129], v[26:27]
	v_fma_f64 v[24:25], -v[32:33], v[130:131], v[24:25]
	;; [unrolled: 3-line block ×7, first 2 shown]
.LBB106_675:
	s_or_b32 exec_lo, exec_lo, s0
	v_lshl_add_u32 v0, v123, 3, v120
	s_barrier
	buffer_gl0_inv
	v_mov_b32_e32 v114, 40
	ds_write_b64 v0, v[30:31]
	s_waitcnt lgkmcnt(0)
	s_barrier
	buffer_gl0_inv
	ds_read_b64 v[0:1], v120 offset:320
	s_cmp_lt_i32 s7, 42
	s_cbranch_scc1 .LBB106_678
; %bb.676:
	v_add3_u32 v115, v121, 0, 0x148
	v_mov_b32_e32 v114, 40
	s_mov_b32 s0, 41
.LBB106_677:                            ; =>This Inner Loop Header: Depth=1
	ds_read_b64 v[124:125], v115
	v_add_nc_u32_e32 v115, 8, v115
	s_waitcnt lgkmcnt(0)
	v_cmp_lt_f64_e64 vcc_lo, |v[0:1]|, |v[124:125]|
	v_cndmask_b32_e32 v1, v1, v125, vcc_lo
	v_cndmask_b32_e32 v0, v0, v124, vcc_lo
	v_cndmask_b32_e64 v114, v114, s0, vcc_lo
	s_add_i32 s0, s0, 1
	s_cmp_lg_u32 s7, s0
	s_cbranch_scc1 .LBB106_677
.LBB106_678:
	s_mov_b32 s0, exec_lo
	s_waitcnt lgkmcnt(0)
	v_cmpx_eq_f64_e32 0, v[0:1]
	s_xor_b32 s0, exec_lo, s0
; %bb.679:
	v_cmp_ne_u32_e32 vcc_lo, 0, v117
	v_cndmask_b32_e32 v117, 41, v117, vcc_lo
; %bb.680:
	s_andn2_saveexec_b32 s0, s0
	s_cbranch_execz .LBB106_682
; %bb.681:
	v_div_scale_f64 v[115:116], null, v[0:1], v[0:1], 1.0
	v_rcp_f64_e32 v[124:125], v[115:116]
	v_fma_f64 v[126:127], -v[115:116], v[124:125], 1.0
	v_fma_f64 v[124:125], v[124:125], v[126:127], v[124:125]
	v_fma_f64 v[126:127], -v[115:116], v[124:125], 1.0
	v_fma_f64 v[124:125], v[124:125], v[126:127], v[124:125]
	v_div_scale_f64 v[126:127], vcc_lo, 1.0, v[0:1], 1.0
	v_mul_f64 v[128:129], v[126:127], v[124:125]
	v_fma_f64 v[115:116], -v[115:116], v[128:129], v[126:127]
	v_div_fmas_f64 v[115:116], v[115:116], v[124:125], v[128:129]
	v_div_fixup_f64 v[0:1], v[115:116], v[0:1], 1.0
.LBB106_682:
	s_or_b32 exec_lo, exec_lo, s0
	s_mov_b32 s0, exec_lo
	v_cmpx_ne_u32_e64 v123, v114
	s_xor_b32 s0, exec_lo, s0
	s_cbranch_execz .LBB106_688
; %bb.683:
	s_mov_b32 s1, exec_lo
	v_cmpx_eq_u32_e32 40, v123
	s_cbranch_execz .LBB106_687
; %bb.684:
	v_cmp_ne_u32_e32 vcc_lo, 40, v114
	s_xor_b32 s2, s6, -1
	s_and_b32 s3, s2, vcc_lo
	s_and_saveexec_b32 s2, s3
	s_cbranch_execz .LBB106_686
; %bb.685:
	v_ashrrev_i32_e32 v115, 31, v114
	v_lshlrev_b64 v[115:116], 2, v[114:115]
	v_add_co_u32 v115, vcc_lo, v4, v115
	v_add_co_ci_u32_e64 v116, null, v5, v116, vcc_lo
	s_clause 0x1
	global_load_dword v122, v[115:116], off
	global_load_dword v123, v[4:5], off offset:160
	s_waitcnt vmcnt(1)
	global_store_dword v[4:5], v122, off offset:160
	s_waitcnt vmcnt(0)
	global_store_dword v[115:116], v123, off
.LBB106_686:
	s_or_b32 exec_lo, exec_lo, s2
	v_mov_b32_e32 v122, v114
	v_mov_b32_e32 v123, v114
.LBB106_687:
	s_or_b32 exec_lo, exec_lo, s1
.LBB106_688:
	s_andn2_saveexec_b32 s0, s0
	s_cbranch_execz .LBB106_690
; %bb.689:
	v_mov_b32_e32 v123, 40
	ds_write2_b64 v120, v[28:29], v[26:27] offset0:41 offset1:42
	ds_write2_b64 v120, v[24:25], v[22:23] offset0:43 offset1:44
	ds_write2_b64 v120, v[18:19], v[20:21] offset0:45 offset1:46
	ds_write2_b64 v120, v[16:17], v[14:15] offset0:47 offset1:48
	ds_write2_b64 v120, v[8:9], v[12:13] offset0:49 offset1:50
	ds_write2_b64 v120, v[6:7], v[10:11] offset0:51 offset1:52
	ds_write_b64 v120, v[112:113] offset:424
.LBB106_690:
	s_or_b32 exec_lo, exec_lo, s0
	s_mov_b32 s0, exec_lo
	s_waitcnt lgkmcnt(0)
	s_waitcnt_vscnt null, 0x0
	s_barrier
	buffer_gl0_inv
	v_cmpx_lt_i32_e32 40, v123
	s_cbranch_execz .LBB106_692
; %bb.691:
	v_mul_f64 v[30:31], v[0:1], v[30:31]
	ds_read2_b64 v[124:127], v120 offset0:41 offset1:42
	ds_read2_b64 v[128:131], v120 offset0:43 offset1:44
	;; [unrolled: 1-line block ×6, first 2 shown]
	ds_read_b64 v[0:1], v120 offset:424
	s_waitcnt lgkmcnt(6)
	v_fma_f64 v[28:29], -v[30:31], v[124:125], v[28:29]
	v_fma_f64 v[26:27], -v[30:31], v[126:127], v[26:27]
	s_waitcnt lgkmcnt(5)
	v_fma_f64 v[24:25], -v[30:31], v[128:129], v[24:25]
	v_fma_f64 v[22:23], -v[30:31], v[130:131], v[22:23]
	;; [unrolled: 3-line block ×6, first 2 shown]
	s_waitcnt lgkmcnt(0)
	v_fma_f64 v[112:113], -v[30:31], v[0:1], v[112:113]
.LBB106_692:
	s_or_b32 exec_lo, exec_lo, s0
	v_lshl_add_u32 v0, v123, 3, v120
	s_barrier
	buffer_gl0_inv
	v_mov_b32_e32 v114, 41
	ds_write_b64 v0, v[28:29]
	s_waitcnt lgkmcnt(0)
	s_barrier
	buffer_gl0_inv
	ds_read_b64 v[0:1], v120 offset:328
	s_cmp_lt_i32 s7, 43
	s_cbranch_scc1 .LBB106_695
; %bb.693:
	v_add3_u32 v115, v121, 0, 0x150
	v_mov_b32_e32 v114, 41
	s_mov_b32 s0, 42
.LBB106_694:                            ; =>This Inner Loop Header: Depth=1
	ds_read_b64 v[124:125], v115
	v_add_nc_u32_e32 v115, 8, v115
	s_waitcnt lgkmcnt(0)
	v_cmp_lt_f64_e64 vcc_lo, |v[0:1]|, |v[124:125]|
	v_cndmask_b32_e32 v1, v1, v125, vcc_lo
	v_cndmask_b32_e32 v0, v0, v124, vcc_lo
	v_cndmask_b32_e64 v114, v114, s0, vcc_lo
	s_add_i32 s0, s0, 1
	s_cmp_lg_u32 s7, s0
	s_cbranch_scc1 .LBB106_694
.LBB106_695:
	s_mov_b32 s0, exec_lo
	s_waitcnt lgkmcnt(0)
	v_cmpx_eq_f64_e32 0, v[0:1]
	s_xor_b32 s0, exec_lo, s0
; %bb.696:
	v_cmp_ne_u32_e32 vcc_lo, 0, v117
	v_cndmask_b32_e32 v117, 42, v117, vcc_lo
; %bb.697:
	s_andn2_saveexec_b32 s0, s0
	s_cbranch_execz .LBB106_699
; %bb.698:
	v_div_scale_f64 v[115:116], null, v[0:1], v[0:1], 1.0
	v_rcp_f64_e32 v[124:125], v[115:116]
	v_fma_f64 v[126:127], -v[115:116], v[124:125], 1.0
	v_fma_f64 v[124:125], v[124:125], v[126:127], v[124:125]
	v_fma_f64 v[126:127], -v[115:116], v[124:125], 1.0
	v_fma_f64 v[124:125], v[124:125], v[126:127], v[124:125]
	v_div_scale_f64 v[126:127], vcc_lo, 1.0, v[0:1], 1.0
	v_mul_f64 v[128:129], v[126:127], v[124:125]
	v_fma_f64 v[115:116], -v[115:116], v[128:129], v[126:127]
	v_div_fmas_f64 v[115:116], v[115:116], v[124:125], v[128:129]
	v_div_fixup_f64 v[0:1], v[115:116], v[0:1], 1.0
.LBB106_699:
	s_or_b32 exec_lo, exec_lo, s0
	s_mov_b32 s0, exec_lo
	v_cmpx_ne_u32_e64 v123, v114
	s_xor_b32 s0, exec_lo, s0
	s_cbranch_execz .LBB106_705
; %bb.700:
	s_mov_b32 s1, exec_lo
	v_cmpx_eq_u32_e32 41, v123
	s_cbranch_execz .LBB106_704
; %bb.701:
	v_cmp_ne_u32_e32 vcc_lo, 41, v114
	s_xor_b32 s2, s6, -1
	s_and_b32 s3, s2, vcc_lo
	s_and_saveexec_b32 s2, s3
	s_cbranch_execz .LBB106_703
; %bb.702:
	v_ashrrev_i32_e32 v115, 31, v114
	v_lshlrev_b64 v[115:116], 2, v[114:115]
	v_add_co_u32 v115, vcc_lo, v4, v115
	v_add_co_ci_u32_e64 v116, null, v5, v116, vcc_lo
	s_clause 0x1
	global_load_dword v122, v[115:116], off
	global_load_dword v123, v[4:5], off offset:164
	s_waitcnt vmcnt(1)
	global_store_dword v[4:5], v122, off offset:164
	s_waitcnt vmcnt(0)
	global_store_dword v[115:116], v123, off
.LBB106_703:
	s_or_b32 exec_lo, exec_lo, s2
	v_mov_b32_e32 v122, v114
	v_mov_b32_e32 v123, v114
.LBB106_704:
	s_or_b32 exec_lo, exec_lo, s1
.LBB106_705:
	s_andn2_saveexec_b32 s0, s0
	s_cbranch_execz .LBB106_707
; %bb.706:
	v_mov_b32_e32 v114, v26
	v_mov_b32_e32 v115, v27
	v_mov_b32_e32 v123, v24
	v_mov_b32_e32 v124, v25
	v_mov_b32_e32 v125, v22
	v_mov_b32_e32 v126, v23
	v_mov_b32_e32 v127, v18
	v_mov_b32_e32 v128, v19
	ds_write2_b64 v120, v[114:115], v[123:124] offset0:42 offset1:43
	ds_write2_b64 v120, v[125:126], v[127:128] offset0:44 offset1:45
	v_mov_b32_e32 v114, v20
	v_mov_b32_e32 v115, v21
	;; [unrolled: 1-line block ×15, first 2 shown]
	ds_write2_b64 v120, v[114:115], v[124:125] offset0:46 offset1:47
	ds_write2_b64 v120, v[126:127], v[128:129] offset0:48 offset1:49
	;; [unrolled: 1-line block ×4, first 2 shown]
.LBB106_707:
	s_or_b32 exec_lo, exec_lo, s0
	s_mov_b32 s0, exec_lo
	s_waitcnt lgkmcnt(0)
	s_waitcnt_vscnt null, 0x0
	s_barrier
	buffer_gl0_inv
	v_cmpx_lt_i32_e32 41, v123
	s_cbranch_execz .LBB106_709
; %bb.708:
	v_mul_f64 v[28:29], v[0:1], v[28:29]
	ds_read2_b64 v[124:127], v120 offset0:42 offset1:43
	ds_read2_b64 v[128:131], v120 offset0:44 offset1:45
	;; [unrolled: 1-line block ×6, first 2 shown]
	s_waitcnt lgkmcnt(5)
	v_fma_f64 v[26:27], -v[28:29], v[124:125], v[26:27]
	v_fma_f64 v[24:25], -v[28:29], v[126:127], v[24:25]
	s_waitcnt lgkmcnt(4)
	v_fma_f64 v[22:23], -v[28:29], v[128:129], v[22:23]
	v_fma_f64 v[18:19], -v[28:29], v[130:131], v[18:19]
	;; [unrolled: 3-line block ×6, first 2 shown]
.LBB106_709:
	s_or_b32 exec_lo, exec_lo, s0
	v_lshl_add_u32 v0, v123, 3, v120
	s_barrier
	buffer_gl0_inv
	v_mov_b32_e32 v114, 42
	ds_write_b64 v0, v[26:27]
	s_waitcnt lgkmcnt(0)
	s_barrier
	buffer_gl0_inv
	ds_read_b64 v[0:1], v120 offset:336
	s_cmp_lt_i32 s7, 44
	s_cbranch_scc1 .LBB106_712
; %bb.710:
	v_add3_u32 v115, v121, 0, 0x158
	v_mov_b32_e32 v114, 42
	s_mov_b32 s0, 43
.LBB106_711:                            ; =>This Inner Loop Header: Depth=1
	ds_read_b64 v[124:125], v115
	v_add_nc_u32_e32 v115, 8, v115
	s_waitcnt lgkmcnt(0)
	v_cmp_lt_f64_e64 vcc_lo, |v[0:1]|, |v[124:125]|
	v_cndmask_b32_e32 v1, v1, v125, vcc_lo
	v_cndmask_b32_e32 v0, v0, v124, vcc_lo
	v_cndmask_b32_e64 v114, v114, s0, vcc_lo
	s_add_i32 s0, s0, 1
	s_cmp_lg_u32 s7, s0
	s_cbranch_scc1 .LBB106_711
.LBB106_712:
	s_mov_b32 s0, exec_lo
	s_waitcnt lgkmcnt(0)
	v_cmpx_eq_f64_e32 0, v[0:1]
	s_xor_b32 s0, exec_lo, s0
; %bb.713:
	v_cmp_ne_u32_e32 vcc_lo, 0, v117
	v_cndmask_b32_e32 v117, 43, v117, vcc_lo
; %bb.714:
	s_andn2_saveexec_b32 s0, s0
	s_cbranch_execz .LBB106_716
; %bb.715:
	v_div_scale_f64 v[115:116], null, v[0:1], v[0:1], 1.0
	v_rcp_f64_e32 v[124:125], v[115:116]
	v_fma_f64 v[126:127], -v[115:116], v[124:125], 1.0
	v_fma_f64 v[124:125], v[124:125], v[126:127], v[124:125]
	v_fma_f64 v[126:127], -v[115:116], v[124:125], 1.0
	v_fma_f64 v[124:125], v[124:125], v[126:127], v[124:125]
	v_div_scale_f64 v[126:127], vcc_lo, 1.0, v[0:1], 1.0
	v_mul_f64 v[128:129], v[126:127], v[124:125]
	v_fma_f64 v[115:116], -v[115:116], v[128:129], v[126:127]
	v_div_fmas_f64 v[115:116], v[115:116], v[124:125], v[128:129]
	v_div_fixup_f64 v[0:1], v[115:116], v[0:1], 1.0
.LBB106_716:
	s_or_b32 exec_lo, exec_lo, s0
	s_mov_b32 s0, exec_lo
	v_cmpx_ne_u32_e64 v123, v114
	s_xor_b32 s0, exec_lo, s0
	s_cbranch_execz .LBB106_722
; %bb.717:
	s_mov_b32 s1, exec_lo
	v_cmpx_eq_u32_e32 42, v123
	s_cbranch_execz .LBB106_721
; %bb.718:
	v_cmp_ne_u32_e32 vcc_lo, 42, v114
	s_xor_b32 s2, s6, -1
	s_and_b32 s3, s2, vcc_lo
	s_and_saveexec_b32 s2, s3
	s_cbranch_execz .LBB106_720
; %bb.719:
	v_ashrrev_i32_e32 v115, 31, v114
	v_lshlrev_b64 v[115:116], 2, v[114:115]
	v_add_co_u32 v115, vcc_lo, v4, v115
	v_add_co_ci_u32_e64 v116, null, v5, v116, vcc_lo
	s_clause 0x1
	global_load_dword v122, v[115:116], off
	global_load_dword v123, v[4:5], off offset:168
	s_waitcnt vmcnt(1)
	global_store_dword v[4:5], v122, off offset:168
	s_waitcnt vmcnt(0)
	global_store_dword v[115:116], v123, off
.LBB106_720:
	s_or_b32 exec_lo, exec_lo, s2
	v_mov_b32_e32 v122, v114
	v_mov_b32_e32 v123, v114
.LBB106_721:
	s_or_b32 exec_lo, exec_lo, s1
.LBB106_722:
	s_andn2_saveexec_b32 s0, s0
	s_cbranch_execz .LBB106_724
; %bb.723:
	v_mov_b32_e32 v123, 42
	ds_write2_b64 v120, v[24:25], v[22:23] offset0:43 offset1:44
	ds_write2_b64 v120, v[18:19], v[20:21] offset0:45 offset1:46
	;; [unrolled: 1-line block ×5, first 2 shown]
	ds_write_b64 v120, v[112:113] offset:424
.LBB106_724:
	s_or_b32 exec_lo, exec_lo, s0
	s_mov_b32 s0, exec_lo
	s_waitcnt lgkmcnt(0)
	s_waitcnt_vscnt null, 0x0
	s_barrier
	buffer_gl0_inv
	v_cmpx_lt_i32_e32 42, v123
	s_cbranch_execz .LBB106_726
; %bb.725:
	v_mul_f64 v[26:27], v[0:1], v[26:27]
	ds_read2_b64 v[124:127], v120 offset0:43 offset1:44
	ds_read2_b64 v[128:131], v120 offset0:45 offset1:46
	;; [unrolled: 1-line block ×5, first 2 shown]
	ds_read_b64 v[0:1], v120 offset:424
	s_waitcnt lgkmcnt(5)
	v_fma_f64 v[24:25], -v[26:27], v[124:125], v[24:25]
	v_fma_f64 v[22:23], -v[26:27], v[126:127], v[22:23]
	s_waitcnt lgkmcnt(4)
	v_fma_f64 v[18:19], -v[26:27], v[128:129], v[18:19]
	v_fma_f64 v[20:21], -v[26:27], v[130:131], v[20:21]
	;; [unrolled: 3-line block ×5, first 2 shown]
	s_waitcnt lgkmcnt(0)
	v_fma_f64 v[112:113], -v[26:27], v[0:1], v[112:113]
.LBB106_726:
	s_or_b32 exec_lo, exec_lo, s0
	v_lshl_add_u32 v0, v123, 3, v120
	s_barrier
	buffer_gl0_inv
	v_mov_b32_e32 v114, 43
	ds_write_b64 v0, v[24:25]
	s_waitcnt lgkmcnt(0)
	s_barrier
	buffer_gl0_inv
	ds_read_b64 v[0:1], v120 offset:344
	s_cmp_lt_i32 s7, 45
	s_cbranch_scc1 .LBB106_729
; %bb.727:
	v_add3_u32 v115, v121, 0, 0x160
	v_mov_b32_e32 v114, 43
	s_mov_b32 s0, 44
.LBB106_728:                            ; =>This Inner Loop Header: Depth=1
	ds_read_b64 v[124:125], v115
	v_add_nc_u32_e32 v115, 8, v115
	s_waitcnt lgkmcnt(0)
	v_cmp_lt_f64_e64 vcc_lo, |v[0:1]|, |v[124:125]|
	v_cndmask_b32_e32 v1, v1, v125, vcc_lo
	v_cndmask_b32_e32 v0, v0, v124, vcc_lo
	v_cndmask_b32_e64 v114, v114, s0, vcc_lo
	s_add_i32 s0, s0, 1
	s_cmp_lg_u32 s7, s0
	s_cbranch_scc1 .LBB106_728
.LBB106_729:
	s_mov_b32 s0, exec_lo
	s_waitcnt lgkmcnt(0)
	v_cmpx_eq_f64_e32 0, v[0:1]
	s_xor_b32 s0, exec_lo, s0
; %bb.730:
	v_cmp_ne_u32_e32 vcc_lo, 0, v117
	v_cndmask_b32_e32 v117, 44, v117, vcc_lo
; %bb.731:
	s_andn2_saveexec_b32 s0, s0
	s_cbranch_execz .LBB106_733
; %bb.732:
	v_div_scale_f64 v[115:116], null, v[0:1], v[0:1], 1.0
	v_rcp_f64_e32 v[124:125], v[115:116]
	v_fma_f64 v[126:127], -v[115:116], v[124:125], 1.0
	v_fma_f64 v[124:125], v[124:125], v[126:127], v[124:125]
	v_fma_f64 v[126:127], -v[115:116], v[124:125], 1.0
	v_fma_f64 v[124:125], v[124:125], v[126:127], v[124:125]
	v_div_scale_f64 v[126:127], vcc_lo, 1.0, v[0:1], 1.0
	v_mul_f64 v[128:129], v[126:127], v[124:125]
	v_fma_f64 v[115:116], -v[115:116], v[128:129], v[126:127]
	v_div_fmas_f64 v[115:116], v[115:116], v[124:125], v[128:129]
	v_div_fixup_f64 v[0:1], v[115:116], v[0:1], 1.0
.LBB106_733:
	s_or_b32 exec_lo, exec_lo, s0
	s_mov_b32 s0, exec_lo
	v_cmpx_ne_u32_e64 v123, v114
	s_xor_b32 s0, exec_lo, s0
	s_cbranch_execz .LBB106_739
; %bb.734:
	s_mov_b32 s1, exec_lo
	v_cmpx_eq_u32_e32 43, v123
	s_cbranch_execz .LBB106_738
; %bb.735:
	v_cmp_ne_u32_e32 vcc_lo, 43, v114
	s_xor_b32 s2, s6, -1
	s_and_b32 s3, s2, vcc_lo
	s_and_saveexec_b32 s2, s3
	s_cbranch_execz .LBB106_737
; %bb.736:
	v_ashrrev_i32_e32 v115, 31, v114
	v_lshlrev_b64 v[115:116], 2, v[114:115]
	v_add_co_u32 v115, vcc_lo, v4, v115
	v_add_co_ci_u32_e64 v116, null, v5, v116, vcc_lo
	s_clause 0x1
	global_load_dword v122, v[115:116], off
	global_load_dword v123, v[4:5], off offset:172
	s_waitcnt vmcnt(1)
	global_store_dword v[4:5], v122, off offset:172
	s_waitcnt vmcnt(0)
	global_store_dword v[115:116], v123, off
.LBB106_737:
	s_or_b32 exec_lo, exec_lo, s2
	v_mov_b32_e32 v122, v114
	v_mov_b32_e32 v123, v114
.LBB106_738:
	s_or_b32 exec_lo, exec_lo, s1
.LBB106_739:
	s_andn2_saveexec_b32 s0, s0
	s_cbranch_execz .LBB106_741
; %bb.740:
	v_mov_b32_e32 v114, v22
	v_mov_b32_e32 v115, v23
	;; [unrolled: 1-line block ×8, first 2 shown]
	ds_write2_b64 v120, v[114:115], v[123:124] offset0:44 offset1:45
	v_mov_b32_e32 v114, v16
	v_mov_b32_e32 v115, v17
	;; [unrolled: 1-line block ×11, first 2 shown]
	ds_write2_b64 v120, v[125:126], v[114:115] offset0:46 offset1:47
	ds_write2_b64 v120, v[127:128], v[129:130] offset0:48 offset1:49
	;; [unrolled: 1-line block ×4, first 2 shown]
.LBB106_741:
	s_or_b32 exec_lo, exec_lo, s0
	s_mov_b32 s0, exec_lo
	s_waitcnt lgkmcnt(0)
	s_waitcnt_vscnt null, 0x0
	s_barrier
	buffer_gl0_inv
	v_cmpx_lt_i32_e32 43, v123
	s_cbranch_execz .LBB106_743
; %bb.742:
	v_mul_f64 v[24:25], v[0:1], v[24:25]
	ds_read2_b64 v[124:127], v120 offset0:44 offset1:45
	ds_read2_b64 v[128:131], v120 offset0:46 offset1:47
	;; [unrolled: 1-line block ×5, first 2 shown]
	s_waitcnt lgkmcnt(4)
	v_fma_f64 v[22:23], -v[24:25], v[124:125], v[22:23]
	v_fma_f64 v[18:19], -v[24:25], v[126:127], v[18:19]
	s_waitcnt lgkmcnt(3)
	v_fma_f64 v[20:21], -v[24:25], v[128:129], v[20:21]
	v_fma_f64 v[16:17], -v[24:25], v[130:131], v[16:17]
	;; [unrolled: 3-line block ×5, first 2 shown]
.LBB106_743:
	s_or_b32 exec_lo, exec_lo, s0
	v_lshl_add_u32 v0, v123, 3, v120
	s_barrier
	buffer_gl0_inv
	v_mov_b32_e32 v114, 44
	ds_write_b64 v0, v[22:23]
	s_waitcnt lgkmcnt(0)
	s_barrier
	buffer_gl0_inv
	ds_read_b64 v[0:1], v120 offset:352
	s_cmp_lt_i32 s7, 46
	s_cbranch_scc1 .LBB106_746
; %bb.744:
	v_add3_u32 v115, v121, 0, 0x168
	v_mov_b32_e32 v114, 44
	s_mov_b32 s0, 45
.LBB106_745:                            ; =>This Inner Loop Header: Depth=1
	ds_read_b64 v[124:125], v115
	v_add_nc_u32_e32 v115, 8, v115
	s_waitcnt lgkmcnt(0)
	v_cmp_lt_f64_e64 vcc_lo, |v[0:1]|, |v[124:125]|
	v_cndmask_b32_e32 v1, v1, v125, vcc_lo
	v_cndmask_b32_e32 v0, v0, v124, vcc_lo
	v_cndmask_b32_e64 v114, v114, s0, vcc_lo
	s_add_i32 s0, s0, 1
	s_cmp_lg_u32 s7, s0
	s_cbranch_scc1 .LBB106_745
.LBB106_746:
	s_mov_b32 s0, exec_lo
	s_waitcnt lgkmcnt(0)
	v_cmpx_eq_f64_e32 0, v[0:1]
	s_xor_b32 s0, exec_lo, s0
; %bb.747:
	v_cmp_ne_u32_e32 vcc_lo, 0, v117
	v_cndmask_b32_e32 v117, 45, v117, vcc_lo
; %bb.748:
	s_andn2_saveexec_b32 s0, s0
	s_cbranch_execz .LBB106_750
; %bb.749:
	v_div_scale_f64 v[115:116], null, v[0:1], v[0:1], 1.0
	v_rcp_f64_e32 v[124:125], v[115:116]
	v_fma_f64 v[126:127], -v[115:116], v[124:125], 1.0
	v_fma_f64 v[124:125], v[124:125], v[126:127], v[124:125]
	v_fma_f64 v[126:127], -v[115:116], v[124:125], 1.0
	v_fma_f64 v[124:125], v[124:125], v[126:127], v[124:125]
	v_div_scale_f64 v[126:127], vcc_lo, 1.0, v[0:1], 1.0
	v_mul_f64 v[128:129], v[126:127], v[124:125]
	v_fma_f64 v[115:116], -v[115:116], v[128:129], v[126:127]
	v_div_fmas_f64 v[115:116], v[115:116], v[124:125], v[128:129]
	v_div_fixup_f64 v[0:1], v[115:116], v[0:1], 1.0
.LBB106_750:
	s_or_b32 exec_lo, exec_lo, s0
	s_mov_b32 s0, exec_lo
	v_cmpx_ne_u32_e64 v123, v114
	s_xor_b32 s0, exec_lo, s0
	s_cbranch_execz .LBB106_756
; %bb.751:
	s_mov_b32 s1, exec_lo
	v_cmpx_eq_u32_e32 44, v123
	s_cbranch_execz .LBB106_755
; %bb.752:
	v_cmp_ne_u32_e32 vcc_lo, 44, v114
	s_xor_b32 s2, s6, -1
	s_and_b32 s3, s2, vcc_lo
	s_and_saveexec_b32 s2, s3
	s_cbranch_execz .LBB106_754
; %bb.753:
	v_ashrrev_i32_e32 v115, 31, v114
	v_lshlrev_b64 v[115:116], 2, v[114:115]
	v_add_co_u32 v115, vcc_lo, v4, v115
	v_add_co_ci_u32_e64 v116, null, v5, v116, vcc_lo
	s_clause 0x1
	global_load_dword v122, v[115:116], off
	global_load_dword v123, v[4:5], off offset:176
	s_waitcnt vmcnt(1)
	global_store_dword v[4:5], v122, off offset:176
	s_waitcnt vmcnt(0)
	global_store_dword v[115:116], v123, off
.LBB106_754:
	s_or_b32 exec_lo, exec_lo, s2
	v_mov_b32_e32 v122, v114
	v_mov_b32_e32 v123, v114
.LBB106_755:
	s_or_b32 exec_lo, exec_lo, s1
.LBB106_756:
	s_andn2_saveexec_b32 s0, s0
	s_cbranch_execz .LBB106_758
; %bb.757:
	v_mov_b32_e32 v123, 44
	ds_write2_b64 v120, v[18:19], v[20:21] offset0:45 offset1:46
	ds_write2_b64 v120, v[16:17], v[14:15] offset0:47 offset1:48
	ds_write2_b64 v120, v[8:9], v[12:13] offset0:49 offset1:50
	ds_write2_b64 v120, v[6:7], v[10:11] offset0:51 offset1:52
	ds_write_b64 v120, v[112:113] offset:424
.LBB106_758:
	s_or_b32 exec_lo, exec_lo, s0
	s_mov_b32 s0, exec_lo
	s_waitcnt lgkmcnt(0)
	s_waitcnt_vscnt null, 0x0
	s_barrier
	buffer_gl0_inv
	v_cmpx_lt_i32_e32 44, v123
	s_cbranch_execz .LBB106_760
; %bb.759:
	v_mul_f64 v[22:23], v[0:1], v[22:23]
	ds_read2_b64 v[124:127], v120 offset0:45 offset1:46
	ds_read2_b64 v[128:131], v120 offset0:47 offset1:48
	;; [unrolled: 1-line block ×4, first 2 shown]
	ds_read_b64 v[0:1], v120 offset:424
	s_waitcnt lgkmcnt(4)
	v_fma_f64 v[18:19], -v[22:23], v[124:125], v[18:19]
	v_fma_f64 v[20:21], -v[22:23], v[126:127], v[20:21]
	s_waitcnt lgkmcnt(3)
	v_fma_f64 v[16:17], -v[22:23], v[128:129], v[16:17]
	v_fma_f64 v[14:15], -v[22:23], v[130:131], v[14:15]
	;; [unrolled: 3-line block ×4, first 2 shown]
	s_waitcnt lgkmcnt(0)
	v_fma_f64 v[112:113], -v[22:23], v[0:1], v[112:113]
.LBB106_760:
	s_or_b32 exec_lo, exec_lo, s0
	v_lshl_add_u32 v0, v123, 3, v120
	s_barrier
	buffer_gl0_inv
	v_mov_b32_e32 v114, 45
	ds_write_b64 v0, v[18:19]
	s_waitcnt lgkmcnt(0)
	s_barrier
	buffer_gl0_inv
	ds_read_b64 v[0:1], v120 offset:360
	s_cmp_lt_i32 s7, 47
	s_cbranch_scc1 .LBB106_763
; %bb.761:
	v_add3_u32 v115, v121, 0, 0x170
	v_mov_b32_e32 v114, 45
	s_mov_b32 s0, 46
.LBB106_762:                            ; =>This Inner Loop Header: Depth=1
	ds_read_b64 v[124:125], v115
	v_add_nc_u32_e32 v115, 8, v115
	s_waitcnt lgkmcnt(0)
	v_cmp_lt_f64_e64 vcc_lo, |v[0:1]|, |v[124:125]|
	v_cndmask_b32_e32 v1, v1, v125, vcc_lo
	v_cndmask_b32_e32 v0, v0, v124, vcc_lo
	v_cndmask_b32_e64 v114, v114, s0, vcc_lo
	s_add_i32 s0, s0, 1
	s_cmp_lg_u32 s7, s0
	s_cbranch_scc1 .LBB106_762
.LBB106_763:
	s_mov_b32 s0, exec_lo
	s_waitcnt lgkmcnt(0)
	v_cmpx_eq_f64_e32 0, v[0:1]
	s_xor_b32 s0, exec_lo, s0
; %bb.764:
	v_cmp_ne_u32_e32 vcc_lo, 0, v117
	v_cndmask_b32_e32 v117, 46, v117, vcc_lo
; %bb.765:
	s_andn2_saveexec_b32 s0, s0
	s_cbranch_execz .LBB106_767
; %bb.766:
	v_div_scale_f64 v[115:116], null, v[0:1], v[0:1], 1.0
	v_rcp_f64_e32 v[124:125], v[115:116]
	v_fma_f64 v[126:127], -v[115:116], v[124:125], 1.0
	v_fma_f64 v[124:125], v[124:125], v[126:127], v[124:125]
	v_fma_f64 v[126:127], -v[115:116], v[124:125], 1.0
	v_fma_f64 v[124:125], v[124:125], v[126:127], v[124:125]
	v_div_scale_f64 v[126:127], vcc_lo, 1.0, v[0:1], 1.0
	v_mul_f64 v[128:129], v[126:127], v[124:125]
	v_fma_f64 v[115:116], -v[115:116], v[128:129], v[126:127]
	v_div_fmas_f64 v[115:116], v[115:116], v[124:125], v[128:129]
	v_div_fixup_f64 v[0:1], v[115:116], v[0:1], 1.0
.LBB106_767:
	s_or_b32 exec_lo, exec_lo, s0
	s_mov_b32 s0, exec_lo
	v_cmpx_ne_u32_e64 v123, v114
	s_xor_b32 s0, exec_lo, s0
	s_cbranch_execz .LBB106_773
; %bb.768:
	s_mov_b32 s1, exec_lo
	v_cmpx_eq_u32_e32 45, v123
	s_cbranch_execz .LBB106_772
; %bb.769:
	v_cmp_ne_u32_e32 vcc_lo, 45, v114
	s_xor_b32 s2, s6, -1
	s_and_b32 s3, s2, vcc_lo
	s_and_saveexec_b32 s2, s3
	s_cbranch_execz .LBB106_771
; %bb.770:
	v_ashrrev_i32_e32 v115, 31, v114
	v_lshlrev_b64 v[115:116], 2, v[114:115]
	v_add_co_u32 v115, vcc_lo, v4, v115
	v_add_co_ci_u32_e64 v116, null, v5, v116, vcc_lo
	s_clause 0x1
	global_load_dword v122, v[115:116], off
	global_load_dword v123, v[4:5], off offset:180
	s_waitcnt vmcnt(1)
	global_store_dword v[4:5], v122, off offset:180
	s_waitcnt vmcnt(0)
	global_store_dword v[115:116], v123, off
.LBB106_771:
	s_or_b32 exec_lo, exec_lo, s2
	v_mov_b32_e32 v122, v114
	v_mov_b32_e32 v123, v114
.LBB106_772:
	s_or_b32 exec_lo, exec_lo, s1
.LBB106_773:
	s_andn2_saveexec_b32 s0, s0
	s_cbranch_execz .LBB106_775
; %bb.774:
	v_mov_b32_e32 v114, v20
	v_mov_b32_e32 v115, v21
	;; [unrolled: 1-line block ×15, first 2 shown]
	ds_write2_b64 v120, v[114:115], v[124:125] offset0:46 offset1:47
	ds_write2_b64 v120, v[126:127], v[128:129] offset0:48 offset1:49
	;; [unrolled: 1-line block ×4, first 2 shown]
.LBB106_775:
	s_or_b32 exec_lo, exec_lo, s0
	s_mov_b32 s0, exec_lo
	s_waitcnt lgkmcnt(0)
	s_waitcnt_vscnt null, 0x0
	s_barrier
	buffer_gl0_inv
	v_cmpx_lt_i32_e32 45, v123
	s_cbranch_execz .LBB106_777
; %bb.776:
	v_mul_f64 v[18:19], v[0:1], v[18:19]
	ds_read2_b64 v[124:127], v120 offset0:46 offset1:47
	ds_read2_b64 v[128:131], v120 offset0:48 offset1:49
	ds_read2_b64 v[132:135], v120 offset0:50 offset1:51
	ds_read2_b64 v[136:139], v120 offset0:52 offset1:53
	s_waitcnt lgkmcnt(3)
	v_fma_f64 v[20:21], -v[18:19], v[124:125], v[20:21]
	v_fma_f64 v[16:17], -v[18:19], v[126:127], v[16:17]
	s_waitcnt lgkmcnt(2)
	v_fma_f64 v[14:15], -v[18:19], v[128:129], v[14:15]
	v_fma_f64 v[8:9], -v[18:19], v[130:131], v[8:9]
	;; [unrolled: 3-line block ×4, first 2 shown]
.LBB106_777:
	s_or_b32 exec_lo, exec_lo, s0
	v_lshl_add_u32 v0, v123, 3, v120
	s_barrier
	buffer_gl0_inv
	v_mov_b32_e32 v114, 46
	ds_write_b64 v0, v[20:21]
	s_waitcnt lgkmcnt(0)
	s_barrier
	buffer_gl0_inv
	ds_read_b64 v[0:1], v120 offset:368
	s_cmp_lt_i32 s7, 48
	s_cbranch_scc1 .LBB106_780
; %bb.778:
	v_add3_u32 v115, v121, 0, 0x178
	v_mov_b32_e32 v114, 46
	s_mov_b32 s0, 47
.LBB106_779:                            ; =>This Inner Loop Header: Depth=1
	ds_read_b64 v[124:125], v115
	v_add_nc_u32_e32 v115, 8, v115
	s_waitcnt lgkmcnt(0)
	v_cmp_lt_f64_e64 vcc_lo, |v[0:1]|, |v[124:125]|
	v_cndmask_b32_e32 v1, v1, v125, vcc_lo
	v_cndmask_b32_e32 v0, v0, v124, vcc_lo
	v_cndmask_b32_e64 v114, v114, s0, vcc_lo
	s_add_i32 s0, s0, 1
	s_cmp_lg_u32 s7, s0
	s_cbranch_scc1 .LBB106_779
.LBB106_780:
	s_mov_b32 s0, exec_lo
	s_waitcnt lgkmcnt(0)
	v_cmpx_eq_f64_e32 0, v[0:1]
	s_xor_b32 s0, exec_lo, s0
; %bb.781:
	v_cmp_ne_u32_e32 vcc_lo, 0, v117
	v_cndmask_b32_e32 v117, 47, v117, vcc_lo
; %bb.782:
	s_andn2_saveexec_b32 s0, s0
	s_cbranch_execz .LBB106_784
; %bb.783:
	v_div_scale_f64 v[115:116], null, v[0:1], v[0:1], 1.0
	v_rcp_f64_e32 v[124:125], v[115:116]
	v_fma_f64 v[126:127], -v[115:116], v[124:125], 1.0
	v_fma_f64 v[124:125], v[124:125], v[126:127], v[124:125]
	v_fma_f64 v[126:127], -v[115:116], v[124:125], 1.0
	v_fma_f64 v[124:125], v[124:125], v[126:127], v[124:125]
	v_div_scale_f64 v[126:127], vcc_lo, 1.0, v[0:1], 1.0
	v_mul_f64 v[128:129], v[126:127], v[124:125]
	v_fma_f64 v[115:116], -v[115:116], v[128:129], v[126:127]
	v_div_fmas_f64 v[115:116], v[115:116], v[124:125], v[128:129]
	v_div_fixup_f64 v[0:1], v[115:116], v[0:1], 1.0
.LBB106_784:
	s_or_b32 exec_lo, exec_lo, s0
	s_mov_b32 s0, exec_lo
	v_cmpx_ne_u32_e64 v123, v114
	s_xor_b32 s0, exec_lo, s0
	s_cbranch_execz .LBB106_790
; %bb.785:
	s_mov_b32 s1, exec_lo
	v_cmpx_eq_u32_e32 46, v123
	s_cbranch_execz .LBB106_789
; %bb.786:
	v_cmp_ne_u32_e32 vcc_lo, 46, v114
	s_xor_b32 s2, s6, -1
	s_and_b32 s3, s2, vcc_lo
	s_and_saveexec_b32 s2, s3
	s_cbranch_execz .LBB106_788
; %bb.787:
	v_ashrrev_i32_e32 v115, 31, v114
	v_lshlrev_b64 v[115:116], 2, v[114:115]
	v_add_co_u32 v115, vcc_lo, v4, v115
	v_add_co_ci_u32_e64 v116, null, v5, v116, vcc_lo
	s_clause 0x1
	global_load_dword v122, v[115:116], off
	global_load_dword v123, v[4:5], off offset:184
	s_waitcnt vmcnt(1)
	global_store_dword v[4:5], v122, off offset:184
	s_waitcnt vmcnt(0)
	global_store_dword v[115:116], v123, off
.LBB106_788:
	s_or_b32 exec_lo, exec_lo, s2
	v_mov_b32_e32 v122, v114
	v_mov_b32_e32 v123, v114
.LBB106_789:
	s_or_b32 exec_lo, exec_lo, s1
.LBB106_790:
	s_andn2_saveexec_b32 s0, s0
	s_cbranch_execz .LBB106_792
; %bb.791:
	v_mov_b32_e32 v123, 46
	ds_write2_b64 v120, v[16:17], v[14:15] offset0:47 offset1:48
	ds_write2_b64 v120, v[8:9], v[12:13] offset0:49 offset1:50
	ds_write2_b64 v120, v[6:7], v[10:11] offset0:51 offset1:52
	ds_write_b64 v120, v[112:113] offset:424
.LBB106_792:
	s_or_b32 exec_lo, exec_lo, s0
	s_mov_b32 s0, exec_lo
	s_waitcnt lgkmcnt(0)
	s_waitcnt_vscnt null, 0x0
	s_barrier
	buffer_gl0_inv
	v_cmpx_lt_i32_e32 46, v123
	s_cbranch_execz .LBB106_794
; %bb.793:
	v_mul_f64 v[20:21], v[0:1], v[20:21]
	ds_read2_b64 v[124:127], v120 offset0:47 offset1:48
	ds_read2_b64 v[128:131], v120 offset0:49 offset1:50
	;; [unrolled: 1-line block ×3, first 2 shown]
	ds_read_b64 v[0:1], v120 offset:424
	s_waitcnt lgkmcnt(3)
	v_fma_f64 v[16:17], -v[20:21], v[124:125], v[16:17]
	v_fma_f64 v[14:15], -v[20:21], v[126:127], v[14:15]
	s_waitcnt lgkmcnt(2)
	v_fma_f64 v[8:9], -v[20:21], v[128:129], v[8:9]
	v_fma_f64 v[12:13], -v[20:21], v[130:131], v[12:13]
	;; [unrolled: 3-line block ×3, first 2 shown]
	s_waitcnt lgkmcnt(0)
	v_fma_f64 v[112:113], -v[20:21], v[0:1], v[112:113]
.LBB106_794:
	s_or_b32 exec_lo, exec_lo, s0
	v_lshl_add_u32 v0, v123, 3, v120
	s_barrier
	buffer_gl0_inv
	v_mov_b32_e32 v114, 47
	ds_write_b64 v0, v[16:17]
	s_waitcnt lgkmcnt(0)
	s_barrier
	buffer_gl0_inv
	ds_read_b64 v[0:1], v120 offset:376
	s_cmp_lt_i32 s7, 49
	s_cbranch_scc1 .LBB106_797
; %bb.795:
	v_add3_u32 v115, v121, 0, 0x180
	v_mov_b32_e32 v114, 47
	s_mov_b32 s0, 48
.LBB106_796:                            ; =>This Inner Loop Header: Depth=1
	ds_read_b64 v[124:125], v115
	v_add_nc_u32_e32 v115, 8, v115
	s_waitcnt lgkmcnt(0)
	v_cmp_lt_f64_e64 vcc_lo, |v[0:1]|, |v[124:125]|
	v_cndmask_b32_e32 v1, v1, v125, vcc_lo
	v_cndmask_b32_e32 v0, v0, v124, vcc_lo
	v_cndmask_b32_e64 v114, v114, s0, vcc_lo
	s_add_i32 s0, s0, 1
	s_cmp_lg_u32 s7, s0
	s_cbranch_scc1 .LBB106_796
.LBB106_797:
	s_mov_b32 s0, exec_lo
	s_waitcnt lgkmcnt(0)
	v_cmpx_eq_f64_e32 0, v[0:1]
	s_xor_b32 s0, exec_lo, s0
; %bb.798:
	v_cmp_ne_u32_e32 vcc_lo, 0, v117
	v_cndmask_b32_e32 v117, 48, v117, vcc_lo
; %bb.799:
	s_andn2_saveexec_b32 s0, s0
	s_cbranch_execz .LBB106_801
; %bb.800:
	v_div_scale_f64 v[115:116], null, v[0:1], v[0:1], 1.0
	v_rcp_f64_e32 v[124:125], v[115:116]
	v_fma_f64 v[126:127], -v[115:116], v[124:125], 1.0
	v_fma_f64 v[124:125], v[124:125], v[126:127], v[124:125]
	v_fma_f64 v[126:127], -v[115:116], v[124:125], 1.0
	v_fma_f64 v[124:125], v[124:125], v[126:127], v[124:125]
	v_div_scale_f64 v[126:127], vcc_lo, 1.0, v[0:1], 1.0
	v_mul_f64 v[128:129], v[126:127], v[124:125]
	v_fma_f64 v[115:116], -v[115:116], v[128:129], v[126:127]
	v_div_fmas_f64 v[115:116], v[115:116], v[124:125], v[128:129]
	v_div_fixup_f64 v[0:1], v[115:116], v[0:1], 1.0
.LBB106_801:
	s_or_b32 exec_lo, exec_lo, s0
	s_mov_b32 s0, exec_lo
	v_cmpx_ne_u32_e64 v123, v114
	s_xor_b32 s0, exec_lo, s0
	s_cbranch_execz .LBB106_807
; %bb.802:
	s_mov_b32 s1, exec_lo
	v_cmpx_eq_u32_e32 47, v123
	s_cbranch_execz .LBB106_806
; %bb.803:
	v_cmp_ne_u32_e32 vcc_lo, 47, v114
	s_xor_b32 s2, s6, -1
	s_and_b32 s3, s2, vcc_lo
	s_and_saveexec_b32 s2, s3
	s_cbranch_execz .LBB106_805
; %bb.804:
	v_ashrrev_i32_e32 v115, 31, v114
	v_lshlrev_b64 v[115:116], 2, v[114:115]
	v_add_co_u32 v115, vcc_lo, v4, v115
	v_add_co_ci_u32_e64 v116, null, v5, v116, vcc_lo
	s_clause 0x1
	global_load_dword v122, v[115:116], off
	global_load_dword v123, v[4:5], off offset:188
	s_waitcnt vmcnt(1)
	global_store_dword v[4:5], v122, off offset:188
	s_waitcnt vmcnt(0)
	global_store_dword v[115:116], v123, off
.LBB106_805:
	s_or_b32 exec_lo, exec_lo, s2
	v_mov_b32_e32 v122, v114
	v_mov_b32_e32 v123, v114
.LBB106_806:
	s_or_b32 exec_lo, exec_lo, s1
.LBB106_807:
	s_andn2_saveexec_b32 s0, s0
	s_cbranch_execz .LBB106_809
; %bb.808:
	v_mov_b32_e32 v114, v14
	v_mov_b32_e32 v115, v15
	;; [unrolled: 1-line block ×11, first 2 shown]
	ds_write2_b64 v120, v[114:115], v[124:125] offset0:48 offset1:49
	ds_write2_b64 v120, v[126:127], v[128:129] offset0:50 offset1:51
	;; [unrolled: 1-line block ×3, first 2 shown]
.LBB106_809:
	s_or_b32 exec_lo, exec_lo, s0
	s_mov_b32 s0, exec_lo
	s_waitcnt lgkmcnt(0)
	s_waitcnt_vscnt null, 0x0
	s_barrier
	buffer_gl0_inv
	v_cmpx_lt_i32_e32 47, v123
	s_cbranch_execz .LBB106_811
; %bb.810:
	v_mul_f64 v[16:17], v[0:1], v[16:17]
	ds_read2_b64 v[124:127], v120 offset0:48 offset1:49
	ds_read2_b64 v[128:131], v120 offset0:50 offset1:51
	;; [unrolled: 1-line block ×3, first 2 shown]
	s_waitcnt lgkmcnt(2)
	v_fma_f64 v[14:15], -v[16:17], v[124:125], v[14:15]
	v_fma_f64 v[8:9], -v[16:17], v[126:127], v[8:9]
	s_waitcnt lgkmcnt(1)
	v_fma_f64 v[12:13], -v[16:17], v[128:129], v[12:13]
	v_fma_f64 v[6:7], -v[16:17], v[130:131], v[6:7]
	s_waitcnt lgkmcnt(0)
	v_fma_f64 v[10:11], -v[16:17], v[132:133], v[10:11]
	v_fma_f64 v[112:113], -v[16:17], v[134:135], v[112:113]
.LBB106_811:
	s_or_b32 exec_lo, exec_lo, s0
	v_lshl_add_u32 v0, v123, 3, v120
	s_barrier
	buffer_gl0_inv
	v_mov_b32_e32 v114, 48
	ds_write_b64 v0, v[14:15]
	s_waitcnt lgkmcnt(0)
	s_barrier
	buffer_gl0_inv
	ds_read_b64 v[0:1], v120 offset:384
	s_cmp_lt_i32 s7, 50
	s_cbranch_scc1 .LBB106_814
; %bb.812:
	v_add3_u32 v115, v121, 0, 0x188
	v_mov_b32_e32 v114, 48
	s_mov_b32 s0, 49
.LBB106_813:                            ; =>This Inner Loop Header: Depth=1
	ds_read_b64 v[124:125], v115
	v_add_nc_u32_e32 v115, 8, v115
	s_waitcnt lgkmcnt(0)
	v_cmp_lt_f64_e64 vcc_lo, |v[0:1]|, |v[124:125]|
	v_cndmask_b32_e32 v1, v1, v125, vcc_lo
	v_cndmask_b32_e32 v0, v0, v124, vcc_lo
	v_cndmask_b32_e64 v114, v114, s0, vcc_lo
	s_add_i32 s0, s0, 1
	s_cmp_lg_u32 s7, s0
	s_cbranch_scc1 .LBB106_813
.LBB106_814:
	s_mov_b32 s0, exec_lo
	s_waitcnt lgkmcnt(0)
	v_cmpx_eq_f64_e32 0, v[0:1]
	s_xor_b32 s0, exec_lo, s0
; %bb.815:
	v_cmp_ne_u32_e32 vcc_lo, 0, v117
	v_cndmask_b32_e32 v117, 49, v117, vcc_lo
; %bb.816:
	s_andn2_saveexec_b32 s0, s0
	s_cbranch_execz .LBB106_818
; %bb.817:
	v_div_scale_f64 v[115:116], null, v[0:1], v[0:1], 1.0
	v_rcp_f64_e32 v[124:125], v[115:116]
	v_fma_f64 v[126:127], -v[115:116], v[124:125], 1.0
	v_fma_f64 v[124:125], v[124:125], v[126:127], v[124:125]
	v_fma_f64 v[126:127], -v[115:116], v[124:125], 1.0
	v_fma_f64 v[124:125], v[124:125], v[126:127], v[124:125]
	v_div_scale_f64 v[126:127], vcc_lo, 1.0, v[0:1], 1.0
	v_mul_f64 v[128:129], v[126:127], v[124:125]
	v_fma_f64 v[115:116], -v[115:116], v[128:129], v[126:127]
	v_div_fmas_f64 v[115:116], v[115:116], v[124:125], v[128:129]
	v_div_fixup_f64 v[0:1], v[115:116], v[0:1], 1.0
.LBB106_818:
	s_or_b32 exec_lo, exec_lo, s0
	s_mov_b32 s0, exec_lo
	v_cmpx_ne_u32_e64 v123, v114
	s_xor_b32 s0, exec_lo, s0
	s_cbranch_execz .LBB106_824
; %bb.819:
	s_mov_b32 s1, exec_lo
	v_cmpx_eq_u32_e32 48, v123
	s_cbranch_execz .LBB106_823
; %bb.820:
	v_cmp_ne_u32_e32 vcc_lo, 48, v114
	s_xor_b32 s2, s6, -1
	s_and_b32 s3, s2, vcc_lo
	s_and_saveexec_b32 s2, s3
	s_cbranch_execz .LBB106_822
; %bb.821:
	v_ashrrev_i32_e32 v115, 31, v114
	v_lshlrev_b64 v[115:116], 2, v[114:115]
	v_add_co_u32 v115, vcc_lo, v4, v115
	v_add_co_ci_u32_e64 v116, null, v5, v116, vcc_lo
	s_clause 0x1
	global_load_dword v122, v[115:116], off
	global_load_dword v123, v[4:5], off offset:192
	s_waitcnt vmcnt(1)
	global_store_dword v[4:5], v122, off offset:192
	s_waitcnt vmcnt(0)
	global_store_dword v[115:116], v123, off
.LBB106_822:
	s_or_b32 exec_lo, exec_lo, s2
	v_mov_b32_e32 v122, v114
	v_mov_b32_e32 v123, v114
.LBB106_823:
	s_or_b32 exec_lo, exec_lo, s1
.LBB106_824:
	s_andn2_saveexec_b32 s0, s0
	s_cbranch_execz .LBB106_826
; %bb.825:
	v_mov_b32_e32 v123, 48
	ds_write2_b64 v120, v[8:9], v[12:13] offset0:49 offset1:50
	ds_write2_b64 v120, v[6:7], v[10:11] offset0:51 offset1:52
	ds_write_b64 v120, v[112:113] offset:424
.LBB106_826:
	s_or_b32 exec_lo, exec_lo, s0
	s_mov_b32 s0, exec_lo
	s_waitcnt lgkmcnt(0)
	s_waitcnt_vscnt null, 0x0
	s_barrier
	buffer_gl0_inv
	v_cmpx_lt_i32_e32 48, v123
	s_cbranch_execz .LBB106_828
; %bb.827:
	v_mul_f64 v[14:15], v[0:1], v[14:15]
	ds_read2_b64 v[124:127], v120 offset0:49 offset1:50
	ds_read2_b64 v[128:131], v120 offset0:51 offset1:52
	ds_read_b64 v[0:1], v120 offset:424
	s_waitcnt lgkmcnt(2)
	v_fma_f64 v[8:9], -v[14:15], v[124:125], v[8:9]
	v_fma_f64 v[12:13], -v[14:15], v[126:127], v[12:13]
	s_waitcnt lgkmcnt(1)
	v_fma_f64 v[6:7], -v[14:15], v[128:129], v[6:7]
	v_fma_f64 v[10:11], -v[14:15], v[130:131], v[10:11]
	s_waitcnt lgkmcnt(0)
	v_fma_f64 v[112:113], -v[14:15], v[0:1], v[112:113]
.LBB106_828:
	s_or_b32 exec_lo, exec_lo, s0
	v_lshl_add_u32 v0, v123, 3, v120
	s_barrier
	buffer_gl0_inv
	v_mov_b32_e32 v114, 49
	ds_write_b64 v0, v[8:9]
	s_waitcnt lgkmcnt(0)
	s_barrier
	buffer_gl0_inv
	ds_read_b64 v[0:1], v120 offset:392
	s_cmp_lt_i32 s7, 51
	s_cbranch_scc1 .LBB106_831
; %bb.829:
	v_add3_u32 v115, v121, 0, 0x190
	v_mov_b32_e32 v114, 49
	s_mov_b32 s0, 50
.LBB106_830:                            ; =>This Inner Loop Header: Depth=1
	ds_read_b64 v[124:125], v115
	v_add_nc_u32_e32 v115, 8, v115
	s_waitcnt lgkmcnt(0)
	v_cmp_lt_f64_e64 vcc_lo, |v[0:1]|, |v[124:125]|
	v_cndmask_b32_e32 v1, v1, v125, vcc_lo
	v_cndmask_b32_e32 v0, v0, v124, vcc_lo
	v_cndmask_b32_e64 v114, v114, s0, vcc_lo
	s_add_i32 s0, s0, 1
	s_cmp_lg_u32 s7, s0
	s_cbranch_scc1 .LBB106_830
.LBB106_831:
	s_mov_b32 s0, exec_lo
	s_waitcnt lgkmcnt(0)
	v_cmpx_eq_f64_e32 0, v[0:1]
	s_xor_b32 s0, exec_lo, s0
; %bb.832:
	v_cmp_ne_u32_e32 vcc_lo, 0, v117
	v_cndmask_b32_e32 v117, 50, v117, vcc_lo
; %bb.833:
	s_andn2_saveexec_b32 s0, s0
	s_cbranch_execz .LBB106_835
; %bb.834:
	v_div_scale_f64 v[115:116], null, v[0:1], v[0:1], 1.0
	v_rcp_f64_e32 v[124:125], v[115:116]
	v_fma_f64 v[126:127], -v[115:116], v[124:125], 1.0
	v_fma_f64 v[124:125], v[124:125], v[126:127], v[124:125]
	v_fma_f64 v[126:127], -v[115:116], v[124:125], 1.0
	v_fma_f64 v[124:125], v[124:125], v[126:127], v[124:125]
	v_div_scale_f64 v[126:127], vcc_lo, 1.0, v[0:1], 1.0
	v_mul_f64 v[128:129], v[126:127], v[124:125]
	v_fma_f64 v[115:116], -v[115:116], v[128:129], v[126:127]
	v_div_fmas_f64 v[115:116], v[115:116], v[124:125], v[128:129]
	v_div_fixup_f64 v[0:1], v[115:116], v[0:1], 1.0
.LBB106_835:
	s_or_b32 exec_lo, exec_lo, s0
	s_mov_b32 s0, exec_lo
	v_cmpx_ne_u32_e64 v123, v114
	s_xor_b32 s0, exec_lo, s0
	s_cbranch_execz .LBB106_841
; %bb.836:
	s_mov_b32 s1, exec_lo
	v_cmpx_eq_u32_e32 49, v123
	s_cbranch_execz .LBB106_840
; %bb.837:
	v_cmp_ne_u32_e32 vcc_lo, 49, v114
	s_xor_b32 s2, s6, -1
	s_and_b32 s3, s2, vcc_lo
	s_and_saveexec_b32 s2, s3
	s_cbranch_execz .LBB106_839
; %bb.838:
	v_ashrrev_i32_e32 v115, 31, v114
	v_lshlrev_b64 v[115:116], 2, v[114:115]
	v_add_co_u32 v115, vcc_lo, v4, v115
	v_add_co_ci_u32_e64 v116, null, v5, v116, vcc_lo
	s_clause 0x1
	global_load_dword v122, v[115:116], off
	global_load_dword v123, v[4:5], off offset:196
	s_waitcnt vmcnt(1)
	global_store_dword v[4:5], v122, off offset:196
	s_waitcnt vmcnt(0)
	global_store_dword v[115:116], v123, off
.LBB106_839:
	s_or_b32 exec_lo, exec_lo, s2
	v_mov_b32_e32 v122, v114
	v_mov_b32_e32 v123, v114
.LBB106_840:
	s_or_b32 exec_lo, exec_lo, s1
.LBB106_841:
	s_andn2_saveexec_b32 s0, s0
	s_cbranch_execz .LBB106_843
; %bb.842:
	v_mov_b32_e32 v114, v12
	v_mov_b32_e32 v115, v13
	;; [unrolled: 1-line block ×7, first 2 shown]
	ds_write2_b64 v120, v[114:115], v[124:125] offset0:50 offset1:51
	ds_write2_b64 v120, v[126:127], v[112:113] offset0:52 offset1:53
.LBB106_843:
	s_or_b32 exec_lo, exec_lo, s0
	s_mov_b32 s0, exec_lo
	s_waitcnt lgkmcnt(0)
	s_waitcnt_vscnt null, 0x0
	s_barrier
	buffer_gl0_inv
	v_cmpx_lt_i32_e32 49, v123
	s_cbranch_execz .LBB106_845
; %bb.844:
	v_mul_f64 v[8:9], v[0:1], v[8:9]
	ds_read2_b64 v[124:127], v120 offset0:50 offset1:51
	ds_read2_b64 v[128:131], v120 offset0:52 offset1:53
	s_waitcnt lgkmcnt(1)
	v_fma_f64 v[12:13], -v[8:9], v[124:125], v[12:13]
	v_fma_f64 v[6:7], -v[8:9], v[126:127], v[6:7]
	s_waitcnt lgkmcnt(0)
	v_fma_f64 v[10:11], -v[8:9], v[128:129], v[10:11]
	v_fma_f64 v[112:113], -v[8:9], v[130:131], v[112:113]
.LBB106_845:
	s_or_b32 exec_lo, exec_lo, s0
	v_lshl_add_u32 v0, v123, 3, v120
	s_barrier
	buffer_gl0_inv
	v_mov_b32_e32 v114, 50
	ds_write_b64 v0, v[12:13]
	s_waitcnt lgkmcnt(0)
	s_barrier
	buffer_gl0_inv
	ds_read_b64 v[0:1], v120 offset:400
	s_cmp_lt_i32 s7, 52
	s_cbranch_scc1 .LBB106_848
; %bb.846:
	v_add3_u32 v115, v121, 0, 0x198
	v_mov_b32_e32 v114, 50
	s_mov_b32 s0, 51
.LBB106_847:                            ; =>This Inner Loop Header: Depth=1
	ds_read_b64 v[124:125], v115
	v_add_nc_u32_e32 v115, 8, v115
	s_waitcnt lgkmcnt(0)
	v_cmp_lt_f64_e64 vcc_lo, |v[0:1]|, |v[124:125]|
	v_cndmask_b32_e32 v1, v1, v125, vcc_lo
	v_cndmask_b32_e32 v0, v0, v124, vcc_lo
	v_cndmask_b32_e64 v114, v114, s0, vcc_lo
	s_add_i32 s0, s0, 1
	s_cmp_lg_u32 s7, s0
	s_cbranch_scc1 .LBB106_847
.LBB106_848:
	s_mov_b32 s0, exec_lo
	s_waitcnt lgkmcnt(0)
	v_cmpx_eq_f64_e32 0, v[0:1]
	s_xor_b32 s0, exec_lo, s0
; %bb.849:
	v_cmp_ne_u32_e32 vcc_lo, 0, v117
	v_cndmask_b32_e32 v117, 51, v117, vcc_lo
; %bb.850:
	s_andn2_saveexec_b32 s0, s0
	s_cbranch_execz .LBB106_852
; %bb.851:
	v_div_scale_f64 v[115:116], null, v[0:1], v[0:1], 1.0
	v_rcp_f64_e32 v[124:125], v[115:116]
	v_fma_f64 v[126:127], -v[115:116], v[124:125], 1.0
	v_fma_f64 v[124:125], v[124:125], v[126:127], v[124:125]
	v_fma_f64 v[126:127], -v[115:116], v[124:125], 1.0
	v_fma_f64 v[124:125], v[124:125], v[126:127], v[124:125]
	v_div_scale_f64 v[126:127], vcc_lo, 1.0, v[0:1], 1.0
	v_mul_f64 v[128:129], v[126:127], v[124:125]
	v_fma_f64 v[115:116], -v[115:116], v[128:129], v[126:127]
	v_div_fmas_f64 v[115:116], v[115:116], v[124:125], v[128:129]
	v_div_fixup_f64 v[0:1], v[115:116], v[0:1], 1.0
.LBB106_852:
	s_or_b32 exec_lo, exec_lo, s0
	s_mov_b32 s0, exec_lo
	v_cmpx_ne_u32_e64 v123, v114
	s_xor_b32 s0, exec_lo, s0
	s_cbranch_execz .LBB106_858
; %bb.853:
	s_mov_b32 s1, exec_lo
	v_cmpx_eq_u32_e32 50, v123
	s_cbranch_execz .LBB106_857
; %bb.854:
	v_cmp_ne_u32_e32 vcc_lo, 50, v114
	s_xor_b32 s2, s6, -1
	s_and_b32 s3, s2, vcc_lo
	s_and_saveexec_b32 s2, s3
	s_cbranch_execz .LBB106_856
; %bb.855:
	v_ashrrev_i32_e32 v115, 31, v114
	v_lshlrev_b64 v[115:116], 2, v[114:115]
	v_add_co_u32 v115, vcc_lo, v4, v115
	v_add_co_ci_u32_e64 v116, null, v5, v116, vcc_lo
	s_clause 0x1
	global_load_dword v122, v[115:116], off
	global_load_dword v123, v[4:5], off offset:200
	s_waitcnt vmcnt(1)
	global_store_dword v[4:5], v122, off offset:200
	s_waitcnt vmcnt(0)
	global_store_dword v[115:116], v123, off
.LBB106_856:
	s_or_b32 exec_lo, exec_lo, s2
	v_mov_b32_e32 v122, v114
	v_mov_b32_e32 v123, v114
.LBB106_857:
	s_or_b32 exec_lo, exec_lo, s1
.LBB106_858:
	s_andn2_saveexec_b32 s0, s0
	s_cbranch_execz .LBB106_860
; %bb.859:
	v_mov_b32_e32 v123, 50
	ds_write2_b64 v120, v[6:7], v[10:11] offset0:51 offset1:52
	ds_write_b64 v120, v[112:113] offset:424
.LBB106_860:
	s_or_b32 exec_lo, exec_lo, s0
	s_mov_b32 s0, exec_lo
	s_waitcnt lgkmcnt(0)
	s_waitcnt_vscnt null, 0x0
	s_barrier
	buffer_gl0_inv
	v_cmpx_lt_i32_e32 50, v123
	s_cbranch_execz .LBB106_862
; %bb.861:
	v_mul_f64 v[12:13], v[0:1], v[12:13]
	ds_read2_b64 v[124:127], v120 offset0:51 offset1:52
	ds_read_b64 v[0:1], v120 offset:424
	s_waitcnt lgkmcnt(1)
	v_fma_f64 v[6:7], -v[12:13], v[124:125], v[6:7]
	v_fma_f64 v[10:11], -v[12:13], v[126:127], v[10:11]
	s_waitcnt lgkmcnt(0)
	v_fma_f64 v[112:113], -v[12:13], v[0:1], v[112:113]
.LBB106_862:
	s_or_b32 exec_lo, exec_lo, s0
	v_lshl_add_u32 v0, v123, 3, v120
	s_barrier
	buffer_gl0_inv
	v_mov_b32_e32 v114, 51
	ds_write_b64 v0, v[6:7]
	s_waitcnt lgkmcnt(0)
	s_barrier
	buffer_gl0_inv
	ds_read_b64 v[0:1], v120 offset:408
	s_cmp_lt_i32 s7, 53
	s_cbranch_scc1 .LBB106_865
; %bb.863:
	v_add3_u32 v115, v121, 0, 0x1a0
	v_mov_b32_e32 v114, 51
	s_mov_b32 s0, 52
.LBB106_864:                            ; =>This Inner Loop Header: Depth=1
	ds_read_b64 v[124:125], v115
	v_add_nc_u32_e32 v115, 8, v115
	s_waitcnt lgkmcnt(0)
	v_cmp_lt_f64_e64 vcc_lo, |v[0:1]|, |v[124:125]|
	v_cndmask_b32_e32 v1, v1, v125, vcc_lo
	v_cndmask_b32_e32 v0, v0, v124, vcc_lo
	v_cndmask_b32_e64 v114, v114, s0, vcc_lo
	s_add_i32 s0, s0, 1
	s_cmp_lg_u32 s7, s0
	s_cbranch_scc1 .LBB106_864
.LBB106_865:
	s_mov_b32 s0, exec_lo
	s_waitcnt lgkmcnt(0)
	v_cmpx_eq_f64_e32 0, v[0:1]
	s_xor_b32 s0, exec_lo, s0
; %bb.866:
	v_cmp_ne_u32_e32 vcc_lo, 0, v117
	v_cndmask_b32_e32 v117, 52, v117, vcc_lo
; %bb.867:
	s_andn2_saveexec_b32 s0, s0
	s_cbranch_execz .LBB106_869
; %bb.868:
	v_div_scale_f64 v[115:116], null, v[0:1], v[0:1], 1.0
	v_rcp_f64_e32 v[124:125], v[115:116]
	v_fma_f64 v[126:127], -v[115:116], v[124:125], 1.0
	v_fma_f64 v[124:125], v[124:125], v[126:127], v[124:125]
	v_fma_f64 v[126:127], -v[115:116], v[124:125], 1.0
	v_fma_f64 v[124:125], v[124:125], v[126:127], v[124:125]
	v_div_scale_f64 v[126:127], vcc_lo, 1.0, v[0:1], 1.0
	v_mul_f64 v[128:129], v[126:127], v[124:125]
	v_fma_f64 v[115:116], -v[115:116], v[128:129], v[126:127]
	v_div_fmas_f64 v[115:116], v[115:116], v[124:125], v[128:129]
	v_div_fixup_f64 v[0:1], v[115:116], v[0:1], 1.0
.LBB106_869:
	s_or_b32 exec_lo, exec_lo, s0
	s_mov_b32 s0, exec_lo
	v_cmpx_ne_u32_e64 v123, v114
	s_xor_b32 s0, exec_lo, s0
	s_cbranch_execz .LBB106_875
; %bb.870:
	s_mov_b32 s1, exec_lo
	v_cmpx_eq_u32_e32 51, v123
	s_cbranch_execz .LBB106_874
; %bb.871:
	v_cmp_ne_u32_e32 vcc_lo, 51, v114
	s_xor_b32 s2, s6, -1
	s_and_b32 s3, s2, vcc_lo
	s_and_saveexec_b32 s2, s3
	s_cbranch_execz .LBB106_873
; %bb.872:
	v_ashrrev_i32_e32 v115, 31, v114
	v_lshlrev_b64 v[115:116], 2, v[114:115]
	v_add_co_u32 v115, vcc_lo, v4, v115
	v_add_co_ci_u32_e64 v116, null, v5, v116, vcc_lo
	s_clause 0x1
	global_load_dword v122, v[115:116], off
	global_load_dword v123, v[4:5], off offset:204
	s_waitcnt vmcnt(1)
	global_store_dword v[4:5], v122, off offset:204
	s_waitcnt vmcnt(0)
	global_store_dword v[115:116], v123, off
.LBB106_873:
	s_or_b32 exec_lo, exec_lo, s2
	v_mov_b32_e32 v122, v114
	v_mov_b32_e32 v123, v114
.LBB106_874:
	s_or_b32 exec_lo, exec_lo, s1
.LBB106_875:
	s_andn2_saveexec_b32 s0, s0
	s_cbranch_execz .LBB106_877
; %bb.876:
	v_mov_b32_e32 v114, v10
	v_mov_b32_e32 v115, v11
	;; [unrolled: 1-line block ×3, first 2 shown]
	ds_write2_b64 v120, v[114:115], v[112:113] offset0:52 offset1:53
.LBB106_877:
	s_or_b32 exec_lo, exec_lo, s0
	s_mov_b32 s0, exec_lo
	s_waitcnt lgkmcnt(0)
	s_waitcnt_vscnt null, 0x0
	s_barrier
	buffer_gl0_inv
	v_cmpx_lt_i32_e32 51, v123
	s_cbranch_execz .LBB106_879
; %bb.878:
	v_mul_f64 v[6:7], v[0:1], v[6:7]
	ds_read2_b64 v[124:127], v120 offset0:52 offset1:53
	s_waitcnt lgkmcnt(0)
	v_fma_f64 v[10:11], -v[6:7], v[124:125], v[10:11]
	v_fma_f64 v[112:113], -v[6:7], v[126:127], v[112:113]
.LBB106_879:
	s_or_b32 exec_lo, exec_lo, s0
	v_lshl_add_u32 v0, v123, 3, v120
	s_barrier
	buffer_gl0_inv
	v_mov_b32_e32 v114, 52
	ds_write_b64 v0, v[10:11]
	s_waitcnt lgkmcnt(0)
	s_barrier
	buffer_gl0_inv
	ds_read_b64 v[0:1], v120 offset:416
	s_cmp_lt_i32 s7, 54
	s_cbranch_scc1 .LBB106_882
; %bb.880:
	v_add3_u32 v115, v121, 0, 0x1a8
	v_mov_b32_e32 v114, 52
	s_mov_b32 s0, 53
.LBB106_881:                            ; =>This Inner Loop Header: Depth=1
	ds_read_b64 v[124:125], v115
	v_add_nc_u32_e32 v115, 8, v115
	s_waitcnt lgkmcnt(0)
	v_cmp_lt_f64_e64 vcc_lo, |v[0:1]|, |v[124:125]|
	v_cndmask_b32_e32 v1, v1, v125, vcc_lo
	v_cndmask_b32_e32 v0, v0, v124, vcc_lo
	v_cndmask_b32_e64 v114, v114, s0, vcc_lo
	s_add_i32 s0, s0, 1
	s_cmp_lg_u32 s7, s0
	s_cbranch_scc1 .LBB106_881
.LBB106_882:
	s_mov_b32 s0, exec_lo
	s_waitcnt lgkmcnt(0)
	v_cmpx_eq_f64_e32 0, v[0:1]
	s_xor_b32 s0, exec_lo, s0
; %bb.883:
	v_cmp_ne_u32_e32 vcc_lo, 0, v117
	v_cndmask_b32_e32 v117, 53, v117, vcc_lo
; %bb.884:
	s_andn2_saveexec_b32 s0, s0
	s_cbranch_execz .LBB106_886
; %bb.885:
	v_div_scale_f64 v[115:116], null, v[0:1], v[0:1], 1.0
	v_rcp_f64_e32 v[124:125], v[115:116]
	v_fma_f64 v[126:127], -v[115:116], v[124:125], 1.0
	v_fma_f64 v[124:125], v[124:125], v[126:127], v[124:125]
	v_fma_f64 v[126:127], -v[115:116], v[124:125], 1.0
	v_fma_f64 v[124:125], v[124:125], v[126:127], v[124:125]
	v_div_scale_f64 v[126:127], vcc_lo, 1.0, v[0:1], 1.0
	v_mul_f64 v[128:129], v[126:127], v[124:125]
	v_fma_f64 v[115:116], -v[115:116], v[128:129], v[126:127]
	v_div_fmas_f64 v[115:116], v[115:116], v[124:125], v[128:129]
	v_div_fixup_f64 v[0:1], v[115:116], v[0:1], 1.0
.LBB106_886:
	s_or_b32 exec_lo, exec_lo, s0
	s_mov_b32 s0, exec_lo
	v_cmpx_ne_u32_e64 v123, v114
	s_xor_b32 s0, exec_lo, s0
	s_cbranch_execz .LBB106_892
; %bb.887:
	s_mov_b32 s1, exec_lo
	v_cmpx_eq_u32_e32 52, v123
	s_cbranch_execz .LBB106_891
; %bb.888:
	v_cmp_ne_u32_e32 vcc_lo, 52, v114
	s_xor_b32 s2, s6, -1
	s_and_b32 s3, s2, vcc_lo
	s_and_saveexec_b32 s2, s3
	s_cbranch_execz .LBB106_890
; %bb.889:
	v_ashrrev_i32_e32 v115, 31, v114
	v_lshlrev_b64 v[115:116], 2, v[114:115]
	v_add_co_u32 v115, vcc_lo, v4, v115
	v_add_co_ci_u32_e64 v116, null, v5, v116, vcc_lo
	s_clause 0x1
	global_load_dword v122, v[115:116], off
	global_load_dword v123, v[4:5], off offset:208
	s_waitcnt vmcnt(1)
	global_store_dword v[4:5], v122, off offset:208
	s_waitcnt vmcnt(0)
	global_store_dword v[115:116], v123, off
.LBB106_890:
	s_or_b32 exec_lo, exec_lo, s2
	v_mov_b32_e32 v122, v114
	v_mov_b32_e32 v123, v114
.LBB106_891:
	s_or_b32 exec_lo, exec_lo, s1
.LBB106_892:
	s_andn2_saveexec_b32 s0, s0
; %bb.893:
	v_mov_b32_e32 v123, 52
	ds_write_b64 v120, v[112:113] offset:424
; %bb.894:
	s_or_b32 exec_lo, exec_lo, s0
	s_mov_b32 s0, exec_lo
	s_waitcnt lgkmcnt(0)
	s_waitcnt_vscnt null, 0x0
	s_barrier
	buffer_gl0_inv
	v_cmpx_lt_i32_e32 52, v123
	s_cbranch_execz .LBB106_896
; %bb.895:
	v_mul_f64 v[10:11], v[0:1], v[10:11]
	ds_read_b64 v[0:1], v120 offset:424
	s_waitcnt lgkmcnt(0)
	v_fma_f64 v[112:113], -v[10:11], v[0:1], v[112:113]
.LBB106_896:
	s_or_b32 exec_lo, exec_lo, s0
	v_lshl_add_u32 v0, v123, 3, v120
	s_barrier
	buffer_gl0_inv
	v_mov_b32_e32 v114, 53
	ds_write_b64 v0, v[112:113]
	s_waitcnt lgkmcnt(0)
	s_barrier
	buffer_gl0_inv
	ds_read_b64 v[0:1], v120 offset:424
	s_cmp_lt_i32 s7, 55
	s_cbranch_scc1 .LBB106_899
; %bb.897:
	v_add3_u32 v115, v121, 0, 0x1b0
	v_mov_b32_e32 v114, 53
	s_mov_b32 s0, 54
.LBB106_898:                            ; =>This Inner Loop Header: Depth=1
	ds_read_b64 v[120:121], v115
	v_add_nc_u32_e32 v115, 8, v115
	s_waitcnt lgkmcnt(0)
	v_cmp_lt_f64_e64 vcc_lo, |v[0:1]|, |v[120:121]|
	v_cndmask_b32_e32 v1, v1, v121, vcc_lo
	v_cndmask_b32_e32 v0, v0, v120, vcc_lo
	v_cndmask_b32_e64 v114, v114, s0, vcc_lo
	s_add_i32 s0, s0, 1
	s_cmp_lg_u32 s7, s0
	s_cbranch_scc1 .LBB106_898
.LBB106_899:
	s_mov_b32 s0, exec_lo
	s_waitcnt lgkmcnt(0)
	v_cmpx_eq_f64_e32 0, v[0:1]
	s_xor_b32 s0, exec_lo, s0
; %bb.900:
	v_cmp_ne_u32_e32 vcc_lo, 0, v117
	v_cndmask_b32_e32 v117, 54, v117, vcc_lo
; %bb.901:
	s_andn2_saveexec_b32 s0, s0
	s_cbranch_execz .LBB106_903
; %bb.902:
	v_div_scale_f64 v[115:116], null, v[0:1], v[0:1], 1.0
	v_rcp_f64_e32 v[120:121], v[115:116]
	v_fma_f64 v[124:125], -v[115:116], v[120:121], 1.0
	v_fma_f64 v[120:121], v[120:121], v[124:125], v[120:121]
	v_fma_f64 v[124:125], -v[115:116], v[120:121], 1.0
	v_fma_f64 v[120:121], v[120:121], v[124:125], v[120:121]
	v_div_scale_f64 v[124:125], vcc_lo, 1.0, v[0:1], 1.0
	v_mul_f64 v[126:127], v[124:125], v[120:121]
	v_fma_f64 v[115:116], -v[115:116], v[126:127], v[124:125]
	v_div_fmas_f64 v[115:116], v[115:116], v[120:121], v[126:127]
	v_div_fixup_f64 v[0:1], v[115:116], v[0:1], 1.0
.LBB106_903:
	s_or_b32 exec_lo, exec_lo, s0
	v_mov_b32_e32 v115, 53
	s_mov_b32 s0, exec_lo
	v_cmpx_ne_u32_e64 v123, v114
	s_cbranch_execz .LBB106_909
; %bb.904:
	s_mov_b32 s1, exec_lo
	v_cmpx_eq_u32_e32 53, v123
	s_cbranch_execz .LBB106_908
; %bb.905:
	v_cmp_ne_u32_e32 vcc_lo, 53, v114
	s_xor_b32 s2, s6, -1
	s_and_b32 s3, s2, vcc_lo
	s_and_saveexec_b32 s2, s3
	s_cbranch_execz .LBB106_907
; %bb.906:
	v_ashrrev_i32_e32 v115, 31, v114
	v_lshlrev_b64 v[115:116], 2, v[114:115]
	v_add_co_u32 v115, vcc_lo, v4, v115
	v_add_co_ci_u32_e64 v116, null, v5, v116, vcc_lo
	s_clause 0x1
	global_load_dword v120, v[115:116], off
	global_load_dword v121, v[4:5], off offset:212
	s_waitcnt vmcnt(1)
	global_store_dword v[4:5], v120, off offset:212
	s_waitcnt vmcnt(0)
	global_store_dword v[115:116], v121, off
.LBB106_907:
	s_or_b32 exec_lo, exec_lo, s2
	v_mov_b32_e32 v122, v114
	v_mov_b32_e32 v123, v114
.LBB106_908:
	s_or_b32 exec_lo, exec_lo, s1
	v_mov_b32_e32 v115, v123
.LBB106_909:
	s_or_b32 exec_lo, exec_lo, s0
	s_load_dwordx8 s[0:7], s[4:5], 0x28
	v_ashrrev_i32_e32 v116, 31, v115
	s_mov_b32 s9, exec_lo
	s_waitcnt lgkmcnt(0)
	s_waitcnt_vscnt null, 0x0
	s_barrier
	buffer_gl0_inv
	s_barrier
	buffer_gl0_inv
	v_cmpx_gt_i32_e32 54, v115
	s_cbranch_execz .LBB106_911
; %bb.910:
	v_mul_lo_u32 v114, s5, v2
	v_mul_lo_u32 v120, s4, v3
	v_mad_u64_u32 v[4:5], null, s4, v2, 0
	s_lshl_b64 s[2:3], s[2:3], 2
	v_add3_u32 v5, v5, v120, v114
	v_lshlrev_b64 v[4:5], 2, v[4:5]
	v_add_co_u32 v114, vcc_lo, s0, v4
	v_add_co_ci_u32_e64 v120, null, s1, v5, vcc_lo
	v_lshlrev_b64 v[4:5], 2, v[115:116]
	v_add_co_u32 v114, vcc_lo, v114, s2
	v_add_co_ci_u32_e64 v120, null, s3, v120, vcc_lo
	v_add_co_u32 v4, vcc_lo, v114, v4
	v_add_co_ci_u32_e64 v5, null, v120, v5, vcc_lo
	v_add3_u32 v114, v122, s13, 1
	global_store_dword v[4:5], v114, off
.LBB106_911:
	s_or_b32 exec_lo, exec_lo, s9
	s_mov_b32 s1, exec_lo
	v_cmpx_eq_u32_e32 0, v115
	s_cbranch_execz .LBB106_914
; %bb.912:
	v_lshlrev_b64 v[2:3], 2, v[2:3]
	v_cmp_ne_u32_e64 s0, 0, v117
	v_add_co_u32 v2, vcc_lo, s6, v2
	v_add_co_ci_u32_e64 v3, null, s7, v3, vcc_lo
	global_load_dword v4, v[2:3], off
	s_waitcnt vmcnt(0)
	v_cmp_eq_u32_e32 vcc_lo, 0, v4
	s_and_b32 s0, vcc_lo, s0
	s_and_b32 exec_lo, exec_lo, s0
	s_cbranch_execz .LBB106_914
; %bb.913:
	v_add_nc_u32_e32 v4, s13, v117
	global_store_dword v[2:3], v4, off
.LBB106_914:
	s_or_b32 exec_lo, exec_lo, s1
	v_lshlrev_b64 v[4:5], 3, v[115:116]
	v_mul_f64 v[0:1], v[0:1], v[112:113]
	v_add3_u32 v2, s8, s8, v115
	v_cmp_lt_i32_e32 vcc_lo, 53, v115
	v_add_co_u32 v4, s0, v118, v4
	v_add_nc_u32_e32 v114, s8, v2
	v_add_co_ci_u32_e64 v5, null, v119, v5, s0
	v_add_co_u32 v116, s0, v4, s10
	v_ashrrev_i32_e32 v3, 31, v2
	v_add_co_ci_u32_e64 v117, null, s11, v5, s0
	v_add_nc_u32_e32 v120, s8, v114
	v_ashrrev_i32_e32 v115, 31, v114
	v_lshlrev_b64 v[2:3], 3, v[2:3]
	flat_store_dwordx2 v[4:5], v[110:111]
	flat_store_dwordx2 v[116:117], v[108:109]
	v_add_nc_u32_e32 v108, s8, v120
	v_lshlrev_b64 v[4:5], 3, v[114:115]
	v_cndmask_b32_e32 v1, v113, v1, vcc_lo
	v_cndmask_b32_e32 v0, v112, v0, vcc_lo
	v_add_co_u32 v2, vcc_lo, v118, v2
	v_add_nc_u32_e32 v110, s8, v108
	v_ashrrev_i32_e32 v121, 31, v120
	v_add_co_ci_u32_e64 v3, null, v119, v3, vcc_lo
	v_add_co_u32 v4, vcc_lo, v118, v4
	v_ashrrev_i32_e32 v109, 31, v108
	v_add_co_ci_u32_e64 v5, null, v119, v5, vcc_lo
	v_ashrrev_i32_e32 v111, 31, v110
	v_lshlrev_b64 v[112:113], 3, v[120:121]
	flat_store_dwordx2 v[2:3], v[106:107]
	flat_store_dwordx2 v[4:5], v[104:105]
	v_lshlrev_b64 v[2:3], 3, v[108:109]
	v_add_nc_u32_e32 v106, s8, v110
	v_lshlrev_b64 v[104:105], 3, v[110:111]
	v_add_co_u32 v4, vcc_lo, v118, v112
	v_add_co_ci_u32_e64 v5, null, v119, v113, vcc_lo
	v_add_co_u32 v2, vcc_lo, v118, v2
	v_add_co_ci_u32_e64 v3, null, v119, v3, vcc_lo
	v_add_co_u32 v104, vcc_lo, v118, v104
	v_add_nc_u32_e32 v108, s8, v106
	v_add_co_ci_u32_e64 v105, null, v119, v105, vcc_lo
	v_ashrrev_i32_e32 v107, 31, v106
	flat_store_dwordx2 v[4:5], v[102:103]
	flat_store_dwordx2 v[2:3], v[98:99]
	flat_store_dwordx2 v[104:105], v[100:101]
	v_add_nc_u32_e32 v98, s8, v108
	v_ashrrev_i32_e32 v109, 31, v108
	v_lshlrev_b64 v[4:5], 3, v[106:107]
	v_add_nc_u32_e32 v100, s8, v98
	v_lshlrev_b64 v[2:3], 3, v[108:109]
	v_ashrrev_i32_e32 v99, 31, v98
	v_add_co_u32 v4, vcc_lo, v118, v4
	v_add_nc_u32_e32 v102, s8, v100
	v_add_co_ci_u32_e64 v5, null, v119, v5, vcc_lo
	v_add_co_u32 v2, vcc_lo, v118, v2
	v_ashrrev_i32_e32 v101, 31, v100
	v_add_co_ci_u32_e64 v3, null, v119, v3, vcc_lo
	v_ashrrev_i32_e32 v103, 31, v102
	v_lshlrev_b64 v[98:99], 3, v[98:99]
	flat_store_dwordx2 v[4:5], v[94:95]
	flat_store_dwordx2 v[2:3], v[96:97]
	v_lshlrev_b64 v[2:3], 3, v[100:101]
	v_add_nc_u32_e32 v96, s8, v102
	v_lshlrev_b64 v[94:95], 3, v[102:103]
	v_add_co_u32 v4, vcc_lo, v118, v98
	v_add_co_ci_u32_e64 v5, null, v119, v99, vcc_lo
	v_add_co_u32 v2, vcc_lo, v118, v2
	v_add_co_ci_u32_e64 v3, null, v119, v3, vcc_lo
	v_add_co_u32 v94, vcc_lo, v118, v94
	v_add_nc_u32_e32 v98, s8, v96
	v_add_co_ci_u32_e64 v95, null, v119, v95, vcc_lo
	v_ashrrev_i32_e32 v97, 31, v96
	flat_store_dwordx2 v[4:5], v[92:93]
	flat_store_dwordx2 v[2:3], v[90:91]
	flat_store_dwordx2 v[94:95], v[88:89]
	v_add_nc_u32_e32 v88, s8, v98
	v_ashrrev_i32_e32 v99, 31, v98
	v_lshlrev_b64 v[4:5], 3, v[96:97]
	v_add_nc_u32_e32 v90, s8, v88
	v_lshlrev_b64 v[2:3], 3, v[98:99]
	v_ashrrev_i32_e32 v89, 31, v88
	v_add_co_u32 v4, vcc_lo, v118, v4
	v_add_nc_u32_e32 v92, s8, v90
	;; [unrolled: 30-line block ×8, first 2 shown]
	v_add_co_ci_u32_e64 v5, null, v119, v5, vcc_lo
	v_add_co_u32 v2, vcc_lo, v118, v2
	v_ashrrev_i32_e32 v31, 31, v30
	v_add_co_ci_u32_e64 v3, null, v119, v3, vcc_lo
	v_ashrrev_i32_e32 v33, 31, v32
	v_lshlrev_b64 v[28:29], 3, v[28:29]
	flat_store_dwordx2 v[4:5], v[26:27]
	flat_store_dwordx2 v[2:3], v[24:25]
	v_lshlrev_b64 v[2:3], 3, v[30:31]
	v_add_nc_u32_e32 v26, s8, v32
	v_lshlrev_b64 v[24:25], 3, v[32:33]
	v_add_co_u32 v4, vcc_lo, v118, v28
	v_add_co_ci_u32_e64 v5, null, v119, v29, vcc_lo
	v_add_co_u32 v2, vcc_lo, v118, v2
	v_add_nc_u32_e32 v28, s8, v26
	v_add_co_ci_u32_e64 v3, null, v119, v3, vcc_lo
	v_add_co_u32 v24, vcc_lo, v118, v24
	v_ashrrev_i32_e32 v27, 31, v26
	v_add_co_ci_u32_e64 v25, null, v119, v25, vcc_lo
	v_ashrrev_i32_e32 v29, 31, v28
	flat_store_dwordx2 v[4:5], v[22:23]
	v_lshlrev_b64 v[4:5], 3, v[26:27]
	flat_store_dwordx2 v[2:3], v[18:19]
	flat_store_dwordx2 v[24:25], v[20:21]
	v_add_nc_u32_e32 v18, s8, v28
	v_lshlrev_b64 v[2:3], 3, v[28:29]
	v_add_co_u32 v4, vcc_lo, v118, v4
	v_add_nc_u32_e32 v20, s8, v18
	v_add_co_ci_u32_e64 v5, null, v119, v5, vcc_lo
	v_add_co_u32 v2, vcc_lo, v118, v2
	v_add_co_ci_u32_e64 v3, null, v119, v3, vcc_lo
	v_add_nc_u32_e32 v22, s8, v20
	v_ashrrev_i32_e32 v19, 31, v18
	flat_store_dwordx2 v[4:5], v[16:17]
	flat_store_dwordx2 v[2:3], v[14:15]
	v_ashrrev_i32_e32 v21, 31, v20
	v_add_nc_u32_e32 v14, s8, v22
	v_lshlrev_b64 v[4:5], 3, v[18:19]
	v_ashrrev_i32_e32 v23, 31, v22
	v_lshlrev_b64 v[2:3], 3, v[20:21]
	v_add_nc_u32_e32 v18, s8, v14
	v_ashrrev_i32_e32 v15, 31, v14
	v_lshlrev_b64 v[16:17], 3, v[22:23]
	v_add_co_u32 v4, vcc_lo, v118, v4
	v_ashrrev_i32_e32 v19, 31, v18
	v_lshlrev_b64 v[14:15], 3, v[14:15]
	v_add_co_ci_u32_e64 v5, null, v119, v5, vcc_lo
	v_add_co_u32 v2, vcc_lo, v118, v2
	v_lshlrev_b64 v[18:19], 3, v[18:19]
	v_add_co_ci_u32_e64 v3, null, v119, v3, vcc_lo
	v_add_co_u32 v16, vcc_lo, v118, v16
	v_add_co_ci_u32_e64 v17, null, v119, v17, vcc_lo
	v_add_co_u32 v14, vcc_lo, v118, v14
	;; [unrolled: 2-line block ×3, first 2 shown]
	v_add_co_ci_u32_e64 v19, null, v119, v19, vcc_lo
	flat_store_dwordx2 v[4:5], v[8:9]
	flat_store_dwordx2 v[2:3], v[12:13]
	;; [unrolled: 1-line block ×5, first 2 shown]
.LBB106_915:
	s_endpgm
	.section	.rodata,"a",@progbits
	.p2align	6, 0x0
	.amdhsa_kernel _ZN9rocsolver6v33100L18getf2_small_kernelILi54EdiiPKPdEEvT1_T3_lS5_lPS5_llPT2_S5_S5_S7_l
		.amdhsa_group_segment_fixed_size 0
		.amdhsa_private_segment_fixed_size 0
		.amdhsa_kernarg_size 352
		.amdhsa_user_sgpr_count 6
		.amdhsa_user_sgpr_private_segment_buffer 1
		.amdhsa_user_sgpr_dispatch_ptr 0
		.amdhsa_user_sgpr_queue_ptr 0
		.amdhsa_user_sgpr_kernarg_segment_ptr 1
		.amdhsa_user_sgpr_dispatch_id 0
		.amdhsa_user_sgpr_flat_scratch_init 0
		.amdhsa_user_sgpr_private_segment_size 0
		.amdhsa_wavefront_size32 1
		.amdhsa_uses_dynamic_stack 0
		.amdhsa_system_sgpr_private_segment_wavefront_offset 0
		.amdhsa_system_sgpr_workgroup_id_x 1
		.amdhsa_system_sgpr_workgroup_id_y 1
		.amdhsa_system_sgpr_workgroup_id_z 0
		.amdhsa_system_sgpr_workgroup_info 0
		.amdhsa_system_vgpr_workitem_id 1
		.amdhsa_next_free_vgpr 224
		.amdhsa_next_free_sgpr 14
		.amdhsa_reserve_vcc 1
		.amdhsa_reserve_flat_scratch 1
		.amdhsa_float_round_mode_32 0
		.amdhsa_float_round_mode_16_64 0
		.amdhsa_float_denorm_mode_32 3
		.amdhsa_float_denorm_mode_16_64 3
		.amdhsa_dx10_clamp 1
		.amdhsa_ieee_mode 1
		.amdhsa_fp16_overflow 0
		.amdhsa_workgroup_processor_mode 1
		.amdhsa_memory_ordered 1
		.amdhsa_forward_progress 1
		.amdhsa_shared_vgpr_count 0
		.amdhsa_exception_fp_ieee_invalid_op 0
		.amdhsa_exception_fp_denorm_src 0
		.amdhsa_exception_fp_ieee_div_zero 0
		.amdhsa_exception_fp_ieee_overflow 0
		.amdhsa_exception_fp_ieee_underflow 0
		.amdhsa_exception_fp_ieee_inexact 0
		.amdhsa_exception_int_div_zero 0
	.end_amdhsa_kernel
	.section	.text._ZN9rocsolver6v33100L18getf2_small_kernelILi54EdiiPKPdEEvT1_T3_lS5_lPS5_llPT2_S5_S5_S7_l,"axG",@progbits,_ZN9rocsolver6v33100L18getf2_small_kernelILi54EdiiPKPdEEvT1_T3_lS5_lPS5_llPT2_S5_S5_S7_l,comdat
.Lfunc_end106:
	.size	_ZN9rocsolver6v33100L18getf2_small_kernelILi54EdiiPKPdEEvT1_T3_lS5_lPS5_llPT2_S5_S5_S7_l, .Lfunc_end106-_ZN9rocsolver6v33100L18getf2_small_kernelILi54EdiiPKPdEEvT1_T3_lS5_lPS5_llPT2_S5_S5_S7_l
                                        ; -- End function
	.set _ZN9rocsolver6v33100L18getf2_small_kernelILi54EdiiPKPdEEvT1_T3_lS5_lPS5_llPT2_S5_S5_S7_l.num_vgpr, 224
	.set _ZN9rocsolver6v33100L18getf2_small_kernelILi54EdiiPKPdEEvT1_T3_lS5_lPS5_llPT2_S5_S5_S7_l.num_agpr, 0
	.set _ZN9rocsolver6v33100L18getf2_small_kernelILi54EdiiPKPdEEvT1_T3_lS5_lPS5_llPT2_S5_S5_S7_l.numbered_sgpr, 14
	.set _ZN9rocsolver6v33100L18getf2_small_kernelILi54EdiiPKPdEEvT1_T3_lS5_lPS5_llPT2_S5_S5_S7_l.num_named_barrier, 0
	.set _ZN9rocsolver6v33100L18getf2_small_kernelILi54EdiiPKPdEEvT1_T3_lS5_lPS5_llPT2_S5_S5_S7_l.private_seg_size, 0
	.set _ZN9rocsolver6v33100L18getf2_small_kernelILi54EdiiPKPdEEvT1_T3_lS5_lPS5_llPT2_S5_S5_S7_l.uses_vcc, 1
	.set _ZN9rocsolver6v33100L18getf2_small_kernelILi54EdiiPKPdEEvT1_T3_lS5_lPS5_llPT2_S5_S5_S7_l.uses_flat_scratch, 1
	.set _ZN9rocsolver6v33100L18getf2_small_kernelILi54EdiiPKPdEEvT1_T3_lS5_lPS5_llPT2_S5_S5_S7_l.has_dyn_sized_stack, 0
	.set _ZN9rocsolver6v33100L18getf2_small_kernelILi54EdiiPKPdEEvT1_T3_lS5_lPS5_llPT2_S5_S5_S7_l.has_recursion, 0
	.set _ZN9rocsolver6v33100L18getf2_small_kernelILi54EdiiPKPdEEvT1_T3_lS5_lPS5_llPT2_S5_S5_S7_l.has_indirect_call, 0
	.section	.AMDGPU.csdata,"",@progbits
; Kernel info:
; codeLenInByte = 60748
; TotalNumSgprs: 16
; NumVgprs: 224
; ScratchSize: 0
; MemoryBound: 0
; FloatMode: 240
; IeeeMode: 1
; LDSByteSize: 0 bytes/workgroup (compile time only)
; SGPRBlocks: 0
; VGPRBlocks: 27
; NumSGPRsForWavesPerEU: 16
; NumVGPRsForWavesPerEU: 224
; Occupancy: 4
; WaveLimiterHint : 1
; COMPUTE_PGM_RSRC2:SCRATCH_EN: 0
; COMPUTE_PGM_RSRC2:USER_SGPR: 6
; COMPUTE_PGM_RSRC2:TRAP_HANDLER: 0
; COMPUTE_PGM_RSRC2:TGID_X_EN: 1
; COMPUTE_PGM_RSRC2:TGID_Y_EN: 1
; COMPUTE_PGM_RSRC2:TGID_Z_EN: 0
; COMPUTE_PGM_RSRC2:TIDIG_COMP_CNT: 1
	.section	.text._ZN9rocsolver6v33100L23getf2_npvt_small_kernelILi54EdiiPKPdEEvT1_T3_lS5_lPT2_S5_S5_,"axG",@progbits,_ZN9rocsolver6v33100L23getf2_npvt_small_kernelILi54EdiiPKPdEEvT1_T3_lS5_lPT2_S5_S5_,comdat
	.globl	_ZN9rocsolver6v33100L23getf2_npvt_small_kernelILi54EdiiPKPdEEvT1_T3_lS5_lPT2_S5_S5_ ; -- Begin function _ZN9rocsolver6v33100L23getf2_npvt_small_kernelILi54EdiiPKPdEEvT1_T3_lS5_lPT2_S5_S5_
	.p2align	8
	.type	_ZN9rocsolver6v33100L23getf2_npvt_small_kernelILi54EdiiPKPdEEvT1_T3_lS5_lPT2_S5_S5_,@function
_ZN9rocsolver6v33100L23getf2_npvt_small_kernelILi54EdiiPKPdEEvT1_T3_lS5_lPT2_S5_S5_: ; @_ZN9rocsolver6v33100L23getf2_npvt_small_kernelILi54EdiiPKPdEEvT1_T3_lS5_lPT2_S5_S5_
; %bb.0:
	s_mov_b64 s[14:15], s[2:3]
	s_mov_b64 s[12:13], s[0:1]
	s_add_u32 s12, s12, s8
	s_clause 0x1
	s_load_dword s0, s[4:5], 0x44
	s_load_dwordx2 s[8:9], s[4:5], 0x30
	s_addc_u32 s13, s13, 0
	s_waitcnt lgkmcnt(0)
	s_lshr_b32 s10, s0, 16
	s_mov_b32 s0, exec_lo
	v_mad_u64_u32 v[2:3], null, s7, s10, v[1:2]
	v_cmpx_gt_i32_e64 s8, v2
	s_cbranch_execz .LBB107_273
; %bb.1:
	s_clause 0x1
	s_load_dwordx4 s[0:3], s[4:5], 0x8
	s_load_dword s6, s[4:5], 0x18
	v_ashrrev_i32_e32 v3, 31, v2
	s_mulk_i32 s10, 0x1b0
	v_lshlrev_b64 v[4:5], 3, v[2:3]
	s_waitcnt lgkmcnt(0)
	v_add_co_u32 v4, vcc_lo, s0, v4
	v_add_co_ci_u32_e64 v5, null, s1, v5, vcc_lo
	v_add3_u32 v6, s6, s6, v0
	s_lshl_b64 s[0:1], s[2:3], 3
	s_ashr_i32 s7, s6, 31
	global_load_dwordx2 v[4:5], v[4:5], off
	v_add_nc_u32_e32 v8, s6, v6
	v_ashrrev_i32_e32 v7, 31, v6
	v_add_nc_u32_e32 v10, s6, v8
	v_ashrrev_i32_e32 v9, 31, v8
	v_lshlrev_b64 v[6:7], 3, v[6:7]
	v_add_nc_u32_e32 v12, s6, v10
	v_ashrrev_i32_e32 v11, 31, v10
	v_lshlrev_b64 v[8:9], 3, v[8:9]
	;; [unrolled: 3-line block ×48, first 2 shown]
	v_ashrrev_i32_e32 v105, 31, v104
	v_lshlrev_b64 v[102:103], 3, v[102:103]
	s_waitcnt vmcnt(0)
	v_add_co_u32 v106, vcc_lo, v4, s0
	v_add_co_ci_u32_e64 v107, null, s1, v5, vcc_lo
	s_lshl_b64 s[0:1], s[6:7], 3
	v_add_co_u32 v4, vcc_lo, v106, v6
	v_add_co_ci_u32_e64 v5, null, v107, v7, vcc_lo
	v_add_co_u32 v6, vcc_lo, v106, v8
	v_add_co_ci_u32_e64 v7, null, v107, v9, vcc_lo
	;; [unrolled: 2-line block ×16, first 2 shown]
	v_add_co_u32 v36, vcc_lo, v106, v38
	v_mov_b32_e32 v113, v5
	v_add_co_ci_u32_e64 v37, null, v107, v39, vcc_lo
	v_mov_b32_e32 v112, v4
	v_add_co_u32 v4, vcc_lo, v106, v40
	v_mov_b32_e32 v39, v7
	v_add_co_ci_u32_e64 v5, null, v107, v41, vcc_lo
	v_mov_b32_e32 v38, v6
	;; [unrolled: 4-line block ×16, first 2 shown]
	v_add_co_u32 v34, vcc_lo, v106, v70
	v_add_co_ci_u32_e64 v35, null, v107, v71, vcc_lo
	v_add_co_u32 v108, vcc_lo, v106, v72
	v_mov_b32_e32 v72, v37
	v_add_co_ci_u32_e64 v109, null, v107, v73, vcc_lo
	v_mov_b32_e32 v71, v36
	v_add_co_u32 v36, vcc_lo, v106, v74
	v_add_co_ci_u32_e64 v37, null, v107, v75, vcc_lo
	v_add_co_u32 v40, vcc_lo, v106, v76
	v_add_co_ci_u32_e64 v41, null, v107, v77, vcc_lo
	;; [unrolled: 2-line block ×7, first 2 shown]
	v_add_co_u32 v238, vcc_lo, v106, v88
	v_mov_b32_e32 v78, v11
	v_mov_b32_e32 v70, v5
	v_mov_b32_e32 v77, v10
	v_add_co_ci_u32_e64 v239, null, v107, v89, vcc_lo
	v_add_co_u32 v10, vcc_lo, v106, v90
	v_mov_b32_e32 v69, v4
	v_mov_b32_e32 v80, v13
	v_add_nc_u32_e32 v4, s6, v104
	v_mov_b32_e32 v79, v12
	v_add_co_ci_u32_e64 v11, null, v107, v91, vcc_lo
	v_add_co_u32 v12, vcc_lo, v106, v92
	v_mov_b32_e32 v82, v15
	v_mov_b32_e32 v81, v14
	v_add_co_ci_u32_e64 v13, null, v107, v93, vcc_lo
	v_add_co_u32 v14, vcc_lo, v106, v94
	v_mov_b32_e32 v84, v17
	v_mov_b32_e32 v83, v16
	v_add_co_ci_u32_e64 v15, null, v107, v95, vcc_lo
	v_add_co_u32 v16, vcc_lo, v106, v96
	v_ashrrev_i32_e32 v5, 31, v4
	v_mov_b32_e32 v74, v7
	v_mov_b32_e32 v86, v19
	;; [unrolled: 1-line block ×4, first 2 shown]
	v_add_co_ci_u32_e64 v17, null, v107, v97, vcc_lo
	v_add_co_u32 v18, vcc_lo, v106, v98
	v_lshlrev_b64 v[6:7], 3, v[104:105]
	v_mov_b32_e32 v88, v21
	v_mov_b32_e32 v76, v9
	;; [unrolled: 1-line block ×3, first 2 shown]
	v_add_co_ci_u32_e64 v19, null, v107, v99, vcc_lo
	v_add_co_u32 v20, vcc_lo, v106, v100
	v_mov_b32_e32 v75, v8
	v_mov_b32_e32 v95, v108
	v_lshlrev_b64 v[8:9], 3, v[4:5]
	v_add_co_ci_u32_e64 v21, null, v107, v101, vcc_lo
	v_mov_b32_e32 v96, v109
	v_add_co_u32 v108, vcc_lo, v106, v102
	v_mov_b32_e32 v90, v23
	v_mov_b32_e32 v89, v22
	v_add_co_ci_u32_e64 v109, null, v107, v103, vcc_lo
	v_add_co_u32 v22, vcc_lo, v106, v6
	v_lshlrev_b32_e32 v6, 3, v0
	v_add_co_ci_u32_e64 v23, null, v107, v7, vcc_lo
	v_add_co_u32 v7, vcc_lo, v106, v8
	v_mov_b32_e32 v92, v25
	v_mov_b32_e32 v91, v24
	v_add_co_ci_u32_e64 v8, null, v107, v9, vcc_lo
	v_add_co_u32 v24, vcc_lo, v106, v6
	v_add_co_ci_u32_e64 v25, null, 0, v107, vcc_lo
	v_mov_b32_e32 v94, v27
	v_mov_b32_e32 v93, v26
	v_add_co_u32 v26, vcc_lo, v24, s0
	v_add_co_ci_u32_e64 v27, null, s1, v25, vcc_lo
	buffer_store_dword v24, off, s[12:15], 0 offset:96 ; 4-byte Folded Spill
	buffer_store_dword v25, off, s[12:15], 0 offset:100 ; 4-byte Folded Spill
	v_add_nc_u32_e32 v4, s6, v4
	v_mov_b32_e32 v102, v11
	v_mov_b32_e32 v101, v10
	v_cmp_ne_u32_e64 s1, 0, v0
	v_cmp_eq_u32_e64 s0, 0, v0
	v_ashrrev_i32_e32 v5, 31, v4
	v_lshlrev_b64 v[4:5], 3, v[4:5]
	v_add_co_u32 v4, vcc_lo, v106, v4
	v_add_co_ci_u32_e64 v5, null, v107, v5, vcc_lo
	flat_load_dwordx2 v[180:181], v[24:25]
	buffer_store_dword v26, off, s[12:15], 0 offset:104 ; 4-byte Folded Spill
	buffer_store_dword v27, off, s[12:15], 0 offset:108 ; 4-byte Folded Spill
	flat_load_dwordx2 v[198:199], v[26:27]
	buffer_store_dword v112, off, s[12:15], 0 ; 4-byte Folded Spill
	buffer_store_dword v113, off, s[12:15], 0 offset:4 ; 4-byte Folded Spill
	flat_load_dwordx2 v[216:217], v[112:113]
	buffer_store_dword v38, off, s[12:15], 0 offset:8 ; 4-byte Folded Spill
	buffer_store_dword v39, off, s[12:15], 0 offset:12 ; 4-byte Folded Spill
	flat_load_dwordx2 v[196:197], v[38:39]
	buffer_store_dword v114, off, s[12:15], 0 offset:16 ; 4-byte Folded Spill
	buffer_store_dword v115, off, s[12:15], 0 offset:20 ; 4-byte Folded Spill
	v_mov_b32_e32 v39, v13
	v_mov_b32_e32 v38, v12
	flat_load_dwordx2 v[214:215], v[114:115]
	buffer_store_dword v43, off, s[12:15], 0 offset:24 ; 4-byte Folded Spill
	buffer_store_dword v44, off, s[12:15], 0 offset:28 ; 4-byte Folded Spill
	flat_load_dwordx2 v[194:195], v[43:44]
	buffer_store_dword v45, off, s[12:15], 0 offset:32 ; 4-byte Folded Spill
	buffer_store_dword v46, off, s[12:15], 0 offset:36 ; 4-byte Folded Spill
	v_mov_b32_e32 v44, v15
	v_mov_b32_e32 v43, v14
	flat_load_dwordx2 v[212:213], v[45:46]
	buffer_store_dword v47, off, s[12:15], 0 offset:40 ; 4-byte Folded Spill
	buffer_store_dword v48, off, s[12:15], 0 offset:44 ; 4-byte Folded Spill
	v_mov_b32_e32 v46, v17
	v_mov_b32_e32 v45, v16
	;; [unrolled: 5-line block ×7, first 2 shown]
	flat_load_dwordx2 v[206:207], v[57:58]
	buffer_store_dword v59, off, s[12:15], 0 offset:88 ; 4-byte Folded Spill
	buffer_store_dword v60, off, s[12:15], 0 offset:92 ; 4-byte Folded Spill
	flat_load_dwordx2 v[186:187], v[59:60]
	buffer_store_dword v61, off, s[12:15], 0 offset:112 ; 4-byte Folded Spill
	buffer_store_dword v62, off, s[12:15], 0 offset:116 ; 4-byte Folded Spill
	;; [unrolled: 3-line block ×22, first 2 shown]
	v_mad_u32_u24 v32, 0x1b0, v1, 0
	flat_load_dwordx2 v[164:165], v[34:35]
	buffer_store_dword v95, off, s[12:15], 0 offset:272 ; 4-byte Folded Spill
	buffer_store_dword v96, off, s[12:15], 0 offset:276 ; 4-byte Folded Spill
	flat_load_dwordx2 v[128:129], v[95:96]
	buffer_store_dword v36, off, s[12:15], 0 offset:288 ; 4-byte Folded Spill
	buffer_store_dword v37, off, s[12:15], 0 offset:292 ; 4-byte Folded Spill
	;; [unrolled: 3-line block ×6, first 2 shown]
	s_clause 0xd
	flat_load_dwordx2 v[158:159], v[118:119]
	flat_load_dwordx2 v[122:123], v[234:235]
	flat_load_dwordx2 v[156:157], v[236:237]
	flat_load_dwordx2 v[120:121], v[238:239]
	flat_load_dwordx2 v[154:155], v[10:11]
	flat_load_dwordx2 v[118:119], v[12:13]
	flat_load_dwordx2 v[152:153], v[14:15]
	flat_load_dwordx2 v[116:117], v[16:17]
	flat_load_dwordx2 v[150:151], v[18:19]
	flat_load_dwordx2 v[114:115], v[20:21]
	flat_load_dwordx2 v[148:149], v[108:109]
	flat_load_dwordx2 v[112:113], v[22:23]
	flat_load_dwordx2 v[146:147], v[7:8]
	flat_load_dwordx2 v[218:219], v[4:5]
	v_lshlrev_b32_e32 v4, 3, v1
	v_add3_u32 v1, 0, s10, v4
	s_and_saveexec_b32 s2, s0
	s_cbranch_execz .LBB107_4
; %bb.2:
	s_waitcnt vmcnt(53) lgkmcnt(53)
	ds_write_b64 v1, v[180:181]
	s_waitcnt vmcnt(51) lgkmcnt(52)
	ds_write2_b64 v32, v[198:199], v[216:217] offset0:1 offset1:2
	s_waitcnt vmcnt(49) lgkmcnt(51)
	ds_write2_b64 v32, v[196:197], v[214:215] offset0:3 offset1:4
	;; [unrolled: 2-line block ×26, first 2 shown]
	s_waitcnt vmcnt(0) lgkmcnt(27)
	ds_write_b64 v32, v[218:219] offset:424
	ds_read_b64 v[4:5], v1
	s_waitcnt lgkmcnt(0)
	v_cmp_neq_f64_e32 vcc_lo, 0, v[4:5]
	s_and_b32 exec_lo, exec_lo, vcc_lo
	s_cbranch_execz .LBB107_4
; %bb.3:
	v_div_scale_f64 v[6:7], null, v[4:5], v[4:5], 1.0
	v_rcp_f64_e32 v[8:9], v[6:7]
	v_fma_f64 v[10:11], -v[6:7], v[8:9], 1.0
	v_fma_f64 v[8:9], v[8:9], v[10:11], v[8:9]
	v_fma_f64 v[10:11], -v[6:7], v[8:9], 1.0
	v_fma_f64 v[8:9], v[8:9], v[10:11], v[8:9]
	v_div_scale_f64 v[10:11], vcc_lo, 1.0, v[4:5], 1.0
	v_mul_f64 v[12:13], v[10:11], v[8:9]
	v_fma_f64 v[6:7], -v[6:7], v[12:13], v[10:11]
	v_div_fmas_f64 v[6:7], v[6:7], v[8:9], v[12:13]
	v_div_fixup_f64 v[4:5], v[6:7], v[4:5], 1.0
	ds_write_b64 v1, v[4:5]
.LBB107_4:
	s_or_b32 exec_lo, exec_lo, s2
	s_waitcnt vmcnt(0) lgkmcnt(0)
	s_waitcnt_vscnt null, 0x0
	s_barrier
	buffer_gl0_inv
	ds_read_b64 v[57:58], v1
	s_and_saveexec_b32 s2, s1
	s_cbranch_execz .LBB107_6
; %bb.5:
	s_waitcnt lgkmcnt(0)
	v_mul_f64 v[180:181], v[57:58], v[180:181]
	ds_read2_b64 v[4:7], v32 offset0:1 offset1:2
	s_waitcnt lgkmcnt(0)
	v_fma_f64 v[198:199], -v[180:181], v[4:5], v[198:199]
	v_fma_f64 v[216:217], -v[180:181], v[6:7], v[216:217]
	ds_read2_b64 v[4:7], v32 offset0:3 offset1:4
	s_waitcnt lgkmcnt(0)
	v_fma_f64 v[196:197], -v[180:181], v[4:5], v[196:197]
	v_fma_f64 v[214:215], -v[180:181], v[6:7], v[214:215]
	ds_read2_b64 v[4:7], v32 offset0:5 offset1:6
	s_waitcnt lgkmcnt(0)
	v_fma_f64 v[194:195], -v[180:181], v[4:5], v[194:195]
	v_fma_f64 v[212:213], -v[180:181], v[6:7], v[212:213]
	ds_read2_b64 v[4:7], v32 offset0:7 offset1:8
	s_waitcnt lgkmcnt(0)
	v_fma_f64 v[192:193], -v[180:181], v[4:5], v[192:193]
	v_fma_f64 v[210:211], -v[180:181], v[6:7], v[210:211]
	ds_read2_b64 v[4:7], v32 offset0:9 offset1:10
	s_waitcnt lgkmcnt(0)
	v_fma_f64 v[190:191], -v[180:181], v[4:5], v[190:191]
	v_fma_f64 v[208:209], -v[180:181], v[6:7], v[208:209]
	ds_read2_b64 v[4:7], v32 offset0:11 offset1:12
	s_waitcnt lgkmcnt(0)
	v_fma_f64 v[188:189], -v[180:181], v[4:5], v[188:189]
	v_fma_f64 v[206:207], -v[180:181], v[6:7], v[206:207]
	ds_read2_b64 v[4:7], v32 offset0:13 offset1:14
	s_waitcnt lgkmcnt(0)
	v_fma_f64 v[186:187], -v[180:181], v[4:5], v[186:187]
	v_fma_f64 v[204:205], -v[180:181], v[6:7], v[204:205]
	ds_read2_b64 v[4:7], v32 offset0:15 offset1:16
	s_waitcnt lgkmcnt(0)
	v_fma_f64 v[184:185], -v[180:181], v[4:5], v[184:185]
	v_fma_f64 v[202:203], -v[180:181], v[6:7], v[202:203]
	ds_read2_b64 v[4:7], v32 offset0:17 offset1:18
	s_waitcnt lgkmcnt(0)
	v_fma_f64 v[182:183], -v[180:181], v[4:5], v[182:183]
	v_fma_f64 v[200:201], -v[180:181], v[6:7], v[200:201]
	ds_read2_b64 v[4:7], v32 offset0:19 offset1:20
	s_waitcnt lgkmcnt(0)
	v_fma_f64 v[144:145], -v[180:181], v[4:5], v[144:145]
	v_fma_f64 v[178:179], -v[180:181], v[6:7], v[178:179]
	ds_read2_b64 v[4:7], v32 offset0:21 offset1:22
	s_waitcnt lgkmcnt(0)
	v_fma_f64 v[142:143], -v[180:181], v[4:5], v[142:143]
	v_fma_f64 v[176:177], -v[180:181], v[6:7], v[176:177]
	ds_read2_b64 v[4:7], v32 offset0:23 offset1:24
	s_waitcnt lgkmcnt(0)
	v_fma_f64 v[140:141], -v[180:181], v[4:5], v[140:141]
	v_fma_f64 v[174:175], -v[180:181], v[6:7], v[174:175]
	ds_read2_b64 v[4:7], v32 offset0:25 offset1:26
	s_waitcnt lgkmcnt(0)
	v_fma_f64 v[138:139], -v[180:181], v[4:5], v[138:139]
	v_fma_f64 v[172:173], -v[180:181], v[6:7], v[172:173]
	ds_read2_b64 v[4:7], v32 offset0:27 offset1:28
	s_waitcnt lgkmcnt(0)
	v_fma_f64 v[136:137], -v[180:181], v[4:5], v[136:137]
	v_fma_f64 v[170:171], -v[180:181], v[6:7], v[170:171]
	ds_read2_b64 v[4:7], v32 offset0:29 offset1:30
	s_waitcnt lgkmcnt(0)
	v_fma_f64 v[134:135], -v[180:181], v[4:5], v[134:135]
	v_fma_f64 v[168:169], -v[180:181], v[6:7], v[168:169]
	ds_read2_b64 v[4:7], v32 offset0:31 offset1:32
	s_waitcnt lgkmcnt(0)
	v_fma_f64 v[132:133], -v[180:181], v[4:5], v[132:133]
	v_fma_f64 v[166:167], -v[180:181], v[6:7], v[166:167]
	ds_read2_b64 v[4:7], v32 offset0:33 offset1:34
	s_waitcnt lgkmcnt(0)
	v_fma_f64 v[130:131], -v[180:181], v[4:5], v[130:131]
	v_fma_f64 v[164:165], -v[180:181], v[6:7], v[164:165]
	ds_read2_b64 v[4:7], v32 offset0:35 offset1:36
	s_waitcnt lgkmcnt(0)
	v_fma_f64 v[128:129], -v[180:181], v[4:5], v[128:129]
	v_fma_f64 v[162:163], -v[180:181], v[6:7], v[162:163]
	ds_read2_b64 v[4:7], v32 offset0:37 offset1:38
	s_waitcnt lgkmcnt(0)
	v_fma_f64 v[126:127], -v[180:181], v[4:5], v[126:127]
	v_fma_f64 v[160:161], -v[180:181], v[6:7], v[160:161]
	ds_read2_b64 v[4:7], v32 offset0:39 offset1:40
	s_waitcnt lgkmcnt(0)
	v_fma_f64 v[124:125], -v[180:181], v[4:5], v[124:125]
	v_fma_f64 v[158:159], -v[180:181], v[6:7], v[158:159]
	ds_read2_b64 v[4:7], v32 offset0:41 offset1:42
	s_waitcnt lgkmcnt(0)
	v_fma_f64 v[122:123], -v[180:181], v[4:5], v[122:123]
	v_fma_f64 v[156:157], -v[180:181], v[6:7], v[156:157]
	ds_read2_b64 v[4:7], v32 offset0:43 offset1:44
	s_waitcnt lgkmcnt(0)
	v_fma_f64 v[120:121], -v[180:181], v[4:5], v[120:121]
	v_fma_f64 v[154:155], -v[180:181], v[6:7], v[154:155]
	ds_read2_b64 v[4:7], v32 offset0:45 offset1:46
	s_waitcnt lgkmcnt(0)
	v_fma_f64 v[118:119], -v[180:181], v[4:5], v[118:119]
	v_fma_f64 v[152:153], -v[180:181], v[6:7], v[152:153]
	ds_read2_b64 v[4:7], v32 offset0:47 offset1:48
	s_waitcnt lgkmcnt(0)
	v_fma_f64 v[116:117], -v[180:181], v[4:5], v[116:117]
	v_fma_f64 v[150:151], -v[180:181], v[6:7], v[150:151]
	ds_read2_b64 v[4:7], v32 offset0:49 offset1:50
	s_waitcnt lgkmcnt(0)
	v_fma_f64 v[114:115], -v[180:181], v[4:5], v[114:115]
	v_fma_f64 v[148:149], -v[180:181], v[6:7], v[148:149]
	ds_read2_b64 v[4:7], v32 offset0:51 offset1:52
	s_waitcnt lgkmcnt(0)
	v_fma_f64 v[112:113], -v[180:181], v[4:5], v[112:113]
	ds_read_b64 v[4:5], v32 offset:424
	v_fma_f64 v[146:147], -v[180:181], v[6:7], v[146:147]
	s_waitcnt lgkmcnt(0)
	v_fma_f64 v[218:219], -v[180:181], v[4:5], v[218:219]
.LBB107_6:
	s_or_b32 exec_lo, exec_lo, s2
	s_mov_b32 s1, exec_lo
	s_waitcnt lgkmcnt(0)
	s_barrier
	buffer_gl0_inv
	v_cmpx_eq_u32_e32 1, v0
	s_cbranch_execz .LBB107_9
; %bb.7:
	v_mov_b32_e32 v4, v216
	v_mov_b32_e32 v5, v217
	v_mov_b32_e32 v6, v196
	v_mov_b32_e32 v7, v197
	ds_write_b64 v1, v[198:199]
	ds_write2_b64 v32, v[4:5], v[6:7] offset0:2 offset1:3
	v_mov_b32_e32 v4, v214
	v_mov_b32_e32 v5, v215
	v_mov_b32_e32 v6, v194
	v_mov_b32_e32 v7, v195
	v_mov_b32_e32 v8, v212
	v_mov_b32_e32 v9, v213
	v_mov_b32_e32 v10, v192
	v_mov_b32_e32 v11, v193
	v_mov_b32_e32 v12, v210
	v_mov_b32_e32 v13, v211
	v_mov_b32_e32 v14, v190
	v_mov_b32_e32 v15, v191
	v_mov_b32_e32 v16, v208
	v_mov_b32_e32 v17, v209
	v_mov_b32_e32 v18, v188
	v_mov_b32_e32 v19, v189
	v_mov_b32_e32 v20, v206
	v_mov_b32_e32 v21, v207
	v_mov_b32_e32 v22, v186
	v_mov_b32_e32 v23, v187
	ds_write2_b64 v32, v[4:5], v[6:7] offset0:4 offset1:5
	ds_write2_b64 v32, v[8:9], v[10:11] offset0:6 offset1:7
	ds_write2_b64 v32, v[12:13], v[14:15] offset0:8 offset1:9
	ds_write2_b64 v32, v[16:17], v[18:19] offset0:10 offset1:11
	ds_write2_b64 v32, v[20:21], v[22:23] offset0:12 offset1:13
	v_mov_b32_e32 v4, v204
	v_mov_b32_e32 v5, v205
	v_mov_b32_e32 v6, v184
	v_mov_b32_e32 v7, v185
	v_mov_b32_e32 v8, v202
	v_mov_b32_e32 v9, v203
	v_mov_b32_e32 v10, v182
	v_mov_b32_e32 v11, v183
	v_mov_b32_e32 v12, v200
	v_mov_b32_e32 v13, v201
	v_mov_b32_e32 v14, v144
	v_mov_b32_e32 v15, v145
	v_mov_b32_e32 v16, v178
	v_mov_b32_e32 v17, v179
	v_mov_b32_e32 v18, v142
	v_mov_b32_e32 v19, v143
	v_mov_b32_e32 v20, v176
	v_mov_b32_e32 v21, v177
	v_mov_b32_e32 v22, v140
	v_mov_b32_e32 v23, v141
	ds_write2_b64 v32, v[4:5], v[6:7] offset0:14 offset1:15
	ds_write2_b64 v32, v[8:9], v[10:11] offset0:16 offset1:17
	ds_write2_b64 v32, v[12:13], v[14:15] offset0:18 offset1:19
	ds_write2_b64 v32, v[16:17], v[18:19] offset0:20 offset1:21
	;; [unrolled: 25-line block ×4, first 2 shown]
	ds_write2_b64 v32, v[20:21], v[22:23] offset0:42 offset1:43
	v_mov_b32_e32 v4, v154
	v_mov_b32_e32 v5, v155
	;; [unrolled: 1-line block ×18, first 2 shown]
	ds_write2_b64 v32, v[4:5], v[6:7] offset0:44 offset1:45
	ds_write2_b64 v32, v[8:9], v[10:11] offset0:46 offset1:47
	;; [unrolled: 1-line block ×5, first 2 shown]
	ds_read_b64 v[4:5], v1
	s_waitcnt lgkmcnt(0)
	v_cmp_neq_f64_e32 vcc_lo, 0, v[4:5]
	s_and_b32 exec_lo, exec_lo, vcc_lo
	s_cbranch_execz .LBB107_9
; %bb.8:
	v_div_scale_f64 v[6:7], null, v[4:5], v[4:5], 1.0
	v_rcp_f64_e32 v[8:9], v[6:7]
	v_fma_f64 v[10:11], -v[6:7], v[8:9], 1.0
	v_fma_f64 v[8:9], v[8:9], v[10:11], v[8:9]
	v_fma_f64 v[10:11], -v[6:7], v[8:9], 1.0
	v_fma_f64 v[8:9], v[8:9], v[10:11], v[8:9]
	v_div_scale_f64 v[10:11], vcc_lo, 1.0, v[4:5], 1.0
	v_mul_f64 v[12:13], v[10:11], v[8:9]
	v_fma_f64 v[6:7], -v[6:7], v[12:13], v[10:11]
	v_div_fmas_f64 v[6:7], v[6:7], v[8:9], v[12:13]
	v_div_fixup_f64 v[4:5], v[6:7], v[4:5], 1.0
	ds_write_b64 v1, v[4:5]
.LBB107_9:
	s_or_b32 exec_lo, exec_lo, s1
	s_waitcnt lgkmcnt(0)
	s_barrier
	buffer_gl0_inv
	ds_read_b64 v[59:60], v1
	s_mov_b32 s1, exec_lo
	v_cmpx_lt_u32_e32 1, v0
	s_cbranch_execz .LBB107_11
; %bb.10:
	s_waitcnt lgkmcnt(0)
	v_mul_f64 v[198:199], v[59:60], v[198:199]
	ds_read2_b64 v[4:7], v32 offset0:2 offset1:3
	s_waitcnt lgkmcnt(0)
	v_fma_f64 v[216:217], -v[198:199], v[4:5], v[216:217]
	v_fma_f64 v[196:197], -v[198:199], v[6:7], v[196:197]
	ds_read2_b64 v[4:7], v32 offset0:4 offset1:5
	s_waitcnt lgkmcnt(0)
	v_fma_f64 v[214:215], -v[198:199], v[4:5], v[214:215]
	v_fma_f64 v[194:195], -v[198:199], v[6:7], v[194:195]
	;; [unrolled: 4-line block ×26, first 2 shown]
.LBB107_11:
	s_or_b32 exec_lo, exec_lo, s1
	s_mov_b32 s1, exec_lo
	s_waitcnt lgkmcnt(0)
	s_barrier
	buffer_gl0_inv
	v_cmpx_eq_u32_e32 2, v0
	s_cbranch_execz .LBB107_14
; %bb.12:
	ds_write_b64 v1, v[216:217]
	ds_write2_b64 v32, v[196:197], v[214:215] offset0:3 offset1:4
	ds_write2_b64 v32, v[194:195], v[212:213] offset0:5 offset1:6
	;; [unrolled: 1-line block ×25, first 2 shown]
	ds_write_b64 v32, v[218:219] offset:424
	ds_read_b64 v[4:5], v1
	s_waitcnt lgkmcnt(0)
	v_cmp_neq_f64_e32 vcc_lo, 0, v[4:5]
	s_and_b32 exec_lo, exec_lo, vcc_lo
	s_cbranch_execz .LBB107_14
; %bb.13:
	v_div_scale_f64 v[6:7], null, v[4:5], v[4:5], 1.0
	v_rcp_f64_e32 v[8:9], v[6:7]
	v_fma_f64 v[10:11], -v[6:7], v[8:9], 1.0
	v_fma_f64 v[8:9], v[8:9], v[10:11], v[8:9]
	v_fma_f64 v[10:11], -v[6:7], v[8:9], 1.0
	v_fma_f64 v[8:9], v[8:9], v[10:11], v[8:9]
	v_div_scale_f64 v[10:11], vcc_lo, 1.0, v[4:5], 1.0
	v_mul_f64 v[12:13], v[10:11], v[8:9]
	v_fma_f64 v[6:7], -v[6:7], v[12:13], v[10:11]
	v_div_fmas_f64 v[6:7], v[6:7], v[8:9], v[12:13]
	v_div_fixup_f64 v[4:5], v[6:7], v[4:5], 1.0
	ds_write_b64 v1, v[4:5]
.LBB107_14:
	s_or_b32 exec_lo, exec_lo, s1
	s_waitcnt lgkmcnt(0)
	s_barrier
	buffer_gl0_inv
	ds_read_b64 v[61:62], v1
	s_mov_b32 s1, exec_lo
	v_cmpx_lt_u32_e32 2, v0
	s_cbranch_execz .LBB107_16
; %bb.15:
	s_waitcnt lgkmcnt(0)
	v_mul_f64 v[216:217], v[61:62], v[216:217]
	ds_read2_b64 v[4:7], v32 offset0:3 offset1:4
	s_waitcnt lgkmcnt(0)
	v_fma_f64 v[196:197], -v[216:217], v[4:5], v[196:197]
	v_fma_f64 v[214:215], -v[216:217], v[6:7], v[214:215]
	ds_read2_b64 v[4:7], v32 offset0:5 offset1:6
	s_waitcnt lgkmcnt(0)
	v_fma_f64 v[194:195], -v[216:217], v[4:5], v[194:195]
	v_fma_f64 v[212:213], -v[216:217], v[6:7], v[212:213]
	;; [unrolled: 4-line block ×24, first 2 shown]
	ds_read2_b64 v[4:7], v32 offset0:51 offset1:52
	s_waitcnt lgkmcnt(0)
	v_fma_f64 v[112:113], -v[216:217], v[4:5], v[112:113]
	ds_read_b64 v[4:5], v32 offset:424
	v_fma_f64 v[146:147], -v[216:217], v[6:7], v[146:147]
	s_waitcnt lgkmcnt(0)
	v_fma_f64 v[218:219], -v[216:217], v[4:5], v[218:219]
.LBB107_16:
	s_or_b32 exec_lo, exec_lo, s1
	s_mov_b32 s1, exec_lo
	s_waitcnt lgkmcnt(0)
	s_barrier
	buffer_gl0_inv
	v_cmpx_eq_u32_e32 3, v0
	s_cbranch_execz .LBB107_19
; %bb.17:
	v_mov_b32_e32 v4, v214
	v_mov_b32_e32 v5, v215
	;; [unrolled: 1-line block ×20, first 2 shown]
	ds_write_b64 v1, v[196:197]
	ds_write2_b64 v32, v[4:5], v[6:7] offset0:4 offset1:5
	ds_write2_b64 v32, v[8:9], v[10:11] offset0:6 offset1:7
	ds_write2_b64 v32, v[12:13], v[14:15] offset0:8 offset1:9
	ds_write2_b64 v32, v[16:17], v[18:19] offset0:10 offset1:11
	ds_write2_b64 v32, v[20:21], v[22:23] offset0:12 offset1:13
	v_mov_b32_e32 v4, v204
	v_mov_b32_e32 v5, v205
	v_mov_b32_e32 v6, v184
	v_mov_b32_e32 v7, v185
	v_mov_b32_e32 v8, v202
	v_mov_b32_e32 v9, v203
	v_mov_b32_e32 v10, v182
	v_mov_b32_e32 v11, v183
	v_mov_b32_e32 v12, v200
	v_mov_b32_e32 v13, v201
	v_mov_b32_e32 v14, v144
	v_mov_b32_e32 v15, v145
	v_mov_b32_e32 v16, v178
	v_mov_b32_e32 v17, v179
	v_mov_b32_e32 v18, v142
	v_mov_b32_e32 v19, v143
	v_mov_b32_e32 v20, v176
	v_mov_b32_e32 v21, v177
	v_mov_b32_e32 v22, v140
	v_mov_b32_e32 v23, v141
	ds_write2_b64 v32, v[4:5], v[6:7] offset0:14 offset1:15
	ds_write2_b64 v32, v[8:9], v[10:11] offset0:16 offset1:17
	ds_write2_b64 v32, v[12:13], v[14:15] offset0:18 offset1:19
	ds_write2_b64 v32, v[16:17], v[18:19] offset0:20 offset1:21
	ds_write2_b64 v32, v[20:21], v[22:23] offset0:22 offset1:23
	v_mov_b32_e32 v4, v174
	v_mov_b32_e32 v5, v175
	v_mov_b32_e32 v6, v138
	v_mov_b32_e32 v7, v139
	v_mov_b32_e32 v8, v172
	v_mov_b32_e32 v9, v173
	v_mov_b32_e32 v10, v136
	v_mov_b32_e32 v11, v137
	v_mov_b32_e32 v12, v170
	v_mov_b32_e32 v13, v171
	v_mov_b32_e32 v14, v134
	v_mov_b32_e32 v15, v135
	v_mov_b32_e32 v16, v168
	v_mov_b32_e32 v17, v169
	v_mov_b32_e32 v18, v132
	v_mov_b32_e32 v19, v133
	v_mov_b32_e32 v20, v166
	v_mov_b32_e32 v21, v167
	v_mov_b32_e32 v22, v130
	v_mov_b32_e32 v23, v131
	;; [unrolled: 25-line block ×3, first 2 shown]
	ds_write2_b64 v32, v[4:5], v[6:7] offset0:34 offset1:35
	ds_write2_b64 v32, v[8:9], v[10:11] offset0:36 offset1:37
	;; [unrolled: 1-line block ×5, first 2 shown]
	v_mov_b32_e32 v4, v154
	v_mov_b32_e32 v5, v155
	;; [unrolled: 1-line block ×18, first 2 shown]
	ds_write2_b64 v32, v[4:5], v[6:7] offset0:44 offset1:45
	ds_write2_b64 v32, v[8:9], v[10:11] offset0:46 offset1:47
	;; [unrolled: 1-line block ×5, first 2 shown]
	ds_read_b64 v[4:5], v1
	s_waitcnt lgkmcnt(0)
	v_cmp_neq_f64_e32 vcc_lo, 0, v[4:5]
	s_and_b32 exec_lo, exec_lo, vcc_lo
	s_cbranch_execz .LBB107_19
; %bb.18:
	v_div_scale_f64 v[6:7], null, v[4:5], v[4:5], 1.0
	v_rcp_f64_e32 v[8:9], v[6:7]
	v_fma_f64 v[10:11], -v[6:7], v[8:9], 1.0
	v_fma_f64 v[8:9], v[8:9], v[10:11], v[8:9]
	v_fma_f64 v[10:11], -v[6:7], v[8:9], 1.0
	v_fma_f64 v[8:9], v[8:9], v[10:11], v[8:9]
	v_div_scale_f64 v[10:11], vcc_lo, 1.0, v[4:5], 1.0
	v_mul_f64 v[12:13], v[10:11], v[8:9]
	v_fma_f64 v[6:7], -v[6:7], v[12:13], v[10:11]
	v_div_fmas_f64 v[6:7], v[6:7], v[8:9], v[12:13]
	v_div_fixup_f64 v[4:5], v[6:7], v[4:5], 1.0
	ds_write_b64 v1, v[4:5]
.LBB107_19:
	s_or_b32 exec_lo, exec_lo, s1
	s_waitcnt lgkmcnt(0)
	s_barrier
	buffer_gl0_inv
	ds_read_b64 v[63:64], v1
	s_mov_b32 s1, exec_lo
	v_cmpx_lt_u32_e32 3, v0
	s_cbranch_execz .LBB107_21
; %bb.20:
	s_waitcnt lgkmcnt(0)
	v_mul_f64 v[196:197], v[63:64], v[196:197]
	ds_read2_b64 v[4:7], v32 offset0:4 offset1:5
	s_waitcnt lgkmcnt(0)
	v_fma_f64 v[214:215], -v[196:197], v[4:5], v[214:215]
	v_fma_f64 v[194:195], -v[196:197], v[6:7], v[194:195]
	ds_read2_b64 v[4:7], v32 offset0:6 offset1:7
	s_waitcnt lgkmcnt(0)
	v_fma_f64 v[212:213], -v[196:197], v[4:5], v[212:213]
	v_fma_f64 v[192:193], -v[196:197], v[6:7], v[192:193]
	;; [unrolled: 4-line block ×25, first 2 shown]
.LBB107_21:
	s_or_b32 exec_lo, exec_lo, s1
	s_mov_b32 s1, exec_lo
	s_waitcnt lgkmcnt(0)
	s_barrier
	buffer_gl0_inv
	v_cmpx_eq_u32_e32 4, v0
	s_cbranch_execz .LBB107_24
; %bb.22:
	ds_write_b64 v1, v[214:215]
	ds_write2_b64 v32, v[194:195], v[212:213] offset0:5 offset1:6
	ds_write2_b64 v32, v[192:193], v[210:211] offset0:7 offset1:8
	;; [unrolled: 1-line block ×24, first 2 shown]
	ds_write_b64 v32, v[218:219] offset:424
	ds_read_b64 v[4:5], v1
	s_waitcnt lgkmcnt(0)
	v_cmp_neq_f64_e32 vcc_lo, 0, v[4:5]
	s_and_b32 exec_lo, exec_lo, vcc_lo
	s_cbranch_execz .LBB107_24
; %bb.23:
	v_div_scale_f64 v[6:7], null, v[4:5], v[4:5], 1.0
	v_rcp_f64_e32 v[8:9], v[6:7]
	v_fma_f64 v[10:11], -v[6:7], v[8:9], 1.0
	v_fma_f64 v[8:9], v[8:9], v[10:11], v[8:9]
	v_fma_f64 v[10:11], -v[6:7], v[8:9], 1.0
	v_fma_f64 v[8:9], v[8:9], v[10:11], v[8:9]
	v_div_scale_f64 v[10:11], vcc_lo, 1.0, v[4:5], 1.0
	v_mul_f64 v[12:13], v[10:11], v[8:9]
	v_fma_f64 v[6:7], -v[6:7], v[12:13], v[10:11]
	v_div_fmas_f64 v[6:7], v[6:7], v[8:9], v[12:13]
	v_div_fixup_f64 v[4:5], v[6:7], v[4:5], 1.0
	ds_write_b64 v1, v[4:5]
.LBB107_24:
	s_or_b32 exec_lo, exec_lo, s1
	s_waitcnt lgkmcnt(0)
	s_barrier
	buffer_gl0_inv
	ds_read_b64 v[65:66], v1
	s_mov_b32 s1, exec_lo
	v_cmpx_lt_u32_e32 4, v0
	s_cbranch_execz .LBB107_26
; %bb.25:
	s_waitcnt lgkmcnt(0)
	v_mul_f64 v[214:215], v[65:66], v[214:215]
	ds_read2_b64 v[4:7], v32 offset0:5 offset1:6
	s_waitcnt lgkmcnt(0)
	v_fma_f64 v[194:195], -v[214:215], v[4:5], v[194:195]
	v_fma_f64 v[212:213], -v[214:215], v[6:7], v[212:213]
	ds_read2_b64 v[4:7], v32 offset0:7 offset1:8
	s_waitcnt lgkmcnt(0)
	v_fma_f64 v[192:193], -v[214:215], v[4:5], v[192:193]
	v_fma_f64 v[210:211], -v[214:215], v[6:7], v[210:211]
	;; [unrolled: 4-line block ×23, first 2 shown]
	ds_read2_b64 v[4:7], v32 offset0:51 offset1:52
	s_waitcnt lgkmcnt(0)
	v_fma_f64 v[112:113], -v[214:215], v[4:5], v[112:113]
	ds_read_b64 v[4:5], v32 offset:424
	v_fma_f64 v[146:147], -v[214:215], v[6:7], v[146:147]
	s_waitcnt lgkmcnt(0)
	v_fma_f64 v[218:219], -v[214:215], v[4:5], v[218:219]
.LBB107_26:
	s_or_b32 exec_lo, exec_lo, s1
	s_mov_b32 s1, exec_lo
	s_waitcnt lgkmcnt(0)
	s_barrier
	buffer_gl0_inv
	v_cmpx_eq_u32_e32 5, v0
	s_cbranch_execz .LBB107_29
; %bb.27:
	v_mov_b32_e32 v4, v212
	v_mov_b32_e32 v5, v213
	;; [unrolled: 1-line block ×16, first 2 shown]
	ds_write_b64 v1, v[194:195]
	ds_write2_b64 v32, v[4:5], v[6:7] offset0:6 offset1:7
	ds_write2_b64 v32, v[8:9], v[10:11] offset0:8 offset1:9
	ds_write2_b64 v32, v[12:13], v[14:15] offset0:10 offset1:11
	ds_write2_b64 v32, v[16:17], v[18:19] offset0:12 offset1:13
	v_mov_b32_e32 v4, v204
	v_mov_b32_e32 v5, v205
	v_mov_b32_e32 v6, v184
	v_mov_b32_e32 v7, v185
	v_mov_b32_e32 v8, v202
	v_mov_b32_e32 v9, v203
	v_mov_b32_e32 v10, v182
	v_mov_b32_e32 v11, v183
	v_mov_b32_e32 v12, v200
	v_mov_b32_e32 v13, v201
	v_mov_b32_e32 v14, v144
	v_mov_b32_e32 v15, v145
	v_mov_b32_e32 v16, v178
	v_mov_b32_e32 v17, v179
	v_mov_b32_e32 v18, v142
	v_mov_b32_e32 v19, v143
	v_mov_b32_e32 v20, v176
	v_mov_b32_e32 v21, v177
	v_mov_b32_e32 v22, v140
	v_mov_b32_e32 v23, v141
	ds_write2_b64 v32, v[4:5], v[6:7] offset0:14 offset1:15
	ds_write2_b64 v32, v[8:9], v[10:11] offset0:16 offset1:17
	ds_write2_b64 v32, v[12:13], v[14:15] offset0:18 offset1:19
	ds_write2_b64 v32, v[16:17], v[18:19] offset0:20 offset1:21
	ds_write2_b64 v32, v[20:21], v[22:23] offset0:22 offset1:23
	v_mov_b32_e32 v4, v174
	v_mov_b32_e32 v5, v175
	v_mov_b32_e32 v6, v138
	v_mov_b32_e32 v7, v139
	v_mov_b32_e32 v8, v172
	v_mov_b32_e32 v9, v173
	v_mov_b32_e32 v10, v136
	v_mov_b32_e32 v11, v137
	v_mov_b32_e32 v12, v170
	v_mov_b32_e32 v13, v171
	v_mov_b32_e32 v14, v134
	v_mov_b32_e32 v15, v135
	v_mov_b32_e32 v16, v168
	v_mov_b32_e32 v17, v169
	v_mov_b32_e32 v18, v132
	v_mov_b32_e32 v19, v133
	v_mov_b32_e32 v20, v166
	v_mov_b32_e32 v21, v167
	v_mov_b32_e32 v22, v130
	v_mov_b32_e32 v23, v131
	ds_write2_b64 v32, v[4:5], v[6:7] offset0:24 offset1:25
	;; [unrolled: 25-line block ×3, first 2 shown]
	ds_write2_b64 v32, v[8:9], v[10:11] offset0:36 offset1:37
	ds_write2_b64 v32, v[12:13], v[14:15] offset0:38 offset1:39
	;; [unrolled: 1-line block ×4, first 2 shown]
	v_mov_b32_e32 v4, v154
	v_mov_b32_e32 v5, v155
	;; [unrolled: 1-line block ×18, first 2 shown]
	ds_write2_b64 v32, v[4:5], v[6:7] offset0:44 offset1:45
	ds_write2_b64 v32, v[8:9], v[10:11] offset0:46 offset1:47
	;; [unrolled: 1-line block ×5, first 2 shown]
	ds_read_b64 v[4:5], v1
	s_waitcnt lgkmcnt(0)
	v_cmp_neq_f64_e32 vcc_lo, 0, v[4:5]
	s_and_b32 exec_lo, exec_lo, vcc_lo
	s_cbranch_execz .LBB107_29
; %bb.28:
	v_div_scale_f64 v[6:7], null, v[4:5], v[4:5], 1.0
	v_rcp_f64_e32 v[8:9], v[6:7]
	v_fma_f64 v[10:11], -v[6:7], v[8:9], 1.0
	v_fma_f64 v[8:9], v[8:9], v[10:11], v[8:9]
	v_fma_f64 v[10:11], -v[6:7], v[8:9], 1.0
	v_fma_f64 v[8:9], v[8:9], v[10:11], v[8:9]
	v_div_scale_f64 v[10:11], vcc_lo, 1.0, v[4:5], 1.0
	v_mul_f64 v[12:13], v[10:11], v[8:9]
	v_fma_f64 v[6:7], -v[6:7], v[12:13], v[10:11]
	v_div_fmas_f64 v[6:7], v[6:7], v[8:9], v[12:13]
	v_div_fixup_f64 v[4:5], v[6:7], v[4:5], 1.0
	ds_write_b64 v1, v[4:5]
.LBB107_29:
	s_or_b32 exec_lo, exec_lo, s1
	s_waitcnt lgkmcnt(0)
	s_barrier
	buffer_gl0_inv
	ds_read_b64 v[67:68], v1
	s_mov_b32 s1, exec_lo
	v_cmpx_lt_u32_e32 5, v0
	s_cbranch_execz .LBB107_31
; %bb.30:
	s_waitcnt lgkmcnt(0)
	v_mul_f64 v[194:195], v[67:68], v[194:195]
	ds_read2_b64 v[4:7], v32 offset0:6 offset1:7
	s_waitcnt lgkmcnt(0)
	v_fma_f64 v[212:213], -v[194:195], v[4:5], v[212:213]
	v_fma_f64 v[192:193], -v[194:195], v[6:7], v[192:193]
	ds_read2_b64 v[4:7], v32 offset0:8 offset1:9
	s_waitcnt lgkmcnt(0)
	v_fma_f64 v[210:211], -v[194:195], v[4:5], v[210:211]
	v_fma_f64 v[190:191], -v[194:195], v[6:7], v[190:191]
	;; [unrolled: 4-line block ×24, first 2 shown]
.LBB107_31:
	s_or_b32 exec_lo, exec_lo, s1
	s_mov_b32 s1, exec_lo
	s_waitcnt lgkmcnt(0)
	s_barrier
	buffer_gl0_inv
	v_cmpx_eq_u32_e32 6, v0
	s_cbranch_execz .LBB107_34
; %bb.32:
	ds_write_b64 v1, v[212:213]
	ds_write2_b64 v32, v[192:193], v[210:211] offset0:7 offset1:8
	ds_write2_b64 v32, v[190:191], v[208:209] offset0:9 offset1:10
	;; [unrolled: 1-line block ×23, first 2 shown]
	ds_write_b64 v32, v[218:219] offset:424
	ds_read_b64 v[4:5], v1
	s_waitcnt lgkmcnt(0)
	v_cmp_neq_f64_e32 vcc_lo, 0, v[4:5]
	s_and_b32 exec_lo, exec_lo, vcc_lo
	s_cbranch_execz .LBB107_34
; %bb.33:
	v_div_scale_f64 v[6:7], null, v[4:5], v[4:5], 1.0
	v_rcp_f64_e32 v[8:9], v[6:7]
	v_fma_f64 v[10:11], -v[6:7], v[8:9], 1.0
	v_fma_f64 v[8:9], v[8:9], v[10:11], v[8:9]
	v_fma_f64 v[10:11], -v[6:7], v[8:9], 1.0
	v_fma_f64 v[8:9], v[8:9], v[10:11], v[8:9]
	v_div_scale_f64 v[10:11], vcc_lo, 1.0, v[4:5], 1.0
	v_mul_f64 v[12:13], v[10:11], v[8:9]
	v_fma_f64 v[6:7], -v[6:7], v[12:13], v[10:11]
	v_div_fmas_f64 v[6:7], v[6:7], v[8:9], v[12:13]
	v_div_fixup_f64 v[4:5], v[6:7], v[4:5], 1.0
	ds_write_b64 v1, v[4:5]
.LBB107_34:
	s_or_b32 exec_lo, exec_lo, s1
	s_waitcnt lgkmcnt(0)
	s_barrier
	buffer_gl0_inv
	ds_read_b64 v[69:70], v1
	s_mov_b32 s1, exec_lo
	v_cmpx_lt_u32_e32 6, v0
	s_cbranch_execz .LBB107_36
; %bb.35:
	s_waitcnt lgkmcnt(0)
	v_mul_f64 v[212:213], v[69:70], v[212:213]
	ds_read2_b64 v[4:7], v32 offset0:7 offset1:8
	s_waitcnt lgkmcnt(0)
	v_fma_f64 v[192:193], -v[212:213], v[4:5], v[192:193]
	v_fma_f64 v[210:211], -v[212:213], v[6:7], v[210:211]
	ds_read2_b64 v[4:7], v32 offset0:9 offset1:10
	s_waitcnt lgkmcnt(0)
	v_fma_f64 v[190:191], -v[212:213], v[4:5], v[190:191]
	v_fma_f64 v[208:209], -v[212:213], v[6:7], v[208:209]
	;; [unrolled: 4-line block ×22, first 2 shown]
	ds_read2_b64 v[4:7], v32 offset0:51 offset1:52
	s_waitcnt lgkmcnt(0)
	v_fma_f64 v[112:113], -v[212:213], v[4:5], v[112:113]
	ds_read_b64 v[4:5], v32 offset:424
	v_fma_f64 v[146:147], -v[212:213], v[6:7], v[146:147]
	s_waitcnt lgkmcnt(0)
	v_fma_f64 v[218:219], -v[212:213], v[4:5], v[218:219]
.LBB107_36:
	s_or_b32 exec_lo, exec_lo, s1
	s_mov_b32 s1, exec_lo
	s_waitcnt lgkmcnt(0)
	s_barrier
	buffer_gl0_inv
	v_cmpx_eq_u32_e32 7, v0
	s_cbranch_execz .LBB107_39
; %bb.37:
	v_mov_b32_e32 v4, v210
	v_mov_b32_e32 v5, v211
	;; [unrolled: 1-line block ×12, first 2 shown]
	ds_write_b64 v1, v[192:193]
	ds_write2_b64 v32, v[4:5], v[6:7] offset0:8 offset1:9
	ds_write2_b64 v32, v[8:9], v[10:11] offset0:10 offset1:11
	ds_write2_b64 v32, v[12:13], v[14:15] offset0:12 offset1:13
	v_mov_b32_e32 v4, v204
	v_mov_b32_e32 v5, v205
	v_mov_b32_e32 v6, v184
	v_mov_b32_e32 v7, v185
	v_mov_b32_e32 v8, v202
	v_mov_b32_e32 v9, v203
	v_mov_b32_e32 v10, v182
	v_mov_b32_e32 v11, v183
	v_mov_b32_e32 v12, v200
	v_mov_b32_e32 v13, v201
	v_mov_b32_e32 v14, v144
	v_mov_b32_e32 v15, v145
	v_mov_b32_e32 v16, v178
	v_mov_b32_e32 v17, v179
	v_mov_b32_e32 v18, v142
	v_mov_b32_e32 v19, v143
	v_mov_b32_e32 v20, v176
	v_mov_b32_e32 v21, v177
	v_mov_b32_e32 v22, v140
	v_mov_b32_e32 v23, v141
	ds_write2_b64 v32, v[4:5], v[6:7] offset0:14 offset1:15
	ds_write2_b64 v32, v[8:9], v[10:11] offset0:16 offset1:17
	ds_write2_b64 v32, v[12:13], v[14:15] offset0:18 offset1:19
	ds_write2_b64 v32, v[16:17], v[18:19] offset0:20 offset1:21
	ds_write2_b64 v32, v[20:21], v[22:23] offset0:22 offset1:23
	v_mov_b32_e32 v4, v174
	v_mov_b32_e32 v5, v175
	v_mov_b32_e32 v6, v138
	v_mov_b32_e32 v7, v139
	v_mov_b32_e32 v8, v172
	v_mov_b32_e32 v9, v173
	v_mov_b32_e32 v10, v136
	v_mov_b32_e32 v11, v137
	v_mov_b32_e32 v12, v170
	v_mov_b32_e32 v13, v171
	v_mov_b32_e32 v14, v134
	v_mov_b32_e32 v15, v135
	v_mov_b32_e32 v16, v168
	v_mov_b32_e32 v17, v169
	v_mov_b32_e32 v18, v132
	v_mov_b32_e32 v19, v133
	v_mov_b32_e32 v20, v166
	v_mov_b32_e32 v21, v167
	v_mov_b32_e32 v22, v130
	v_mov_b32_e32 v23, v131
	ds_write2_b64 v32, v[4:5], v[6:7] offset0:24 offset1:25
	ds_write2_b64 v32, v[8:9], v[10:11] offset0:26 offset1:27
	;; [unrolled: 25-line block ×3, first 2 shown]
	ds_write2_b64 v32, v[12:13], v[14:15] offset0:38 offset1:39
	ds_write2_b64 v32, v[16:17], v[18:19] offset0:40 offset1:41
	;; [unrolled: 1-line block ×3, first 2 shown]
	v_mov_b32_e32 v4, v154
	v_mov_b32_e32 v5, v155
	;; [unrolled: 1-line block ×18, first 2 shown]
	ds_write2_b64 v32, v[4:5], v[6:7] offset0:44 offset1:45
	ds_write2_b64 v32, v[8:9], v[10:11] offset0:46 offset1:47
	;; [unrolled: 1-line block ×5, first 2 shown]
	ds_read_b64 v[4:5], v1
	s_waitcnt lgkmcnt(0)
	v_cmp_neq_f64_e32 vcc_lo, 0, v[4:5]
	s_and_b32 exec_lo, exec_lo, vcc_lo
	s_cbranch_execz .LBB107_39
; %bb.38:
	v_div_scale_f64 v[6:7], null, v[4:5], v[4:5], 1.0
	v_rcp_f64_e32 v[8:9], v[6:7]
	v_fma_f64 v[10:11], -v[6:7], v[8:9], 1.0
	v_fma_f64 v[8:9], v[8:9], v[10:11], v[8:9]
	v_fma_f64 v[10:11], -v[6:7], v[8:9], 1.0
	v_fma_f64 v[8:9], v[8:9], v[10:11], v[8:9]
	v_div_scale_f64 v[10:11], vcc_lo, 1.0, v[4:5], 1.0
	v_mul_f64 v[12:13], v[10:11], v[8:9]
	v_fma_f64 v[6:7], -v[6:7], v[12:13], v[10:11]
	v_div_fmas_f64 v[6:7], v[6:7], v[8:9], v[12:13]
	v_div_fixup_f64 v[4:5], v[6:7], v[4:5], 1.0
	ds_write_b64 v1, v[4:5]
.LBB107_39:
	s_or_b32 exec_lo, exec_lo, s1
	s_waitcnt lgkmcnt(0)
	s_barrier
	buffer_gl0_inv
	ds_read_b64 v[71:72], v1
	s_mov_b32 s1, exec_lo
	v_cmpx_lt_u32_e32 7, v0
	s_cbranch_execz .LBB107_41
; %bb.40:
	s_waitcnt lgkmcnt(0)
	v_mul_f64 v[192:193], v[71:72], v[192:193]
	ds_read2_b64 v[4:7], v32 offset0:8 offset1:9
	s_waitcnt lgkmcnt(0)
	v_fma_f64 v[210:211], -v[192:193], v[4:5], v[210:211]
	v_fma_f64 v[190:191], -v[192:193], v[6:7], v[190:191]
	ds_read2_b64 v[4:7], v32 offset0:10 offset1:11
	s_waitcnt lgkmcnt(0)
	v_fma_f64 v[208:209], -v[192:193], v[4:5], v[208:209]
	v_fma_f64 v[188:189], -v[192:193], v[6:7], v[188:189]
	;; [unrolled: 4-line block ×23, first 2 shown]
.LBB107_41:
	s_or_b32 exec_lo, exec_lo, s1
	s_mov_b32 s1, exec_lo
	s_waitcnt lgkmcnt(0)
	s_barrier
	buffer_gl0_inv
	v_cmpx_eq_u32_e32 8, v0
	s_cbranch_execz .LBB107_44
; %bb.42:
	ds_write_b64 v1, v[210:211]
	ds_write2_b64 v32, v[190:191], v[208:209] offset0:9 offset1:10
	ds_write2_b64 v32, v[188:189], v[206:207] offset0:11 offset1:12
	;; [unrolled: 1-line block ×22, first 2 shown]
	ds_write_b64 v32, v[218:219] offset:424
	ds_read_b64 v[4:5], v1
	s_waitcnt lgkmcnt(0)
	v_cmp_neq_f64_e32 vcc_lo, 0, v[4:5]
	s_and_b32 exec_lo, exec_lo, vcc_lo
	s_cbranch_execz .LBB107_44
; %bb.43:
	v_div_scale_f64 v[6:7], null, v[4:5], v[4:5], 1.0
	v_rcp_f64_e32 v[8:9], v[6:7]
	v_fma_f64 v[10:11], -v[6:7], v[8:9], 1.0
	v_fma_f64 v[8:9], v[8:9], v[10:11], v[8:9]
	v_fma_f64 v[10:11], -v[6:7], v[8:9], 1.0
	v_fma_f64 v[8:9], v[8:9], v[10:11], v[8:9]
	v_div_scale_f64 v[10:11], vcc_lo, 1.0, v[4:5], 1.0
	v_mul_f64 v[12:13], v[10:11], v[8:9]
	v_fma_f64 v[6:7], -v[6:7], v[12:13], v[10:11]
	v_div_fmas_f64 v[6:7], v[6:7], v[8:9], v[12:13]
	v_div_fixup_f64 v[4:5], v[6:7], v[4:5], 1.0
	ds_write_b64 v1, v[4:5]
.LBB107_44:
	s_or_b32 exec_lo, exec_lo, s1
	s_waitcnt lgkmcnt(0)
	s_barrier
	buffer_gl0_inv
	ds_read_b64 v[73:74], v1
	s_mov_b32 s1, exec_lo
	v_cmpx_lt_u32_e32 8, v0
	s_cbranch_execz .LBB107_46
; %bb.45:
	s_waitcnt lgkmcnt(0)
	v_mul_f64 v[210:211], v[73:74], v[210:211]
	ds_read2_b64 v[4:7], v32 offset0:9 offset1:10
	s_waitcnt lgkmcnt(0)
	v_fma_f64 v[190:191], -v[210:211], v[4:5], v[190:191]
	v_fma_f64 v[208:209], -v[210:211], v[6:7], v[208:209]
	ds_read2_b64 v[4:7], v32 offset0:11 offset1:12
	s_waitcnt lgkmcnt(0)
	v_fma_f64 v[188:189], -v[210:211], v[4:5], v[188:189]
	v_fma_f64 v[206:207], -v[210:211], v[6:7], v[206:207]
	;; [unrolled: 4-line block ×21, first 2 shown]
	ds_read2_b64 v[4:7], v32 offset0:51 offset1:52
	s_waitcnt lgkmcnt(0)
	v_fma_f64 v[112:113], -v[210:211], v[4:5], v[112:113]
	ds_read_b64 v[4:5], v32 offset:424
	v_fma_f64 v[146:147], -v[210:211], v[6:7], v[146:147]
	s_waitcnt lgkmcnt(0)
	v_fma_f64 v[218:219], -v[210:211], v[4:5], v[218:219]
.LBB107_46:
	s_or_b32 exec_lo, exec_lo, s1
	s_mov_b32 s1, exec_lo
	s_waitcnt lgkmcnt(0)
	s_barrier
	buffer_gl0_inv
	v_cmpx_eq_u32_e32 9, v0
	s_cbranch_execz .LBB107_49
; %bb.47:
	v_mov_b32_e32 v4, v208
	v_mov_b32_e32 v5, v209
	v_mov_b32_e32 v6, v188
	v_mov_b32_e32 v7, v189
	ds_write_b64 v1, v[190:191]
	ds_write2_b64 v32, v[4:5], v[6:7] offset0:10 offset1:11
	v_mov_b32_e32 v4, v206
	v_mov_b32_e32 v5, v207
	v_mov_b32_e32 v6, v186
	v_mov_b32_e32 v7, v187
	ds_write2_b64 v32, v[4:5], v[6:7] offset0:12 offset1:13
	v_mov_b32_e32 v4, v204
	v_mov_b32_e32 v5, v205
	v_mov_b32_e32 v6, v184
	v_mov_b32_e32 v7, v185
	;; [unrolled: 5-line block ×20, first 2 shown]
	ds_write2_b64 v32, v[4:5], v[6:7] offset0:50 offset1:51
	v_mov_b32_e32 v4, v146
	v_mov_b32_e32 v5, v147
	ds_write2_b64 v32, v[4:5], v[218:219] offset0:52 offset1:53
	ds_read_b64 v[4:5], v1
	s_waitcnt lgkmcnt(0)
	v_cmp_neq_f64_e32 vcc_lo, 0, v[4:5]
	s_and_b32 exec_lo, exec_lo, vcc_lo
	s_cbranch_execz .LBB107_49
; %bb.48:
	v_div_scale_f64 v[6:7], null, v[4:5], v[4:5], 1.0
	v_rcp_f64_e32 v[8:9], v[6:7]
	v_fma_f64 v[10:11], -v[6:7], v[8:9], 1.0
	v_fma_f64 v[8:9], v[8:9], v[10:11], v[8:9]
	v_fma_f64 v[10:11], -v[6:7], v[8:9], 1.0
	v_fma_f64 v[8:9], v[8:9], v[10:11], v[8:9]
	v_div_scale_f64 v[10:11], vcc_lo, 1.0, v[4:5], 1.0
	v_mul_f64 v[12:13], v[10:11], v[8:9]
	v_fma_f64 v[6:7], -v[6:7], v[12:13], v[10:11]
	v_div_fmas_f64 v[6:7], v[6:7], v[8:9], v[12:13]
	v_div_fixup_f64 v[4:5], v[6:7], v[4:5], 1.0
	ds_write_b64 v1, v[4:5]
.LBB107_49:
	s_or_b32 exec_lo, exec_lo, s1
	s_waitcnt lgkmcnt(0)
	s_barrier
	buffer_gl0_inv
	ds_read_b64 v[75:76], v1
	s_mov_b32 s1, exec_lo
	v_cmpx_lt_u32_e32 9, v0
	s_cbranch_execz .LBB107_51
; %bb.50:
	s_waitcnt lgkmcnt(0)
	v_mul_f64 v[190:191], v[75:76], v[190:191]
	ds_read2_b64 v[4:7], v32 offset0:10 offset1:11
	s_waitcnt lgkmcnt(0)
	v_fma_f64 v[208:209], -v[190:191], v[4:5], v[208:209]
	v_fma_f64 v[188:189], -v[190:191], v[6:7], v[188:189]
	ds_read2_b64 v[4:7], v32 offset0:12 offset1:13
	s_waitcnt lgkmcnt(0)
	v_fma_f64 v[206:207], -v[190:191], v[4:5], v[206:207]
	v_fma_f64 v[186:187], -v[190:191], v[6:7], v[186:187]
	;; [unrolled: 4-line block ×22, first 2 shown]
.LBB107_51:
	s_or_b32 exec_lo, exec_lo, s1
	s_mov_b32 s1, exec_lo
	s_waitcnt lgkmcnt(0)
	s_barrier
	buffer_gl0_inv
	v_cmpx_eq_u32_e32 10, v0
	s_cbranch_execz .LBB107_54
; %bb.52:
	ds_write_b64 v1, v[208:209]
	ds_write2_b64 v32, v[188:189], v[206:207] offset0:11 offset1:12
	ds_write2_b64 v32, v[186:187], v[204:205] offset0:13 offset1:14
	ds_write2_b64 v32, v[184:185], v[202:203] offset0:15 offset1:16
	ds_write2_b64 v32, v[182:183], v[200:201] offset0:17 offset1:18
	ds_write2_b64 v32, v[144:145], v[178:179] offset0:19 offset1:20
	ds_write2_b64 v32, v[142:143], v[176:177] offset0:21 offset1:22
	ds_write2_b64 v32, v[140:141], v[174:175] offset0:23 offset1:24
	ds_write2_b64 v32, v[138:139], v[172:173] offset0:25 offset1:26
	ds_write2_b64 v32, v[136:137], v[170:171] offset0:27 offset1:28
	ds_write2_b64 v32, v[134:135], v[168:169] offset0:29 offset1:30
	ds_write2_b64 v32, v[132:133], v[166:167] offset0:31 offset1:32
	ds_write2_b64 v32, v[130:131], v[164:165] offset0:33 offset1:34
	ds_write2_b64 v32, v[128:129], v[162:163] offset0:35 offset1:36
	ds_write2_b64 v32, v[126:127], v[160:161] offset0:37 offset1:38
	ds_write2_b64 v32, v[124:125], v[158:159] offset0:39 offset1:40
	ds_write2_b64 v32, v[122:123], v[156:157] offset0:41 offset1:42
	ds_write2_b64 v32, v[120:121], v[154:155] offset0:43 offset1:44
	ds_write2_b64 v32, v[118:119], v[152:153] offset0:45 offset1:46
	ds_write2_b64 v32, v[116:117], v[150:151] offset0:47 offset1:48
	ds_write2_b64 v32, v[114:115], v[148:149] offset0:49 offset1:50
	ds_write2_b64 v32, v[112:113], v[146:147] offset0:51 offset1:52
	ds_write_b64 v32, v[218:219] offset:424
	ds_read_b64 v[4:5], v1
	s_waitcnt lgkmcnt(0)
	v_cmp_neq_f64_e32 vcc_lo, 0, v[4:5]
	s_and_b32 exec_lo, exec_lo, vcc_lo
	s_cbranch_execz .LBB107_54
; %bb.53:
	v_div_scale_f64 v[6:7], null, v[4:5], v[4:5], 1.0
	v_rcp_f64_e32 v[8:9], v[6:7]
	v_fma_f64 v[10:11], -v[6:7], v[8:9], 1.0
	v_fma_f64 v[8:9], v[8:9], v[10:11], v[8:9]
	v_fma_f64 v[10:11], -v[6:7], v[8:9], 1.0
	v_fma_f64 v[8:9], v[8:9], v[10:11], v[8:9]
	v_div_scale_f64 v[10:11], vcc_lo, 1.0, v[4:5], 1.0
	v_mul_f64 v[12:13], v[10:11], v[8:9]
	v_fma_f64 v[6:7], -v[6:7], v[12:13], v[10:11]
	v_div_fmas_f64 v[6:7], v[6:7], v[8:9], v[12:13]
	v_div_fixup_f64 v[4:5], v[6:7], v[4:5], 1.0
	ds_write_b64 v1, v[4:5]
.LBB107_54:
	s_or_b32 exec_lo, exec_lo, s1
	s_waitcnt lgkmcnt(0)
	s_barrier
	buffer_gl0_inv
	ds_read_b64 v[77:78], v1
	s_mov_b32 s1, exec_lo
	v_cmpx_lt_u32_e32 10, v0
	s_cbranch_execz .LBB107_56
; %bb.55:
	s_waitcnt lgkmcnt(0)
	v_mul_f64 v[208:209], v[77:78], v[208:209]
	ds_read2_b64 v[4:7], v32 offset0:11 offset1:12
	s_waitcnt lgkmcnt(0)
	v_fma_f64 v[188:189], -v[208:209], v[4:5], v[188:189]
	v_fma_f64 v[206:207], -v[208:209], v[6:7], v[206:207]
	ds_read2_b64 v[4:7], v32 offset0:13 offset1:14
	s_waitcnt lgkmcnt(0)
	v_fma_f64 v[186:187], -v[208:209], v[4:5], v[186:187]
	v_fma_f64 v[204:205], -v[208:209], v[6:7], v[204:205]
	;; [unrolled: 4-line block ×20, first 2 shown]
	ds_read2_b64 v[4:7], v32 offset0:51 offset1:52
	s_waitcnt lgkmcnt(0)
	v_fma_f64 v[112:113], -v[208:209], v[4:5], v[112:113]
	ds_read_b64 v[4:5], v32 offset:424
	v_fma_f64 v[146:147], -v[208:209], v[6:7], v[146:147]
	s_waitcnt lgkmcnt(0)
	v_fma_f64 v[218:219], -v[208:209], v[4:5], v[218:219]
.LBB107_56:
	s_or_b32 exec_lo, exec_lo, s1
	s_mov_b32 s1, exec_lo
	s_waitcnt lgkmcnt(0)
	s_barrier
	buffer_gl0_inv
	v_cmpx_eq_u32_e32 11, v0
	s_cbranch_execz .LBB107_59
; %bb.57:
	v_mov_b32_e32 v4, v206
	v_mov_b32_e32 v5, v207
	;; [unrolled: 1-line block ×4, first 2 shown]
	ds_write_b64 v1, v[188:189]
	ds_write2_b64 v32, v[4:5], v[6:7] offset0:12 offset1:13
	v_mov_b32_e32 v4, v204
	v_mov_b32_e32 v5, v205
	v_mov_b32_e32 v6, v184
	v_mov_b32_e32 v7, v185
	ds_write2_b64 v32, v[4:5], v[6:7] offset0:14 offset1:15
	v_mov_b32_e32 v4, v202
	v_mov_b32_e32 v5, v203
	v_mov_b32_e32 v6, v182
	v_mov_b32_e32 v7, v183
	;; [unrolled: 5-line block ×19, first 2 shown]
	ds_write2_b64 v32, v[4:5], v[6:7] offset0:50 offset1:51
	v_mov_b32_e32 v4, v146
	v_mov_b32_e32 v5, v147
	ds_write2_b64 v32, v[4:5], v[218:219] offset0:52 offset1:53
	ds_read_b64 v[4:5], v1
	s_waitcnt lgkmcnt(0)
	v_cmp_neq_f64_e32 vcc_lo, 0, v[4:5]
	s_and_b32 exec_lo, exec_lo, vcc_lo
	s_cbranch_execz .LBB107_59
; %bb.58:
	v_div_scale_f64 v[6:7], null, v[4:5], v[4:5], 1.0
	v_rcp_f64_e32 v[8:9], v[6:7]
	v_fma_f64 v[10:11], -v[6:7], v[8:9], 1.0
	v_fma_f64 v[8:9], v[8:9], v[10:11], v[8:9]
	v_fma_f64 v[10:11], -v[6:7], v[8:9], 1.0
	v_fma_f64 v[8:9], v[8:9], v[10:11], v[8:9]
	v_div_scale_f64 v[10:11], vcc_lo, 1.0, v[4:5], 1.0
	v_mul_f64 v[12:13], v[10:11], v[8:9]
	v_fma_f64 v[6:7], -v[6:7], v[12:13], v[10:11]
	v_div_fmas_f64 v[6:7], v[6:7], v[8:9], v[12:13]
	v_div_fixup_f64 v[4:5], v[6:7], v[4:5], 1.0
	ds_write_b64 v1, v[4:5]
.LBB107_59:
	s_or_b32 exec_lo, exec_lo, s1
	s_waitcnt lgkmcnt(0)
	s_barrier
	buffer_gl0_inv
	ds_read_b64 v[79:80], v1
	s_mov_b32 s1, exec_lo
	v_cmpx_lt_u32_e32 11, v0
	s_cbranch_execz .LBB107_61
; %bb.60:
	s_waitcnt lgkmcnt(0)
	v_mul_f64 v[188:189], v[79:80], v[188:189]
	ds_read2_b64 v[4:7], v32 offset0:12 offset1:13
	s_waitcnt lgkmcnt(0)
	v_fma_f64 v[206:207], -v[188:189], v[4:5], v[206:207]
	v_fma_f64 v[186:187], -v[188:189], v[6:7], v[186:187]
	ds_read2_b64 v[4:7], v32 offset0:14 offset1:15
	s_waitcnt lgkmcnt(0)
	v_fma_f64 v[204:205], -v[188:189], v[4:5], v[204:205]
	v_fma_f64 v[184:185], -v[188:189], v[6:7], v[184:185]
	;; [unrolled: 4-line block ×21, first 2 shown]
.LBB107_61:
	s_or_b32 exec_lo, exec_lo, s1
	s_mov_b32 s1, exec_lo
	s_waitcnt lgkmcnt(0)
	s_barrier
	buffer_gl0_inv
	v_cmpx_eq_u32_e32 12, v0
	s_cbranch_execz .LBB107_64
; %bb.62:
	ds_write_b64 v1, v[206:207]
	ds_write2_b64 v32, v[186:187], v[204:205] offset0:13 offset1:14
	ds_write2_b64 v32, v[184:185], v[202:203] offset0:15 offset1:16
	;; [unrolled: 1-line block ×20, first 2 shown]
	ds_write_b64 v32, v[218:219] offset:424
	ds_read_b64 v[4:5], v1
	s_waitcnt lgkmcnt(0)
	v_cmp_neq_f64_e32 vcc_lo, 0, v[4:5]
	s_and_b32 exec_lo, exec_lo, vcc_lo
	s_cbranch_execz .LBB107_64
; %bb.63:
	v_div_scale_f64 v[6:7], null, v[4:5], v[4:5], 1.0
	v_rcp_f64_e32 v[8:9], v[6:7]
	v_fma_f64 v[10:11], -v[6:7], v[8:9], 1.0
	v_fma_f64 v[8:9], v[8:9], v[10:11], v[8:9]
	v_fma_f64 v[10:11], -v[6:7], v[8:9], 1.0
	v_fma_f64 v[8:9], v[8:9], v[10:11], v[8:9]
	v_div_scale_f64 v[10:11], vcc_lo, 1.0, v[4:5], 1.0
	v_mul_f64 v[12:13], v[10:11], v[8:9]
	v_fma_f64 v[6:7], -v[6:7], v[12:13], v[10:11]
	v_div_fmas_f64 v[6:7], v[6:7], v[8:9], v[12:13]
	v_div_fixup_f64 v[4:5], v[6:7], v[4:5], 1.0
	ds_write_b64 v1, v[4:5]
.LBB107_64:
	s_or_b32 exec_lo, exec_lo, s1
	s_waitcnt lgkmcnt(0)
	s_barrier
	buffer_gl0_inv
	ds_read_b64 v[81:82], v1
	s_mov_b32 s1, exec_lo
	v_cmpx_lt_u32_e32 12, v0
	s_cbranch_execz .LBB107_66
; %bb.65:
	s_waitcnt lgkmcnt(0)
	v_mul_f64 v[206:207], v[81:82], v[206:207]
	ds_read2_b64 v[4:7], v32 offset0:13 offset1:14
	s_waitcnt lgkmcnt(0)
	v_fma_f64 v[186:187], -v[206:207], v[4:5], v[186:187]
	v_fma_f64 v[204:205], -v[206:207], v[6:7], v[204:205]
	ds_read2_b64 v[4:7], v32 offset0:15 offset1:16
	s_waitcnt lgkmcnt(0)
	v_fma_f64 v[184:185], -v[206:207], v[4:5], v[184:185]
	v_fma_f64 v[202:203], -v[206:207], v[6:7], v[202:203]
	;; [unrolled: 4-line block ×19, first 2 shown]
	ds_read2_b64 v[4:7], v32 offset0:51 offset1:52
	s_waitcnt lgkmcnt(0)
	v_fma_f64 v[112:113], -v[206:207], v[4:5], v[112:113]
	ds_read_b64 v[4:5], v32 offset:424
	v_fma_f64 v[146:147], -v[206:207], v[6:7], v[146:147]
	s_waitcnt lgkmcnt(0)
	v_fma_f64 v[218:219], -v[206:207], v[4:5], v[218:219]
.LBB107_66:
	s_or_b32 exec_lo, exec_lo, s1
	s_mov_b32 s1, exec_lo
	s_waitcnt lgkmcnt(0)
	s_barrier
	buffer_gl0_inv
	v_cmpx_eq_u32_e32 13, v0
	s_cbranch_execz .LBB107_69
; %bb.67:
	v_mov_b32_e32 v4, v204
	v_mov_b32_e32 v5, v205
	;; [unrolled: 1-line block ×4, first 2 shown]
	ds_write_b64 v1, v[186:187]
	ds_write2_b64 v32, v[4:5], v[6:7] offset0:14 offset1:15
	v_mov_b32_e32 v4, v202
	v_mov_b32_e32 v5, v203
	v_mov_b32_e32 v6, v182
	v_mov_b32_e32 v7, v183
	ds_write2_b64 v32, v[4:5], v[6:7] offset0:16 offset1:17
	v_mov_b32_e32 v4, v200
	v_mov_b32_e32 v5, v201
	v_mov_b32_e32 v6, v144
	v_mov_b32_e32 v7, v145
	;; [unrolled: 5-line block ×18, first 2 shown]
	ds_write2_b64 v32, v[4:5], v[6:7] offset0:50 offset1:51
	v_mov_b32_e32 v4, v146
	v_mov_b32_e32 v5, v147
	ds_write2_b64 v32, v[4:5], v[218:219] offset0:52 offset1:53
	ds_read_b64 v[4:5], v1
	s_waitcnt lgkmcnt(0)
	v_cmp_neq_f64_e32 vcc_lo, 0, v[4:5]
	s_and_b32 exec_lo, exec_lo, vcc_lo
	s_cbranch_execz .LBB107_69
; %bb.68:
	v_div_scale_f64 v[6:7], null, v[4:5], v[4:5], 1.0
	v_rcp_f64_e32 v[8:9], v[6:7]
	v_fma_f64 v[10:11], -v[6:7], v[8:9], 1.0
	v_fma_f64 v[8:9], v[8:9], v[10:11], v[8:9]
	v_fma_f64 v[10:11], -v[6:7], v[8:9], 1.0
	v_fma_f64 v[8:9], v[8:9], v[10:11], v[8:9]
	v_div_scale_f64 v[10:11], vcc_lo, 1.0, v[4:5], 1.0
	v_mul_f64 v[12:13], v[10:11], v[8:9]
	v_fma_f64 v[6:7], -v[6:7], v[12:13], v[10:11]
	v_div_fmas_f64 v[6:7], v[6:7], v[8:9], v[12:13]
	v_div_fixup_f64 v[4:5], v[6:7], v[4:5], 1.0
	ds_write_b64 v1, v[4:5]
.LBB107_69:
	s_or_b32 exec_lo, exec_lo, s1
	s_waitcnt lgkmcnt(0)
	s_barrier
	buffer_gl0_inv
	ds_read_b64 v[83:84], v1
	s_mov_b32 s1, exec_lo
	v_cmpx_lt_u32_e32 13, v0
	s_cbranch_execz .LBB107_71
; %bb.70:
	s_waitcnt lgkmcnt(0)
	v_mul_f64 v[186:187], v[83:84], v[186:187]
	ds_read2_b64 v[4:7], v32 offset0:14 offset1:15
	s_waitcnt lgkmcnt(0)
	v_fma_f64 v[204:205], -v[186:187], v[4:5], v[204:205]
	v_fma_f64 v[184:185], -v[186:187], v[6:7], v[184:185]
	ds_read2_b64 v[4:7], v32 offset0:16 offset1:17
	s_waitcnt lgkmcnt(0)
	v_fma_f64 v[202:203], -v[186:187], v[4:5], v[202:203]
	v_fma_f64 v[182:183], -v[186:187], v[6:7], v[182:183]
	;; [unrolled: 4-line block ×20, first 2 shown]
.LBB107_71:
	s_or_b32 exec_lo, exec_lo, s1
	s_mov_b32 s1, exec_lo
	s_waitcnt lgkmcnt(0)
	s_barrier
	buffer_gl0_inv
	v_cmpx_eq_u32_e32 14, v0
	s_cbranch_execz .LBB107_74
; %bb.72:
	ds_write_b64 v1, v[204:205]
	ds_write2_b64 v32, v[184:185], v[202:203] offset0:15 offset1:16
	ds_write2_b64 v32, v[182:183], v[200:201] offset0:17 offset1:18
	;; [unrolled: 1-line block ×19, first 2 shown]
	ds_write_b64 v32, v[218:219] offset:424
	ds_read_b64 v[4:5], v1
	s_waitcnt lgkmcnt(0)
	v_cmp_neq_f64_e32 vcc_lo, 0, v[4:5]
	s_and_b32 exec_lo, exec_lo, vcc_lo
	s_cbranch_execz .LBB107_74
; %bb.73:
	v_div_scale_f64 v[6:7], null, v[4:5], v[4:5], 1.0
	v_rcp_f64_e32 v[8:9], v[6:7]
	v_fma_f64 v[10:11], -v[6:7], v[8:9], 1.0
	v_fma_f64 v[8:9], v[8:9], v[10:11], v[8:9]
	v_fma_f64 v[10:11], -v[6:7], v[8:9], 1.0
	v_fma_f64 v[8:9], v[8:9], v[10:11], v[8:9]
	v_div_scale_f64 v[10:11], vcc_lo, 1.0, v[4:5], 1.0
	v_mul_f64 v[12:13], v[10:11], v[8:9]
	v_fma_f64 v[6:7], -v[6:7], v[12:13], v[10:11]
	v_div_fmas_f64 v[6:7], v[6:7], v[8:9], v[12:13]
	v_div_fixup_f64 v[4:5], v[6:7], v[4:5], 1.0
	ds_write_b64 v1, v[4:5]
.LBB107_74:
	s_or_b32 exec_lo, exec_lo, s1
	s_waitcnt lgkmcnt(0)
	s_barrier
	buffer_gl0_inv
	ds_read_b64 v[85:86], v1
	s_mov_b32 s1, exec_lo
	v_cmpx_lt_u32_e32 14, v0
	s_cbranch_execz .LBB107_76
; %bb.75:
	s_waitcnt lgkmcnt(0)
	v_mul_f64 v[204:205], v[85:86], v[204:205]
	ds_read2_b64 v[4:7], v32 offset0:15 offset1:16
	s_waitcnt lgkmcnt(0)
	v_fma_f64 v[184:185], -v[204:205], v[4:5], v[184:185]
	v_fma_f64 v[202:203], -v[204:205], v[6:7], v[202:203]
	ds_read2_b64 v[4:7], v32 offset0:17 offset1:18
	s_waitcnt lgkmcnt(0)
	v_fma_f64 v[182:183], -v[204:205], v[4:5], v[182:183]
	v_fma_f64 v[200:201], -v[204:205], v[6:7], v[200:201]
	;; [unrolled: 4-line block ×18, first 2 shown]
	ds_read2_b64 v[4:7], v32 offset0:51 offset1:52
	s_waitcnt lgkmcnt(0)
	v_fma_f64 v[112:113], -v[204:205], v[4:5], v[112:113]
	ds_read_b64 v[4:5], v32 offset:424
	v_fma_f64 v[146:147], -v[204:205], v[6:7], v[146:147]
	s_waitcnt lgkmcnt(0)
	v_fma_f64 v[218:219], -v[204:205], v[4:5], v[218:219]
.LBB107_76:
	s_or_b32 exec_lo, exec_lo, s1
	s_mov_b32 s1, exec_lo
	s_waitcnt lgkmcnt(0)
	s_barrier
	buffer_gl0_inv
	v_cmpx_eq_u32_e32 15, v0
	s_cbranch_execz .LBB107_79
; %bb.77:
	v_mov_b32_e32 v4, v202
	v_mov_b32_e32 v5, v203
	;; [unrolled: 1-line block ×4, first 2 shown]
	ds_write_b64 v1, v[184:185]
	ds_write2_b64 v32, v[4:5], v[6:7] offset0:16 offset1:17
	v_mov_b32_e32 v4, v200
	v_mov_b32_e32 v5, v201
	v_mov_b32_e32 v6, v144
	v_mov_b32_e32 v7, v145
	ds_write2_b64 v32, v[4:5], v[6:7] offset0:18 offset1:19
	v_mov_b32_e32 v4, v178
	v_mov_b32_e32 v5, v179
	v_mov_b32_e32 v6, v142
	v_mov_b32_e32 v7, v143
	;; [unrolled: 5-line block ×17, first 2 shown]
	ds_write2_b64 v32, v[4:5], v[6:7] offset0:50 offset1:51
	v_mov_b32_e32 v4, v146
	v_mov_b32_e32 v5, v147
	ds_write2_b64 v32, v[4:5], v[218:219] offset0:52 offset1:53
	ds_read_b64 v[4:5], v1
	s_waitcnt lgkmcnt(0)
	v_cmp_neq_f64_e32 vcc_lo, 0, v[4:5]
	s_and_b32 exec_lo, exec_lo, vcc_lo
	s_cbranch_execz .LBB107_79
; %bb.78:
	v_div_scale_f64 v[6:7], null, v[4:5], v[4:5], 1.0
	v_rcp_f64_e32 v[8:9], v[6:7]
	v_fma_f64 v[10:11], -v[6:7], v[8:9], 1.0
	v_fma_f64 v[8:9], v[8:9], v[10:11], v[8:9]
	v_fma_f64 v[10:11], -v[6:7], v[8:9], 1.0
	v_fma_f64 v[8:9], v[8:9], v[10:11], v[8:9]
	v_div_scale_f64 v[10:11], vcc_lo, 1.0, v[4:5], 1.0
	v_mul_f64 v[12:13], v[10:11], v[8:9]
	v_fma_f64 v[6:7], -v[6:7], v[12:13], v[10:11]
	v_div_fmas_f64 v[6:7], v[6:7], v[8:9], v[12:13]
	v_div_fixup_f64 v[4:5], v[6:7], v[4:5], 1.0
	ds_write_b64 v1, v[4:5]
.LBB107_79:
	s_or_b32 exec_lo, exec_lo, s1
	s_waitcnt lgkmcnt(0)
	s_barrier
	buffer_gl0_inv
	ds_read_b64 v[87:88], v1
	s_mov_b32 s1, exec_lo
	v_cmpx_lt_u32_e32 15, v0
	s_cbranch_execz .LBB107_81
; %bb.80:
	s_waitcnt lgkmcnt(0)
	v_mul_f64 v[184:185], v[87:88], v[184:185]
	ds_read2_b64 v[4:7], v32 offset0:16 offset1:17
	s_waitcnt lgkmcnt(0)
	v_fma_f64 v[202:203], -v[184:185], v[4:5], v[202:203]
	v_fma_f64 v[182:183], -v[184:185], v[6:7], v[182:183]
	ds_read2_b64 v[4:7], v32 offset0:18 offset1:19
	s_waitcnt lgkmcnt(0)
	v_fma_f64 v[200:201], -v[184:185], v[4:5], v[200:201]
	v_fma_f64 v[144:145], -v[184:185], v[6:7], v[144:145]
	;; [unrolled: 4-line block ×19, first 2 shown]
.LBB107_81:
	s_or_b32 exec_lo, exec_lo, s1
	s_mov_b32 s1, exec_lo
	s_waitcnt lgkmcnt(0)
	s_barrier
	buffer_gl0_inv
	v_cmpx_eq_u32_e32 16, v0
	s_cbranch_execz .LBB107_84
; %bb.82:
	ds_write_b64 v1, v[202:203]
	ds_write2_b64 v32, v[182:183], v[200:201] offset0:17 offset1:18
	ds_write2_b64 v32, v[144:145], v[178:179] offset0:19 offset1:20
	;; [unrolled: 1-line block ×18, first 2 shown]
	ds_write_b64 v32, v[218:219] offset:424
	ds_read_b64 v[4:5], v1
	s_waitcnt lgkmcnt(0)
	v_cmp_neq_f64_e32 vcc_lo, 0, v[4:5]
	s_and_b32 exec_lo, exec_lo, vcc_lo
	s_cbranch_execz .LBB107_84
; %bb.83:
	v_div_scale_f64 v[6:7], null, v[4:5], v[4:5], 1.0
	v_rcp_f64_e32 v[8:9], v[6:7]
	v_fma_f64 v[10:11], -v[6:7], v[8:9], 1.0
	v_fma_f64 v[8:9], v[8:9], v[10:11], v[8:9]
	v_fma_f64 v[10:11], -v[6:7], v[8:9], 1.0
	v_fma_f64 v[8:9], v[8:9], v[10:11], v[8:9]
	v_div_scale_f64 v[10:11], vcc_lo, 1.0, v[4:5], 1.0
	v_mul_f64 v[12:13], v[10:11], v[8:9]
	v_fma_f64 v[6:7], -v[6:7], v[12:13], v[10:11]
	v_div_fmas_f64 v[6:7], v[6:7], v[8:9], v[12:13]
	v_div_fixup_f64 v[4:5], v[6:7], v[4:5], 1.0
	ds_write_b64 v1, v[4:5]
.LBB107_84:
	s_or_b32 exec_lo, exec_lo, s1
	s_waitcnt lgkmcnt(0)
	s_barrier
	buffer_gl0_inv
	ds_read_b64 v[89:90], v1
	s_mov_b32 s1, exec_lo
	v_cmpx_lt_u32_e32 16, v0
	s_cbranch_execz .LBB107_86
; %bb.85:
	s_waitcnt lgkmcnt(0)
	v_mul_f64 v[202:203], v[89:90], v[202:203]
	ds_read2_b64 v[4:7], v32 offset0:17 offset1:18
	s_waitcnt lgkmcnt(0)
	v_fma_f64 v[182:183], -v[202:203], v[4:5], v[182:183]
	v_fma_f64 v[200:201], -v[202:203], v[6:7], v[200:201]
	ds_read2_b64 v[4:7], v32 offset0:19 offset1:20
	s_waitcnt lgkmcnt(0)
	v_fma_f64 v[144:145], -v[202:203], v[4:5], v[144:145]
	v_fma_f64 v[178:179], -v[202:203], v[6:7], v[178:179]
	;; [unrolled: 4-line block ×17, first 2 shown]
	ds_read2_b64 v[4:7], v32 offset0:51 offset1:52
	s_waitcnt lgkmcnt(0)
	v_fma_f64 v[112:113], -v[202:203], v[4:5], v[112:113]
	ds_read_b64 v[4:5], v32 offset:424
	v_fma_f64 v[146:147], -v[202:203], v[6:7], v[146:147]
	s_waitcnt lgkmcnt(0)
	v_fma_f64 v[218:219], -v[202:203], v[4:5], v[218:219]
.LBB107_86:
	s_or_b32 exec_lo, exec_lo, s1
	s_mov_b32 s1, exec_lo
	s_waitcnt lgkmcnt(0)
	s_barrier
	buffer_gl0_inv
	v_cmpx_eq_u32_e32 17, v0
	s_cbranch_execz .LBB107_89
; %bb.87:
	v_mov_b32_e32 v4, v200
	v_mov_b32_e32 v5, v201
	;; [unrolled: 1-line block ×4, first 2 shown]
	ds_write_b64 v1, v[182:183]
	ds_write2_b64 v32, v[4:5], v[6:7] offset0:18 offset1:19
	v_mov_b32_e32 v4, v178
	v_mov_b32_e32 v5, v179
	v_mov_b32_e32 v6, v142
	v_mov_b32_e32 v7, v143
	ds_write2_b64 v32, v[4:5], v[6:7] offset0:20 offset1:21
	v_mov_b32_e32 v4, v176
	v_mov_b32_e32 v5, v177
	v_mov_b32_e32 v6, v140
	v_mov_b32_e32 v7, v141
	;; [unrolled: 5-line block ×16, first 2 shown]
	ds_write2_b64 v32, v[4:5], v[6:7] offset0:50 offset1:51
	v_mov_b32_e32 v4, v146
	v_mov_b32_e32 v5, v147
	ds_write2_b64 v32, v[4:5], v[218:219] offset0:52 offset1:53
	ds_read_b64 v[4:5], v1
	s_waitcnt lgkmcnt(0)
	v_cmp_neq_f64_e32 vcc_lo, 0, v[4:5]
	s_and_b32 exec_lo, exec_lo, vcc_lo
	s_cbranch_execz .LBB107_89
; %bb.88:
	v_div_scale_f64 v[6:7], null, v[4:5], v[4:5], 1.0
	v_rcp_f64_e32 v[8:9], v[6:7]
	v_fma_f64 v[10:11], -v[6:7], v[8:9], 1.0
	v_fma_f64 v[8:9], v[8:9], v[10:11], v[8:9]
	v_fma_f64 v[10:11], -v[6:7], v[8:9], 1.0
	v_fma_f64 v[8:9], v[8:9], v[10:11], v[8:9]
	v_div_scale_f64 v[10:11], vcc_lo, 1.0, v[4:5], 1.0
	v_mul_f64 v[12:13], v[10:11], v[8:9]
	v_fma_f64 v[6:7], -v[6:7], v[12:13], v[10:11]
	v_div_fmas_f64 v[6:7], v[6:7], v[8:9], v[12:13]
	v_div_fixup_f64 v[4:5], v[6:7], v[4:5], 1.0
	ds_write_b64 v1, v[4:5]
.LBB107_89:
	s_or_b32 exec_lo, exec_lo, s1
	s_waitcnt lgkmcnt(0)
	s_barrier
	buffer_gl0_inv
	ds_read_b64 v[91:92], v1
	s_mov_b32 s1, exec_lo
	v_cmpx_lt_u32_e32 17, v0
	s_cbranch_execz .LBB107_91
; %bb.90:
	s_waitcnt lgkmcnt(0)
	v_mul_f64 v[182:183], v[91:92], v[182:183]
	ds_read2_b64 v[4:7], v32 offset0:18 offset1:19
	s_waitcnt lgkmcnt(0)
	v_fma_f64 v[200:201], -v[182:183], v[4:5], v[200:201]
	v_fma_f64 v[144:145], -v[182:183], v[6:7], v[144:145]
	ds_read2_b64 v[4:7], v32 offset0:20 offset1:21
	s_waitcnt lgkmcnt(0)
	v_fma_f64 v[178:179], -v[182:183], v[4:5], v[178:179]
	v_fma_f64 v[142:143], -v[182:183], v[6:7], v[142:143]
	;; [unrolled: 4-line block ×18, first 2 shown]
.LBB107_91:
	s_or_b32 exec_lo, exec_lo, s1
	s_mov_b32 s1, exec_lo
	s_waitcnt lgkmcnt(0)
	s_barrier
	buffer_gl0_inv
	v_cmpx_eq_u32_e32 18, v0
	s_cbranch_execz .LBB107_94
; %bb.92:
	ds_write_b64 v1, v[200:201]
	ds_write2_b64 v32, v[144:145], v[178:179] offset0:19 offset1:20
	ds_write2_b64 v32, v[142:143], v[176:177] offset0:21 offset1:22
	;; [unrolled: 1-line block ×17, first 2 shown]
	ds_write_b64 v32, v[218:219] offset:424
	ds_read_b64 v[4:5], v1
	s_waitcnt lgkmcnt(0)
	v_cmp_neq_f64_e32 vcc_lo, 0, v[4:5]
	s_and_b32 exec_lo, exec_lo, vcc_lo
	s_cbranch_execz .LBB107_94
; %bb.93:
	v_div_scale_f64 v[6:7], null, v[4:5], v[4:5], 1.0
	v_rcp_f64_e32 v[8:9], v[6:7]
	v_fma_f64 v[10:11], -v[6:7], v[8:9], 1.0
	v_fma_f64 v[8:9], v[8:9], v[10:11], v[8:9]
	v_fma_f64 v[10:11], -v[6:7], v[8:9], 1.0
	v_fma_f64 v[8:9], v[8:9], v[10:11], v[8:9]
	v_div_scale_f64 v[10:11], vcc_lo, 1.0, v[4:5], 1.0
	v_mul_f64 v[12:13], v[10:11], v[8:9]
	v_fma_f64 v[6:7], -v[6:7], v[12:13], v[10:11]
	v_div_fmas_f64 v[6:7], v[6:7], v[8:9], v[12:13]
	v_div_fixup_f64 v[4:5], v[6:7], v[4:5], 1.0
	ds_write_b64 v1, v[4:5]
.LBB107_94:
	s_or_b32 exec_lo, exec_lo, s1
	s_waitcnt lgkmcnt(0)
	s_barrier
	buffer_gl0_inv
	ds_read_b64 v[93:94], v1
	s_mov_b32 s1, exec_lo
	v_cmpx_lt_u32_e32 18, v0
	s_cbranch_execz .LBB107_96
; %bb.95:
	s_waitcnt lgkmcnt(0)
	v_mul_f64 v[200:201], v[93:94], v[200:201]
	ds_read2_b64 v[4:7], v32 offset0:19 offset1:20
	s_waitcnt lgkmcnt(0)
	v_fma_f64 v[144:145], -v[200:201], v[4:5], v[144:145]
	v_fma_f64 v[178:179], -v[200:201], v[6:7], v[178:179]
	ds_read2_b64 v[4:7], v32 offset0:21 offset1:22
	s_waitcnt lgkmcnt(0)
	v_fma_f64 v[142:143], -v[200:201], v[4:5], v[142:143]
	v_fma_f64 v[176:177], -v[200:201], v[6:7], v[176:177]
	;; [unrolled: 4-line block ×16, first 2 shown]
	ds_read2_b64 v[4:7], v32 offset0:51 offset1:52
	s_waitcnt lgkmcnt(0)
	v_fma_f64 v[112:113], -v[200:201], v[4:5], v[112:113]
	ds_read_b64 v[4:5], v32 offset:424
	v_fma_f64 v[146:147], -v[200:201], v[6:7], v[146:147]
	s_waitcnt lgkmcnt(0)
	v_fma_f64 v[218:219], -v[200:201], v[4:5], v[218:219]
.LBB107_96:
	s_or_b32 exec_lo, exec_lo, s1
	s_mov_b32 s1, exec_lo
	s_waitcnt lgkmcnt(0)
	s_barrier
	buffer_gl0_inv
	v_cmpx_eq_u32_e32 19, v0
	s_cbranch_execz .LBB107_99
; %bb.97:
	v_mov_b32_e32 v4, v178
	v_mov_b32_e32 v5, v179
	;; [unrolled: 1-line block ×4, first 2 shown]
	ds_write_b64 v1, v[144:145]
	ds_write2_b64 v32, v[4:5], v[6:7] offset0:20 offset1:21
	v_mov_b32_e32 v4, v176
	v_mov_b32_e32 v5, v177
	v_mov_b32_e32 v6, v140
	v_mov_b32_e32 v7, v141
	ds_write2_b64 v32, v[4:5], v[6:7] offset0:22 offset1:23
	v_mov_b32_e32 v4, v174
	v_mov_b32_e32 v5, v175
	v_mov_b32_e32 v6, v138
	v_mov_b32_e32 v7, v139
	;; [unrolled: 5-line block ×15, first 2 shown]
	ds_write2_b64 v32, v[4:5], v[6:7] offset0:50 offset1:51
	v_mov_b32_e32 v4, v146
	v_mov_b32_e32 v5, v147
	ds_write2_b64 v32, v[4:5], v[218:219] offset0:52 offset1:53
	ds_read_b64 v[4:5], v1
	s_waitcnt lgkmcnt(0)
	v_cmp_neq_f64_e32 vcc_lo, 0, v[4:5]
	s_and_b32 exec_lo, exec_lo, vcc_lo
	s_cbranch_execz .LBB107_99
; %bb.98:
	v_div_scale_f64 v[6:7], null, v[4:5], v[4:5], 1.0
	v_rcp_f64_e32 v[8:9], v[6:7]
	v_fma_f64 v[10:11], -v[6:7], v[8:9], 1.0
	v_fma_f64 v[8:9], v[8:9], v[10:11], v[8:9]
	v_fma_f64 v[10:11], -v[6:7], v[8:9], 1.0
	v_fma_f64 v[8:9], v[8:9], v[10:11], v[8:9]
	v_div_scale_f64 v[10:11], vcc_lo, 1.0, v[4:5], 1.0
	v_mul_f64 v[12:13], v[10:11], v[8:9]
	v_fma_f64 v[6:7], -v[6:7], v[12:13], v[10:11]
	v_div_fmas_f64 v[6:7], v[6:7], v[8:9], v[12:13]
	v_div_fixup_f64 v[4:5], v[6:7], v[4:5], 1.0
	ds_write_b64 v1, v[4:5]
.LBB107_99:
	s_or_b32 exec_lo, exec_lo, s1
	s_waitcnt lgkmcnt(0)
	s_barrier
	buffer_gl0_inv
	ds_read_b64 v[95:96], v1
	s_mov_b32 s1, exec_lo
	v_cmpx_lt_u32_e32 19, v0
	s_cbranch_execz .LBB107_101
; %bb.100:
	s_waitcnt lgkmcnt(0)
	v_mul_f64 v[144:145], v[95:96], v[144:145]
	ds_read2_b64 v[4:7], v32 offset0:20 offset1:21
	s_waitcnt lgkmcnt(0)
	v_fma_f64 v[178:179], -v[144:145], v[4:5], v[178:179]
	v_fma_f64 v[142:143], -v[144:145], v[6:7], v[142:143]
	ds_read2_b64 v[4:7], v32 offset0:22 offset1:23
	s_waitcnt lgkmcnt(0)
	v_fma_f64 v[176:177], -v[144:145], v[4:5], v[176:177]
	v_fma_f64 v[140:141], -v[144:145], v[6:7], v[140:141]
	;; [unrolled: 4-line block ×17, first 2 shown]
.LBB107_101:
	s_or_b32 exec_lo, exec_lo, s1
	s_mov_b32 s1, exec_lo
	s_waitcnt lgkmcnt(0)
	s_barrier
	buffer_gl0_inv
	v_cmpx_eq_u32_e32 20, v0
	s_cbranch_execz .LBB107_104
; %bb.102:
	ds_write_b64 v1, v[178:179]
	ds_write2_b64 v32, v[142:143], v[176:177] offset0:21 offset1:22
	ds_write2_b64 v32, v[140:141], v[174:175] offset0:23 offset1:24
	;; [unrolled: 1-line block ×16, first 2 shown]
	ds_write_b64 v32, v[218:219] offset:424
	ds_read_b64 v[4:5], v1
	s_waitcnt lgkmcnt(0)
	v_cmp_neq_f64_e32 vcc_lo, 0, v[4:5]
	s_and_b32 exec_lo, exec_lo, vcc_lo
	s_cbranch_execz .LBB107_104
; %bb.103:
	v_div_scale_f64 v[6:7], null, v[4:5], v[4:5], 1.0
	v_rcp_f64_e32 v[8:9], v[6:7]
	v_fma_f64 v[10:11], -v[6:7], v[8:9], 1.0
	v_fma_f64 v[8:9], v[8:9], v[10:11], v[8:9]
	v_fma_f64 v[10:11], -v[6:7], v[8:9], 1.0
	v_fma_f64 v[8:9], v[8:9], v[10:11], v[8:9]
	v_div_scale_f64 v[10:11], vcc_lo, 1.0, v[4:5], 1.0
	v_mul_f64 v[12:13], v[10:11], v[8:9]
	v_fma_f64 v[6:7], -v[6:7], v[12:13], v[10:11]
	v_div_fmas_f64 v[6:7], v[6:7], v[8:9], v[12:13]
	v_div_fixup_f64 v[4:5], v[6:7], v[4:5], 1.0
	ds_write_b64 v1, v[4:5]
.LBB107_104:
	s_or_b32 exec_lo, exec_lo, s1
	s_waitcnt lgkmcnt(0)
	s_barrier
	buffer_gl0_inv
	ds_read_b64 v[97:98], v1
	s_mov_b32 s1, exec_lo
	v_cmpx_lt_u32_e32 20, v0
	s_cbranch_execz .LBB107_106
; %bb.105:
	s_waitcnt lgkmcnt(0)
	v_mul_f64 v[178:179], v[97:98], v[178:179]
	ds_read2_b64 v[4:7], v32 offset0:21 offset1:22
	s_waitcnt lgkmcnt(0)
	v_fma_f64 v[142:143], -v[178:179], v[4:5], v[142:143]
	v_fma_f64 v[176:177], -v[178:179], v[6:7], v[176:177]
	ds_read2_b64 v[4:7], v32 offset0:23 offset1:24
	s_waitcnt lgkmcnt(0)
	v_fma_f64 v[140:141], -v[178:179], v[4:5], v[140:141]
	v_fma_f64 v[174:175], -v[178:179], v[6:7], v[174:175]
	;; [unrolled: 4-line block ×15, first 2 shown]
	ds_read2_b64 v[4:7], v32 offset0:51 offset1:52
	s_waitcnt lgkmcnt(0)
	v_fma_f64 v[112:113], -v[178:179], v[4:5], v[112:113]
	ds_read_b64 v[4:5], v32 offset:424
	v_fma_f64 v[146:147], -v[178:179], v[6:7], v[146:147]
	s_waitcnt lgkmcnt(0)
	v_fma_f64 v[218:219], -v[178:179], v[4:5], v[218:219]
.LBB107_106:
	s_or_b32 exec_lo, exec_lo, s1
	s_mov_b32 s1, exec_lo
	s_waitcnt lgkmcnt(0)
	s_barrier
	buffer_gl0_inv
	v_cmpx_eq_u32_e32 21, v0
	s_cbranch_execz .LBB107_109
; %bb.107:
	v_mov_b32_e32 v4, v176
	v_mov_b32_e32 v5, v177
	;; [unrolled: 1-line block ×4, first 2 shown]
	ds_write_b64 v1, v[142:143]
	ds_write2_b64 v32, v[4:5], v[6:7] offset0:22 offset1:23
	v_mov_b32_e32 v4, v174
	v_mov_b32_e32 v5, v175
	v_mov_b32_e32 v6, v138
	v_mov_b32_e32 v7, v139
	ds_write2_b64 v32, v[4:5], v[6:7] offset0:24 offset1:25
	v_mov_b32_e32 v4, v172
	v_mov_b32_e32 v5, v173
	v_mov_b32_e32 v6, v136
	v_mov_b32_e32 v7, v137
	;; [unrolled: 5-line block ×14, first 2 shown]
	ds_write2_b64 v32, v[4:5], v[6:7] offset0:50 offset1:51
	v_mov_b32_e32 v4, v146
	v_mov_b32_e32 v5, v147
	ds_write2_b64 v32, v[4:5], v[218:219] offset0:52 offset1:53
	ds_read_b64 v[4:5], v1
	s_waitcnt lgkmcnt(0)
	v_cmp_neq_f64_e32 vcc_lo, 0, v[4:5]
	s_and_b32 exec_lo, exec_lo, vcc_lo
	s_cbranch_execz .LBB107_109
; %bb.108:
	v_div_scale_f64 v[6:7], null, v[4:5], v[4:5], 1.0
	v_rcp_f64_e32 v[8:9], v[6:7]
	v_fma_f64 v[10:11], -v[6:7], v[8:9], 1.0
	v_fma_f64 v[8:9], v[8:9], v[10:11], v[8:9]
	v_fma_f64 v[10:11], -v[6:7], v[8:9], 1.0
	v_fma_f64 v[8:9], v[8:9], v[10:11], v[8:9]
	v_div_scale_f64 v[10:11], vcc_lo, 1.0, v[4:5], 1.0
	v_mul_f64 v[12:13], v[10:11], v[8:9]
	v_fma_f64 v[6:7], -v[6:7], v[12:13], v[10:11]
	v_div_fmas_f64 v[6:7], v[6:7], v[8:9], v[12:13]
	v_div_fixup_f64 v[4:5], v[6:7], v[4:5], 1.0
	ds_write_b64 v1, v[4:5]
.LBB107_109:
	s_or_b32 exec_lo, exec_lo, s1
	s_waitcnt lgkmcnt(0)
	s_barrier
	buffer_gl0_inv
	ds_read_b64 v[99:100], v1
	s_mov_b32 s1, exec_lo
	v_cmpx_lt_u32_e32 21, v0
	s_cbranch_execz .LBB107_111
; %bb.110:
	s_waitcnt lgkmcnt(0)
	v_mul_f64 v[142:143], v[99:100], v[142:143]
	ds_read2_b64 v[4:7], v32 offset0:22 offset1:23
	s_waitcnt lgkmcnt(0)
	v_fma_f64 v[176:177], -v[142:143], v[4:5], v[176:177]
	v_fma_f64 v[140:141], -v[142:143], v[6:7], v[140:141]
	ds_read2_b64 v[4:7], v32 offset0:24 offset1:25
	s_waitcnt lgkmcnt(0)
	v_fma_f64 v[174:175], -v[142:143], v[4:5], v[174:175]
	v_fma_f64 v[138:139], -v[142:143], v[6:7], v[138:139]
	;; [unrolled: 4-line block ×16, first 2 shown]
.LBB107_111:
	s_or_b32 exec_lo, exec_lo, s1
	s_mov_b32 s1, exec_lo
	s_waitcnt lgkmcnt(0)
	s_barrier
	buffer_gl0_inv
	v_cmpx_eq_u32_e32 22, v0
	s_cbranch_execz .LBB107_114
; %bb.112:
	ds_write_b64 v1, v[176:177]
	ds_write2_b64 v32, v[140:141], v[174:175] offset0:23 offset1:24
	ds_write2_b64 v32, v[138:139], v[172:173] offset0:25 offset1:26
	;; [unrolled: 1-line block ×15, first 2 shown]
	ds_write_b64 v32, v[218:219] offset:424
	ds_read_b64 v[4:5], v1
	s_waitcnt lgkmcnt(0)
	v_cmp_neq_f64_e32 vcc_lo, 0, v[4:5]
	s_and_b32 exec_lo, exec_lo, vcc_lo
	s_cbranch_execz .LBB107_114
; %bb.113:
	v_div_scale_f64 v[6:7], null, v[4:5], v[4:5], 1.0
	v_rcp_f64_e32 v[8:9], v[6:7]
	v_fma_f64 v[10:11], -v[6:7], v[8:9], 1.0
	v_fma_f64 v[8:9], v[8:9], v[10:11], v[8:9]
	v_fma_f64 v[10:11], -v[6:7], v[8:9], 1.0
	v_fma_f64 v[8:9], v[8:9], v[10:11], v[8:9]
	v_div_scale_f64 v[10:11], vcc_lo, 1.0, v[4:5], 1.0
	v_mul_f64 v[12:13], v[10:11], v[8:9]
	v_fma_f64 v[6:7], -v[6:7], v[12:13], v[10:11]
	v_div_fmas_f64 v[6:7], v[6:7], v[8:9], v[12:13]
	v_div_fixup_f64 v[4:5], v[6:7], v[4:5], 1.0
	ds_write_b64 v1, v[4:5]
.LBB107_114:
	s_or_b32 exec_lo, exec_lo, s1
	s_waitcnt lgkmcnt(0)
	s_barrier
	buffer_gl0_inv
	ds_read_b64 v[105:106], v1
	s_mov_b32 s1, exec_lo
	v_cmpx_lt_u32_e32 22, v0
	s_cbranch_execz .LBB107_116
; %bb.115:
	s_waitcnt lgkmcnt(0)
	v_mul_f64 v[176:177], v[105:106], v[176:177]
	ds_read2_b64 v[4:7], v32 offset0:23 offset1:24
	s_waitcnt lgkmcnt(0)
	v_fma_f64 v[140:141], -v[176:177], v[4:5], v[140:141]
	v_fma_f64 v[174:175], -v[176:177], v[6:7], v[174:175]
	ds_read2_b64 v[4:7], v32 offset0:25 offset1:26
	s_waitcnt lgkmcnt(0)
	v_fma_f64 v[138:139], -v[176:177], v[4:5], v[138:139]
	v_fma_f64 v[172:173], -v[176:177], v[6:7], v[172:173]
	;; [unrolled: 4-line block ×14, first 2 shown]
	ds_read2_b64 v[4:7], v32 offset0:51 offset1:52
	s_waitcnt lgkmcnt(0)
	v_fma_f64 v[112:113], -v[176:177], v[4:5], v[112:113]
	ds_read_b64 v[4:5], v32 offset:424
	v_fma_f64 v[146:147], -v[176:177], v[6:7], v[146:147]
	s_waitcnt lgkmcnt(0)
	v_fma_f64 v[218:219], -v[176:177], v[4:5], v[218:219]
.LBB107_116:
	s_or_b32 exec_lo, exec_lo, s1
	s_mov_b32 s1, exec_lo
	s_waitcnt lgkmcnt(0)
	s_barrier
	buffer_gl0_inv
	v_cmpx_eq_u32_e32 23, v0
	s_cbranch_execz .LBB107_119
; %bb.117:
	v_mov_b32_e32 v4, v174
	v_mov_b32_e32 v5, v175
	v_mov_b32_e32 v6, v138
	v_mov_b32_e32 v7, v139
	ds_write_b64 v1, v[140:141]
	ds_write2_b64 v32, v[4:5], v[6:7] offset0:24 offset1:25
	v_mov_b32_e32 v4, v172
	v_mov_b32_e32 v5, v173
	v_mov_b32_e32 v6, v136
	v_mov_b32_e32 v7, v137
	ds_write2_b64 v32, v[4:5], v[6:7] offset0:26 offset1:27
	v_mov_b32_e32 v4, v170
	v_mov_b32_e32 v5, v171
	v_mov_b32_e32 v6, v134
	v_mov_b32_e32 v7, v135
	;; [unrolled: 5-line block ×13, first 2 shown]
	ds_write2_b64 v32, v[4:5], v[6:7] offset0:50 offset1:51
	v_mov_b32_e32 v4, v146
	v_mov_b32_e32 v5, v147
	ds_write2_b64 v32, v[4:5], v[218:219] offset0:52 offset1:53
	ds_read_b64 v[4:5], v1
	s_waitcnt lgkmcnt(0)
	v_cmp_neq_f64_e32 vcc_lo, 0, v[4:5]
	s_and_b32 exec_lo, exec_lo, vcc_lo
	s_cbranch_execz .LBB107_119
; %bb.118:
	v_div_scale_f64 v[6:7], null, v[4:5], v[4:5], 1.0
	v_rcp_f64_e32 v[8:9], v[6:7]
	v_fma_f64 v[10:11], -v[6:7], v[8:9], 1.0
	v_fma_f64 v[8:9], v[8:9], v[10:11], v[8:9]
	v_fma_f64 v[10:11], -v[6:7], v[8:9], 1.0
	v_fma_f64 v[8:9], v[8:9], v[10:11], v[8:9]
	v_div_scale_f64 v[10:11], vcc_lo, 1.0, v[4:5], 1.0
	v_mul_f64 v[12:13], v[10:11], v[8:9]
	v_fma_f64 v[6:7], -v[6:7], v[12:13], v[10:11]
	v_div_fmas_f64 v[6:7], v[6:7], v[8:9], v[12:13]
	v_div_fixup_f64 v[4:5], v[6:7], v[4:5], 1.0
	ds_write_b64 v1, v[4:5]
.LBB107_119:
	s_or_b32 exec_lo, exec_lo, s1
	s_waitcnt lgkmcnt(0)
	s_barrier
	buffer_gl0_inv
	ds_read_b64 v[40:41], v1
	s_mov_b32 s1, exec_lo
	v_cmpx_lt_u32_e32 23, v0
	s_cbranch_execz .LBB107_121
; %bb.120:
	s_waitcnt lgkmcnt(0)
	v_mul_f64 v[140:141], v[40:41], v[140:141]
	ds_read2_b64 v[4:7], v32 offset0:24 offset1:25
	s_waitcnt lgkmcnt(0)
	v_fma_f64 v[174:175], -v[140:141], v[4:5], v[174:175]
	v_fma_f64 v[138:139], -v[140:141], v[6:7], v[138:139]
	ds_read2_b64 v[4:7], v32 offset0:26 offset1:27
	s_waitcnt lgkmcnt(0)
	v_fma_f64 v[172:173], -v[140:141], v[4:5], v[172:173]
	v_fma_f64 v[136:137], -v[140:141], v[6:7], v[136:137]
	;; [unrolled: 4-line block ×15, first 2 shown]
.LBB107_121:
	s_or_b32 exec_lo, exec_lo, s1
	s_mov_b32 s1, exec_lo
	s_waitcnt lgkmcnt(0)
	s_barrier
	buffer_gl0_inv
	v_cmpx_eq_u32_e32 24, v0
	s_cbranch_execz .LBB107_124
; %bb.122:
	ds_write_b64 v1, v[174:175]
	ds_write2_b64 v32, v[138:139], v[172:173] offset0:25 offset1:26
	ds_write2_b64 v32, v[136:137], v[170:171] offset0:27 offset1:28
	;; [unrolled: 1-line block ×14, first 2 shown]
	ds_write_b64 v32, v[218:219] offset:424
	ds_read_b64 v[4:5], v1
	s_waitcnt lgkmcnt(0)
	v_cmp_neq_f64_e32 vcc_lo, 0, v[4:5]
	s_and_b32 exec_lo, exec_lo, vcc_lo
	s_cbranch_execz .LBB107_124
; %bb.123:
	v_div_scale_f64 v[6:7], null, v[4:5], v[4:5], 1.0
	v_rcp_f64_e32 v[8:9], v[6:7]
	v_fma_f64 v[10:11], -v[6:7], v[8:9], 1.0
	v_fma_f64 v[8:9], v[8:9], v[10:11], v[8:9]
	v_fma_f64 v[10:11], -v[6:7], v[8:9], 1.0
	v_fma_f64 v[8:9], v[8:9], v[10:11], v[8:9]
	v_div_scale_f64 v[10:11], vcc_lo, 1.0, v[4:5], 1.0
	v_mul_f64 v[12:13], v[10:11], v[8:9]
	v_fma_f64 v[6:7], -v[6:7], v[12:13], v[10:11]
	v_div_fmas_f64 v[6:7], v[6:7], v[8:9], v[12:13]
	v_div_fixup_f64 v[4:5], v[6:7], v[4:5], 1.0
	ds_write_b64 v1, v[4:5]
.LBB107_124:
	s_or_b32 exec_lo, exec_lo, s1
	s_waitcnt lgkmcnt(0)
	s_barrier
	buffer_gl0_inv
	ds_read_b64 v[103:104], v1
	s_mov_b32 s1, exec_lo
	v_cmpx_lt_u32_e32 24, v0
	s_cbranch_execz .LBB107_126
; %bb.125:
	s_waitcnt lgkmcnt(0)
	v_mul_f64 v[174:175], v[103:104], v[174:175]
	ds_read2_b64 v[4:7], v32 offset0:25 offset1:26
	s_waitcnt lgkmcnt(0)
	v_fma_f64 v[138:139], -v[174:175], v[4:5], v[138:139]
	v_fma_f64 v[172:173], -v[174:175], v[6:7], v[172:173]
	ds_read2_b64 v[4:7], v32 offset0:27 offset1:28
	s_waitcnt lgkmcnt(0)
	v_fma_f64 v[136:137], -v[174:175], v[4:5], v[136:137]
	v_fma_f64 v[170:171], -v[174:175], v[6:7], v[170:171]
	;; [unrolled: 4-line block ×13, first 2 shown]
	ds_read2_b64 v[4:7], v32 offset0:51 offset1:52
	s_waitcnt lgkmcnt(0)
	v_fma_f64 v[112:113], -v[174:175], v[4:5], v[112:113]
	ds_read_b64 v[4:5], v32 offset:424
	v_fma_f64 v[146:147], -v[174:175], v[6:7], v[146:147]
	s_waitcnt lgkmcnt(0)
	v_fma_f64 v[218:219], -v[174:175], v[4:5], v[218:219]
.LBB107_126:
	s_or_b32 exec_lo, exec_lo, s1
	s_mov_b32 s1, exec_lo
	s_waitcnt lgkmcnt(0)
	s_barrier
	buffer_gl0_inv
	v_cmpx_eq_u32_e32 25, v0
	s_cbranch_execz .LBB107_129
; %bb.127:
	v_mov_b32_e32 v4, v172
	v_mov_b32_e32 v5, v173
	;; [unrolled: 1-line block ×4, first 2 shown]
	ds_write_b64 v1, v[138:139]
	ds_write2_b64 v32, v[4:5], v[6:7] offset0:26 offset1:27
	v_mov_b32_e32 v4, v170
	v_mov_b32_e32 v5, v171
	v_mov_b32_e32 v6, v134
	v_mov_b32_e32 v7, v135
	ds_write2_b64 v32, v[4:5], v[6:7] offset0:28 offset1:29
	v_mov_b32_e32 v4, v168
	v_mov_b32_e32 v5, v169
	v_mov_b32_e32 v6, v132
	v_mov_b32_e32 v7, v133
	;; [unrolled: 5-line block ×12, first 2 shown]
	ds_write2_b64 v32, v[4:5], v[6:7] offset0:50 offset1:51
	v_mov_b32_e32 v4, v146
	v_mov_b32_e32 v5, v147
	ds_write2_b64 v32, v[4:5], v[218:219] offset0:52 offset1:53
	ds_read_b64 v[4:5], v1
	s_waitcnt lgkmcnt(0)
	v_cmp_neq_f64_e32 vcc_lo, 0, v[4:5]
	s_and_b32 exec_lo, exec_lo, vcc_lo
	s_cbranch_execz .LBB107_129
; %bb.128:
	v_div_scale_f64 v[6:7], null, v[4:5], v[4:5], 1.0
	v_rcp_f64_e32 v[8:9], v[6:7]
	v_fma_f64 v[10:11], -v[6:7], v[8:9], 1.0
	v_fma_f64 v[8:9], v[8:9], v[10:11], v[8:9]
	v_fma_f64 v[10:11], -v[6:7], v[8:9], 1.0
	v_fma_f64 v[8:9], v[8:9], v[10:11], v[8:9]
	v_div_scale_f64 v[10:11], vcc_lo, 1.0, v[4:5], 1.0
	v_mul_f64 v[12:13], v[10:11], v[8:9]
	v_fma_f64 v[6:7], -v[6:7], v[12:13], v[10:11]
	v_div_fmas_f64 v[6:7], v[6:7], v[8:9], v[12:13]
	v_div_fixup_f64 v[4:5], v[6:7], v[4:5], 1.0
	ds_write_b64 v1, v[4:5]
.LBB107_129:
	s_or_b32 exec_lo, exec_lo, s1
	s_waitcnt lgkmcnt(0)
	s_barrier
	buffer_gl0_inv
	ds_read_b64 v[110:111], v1
	s_mov_b32 s1, exec_lo
	v_cmpx_lt_u32_e32 25, v0
	s_cbranch_execz .LBB107_131
; %bb.130:
	s_waitcnt lgkmcnt(0)
	v_mul_f64 v[138:139], v[110:111], v[138:139]
	ds_read2_b64 v[4:7], v32 offset0:26 offset1:27
	s_waitcnt lgkmcnt(0)
	v_fma_f64 v[172:173], -v[138:139], v[4:5], v[172:173]
	v_fma_f64 v[136:137], -v[138:139], v[6:7], v[136:137]
	ds_read2_b64 v[4:7], v32 offset0:28 offset1:29
	s_waitcnt lgkmcnt(0)
	v_fma_f64 v[170:171], -v[138:139], v[4:5], v[170:171]
	v_fma_f64 v[134:135], -v[138:139], v[6:7], v[134:135]
	;; [unrolled: 4-line block ×14, first 2 shown]
.LBB107_131:
	s_or_b32 exec_lo, exec_lo, s1
	s_mov_b32 s1, exec_lo
	s_waitcnt lgkmcnt(0)
	s_barrier
	buffer_gl0_inv
	v_cmpx_eq_u32_e32 26, v0
	s_cbranch_execz .LBB107_134
; %bb.132:
	ds_write_b64 v1, v[172:173]
	ds_write2_b64 v32, v[136:137], v[170:171] offset0:27 offset1:28
	ds_write2_b64 v32, v[134:135], v[168:169] offset0:29 offset1:30
	;; [unrolled: 1-line block ×13, first 2 shown]
	ds_write_b64 v32, v[218:219] offset:424
	ds_read_b64 v[4:5], v1
	s_waitcnt lgkmcnt(0)
	v_cmp_neq_f64_e32 vcc_lo, 0, v[4:5]
	s_and_b32 exec_lo, exec_lo, vcc_lo
	s_cbranch_execz .LBB107_134
; %bb.133:
	v_div_scale_f64 v[6:7], null, v[4:5], v[4:5], 1.0
	v_rcp_f64_e32 v[8:9], v[6:7]
	v_fma_f64 v[10:11], -v[6:7], v[8:9], 1.0
	v_fma_f64 v[8:9], v[8:9], v[10:11], v[8:9]
	v_fma_f64 v[10:11], -v[6:7], v[8:9], 1.0
	v_fma_f64 v[8:9], v[8:9], v[10:11], v[8:9]
	v_div_scale_f64 v[10:11], vcc_lo, 1.0, v[4:5], 1.0
	v_mul_f64 v[12:13], v[10:11], v[8:9]
	v_fma_f64 v[6:7], -v[6:7], v[12:13], v[10:11]
	v_div_fmas_f64 v[6:7], v[6:7], v[8:9], v[12:13]
	v_div_fixup_f64 v[4:5], v[6:7], v[4:5], 1.0
	ds_write_b64 v1, v[4:5]
.LBB107_134:
	s_or_b32 exec_lo, exec_lo, s1
	s_waitcnt lgkmcnt(0)
	s_barrier
	buffer_gl0_inv
	ds_read_b64 v[228:229], v1
	s_mov_b32 s1, exec_lo
	v_cmpx_lt_u32_e32 26, v0
	s_cbranch_execz .LBB107_136
; %bb.135:
	s_waitcnt lgkmcnt(0)
	v_mul_f64 v[172:173], v[228:229], v[172:173]
	ds_read2_b64 v[4:7], v32 offset0:27 offset1:28
	s_waitcnt lgkmcnt(0)
	v_fma_f64 v[136:137], -v[172:173], v[4:5], v[136:137]
	v_fma_f64 v[170:171], -v[172:173], v[6:7], v[170:171]
	ds_read2_b64 v[4:7], v32 offset0:29 offset1:30
	s_waitcnt lgkmcnt(0)
	v_fma_f64 v[134:135], -v[172:173], v[4:5], v[134:135]
	v_fma_f64 v[168:169], -v[172:173], v[6:7], v[168:169]
	ds_read2_b64 v[4:7], v32 offset0:31 offset1:32
	s_waitcnt lgkmcnt(0)
	v_fma_f64 v[132:133], -v[172:173], v[4:5], v[132:133]
	v_fma_f64 v[166:167], -v[172:173], v[6:7], v[166:167]
	ds_read2_b64 v[4:7], v32 offset0:33 offset1:34
	s_waitcnt lgkmcnt(0)
	v_fma_f64 v[130:131], -v[172:173], v[4:5], v[130:131]
	v_fma_f64 v[164:165], -v[172:173], v[6:7], v[164:165]
	ds_read2_b64 v[4:7], v32 offset0:35 offset1:36
	s_waitcnt lgkmcnt(0)
	v_fma_f64 v[128:129], -v[172:173], v[4:5], v[128:129]
	v_fma_f64 v[162:163], -v[172:173], v[6:7], v[162:163]
	ds_read2_b64 v[4:7], v32 offset0:37 offset1:38
	s_waitcnt lgkmcnt(0)
	v_fma_f64 v[126:127], -v[172:173], v[4:5], v[126:127]
	v_fma_f64 v[160:161], -v[172:173], v[6:7], v[160:161]
	ds_read2_b64 v[4:7], v32 offset0:39 offset1:40
	s_waitcnt lgkmcnt(0)
	v_fma_f64 v[124:125], -v[172:173], v[4:5], v[124:125]
	v_fma_f64 v[158:159], -v[172:173], v[6:7], v[158:159]
	ds_read2_b64 v[4:7], v32 offset0:41 offset1:42
	s_waitcnt lgkmcnt(0)
	v_fma_f64 v[122:123], -v[172:173], v[4:5], v[122:123]
	v_fma_f64 v[156:157], -v[172:173], v[6:7], v[156:157]
	ds_read2_b64 v[4:7], v32 offset0:43 offset1:44
	s_waitcnt lgkmcnt(0)
	v_fma_f64 v[120:121], -v[172:173], v[4:5], v[120:121]
	v_fma_f64 v[154:155], -v[172:173], v[6:7], v[154:155]
	ds_read2_b64 v[4:7], v32 offset0:45 offset1:46
	s_waitcnt lgkmcnt(0)
	v_fma_f64 v[118:119], -v[172:173], v[4:5], v[118:119]
	v_fma_f64 v[152:153], -v[172:173], v[6:7], v[152:153]
	ds_read2_b64 v[4:7], v32 offset0:47 offset1:48
	s_waitcnt lgkmcnt(0)
	v_fma_f64 v[116:117], -v[172:173], v[4:5], v[116:117]
	v_fma_f64 v[150:151], -v[172:173], v[6:7], v[150:151]
	ds_read2_b64 v[4:7], v32 offset0:49 offset1:50
	s_waitcnt lgkmcnt(0)
	v_fma_f64 v[114:115], -v[172:173], v[4:5], v[114:115]
	v_fma_f64 v[148:149], -v[172:173], v[6:7], v[148:149]
	ds_read2_b64 v[4:7], v32 offset0:51 offset1:52
	s_waitcnt lgkmcnt(0)
	v_fma_f64 v[112:113], -v[172:173], v[4:5], v[112:113]
	ds_read_b64 v[4:5], v32 offset:424
	v_fma_f64 v[146:147], -v[172:173], v[6:7], v[146:147]
	s_waitcnt lgkmcnt(0)
	v_fma_f64 v[218:219], -v[172:173], v[4:5], v[218:219]
.LBB107_136:
	s_or_b32 exec_lo, exec_lo, s1
	s_mov_b32 s1, exec_lo
	s_waitcnt lgkmcnt(0)
	s_barrier
	buffer_gl0_inv
	v_cmpx_eq_u32_e32 27, v0
	s_cbranch_execz .LBB107_139
; %bb.137:
	v_mov_b32_e32 v4, v170
	v_mov_b32_e32 v5, v171
	;; [unrolled: 1-line block ×4, first 2 shown]
	ds_write_b64 v1, v[136:137]
	ds_write2_b64 v32, v[4:5], v[6:7] offset0:28 offset1:29
	v_mov_b32_e32 v4, v168
	v_mov_b32_e32 v5, v169
	v_mov_b32_e32 v6, v132
	v_mov_b32_e32 v7, v133
	ds_write2_b64 v32, v[4:5], v[6:7] offset0:30 offset1:31
	v_mov_b32_e32 v4, v166
	v_mov_b32_e32 v5, v167
	v_mov_b32_e32 v6, v130
	v_mov_b32_e32 v7, v131
	;; [unrolled: 5-line block ×11, first 2 shown]
	ds_write2_b64 v32, v[4:5], v[6:7] offset0:50 offset1:51
	v_mov_b32_e32 v4, v146
	v_mov_b32_e32 v5, v147
	ds_write2_b64 v32, v[4:5], v[218:219] offset0:52 offset1:53
	ds_read_b64 v[4:5], v1
	s_waitcnt lgkmcnt(0)
	v_cmp_neq_f64_e32 vcc_lo, 0, v[4:5]
	s_and_b32 exec_lo, exec_lo, vcc_lo
	s_cbranch_execz .LBB107_139
; %bb.138:
	v_div_scale_f64 v[6:7], null, v[4:5], v[4:5], 1.0
	v_rcp_f64_e32 v[8:9], v[6:7]
	v_fma_f64 v[10:11], -v[6:7], v[8:9], 1.0
	v_fma_f64 v[8:9], v[8:9], v[10:11], v[8:9]
	v_fma_f64 v[10:11], -v[6:7], v[8:9], 1.0
	v_fma_f64 v[8:9], v[8:9], v[10:11], v[8:9]
	v_div_scale_f64 v[10:11], vcc_lo, 1.0, v[4:5], 1.0
	v_mul_f64 v[12:13], v[10:11], v[8:9]
	v_fma_f64 v[6:7], -v[6:7], v[12:13], v[10:11]
	v_div_fmas_f64 v[6:7], v[6:7], v[8:9], v[12:13]
	v_div_fixup_f64 v[4:5], v[6:7], v[4:5], 1.0
	ds_write_b64 v1, v[4:5]
.LBB107_139:
	s_or_b32 exec_lo, exec_lo, s1
	s_waitcnt lgkmcnt(0)
	s_barrier
	buffer_gl0_inv
	ds_read_b64 v[232:233], v1
	s_mov_b32 s1, exec_lo
	v_cmpx_lt_u32_e32 27, v0
	s_cbranch_execz .LBB107_141
; %bb.140:
	s_waitcnt lgkmcnt(0)
	v_mul_f64 v[136:137], v[232:233], v[136:137]
	ds_read2_b64 v[4:7], v32 offset0:28 offset1:29
	s_waitcnt lgkmcnt(0)
	v_fma_f64 v[170:171], -v[136:137], v[4:5], v[170:171]
	v_fma_f64 v[134:135], -v[136:137], v[6:7], v[134:135]
	ds_read2_b64 v[4:7], v32 offset0:30 offset1:31
	s_waitcnt lgkmcnt(0)
	v_fma_f64 v[168:169], -v[136:137], v[4:5], v[168:169]
	v_fma_f64 v[132:133], -v[136:137], v[6:7], v[132:133]
	;; [unrolled: 4-line block ×13, first 2 shown]
.LBB107_141:
	s_or_b32 exec_lo, exec_lo, s1
	s_mov_b32 s1, exec_lo
	s_waitcnt lgkmcnt(0)
	s_barrier
	buffer_gl0_inv
	v_cmpx_eq_u32_e32 28, v0
	s_cbranch_execz .LBB107_144
; %bb.142:
	ds_write_b64 v1, v[170:171]
	ds_write2_b64 v32, v[134:135], v[168:169] offset0:29 offset1:30
	ds_write2_b64 v32, v[132:133], v[166:167] offset0:31 offset1:32
	;; [unrolled: 1-line block ×12, first 2 shown]
	ds_write_b64 v32, v[218:219] offset:424
	ds_read_b64 v[4:5], v1
	s_waitcnt lgkmcnt(0)
	v_cmp_neq_f64_e32 vcc_lo, 0, v[4:5]
	s_and_b32 exec_lo, exec_lo, vcc_lo
	s_cbranch_execz .LBB107_144
; %bb.143:
	v_div_scale_f64 v[6:7], null, v[4:5], v[4:5], 1.0
	v_rcp_f64_e32 v[8:9], v[6:7]
	v_fma_f64 v[10:11], -v[6:7], v[8:9], 1.0
	v_fma_f64 v[8:9], v[8:9], v[10:11], v[8:9]
	v_fma_f64 v[10:11], -v[6:7], v[8:9], 1.0
	v_fma_f64 v[8:9], v[8:9], v[10:11], v[8:9]
	v_div_scale_f64 v[10:11], vcc_lo, 1.0, v[4:5], 1.0
	v_mul_f64 v[12:13], v[10:11], v[8:9]
	v_fma_f64 v[6:7], -v[6:7], v[12:13], v[10:11]
	v_div_fmas_f64 v[6:7], v[6:7], v[8:9], v[12:13]
	v_div_fixup_f64 v[4:5], v[6:7], v[4:5], 1.0
	ds_write_b64 v1, v[4:5]
.LBB107_144:
	s_or_b32 exec_lo, exec_lo, s1
	s_waitcnt lgkmcnt(0)
	s_barrier
	buffer_gl0_inv
	ds_read_b64 v[240:241], v1
	s_mov_b32 s1, exec_lo
	v_cmpx_lt_u32_e32 28, v0
	s_cbranch_execz .LBB107_146
; %bb.145:
	s_waitcnt lgkmcnt(0)
	v_mul_f64 v[170:171], v[240:241], v[170:171]
	ds_read2_b64 v[4:7], v32 offset0:29 offset1:30
	s_waitcnt lgkmcnt(0)
	v_fma_f64 v[134:135], -v[170:171], v[4:5], v[134:135]
	v_fma_f64 v[168:169], -v[170:171], v[6:7], v[168:169]
	ds_read2_b64 v[4:7], v32 offset0:31 offset1:32
	s_waitcnt lgkmcnt(0)
	v_fma_f64 v[132:133], -v[170:171], v[4:5], v[132:133]
	v_fma_f64 v[166:167], -v[170:171], v[6:7], v[166:167]
	;; [unrolled: 4-line block ×11, first 2 shown]
	ds_read2_b64 v[4:7], v32 offset0:51 offset1:52
	s_waitcnt lgkmcnt(0)
	v_fma_f64 v[112:113], -v[170:171], v[4:5], v[112:113]
	ds_read_b64 v[4:5], v32 offset:424
	v_fma_f64 v[146:147], -v[170:171], v[6:7], v[146:147]
	s_waitcnt lgkmcnt(0)
	v_fma_f64 v[218:219], -v[170:171], v[4:5], v[218:219]
.LBB107_146:
	s_or_b32 exec_lo, exec_lo, s1
	s_mov_b32 s1, exec_lo
	s_waitcnt lgkmcnt(0)
	s_barrier
	buffer_gl0_inv
	v_cmpx_eq_u32_e32 29, v0
	s_cbranch_execz .LBB107_149
; %bb.147:
	v_mov_b32_e32 v4, v168
	v_mov_b32_e32 v5, v169
	;; [unrolled: 1-line block ×4, first 2 shown]
	ds_write_b64 v1, v[134:135]
	ds_write2_b64 v32, v[4:5], v[6:7] offset0:30 offset1:31
	v_mov_b32_e32 v4, v166
	v_mov_b32_e32 v5, v167
	v_mov_b32_e32 v6, v130
	v_mov_b32_e32 v7, v131
	ds_write2_b64 v32, v[4:5], v[6:7] offset0:32 offset1:33
	v_mov_b32_e32 v4, v164
	v_mov_b32_e32 v5, v165
	v_mov_b32_e32 v6, v128
	v_mov_b32_e32 v7, v129
	;; [unrolled: 5-line block ×10, first 2 shown]
	ds_write2_b64 v32, v[4:5], v[6:7] offset0:50 offset1:51
	v_mov_b32_e32 v4, v146
	v_mov_b32_e32 v5, v147
	ds_write2_b64 v32, v[4:5], v[218:219] offset0:52 offset1:53
	ds_read_b64 v[4:5], v1
	s_waitcnt lgkmcnt(0)
	v_cmp_neq_f64_e32 vcc_lo, 0, v[4:5]
	s_and_b32 exec_lo, exec_lo, vcc_lo
	s_cbranch_execz .LBB107_149
; %bb.148:
	v_div_scale_f64 v[6:7], null, v[4:5], v[4:5], 1.0
	v_rcp_f64_e32 v[8:9], v[6:7]
	v_fma_f64 v[10:11], -v[6:7], v[8:9], 1.0
	v_fma_f64 v[8:9], v[8:9], v[10:11], v[8:9]
	v_fma_f64 v[10:11], -v[6:7], v[8:9], 1.0
	v_fma_f64 v[8:9], v[8:9], v[10:11], v[8:9]
	v_div_scale_f64 v[10:11], vcc_lo, 1.0, v[4:5], 1.0
	v_mul_f64 v[12:13], v[10:11], v[8:9]
	v_fma_f64 v[6:7], -v[6:7], v[12:13], v[10:11]
	v_div_fmas_f64 v[6:7], v[6:7], v[8:9], v[12:13]
	v_div_fixup_f64 v[4:5], v[6:7], v[4:5], 1.0
	ds_write_b64 v1, v[4:5]
.LBB107_149:
	s_or_b32 exec_lo, exec_lo, s1
	s_waitcnt lgkmcnt(0)
	s_barrier
	buffer_gl0_inv
	ds_read_b64 v[242:243], v1
	s_mov_b32 s1, exec_lo
	v_cmpx_lt_u32_e32 29, v0
	s_cbranch_execz .LBB107_151
; %bb.150:
	s_waitcnt lgkmcnt(0)
	v_mul_f64 v[134:135], v[242:243], v[134:135]
	ds_read2_b64 v[4:7], v32 offset0:30 offset1:31
	s_waitcnt lgkmcnt(0)
	v_fma_f64 v[168:169], -v[134:135], v[4:5], v[168:169]
	v_fma_f64 v[132:133], -v[134:135], v[6:7], v[132:133]
	ds_read2_b64 v[4:7], v32 offset0:32 offset1:33
	s_waitcnt lgkmcnt(0)
	v_fma_f64 v[166:167], -v[134:135], v[4:5], v[166:167]
	v_fma_f64 v[130:131], -v[134:135], v[6:7], v[130:131]
	;; [unrolled: 4-line block ×12, first 2 shown]
.LBB107_151:
	s_or_b32 exec_lo, exec_lo, s1
	s_mov_b32 s1, exec_lo
	s_waitcnt lgkmcnt(0)
	s_barrier
	buffer_gl0_inv
	v_cmpx_eq_u32_e32 30, v0
	s_cbranch_execz .LBB107_154
; %bb.152:
	ds_write_b64 v1, v[168:169]
	ds_write2_b64 v32, v[132:133], v[166:167] offset0:31 offset1:32
	ds_write2_b64 v32, v[130:131], v[164:165] offset0:33 offset1:34
	;; [unrolled: 1-line block ×11, first 2 shown]
	ds_write_b64 v32, v[218:219] offset:424
	ds_read_b64 v[4:5], v1
	s_waitcnt lgkmcnt(0)
	v_cmp_neq_f64_e32 vcc_lo, 0, v[4:5]
	s_and_b32 exec_lo, exec_lo, vcc_lo
	s_cbranch_execz .LBB107_154
; %bb.153:
	v_div_scale_f64 v[6:7], null, v[4:5], v[4:5], 1.0
	v_rcp_f64_e32 v[8:9], v[6:7]
	v_fma_f64 v[10:11], -v[6:7], v[8:9], 1.0
	v_fma_f64 v[8:9], v[8:9], v[10:11], v[8:9]
	v_fma_f64 v[10:11], -v[6:7], v[8:9], 1.0
	v_fma_f64 v[8:9], v[8:9], v[10:11], v[8:9]
	v_div_scale_f64 v[10:11], vcc_lo, 1.0, v[4:5], 1.0
	v_mul_f64 v[12:13], v[10:11], v[8:9]
	v_fma_f64 v[6:7], -v[6:7], v[12:13], v[10:11]
	v_div_fmas_f64 v[6:7], v[6:7], v[8:9], v[12:13]
	v_div_fixup_f64 v[4:5], v[6:7], v[4:5], 1.0
	ds_write_b64 v1, v[4:5]
.LBB107_154:
	s_or_b32 exec_lo, exec_lo, s1
	s_waitcnt lgkmcnt(0)
	s_barrier
	buffer_gl0_inv
	ds_read_b64 v[244:245], v1
	s_mov_b32 s1, exec_lo
	v_cmpx_lt_u32_e32 30, v0
	s_cbranch_execz .LBB107_156
; %bb.155:
	s_waitcnt lgkmcnt(0)
	v_mul_f64 v[168:169], v[244:245], v[168:169]
	ds_read2_b64 v[4:7], v32 offset0:31 offset1:32
	s_waitcnt lgkmcnt(0)
	v_fma_f64 v[132:133], -v[168:169], v[4:5], v[132:133]
	v_fma_f64 v[166:167], -v[168:169], v[6:7], v[166:167]
	ds_read2_b64 v[4:7], v32 offset0:33 offset1:34
	s_waitcnt lgkmcnt(0)
	v_fma_f64 v[130:131], -v[168:169], v[4:5], v[130:131]
	v_fma_f64 v[164:165], -v[168:169], v[6:7], v[164:165]
	;; [unrolled: 4-line block ×10, first 2 shown]
	ds_read2_b64 v[4:7], v32 offset0:51 offset1:52
	s_waitcnt lgkmcnt(0)
	v_fma_f64 v[112:113], -v[168:169], v[4:5], v[112:113]
	ds_read_b64 v[4:5], v32 offset:424
	v_fma_f64 v[146:147], -v[168:169], v[6:7], v[146:147]
	s_waitcnt lgkmcnt(0)
	v_fma_f64 v[218:219], -v[168:169], v[4:5], v[218:219]
.LBB107_156:
	s_or_b32 exec_lo, exec_lo, s1
	s_mov_b32 s1, exec_lo
	s_waitcnt lgkmcnt(0)
	s_barrier
	buffer_gl0_inv
	v_cmpx_eq_u32_e32 31, v0
	s_cbranch_execz .LBB107_159
; %bb.157:
	v_mov_b32_e32 v4, v166
	v_mov_b32_e32 v5, v167
	;; [unrolled: 1-line block ×4, first 2 shown]
	ds_write_b64 v1, v[132:133]
	ds_write2_b64 v32, v[4:5], v[6:7] offset0:32 offset1:33
	v_mov_b32_e32 v4, v164
	v_mov_b32_e32 v5, v165
	v_mov_b32_e32 v6, v128
	v_mov_b32_e32 v7, v129
	ds_write2_b64 v32, v[4:5], v[6:7] offset0:34 offset1:35
	v_mov_b32_e32 v4, v162
	v_mov_b32_e32 v5, v163
	v_mov_b32_e32 v6, v126
	v_mov_b32_e32 v7, v127
	;; [unrolled: 5-line block ×9, first 2 shown]
	ds_write2_b64 v32, v[4:5], v[6:7] offset0:50 offset1:51
	v_mov_b32_e32 v4, v146
	v_mov_b32_e32 v5, v147
	ds_write2_b64 v32, v[4:5], v[218:219] offset0:52 offset1:53
	ds_read_b64 v[4:5], v1
	s_waitcnt lgkmcnt(0)
	v_cmp_neq_f64_e32 vcc_lo, 0, v[4:5]
	s_and_b32 exec_lo, exec_lo, vcc_lo
	s_cbranch_execz .LBB107_159
; %bb.158:
	v_div_scale_f64 v[6:7], null, v[4:5], v[4:5], 1.0
	v_rcp_f64_e32 v[8:9], v[6:7]
	v_fma_f64 v[10:11], -v[6:7], v[8:9], 1.0
	v_fma_f64 v[8:9], v[8:9], v[10:11], v[8:9]
	v_fma_f64 v[10:11], -v[6:7], v[8:9], 1.0
	v_fma_f64 v[8:9], v[8:9], v[10:11], v[8:9]
	v_div_scale_f64 v[10:11], vcc_lo, 1.0, v[4:5], 1.0
	v_mul_f64 v[12:13], v[10:11], v[8:9]
	v_fma_f64 v[6:7], -v[6:7], v[12:13], v[10:11]
	v_div_fmas_f64 v[6:7], v[6:7], v[8:9], v[12:13]
	v_div_fixup_f64 v[4:5], v[6:7], v[4:5], 1.0
	ds_write_b64 v1, v[4:5]
.LBB107_159:
	s_or_b32 exec_lo, exec_lo, s1
	s_waitcnt lgkmcnt(0)
	s_barrier
	buffer_gl0_inv
	ds_read_b64 v[246:247], v1
	s_mov_b32 s1, exec_lo
	v_cmpx_lt_u32_e32 31, v0
	s_cbranch_execz .LBB107_161
; %bb.160:
	s_waitcnt lgkmcnt(0)
	v_mul_f64 v[132:133], v[246:247], v[132:133]
	ds_read2_b64 v[4:7], v32 offset0:32 offset1:33
	s_waitcnt lgkmcnt(0)
	v_fma_f64 v[166:167], -v[132:133], v[4:5], v[166:167]
	v_fma_f64 v[130:131], -v[132:133], v[6:7], v[130:131]
	ds_read2_b64 v[4:7], v32 offset0:34 offset1:35
	s_waitcnt lgkmcnt(0)
	v_fma_f64 v[164:165], -v[132:133], v[4:5], v[164:165]
	v_fma_f64 v[128:129], -v[132:133], v[6:7], v[128:129]
	;; [unrolled: 4-line block ×11, first 2 shown]
.LBB107_161:
	s_or_b32 exec_lo, exec_lo, s1
	s_mov_b32 s1, exec_lo
	s_waitcnt lgkmcnt(0)
	s_barrier
	buffer_gl0_inv
	v_cmpx_eq_u32_e32 32, v0
	s_cbranch_execz .LBB107_164
; %bb.162:
	ds_write_b64 v1, v[166:167]
	ds_write2_b64 v32, v[130:131], v[164:165] offset0:33 offset1:34
	ds_write2_b64 v32, v[128:129], v[162:163] offset0:35 offset1:36
	;; [unrolled: 1-line block ×10, first 2 shown]
	ds_write_b64 v32, v[218:219] offset:424
	ds_read_b64 v[4:5], v1
	s_waitcnt lgkmcnt(0)
	v_cmp_neq_f64_e32 vcc_lo, 0, v[4:5]
	s_and_b32 exec_lo, exec_lo, vcc_lo
	s_cbranch_execz .LBB107_164
; %bb.163:
	v_div_scale_f64 v[6:7], null, v[4:5], v[4:5], 1.0
	v_rcp_f64_e32 v[8:9], v[6:7]
	v_fma_f64 v[10:11], -v[6:7], v[8:9], 1.0
	v_fma_f64 v[8:9], v[8:9], v[10:11], v[8:9]
	v_fma_f64 v[10:11], -v[6:7], v[8:9], 1.0
	v_fma_f64 v[8:9], v[8:9], v[10:11], v[8:9]
	v_div_scale_f64 v[10:11], vcc_lo, 1.0, v[4:5], 1.0
	v_mul_f64 v[12:13], v[10:11], v[8:9]
	v_fma_f64 v[6:7], -v[6:7], v[12:13], v[10:11]
	v_div_fmas_f64 v[6:7], v[6:7], v[8:9], v[12:13]
	v_div_fixup_f64 v[4:5], v[6:7], v[4:5], 1.0
	ds_write_b64 v1, v[4:5]
.LBB107_164:
	s_or_b32 exec_lo, exec_lo, s1
	s_waitcnt lgkmcnt(0)
	s_barrier
	buffer_gl0_inv
	ds_read_b64 v[248:249], v1
	s_mov_b32 s1, exec_lo
	v_cmpx_lt_u32_e32 32, v0
	s_cbranch_execz .LBB107_166
; %bb.165:
	s_waitcnt lgkmcnt(0)
	v_mul_f64 v[166:167], v[248:249], v[166:167]
	ds_read2_b64 v[4:7], v32 offset0:33 offset1:34
	s_waitcnt lgkmcnt(0)
	v_fma_f64 v[130:131], -v[166:167], v[4:5], v[130:131]
	v_fma_f64 v[164:165], -v[166:167], v[6:7], v[164:165]
	ds_read2_b64 v[4:7], v32 offset0:35 offset1:36
	s_waitcnt lgkmcnt(0)
	v_fma_f64 v[128:129], -v[166:167], v[4:5], v[128:129]
	v_fma_f64 v[162:163], -v[166:167], v[6:7], v[162:163]
	;; [unrolled: 4-line block ×9, first 2 shown]
	ds_read2_b64 v[4:7], v32 offset0:51 offset1:52
	s_waitcnt lgkmcnt(0)
	v_fma_f64 v[112:113], -v[166:167], v[4:5], v[112:113]
	ds_read_b64 v[4:5], v32 offset:424
	v_fma_f64 v[146:147], -v[166:167], v[6:7], v[146:147]
	s_waitcnt lgkmcnt(0)
	v_fma_f64 v[218:219], -v[166:167], v[4:5], v[218:219]
.LBB107_166:
	s_or_b32 exec_lo, exec_lo, s1
	s_mov_b32 s1, exec_lo
	s_waitcnt lgkmcnt(0)
	s_barrier
	buffer_gl0_inv
	v_cmpx_eq_u32_e32 33, v0
	s_cbranch_execz .LBB107_169
; %bb.167:
	v_mov_b32_e32 v4, v164
	v_mov_b32_e32 v5, v165
	;; [unrolled: 1-line block ×4, first 2 shown]
	ds_write_b64 v1, v[130:131]
	ds_write2_b64 v32, v[4:5], v[6:7] offset0:34 offset1:35
	v_mov_b32_e32 v4, v162
	v_mov_b32_e32 v5, v163
	v_mov_b32_e32 v6, v126
	v_mov_b32_e32 v7, v127
	ds_write2_b64 v32, v[4:5], v[6:7] offset0:36 offset1:37
	v_mov_b32_e32 v4, v160
	v_mov_b32_e32 v5, v161
	v_mov_b32_e32 v6, v124
	v_mov_b32_e32 v7, v125
	;; [unrolled: 5-line block ×8, first 2 shown]
	ds_write2_b64 v32, v[4:5], v[6:7] offset0:50 offset1:51
	v_mov_b32_e32 v4, v146
	v_mov_b32_e32 v5, v147
	ds_write2_b64 v32, v[4:5], v[218:219] offset0:52 offset1:53
	ds_read_b64 v[4:5], v1
	s_waitcnt lgkmcnt(0)
	v_cmp_neq_f64_e32 vcc_lo, 0, v[4:5]
	s_and_b32 exec_lo, exec_lo, vcc_lo
	s_cbranch_execz .LBB107_169
; %bb.168:
	v_div_scale_f64 v[6:7], null, v[4:5], v[4:5], 1.0
	v_rcp_f64_e32 v[8:9], v[6:7]
	v_fma_f64 v[10:11], -v[6:7], v[8:9], 1.0
	v_fma_f64 v[8:9], v[8:9], v[10:11], v[8:9]
	v_fma_f64 v[10:11], -v[6:7], v[8:9], 1.0
	v_fma_f64 v[8:9], v[8:9], v[10:11], v[8:9]
	v_div_scale_f64 v[10:11], vcc_lo, 1.0, v[4:5], 1.0
	v_mul_f64 v[12:13], v[10:11], v[8:9]
	v_fma_f64 v[6:7], -v[6:7], v[12:13], v[10:11]
	v_div_fmas_f64 v[6:7], v[6:7], v[8:9], v[12:13]
	v_div_fixup_f64 v[4:5], v[6:7], v[4:5], 1.0
	ds_write_b64 v1, v[4:5]
.LBB107_169:
	s_or_b32 exec_lo, exec_lo, s1
	s_waitcnt lgkmcnt(0)
	s_barrier
	buffer_gl0_inv
	ds_read_b64 v[250:251], v1
	s_mov_b32 s1, exec_lo
	v_cmpx_lt_u32_e32 33, v0
	s_cbranch_execz .LBB107_171
; %bb.170:
	s_waitcnt lgkmcnt(0)
	v_mul_f64 v[130:131], v[250:251], v[130:131]
	ds_read2_b64 v[4:7], v32 offset0:34 offset1:35
	s_waitcnt lgkmcnt(0)
	v_fma_f64 v[164:165], -v[130:131], v[4:5], v[164:165]
	v_fma_f64 v[128:129], -v[130:131], v[6:7], v[128:129]
	ds_read2_b64 v[4:7], v32 offset0:36 offset1:37
	s_waitcnt lgkmcnt(0)
	v_fma_f64 v[162:163], -v[130:131], v[4:5], v[162:163]
	v_fma_f64 v[126:127], -v[130:131], v[6:7], v[126:127]
	;; [unrolled: 4-line block ×10, first 2 shown]
.LBB107_171:
	s_or_b32 exec_lo, exec_lo, s1
	s_mov_b32 s1, exec_lo
	s_waitcnt lgkmcnt(0)
	s_barrier
	buffer_gl0_inv
	v_cmpx_eq_u32_e32 34, v0
	s_cbranch_execz .LBB107_174
; %bb.172:
	ds_write_b64 v1, v[164:165]
	ds_write2_b64 v32, v[128:129], v[162:163] offset0:35 offset1:36
	ds_write2_b64 v32, v[126:127], v[160:161] offset0:37 offset1:38
	;; [unrolled: 1-line block ×9, first 2 shown]
	ds_write_b64 v32, v[218:219] offset:424
	ds_read_b64 v[4:5], v1
	s_waitcnt lgkmcnt(0)
	v_cmp_neq_f64_e32 vcc_lo, 0, v[4:5]
	s_and_b32 exec_lo, exec_lo, vcc_lo
	s_cbranch_execz .LBB107_174
; %bb.173:
	v_div_scale_f64 v[6:7], null, v[4:5], v[4:5], 1.0
	v_rcp_f64_e32 v[8:9], v[6:7]
	v_fma_f64 v[10:11], -v[6:7], v[8:9], 1.0
	v_fma_f64 v[8:9], v[8:9], v[10:11], v[8:9]
	v_fma_f64 v[10:11], -v[6:7], v[8:9], 1.0
	v_fma_f64 v[8:9], v[8:9], v[10:11], v[8:9]
	v_div_scale_f64 v[10:11], vcc_lo, 1.0, v[4:5], 1.0
	v_mul_f64 v[12:13], v[10:11], v[8:9]
	v_fma_f64 v[6:7], -v[6:7], v[12:13], v[10:11]
	v_div_fmas_f64 v[6:7], v[6:7], v[8:9], v[12:13]
	v_div_fixup_f64 v[4:5], v[6:7], v[4:5], 1.0
	ds_write_b64 v1, v[4:5]
.LBB107_174:
	s_or_b32 exec_lo, exec_lo, s1
	s_waitcnt lgkmcnt(0)
	s_barrier
	buffer_gl0_inv
	ds_read_b64 v[252:253], v1
	s_mov_b32 s1, exec_lo
	v_cmpx_lt_u32_e32 34, v0
	s_cbranch_execz .LBB107_176
; %bb.175:
	s_waitcnt lgkmcnt(0)
	v_mul_f64 v[164:165], v[252:253], v[164:165]
	ds_read2_b64 v[4:7], v32 offset0:35 offset1:36
	s_waitcnt lgkmcnt(0)
	v_fma_f64 v[128:129], -v[164:165], v[4:5], v[128:129]
	v_fma_f64 v[162:163], -v[164:165], v[6:7], v[162:163]
	ds_read2_b64 v[4:7], v32 offset0:37 offset1:38
	s_waitcnt lgkmcnt(0)
	v_fma_f64 v[126:127], -v[164:165], v[4:5], v[126:127]
	v_fma_f64 v[160:161], -v[164:165], v[6:7], v[160:161]
	;; [unrolled: 4-line block ×8, first 2 shown]
	ds_read2_b64 v[4:7], v32 offset0:51 offset1:52
	s_waitcnt lgkmcnt(0)
	v_fma_f64 v[112:113], -v[164:165], v[4:5], v[112:113]
	ds_read_b64 v[4:5], v32 offset:424
	v_fma_f64 v[146:147], -v[164:165], v[6:7], v[146:147]
	s_waitcnt lgkmcnt(0)
	v_fma_f64 v[218:219], -v[164:165], v[4:5], v[218:219]
.LBB107_176:
	s_or_b32 exec_lo, exec_lo, s1
	s_mov_b32 s1, exec_lo
	s_waitcnt lgkmcnt(0)
	s_barrier
	buffer_gl0_inv
	v_cmpx_eq_u32_e32 35, v0
	s_cbranch_execz .LBB107_179
; %bb.177:
	v_mov_b32_e32 v4, v162
	v_mov_b32_e32 v5, v163
	;; [unrolled: 1-line block ×4, first 2 shown]
	ds_write_b64 v1, v[128:129]
	ds_write2_b64 v32, v[4:5], v[6:7] offset0:36 offset1:37
	v_mov_b32_e32 v4, v160
	v_mov_b32_e32 v5, v161
	v_mov_b32_e32 v6, v124
	v_mov_b32_e32 v7, v125
	ds_write2_b64 v32, v[4:5], v[6:7] offset0:38 offset1:39
	v_mov_b32_e32 v4, v158
	v_mov_b32_e32 v5, v159
	v_mov_b32_e32 v6, v122
	v_mov_b32_e32 v7, v123
	;; [unrolled: 5-line block ×7, first 2 shown]
	ds_write2_b64 v32, v[4:5], v[6:7] offset0:50 offset1:51
	v_mov_b32_e32 v4, v146
	v_mov_b32_e32 v5, v147
	ds_write2_b64 v32, v[4:5], v[218:219] offset0:52 offset1:53
	ds_read_b64 v[4:5], v1
	s_waitcnt lgkmcnt(0)
	v_cmp_neq_f64_e32 vcc_lo, 0, v[4:5]
	s_and_b32 exec_lo, exec_lo, vcc_lo
	s_cbranch_execz .LBB107_179
; %bb.178:
	v_div_scale_f64 v[6:7], null, v[4:5], v[4:5], 1.0
	v_rcp_f64_e32 v[8:9], v[6:7]
	v_fma_f64 v[10:11], -v[6:7], v[8:9], 1.0
	v_fma_f64 v[8:9], v[8:9], v[10:11], v[8:9]
	v_fma_f64 v[10:11], -v[6:7], v[8:9], 1.0
	v_fma_f64 v[8:9], v[8:9], v[10:11], v[8:9]
	v_div_scale_f64 v[10:11], vcc_lo, 1.0, v[4:5], 1.0
	v_mul_f64 v[12:13], v[10:11], v[8:9]
	v_fma_f64 v[6:7], -v[6:7], v[12:13], v[10:11]
	v_div_fmas_f64 v[6:7], v[6:7], v[8:9], v[12:13]
	v_div_fixup_f64 v[4:5], v[6:7], v[4:5], 1.0
	ds_write_b64 v1, v[4:5]
.LBB107_179:
	s_or_b32 exec_lo, exec_lo, s1
	s_waitcnt lgkmcnt(0)
	s_barrier
	buffer_gl0_inv
	ds_read_b64 v[254:255], v1
	s_mov_b32 s1, exec_lo
	v_cmpx_lt_u32_e32 35, v0
	s_cbranch_execz .LBB107_181
; %bb.180:
	s_waitcnt lgkmcnt(0)
	v_mul_f64 v[128:129], v[254:255], v[128:129]
	ds_read2_b64 v[4:7], v32 offset0:36 offset1:37
	s_waitcnt lgkmcnt(0)
	v_fma_f64 v[162:163], -v[128:129], v[4:5], v[162:163]
	v_fma_f64 v[126:127], -v[128:129], v[6:7], v[126:127]
	ds_read2_b64 v[4:7], v32 offset0:38 offset1:39
	s_waitcnt lgkmcnt(0)
	v_fma_f64 v[160:161], -v[128:129], v[4:5], v[160:161]
	v_fma_f64 v[124:125], -v[128:129], v[6:7], v[124:125]
	;; [unrolled: 4-line block ×9, first 2 shown]
.LBB107_181:
	s_or_b32 exec_lo, exec_lo, s1
	s_mov_b32 s1, exec_lo
	s_waitcnt lgkmcnt(0)
	s_barrier
	buffer_gl0_inv
	v_cmpx_eq_u32_e32 36, v0
	s_cbranch_execz .LBB107_184
; %bb.182:
	ds_write_b64 v1, v[162:163]
	ds_write2_b64 v32, v[126:127], v[160:161] offset0:37 offset1:38
	ds_write2_b64 v32, v[124:125], v[158:159] offset0:39 offset1:40
	;; [unrolled: 1-line block ×8, first 2 shown]
	ds_write_b64 v32, v[218:219] offset:424
	ds_read_b64 v[4:5], v1
	s_waitcnt lgkmcnt(0)
	v_cmp_neq_f64_e32 vcc_lo, 0, v[4:5]
	s_and_b32 exec_lo, exec_lo, vcc_lo
	s_cbranch_execz .LBB107_184
; %bb.183:
	v_div_scale_f64 v[6:7], null, v[4:5], v[4:5], 1.0
	v_rcp_f64_e32 v[8:9], v[6:7]
	v_fma_f64 v[10:11], -v[6:7], v[8:9], 1.0
	v_fma_f64 v[8:9], v[8:9], v[10:11], v[8:9]
	v_fma_f64 v[10:11], -v[6:7], v[8:9], 1.0
	v_fma_f64 v[8:9], v[8:9], v[10:11], v[8:9]
	v_div_scale_f64 v[10:11], vcc_lo, 1.0, v[4:5], 1.0
	v_mul_f64 v[12:13], v[10:11], v[8:9]
	v_fma_f64 v[6:7], -v[6:7], v[12:13], v[10:11]
	v_div_fmas_f64 v[6:7], v[6:7], v[8:9], v[12:13]
	v_div_fixup_f64 v[4:5], v[6:7], v[4:5], 1.0
	ds_write_b64 v1, v[4:5]
.LBB107_184:
	s_or_b32 exec_lo, exec_lo, s1
	s_waitcnt lgkmcnt(0)
	s_barrier
	buffer_gl0_inv
	ds_read_b64 v[220:221], v1
	s_mov_b32 s1, exec_lo
	v_cmpx_lt_u32_e32 36, v0
	s_cbranch_execz .LBB107_186
; %bb.185:
	s_waitcnt lgkmcnt(0)
	v_mul_f64 v[162:163], v[220:221], v[162:163]
	ds_read2_b64 v[4:7], v32 offset0:37 offset1:38
	s_waitcnt lgkmcnt(0)
	v_fma_f64 v[126:127], -v[162:163], v[4:5], v[126:127]
	v_fma_f64 v[160:161], -v[162:163], v[6:7], v[160:161]
	ds_read2_b64 v[4:7], v32 offset0:39 offset1:40
	s_waitcnt lgkmcnt(0)
	v_fma_f64 v[124:125], -v[162:163], v[4:5], v[124:125]
	v_fma_f64 v[158:159], -v[162:163], v[6:7], v[158:159]
	;; [unrolled: 4-line block ×7, first 2 shown]
	ds_read2_b64 v[4:7], v32 offset0:51 offset1:52
	s_waitcnt lgkmcnt(0)
	v_fma_f64 v[112:113], -v[162:163], v[4:5], v[112:113]
	ds_read_b64 v[4:5], v32 offset:424
	v_fma_f64 v[146:147], -v[162:163], v[6:7], v[146:147]
	s_waitcnt lgkmcnt(0)
	v_fma_f64 v[218:219], -v[162:163], v[4:5], v[218:219]
.LBB107_186:
	s_or_b32 exec_lo, exec_lo, s1
	s_mov_b32 s1, exec_lo
	s_waitcnt lgkmcnt(0)
	s_barrier
	buffer_gl0_inv
	v_cmpx_eq_u32_e32 37, v0
	s_cbranch_execz .LBB107_189
; %bb.187:
	v_mov_b32_e32 v4, v160
	v_mov_b32_e32 v5, v161
	;; [unrolled: 1-line block ×4, first 2 shown]
	ds_write_b64 v1, v[126:127]
	ds_write2_b64 v32, v[4:5], v[6:7] offset0:38 offset1:39
	v_mov_b32_e32 v4, v158
	v_mov_b32_e32 v5, v159
	v_mov_b32_e32 v6, v122
	v_mov_b32_e32 v7, v123
	ds_write2_b64 v32, v[4:5], v[6:7] offset0:40 offset1:41
	v_mov_b32_e32 v4, v156
	v_mov_b32_e32 v5, v157
	v_mov_b32_e32 v6, v120
	v_mov_b32_e32 v7, v121
	ds_write2_b64 v32, v[4:5], v[6:7] offset0:42 offset1:43
	v_mov_b32_e32 v4, v154
	v_mov_b32_e32 v5, v155
	v_mov_b32_e32 v6, v118
	v_mov_b32_e32 v7, v119
	ds_write2_b64 v32, v[4:5], v[6:7] offset0:44 offset1:45
	v_mov_b32_e32 v4, v152
	v_mov_b32_e32 v5, v153
	v_mov_b32_e32 v6, v116
	v_mov_b32_e32 v7, v117
	ds_write2_b64 v32, v[4:5], v[6:7] offset0:46 offset1:47
	v_mov_b32_e32 v4, v150
	v_mov_b32_e32 v5, v151
	v_mov_b32_e32 v6, v114
	v_mov_b32_e32 v7, v115
	ds_write2_b64 v32, v[4:5], v[6:7] offset0:48 offset1:49
	v_mov_b32_e32 v4, v148
	v_mov_b32_e32 v5, v149
	v_mov_b32_e32 v6, v112
	v_mov_b32_e32 v7, v113
	ds_write2_b64 v32, v[4:5], v[6:7] offset0:50 offset1:51
	v_mov_b32_e32 v4, v146
	v_mov_b32_e32 v5, v147
	ds_write2_b64 v32, v[4:5], v[218:219] offset0:52 offset1:53
	ds_read_b64 v[4:5], v1
	s_waitcnt lgkmcnt(0)
	v_cmp_neq_f64_e32 vcc_lo, 0, v[4:5]
	s_and_b32 exec_lo, exec_lo, vcc_lo
	s_cbranch_execz .LBB107_189
; %bb.188:
	v_div_scale_f64 v[6:7], null, v[4:5], v[4:5], 1.0
	v_rcp_f64_e32 v[8:9], v[6:7]
	v_fma_f64 v[10:11], -v[6:7], v[8:9], 1.0
	v_fma_f64 v[8:9], v[8:9], v[10:11], v[8:9]
	v_fma_f64 v[10:11], -v[6:7], v[8:9], 1.0
	v_fma_f64 v[8:9], v[8:9], v[10:11], v[8:9]
	v_div_scale_f64 v[10:11], vcc_lo, 1.0, v[4:5], 1.0
	v_mul_f64 v[12:13], v[10:11], v[8:9]
	v_fma_f64 v[6:7], -v[6:7], v[12:13], v[10:11]
	v_div_fmas_f64 v[6:7], v[6:7], v[8:9], v[12:13]
	v_div_fixup_f64 v[4:5], v[6:7], v[4:5], 1.0
	ds_write_b64 v1, v[4:5]
.LBB107_189:
	s_or_b32 exec_lo, exec_lo, s1
	s_waitcnt lgkmcnt(0)
	s_barrier
	buffer_gl0_inv
	ds_read_b64 v[222:223], v1
	s_mov_b32 s1, exec_lo
	v_cmpx_lt_u32_e32 37, v0
	s_cbranch_execz .LBB107_191
; %bb.190:
	s_waitcnt lgkmcnt(0)
	v_mul_f64 v[126:127], v[222:223], v[126:127]
	ds_read2_b64 v[4:7], v32 offset0:38 offset1:39
	s_waitcnt lgkmcnt(0)
	v_fma_f64 v[160:161], -v[126:127], v[4:5], v[160:161]
	v_fma_f64 v[124:125], -v[126:127], v[6:7], v[124:125]
	ds_read2_b64 v[4:7], v32 offset0:40 offset1:41
	s_waitcnt lgkmcnt(0)
	v_fma_f64 v[158:159], -v[126:127], v[4:5], v[158:159]
	v_fma_f64 v[122:123], -v[126:127], v[6:7], v[122:123]
	;; [unrolled: 4-line block ×8, first 2 shown]
.LBB107_191:
	s_or_b32 exec_lo, exec_lo, s1
	s_mov_b32 s1, exec_lo
	s_waitcnt lgkmcnt(0)
	s_barrier
	buffer_gl0_inv
	v_cmpx_eq_u32_e32 38, v0
	s_cbranch_execz .LBB107_194
; %bb.192:
	ds_write_b64 v1, v[160:161]
	ds_write2_b64 v32, v[124:125], v[158:159] offset0:39 offset1:40
	ds_write2_b64 v32, v[122:123], v[156:157] offset0:41 offset1:42
	;; [unrolled: 1-line block ×7, first 2 shown]
	ds_write_b64 v32, v[218:219] offset:424
	ds_read_b64 v[4:5], v1
	s_waitcnt lgkmcnt(0)
	v_cmp_neq_f64_e32 vcc_lo, 0, v[4:5]
	s_and_b32 exec_lo, exec_lo, vcc_lo
	s_cbranch_execz .LBB107_194
; %bb.193:
	v_div_scale_f64 v[6:7], null, v[4:5], v[4:5], 1.0
	v_rcp_f64_e32 v[8:9], v[6:7]
	v_fma_f64 v[10:11], -v[6:7], v[8:9], 1.0
	v_fma_f64 v[8:9], v[8:9], v[10:11], v[8:9]
	v_fma_f64 v[10:11], -v[6:7], v[8:9], 1.0
	v_fma_f64 v[8:9], v[8:9], v[10:11], v[8:9]
	v_div_scale_f64 v[10:11], vcc_lo, 1.0, v[4:5], 1.0
	v_mul_f64 v[12:13], v[10:11], v[8:9]
	v_fma_f64 v[6:7], -v[6:7], v[12:13], v[10:11]
	v_div_fmas_f64 v[6:7], v[6:7], v[8:9], v[12:13]
	v_div_fixup_f64 v[4:5], v[6:7], v[4:5], 1.0
	ds_write_b64 v1, v[4:5]
.LBB107_194:
	s_or_b32 exec_lo, exec_lo, s1
	s_waitcnt lgkmcnt(0)
	s_barrier
	buffer_gl0_inv
	ds_read_b64 v[224:225], v1
	s_mov_b32 s1, exec_lo
	v_cmpx_lt_u32_e32 38, v0
	s_cbranch_execz .LBB107_196
; %bb.195:
	s_waitcnt lgkmcnt(0)
	v_mul_f64 v[160:161], v[224:225], v[160:161]
	ds_read2_b64 v[4:7], v32 offset0:39 offset1:40
	s_waitcnt lgkmcnt(0)
	v_fma_f64 v[124:125], -v[160:161], v[4:5], v[124:125]
	v_fma_f64 v[158:159], -v[160:161], v[6:7], v[158:159]
	ds_read2_b64 v[4:7], v32 offset0:41 offset1:42
	s_waitcnt lgkmcnt(0)
	v_fma_f64 v[122:123], -v[160:161], v[4:5], v[122:123]
	v_fma_f64 v[156:157], -v[160:161], v[6:7], v[156:157]
	;; [unrolled: 4-line block ×6, first 2 shown]
	ds_read2_b64 v[4:7], v32 offset0:51 offset1:52
	s_waitcnt lgkmcnt(0)
	v_fma_f64 v[112:113], -v[160:161], v[4:5], v[112:113]
	ds_read_b64 v[4:5], v32 offset:424
	v_fma_f64 v[146:147], -v[160:161], v[6:7], v[146:147]
	s_waitcnt lgkmcnt(0)
	v_fma_f64 v[218:219], -v[160:161], v[4:5], v[218:219]
.LBB107_196:
	s_or_b32 exec_lo, exec_lo, s1
	s_mov_b32 s1, exec_lo
	s_waitcnt lgkmcnt(0)
	s_barrier
	buffer_gl0_inv
	v_cmpx_eq_u32_e32 39, v0
	s_cbranch_execz .LBB107_199
; %bb.197:
	v_mov_b32_e32 v4, v158
	v_mov_b32_e32 v5, v159
	v_mov_b32_e32 v6, v122
	v_mov_b32_e32 v7, v123
	ds_write_b64 v1, v[124:125]
	ds_write2_b64 v32, v[4:5], v[6:7] offset0:40 offset1:41
	v_mov_b32_e32 v4, v156
	v_mov_b32_e32 v5, v157
	v_mov_b32_e32 v6, v120
	v_mov_b32_e32 v7, v121
	ds_write2_b64 v32, v[4:5], v[6:7] offset0:42 offset1:43
	v_mov_b32_e32 v4, v154
	v_mov_b32_e32 v5, v155
	v_mov_b32_e32 v6, v118
	v_mov_b32_e32 v7, v119
	;; [unrolled: 5-line block ×5, first 2 shown]
	ds_write2_b64 v32, v[4:5], v[6:7] offset0:50 offset1:51
	v_mov_b32_e32 v4, v146
	v_mov_b32_e32 v5, v147
	ds_write2_b64 v32, v[4:5], v[218:219] offset0:52 offset1:53
	ds_read_b64 v[4:5], v1
	s_waitcnt lgkmcnt(0)
	v_cmp_neq_f64_e32 vcc_lo, 0, v[4:5]
	s_and_b32 exec_lo, exec_lo, vcc_lo
	s_cbranch_execz .LBB107_199
; %bb.198:
	v_div_scale_f64 v[6:7], null, v[4:5], v[4:5], 1.0
	v_rcp_f64_e32 v[8:9], v[6:7]
	v_fma_f64 v[10:11], -v[6:7], v[8:9], 1.0
	v_fma_f64 v[8:9], v[8:9], v[10:11], v[8:9]
	v_fma_f64 v[10:11], -v[6:7], v[8:9], 1.0
	v_fma_f64 v[8:9], v[8:9], v[10:11], v[8:9]
	v_div_scale_f64 v[10:11], vcc_lo, 1.0, v[4:5], 1.0
	v_mul_f64 v[12:13], v[10:11], v[8:9]
	v_fma_f64 v[6:7], -v[6:7], v[12:13], v[10:11]
	v_div_fmas_f64 v[6:7], v[6:7], v[8:9], v[12:13]
	v_div_fixup_f64 v[4:5], v[6:7], v[4:5], 1.0
	ds_write_b64 v1, v[4:5]
.LBB107_199:
	s_or_b32 exec_lo, exec_lo, s1
	s_waitcnt lgkmcnt(0)
	s_barrier
	buffer_gl0_inv
	ds_read_b64 v[226:227], v1
	s_mov_b32 s1, exec_lo
	v_cmpx_lt_u32_e32 39, v0
	s_cbranch_execz .LBB107_201
; %bb.200:
	s_waitcnt lgkmcnt(0)
	v_mul_f64 v[124:125], v[226:227], v[124:125]
	ds_read2_b64 v[4:7], v32 offset0:40 offset1:41
	s_waitcnt lgkmcnt(0)
	v_fma_f64 v[158:159], -v[124:125], v[4:5], v[158:159]
	v_fma_f64 v[122:123], -v[124:125], v[6:7], v[122:123]
	ds_read2_b64 v[4:7], v32 offset0:42 offset1:43
	s_waitcnt lgkmcnt(0)
	v_fma_f64 v[156:157], -v[124:125], v[4:5], v[156:157]
	v_fma_f64 v[120:121], -v[124:125], v[6:7], v[120:121]
	;; [unrolled: 4-line block ×7, first 2 shown]
.LBB107_201:
	s_or_b32 exec_lo, exec_lo, s1
	s_mov_b32 s1, exec_lo
	s_waitcnt lgkmcnt(0)
	s_barrier
	buffer_gl0_inv
	v_cmpx_eq_u32_e32 40, v0
	s_cbranch_execz .LBB107_204
; %bb.202:
	ds_write_b64 v1, v[158:159]
	ds_write2_b64 v32, v[122:123], v[156:157] offset0:41 offset1:42
	ds_write2_b64 v32, v[120:121], v[154:155] offset0:43 offset1:44
	;; [unrolled: 1-line block ×6, first 2 shown]
	ds_write_b64 v32, v[218:219] offset:424
	ds_read_b64 v[4:5], v1
	s_waitcnt lgkmcnt(0)
	v_cmp_neq_f64_e32 vcc_lo, 0, v[4:5]
	s_and_b32 exec_lo, exec_lo, vcc_lo
	s_cbranch_execz .LBB107_204
; %bb.203:
	v_div_scale_f64 v[6:7], null, v[4:5], v[4:5], 1.0
	v_rcp_f64_e32 v[8:9], v[6:7]
	v_fma_f64 v[10:11], -v[6:7], v[8:9], 1.0
	v_fma_f64 v[8:9], v[8:9], v[10:11], v[8:9]
	v_fma_f64 v[10:11], -v[6:7], v[8:9], 1.0
	v_fma_f64 v[8:9], v[8:9], v[10:11], v[8:9]
	v_div_scale_f64 v[10:11], vcc_lo, 1.0, v[4:5], 1.0
	v_mul_f64 v[12:13], v[10:11], v[8:9]
	v_fma_f64 v[6:7], -v[6:7], v[12:13], v[10:11]
	v_div_fmas_f64 v[6:7], v[6:7], v[8:9], v[12:13]
	v_div_fixup_f64 v[4:5], v[6:7], v[4:5], 1.0
	ds_write_b64 v1, v[4:5]
.LBB107_204:
	s_or_b32 exec_lo, exec_lo, s1
	s_waitcnt lgkmcnt(0)
	s_barrier
	buffer_gl0_inv
	ds_read_b64 v[4:5], v1
	s_mov_b32 s1, exec_lo
	v_cmpx_lt_u32_e32 40, v0
	s_cbranch_execz .LBB107_206
; %bb.205:
	s_waitcnt lgkmcnt(0)
	v_mul_f64 v[158:159], v[4:5], v[158:159]
	ds_read2_b64 v[6:9], v32 offset0:41 offset1:42
	s_waitcnt lgkmcnt(0)
	v_fma_f64 v[122:123], -v[158:159], v[6:7], v[122:123]
	v_fma_f64 v[156:157], -v[158:159], v[8:9], v[156:157]
	ds_read2_b64 v[6:9], v32 offset0:43 offset1:44
	s_waitcnt lgkmcnt(0)
	v_fma_f64 v[120:121], -v[158:159], v[6:7], v[120:121]
	v_fma_f64 v[154:155], -v[158:159], v[8:9], v[154:155]
	;; [unrolled: 4-line block ×5, first 2 shown]
	ds_read2_b64 v[6:9], v32 offset0:51 offset1:52
	s_waitcnt lgkmcnt(0)
	v_fma_f64 v[112:113], -v[158:159], v[6:7], v[112:113]
	ds_read_b64 v[6:7], v32 offset:424
	v_fma_f64 v[146:147], -v[158:159], v[8:9], v[146:147]
	s_waitcnt lgkmcnt(0)
	v_fma_f64 v[218:219], -v[158:159], v[6:7], v[218:219]
.LBB107_206:
	s_or_b32 exec_lo, exec_lo, s1
	s_mov_b32 s1, exec_lo
	s_waitcnt lgkmcnt(0)
	s_barrier
	buffer_gl0_inv
	v_cmpx_eq_u32_e32 41, v0
	s_cbranch_execz .LBB107_209
; %bb.207:
	v_mov_b32_e32 v6, v156
	v_mov_b32_e32 v7, v157
	;; [unrolled: 1-line block ×4, first 2 shown]
	ds_write_b64 v1, v[122:123]
	ds_write2_b64 v32, v[6:7], v[8:9] offset0:42 offset1:43
	v_mov_b32_e32 v6, v154
	v_mov_b32_e32 v7, v155
	v_mov_b32_e32 v8, v118
	v_mov_b32_e32 v9, v119
	ds_write2_b64 v32, v[6:7], v[8:9] offset0:44 offset1:45
	v_mov_b32_e32 v6, v152
	v_mov_b32_e32 v7, v153
	v_mov_b32_e32 v8, v116
	v_mov_b32_e32 v9, v117
	;; [unrolled: 5-line block ×4, first 2 shown]
	ds_write2_b64 v32, v[6:7], v[8:9] offset0:50 offset1:51
	v_mov_b32_e32 v6, v146
	v_mov_b32_e32 v7, v147
	ds_write2_b64 v32, v[6:7], v[218:219] offset0:52 offset1:53
	ds_read_b64 v[6:7], v1
	s_waitcnt lgkmcnt(0)
	v_cmp_neq_f64_e32 vcc_lo, 0, v[6:7]
	s_and_b32 exec_lo, exec_lo, vcc_lo
	s_cbranch_execz .LBB107_209
; %bb.208:
	v_div_scale_f64 v[8:9], null, v[6:7], v[6:7], 1.0
	v_rcp_f64_e32 v[10:11], v[8:9]
	v_fma_f64 v[12:13], -v[8:9], v[10:11], 1.0
	v_fma_f64 v[10:11], v[10:11], v[12:13], v[10:11]
	v_fma_f64 v[12:13], -v[8:9], v[10:11], 1.0
	v_fma_f64 v[10:11], v[10:11], v[12:13], v[10:11]
	v_div_scale_f64 v[12:13], vcc_lo, 1.0, v[6:7], 1.0
	v_mul_f64 v[14:15], v[12:13], v[10:11]
	v_fma_f64 v[8:9], -v[8:9], v[14:15], v[12:13]
	v_div_fmas_f64 v[8:9], v[8:9], v[10:11], v[14:15]
	v_div_fixup_f64 v[6:7], v[8:9], v[6:7], 1.0
	ds_write_b64 v1, v[6:7]
.LBB107_209:
	s_or_b32 exec_lo, exec_lo, s1
	s_waitcnt lgkmcnt(0)
	s_barrier
	buffer_gl0_inv
	ds_read_b64 v[6:7], v1
	s_mov_b32 s1, exec_lo
	v_cmpx_lt_u32_e32 41, v0
	s_cbranch_execz .LBB107_211
; %bb.210:
	s_waitcnt lgkmcnt(0)
	v_mul_f64 v[122:123], v[6:7], v[122:123]
	ds_read2_b64 v[8:11], v32 offset0:42 offset1:43
	s_waitcnt lgkmcnt(0)
	v_fma_f64 v[156:157], -v[122:123], v[8:9], v[156:157]
	v_fma_f64 v[120:121], -v[122:123], v[10:11], v[120:121]
	ds_read2_b64 v[8:11], v32 offset0:44 offset1:45
	s_waitcnt lgkmcnt(0)
	v_fma_f64 v[154:155], -v[122:123], v[8:9], v[154:155]
	v_fma_f64 v[118:119], -v[122:123], v[10:11], v[118:119]
	;; [unrolled: 4-line block ×6, first 2 shown]
.LBB107_211:
	s_or_b32 exec_lo, exec_lo, s1
	s_mov_b32 s1, exec_lo
	s_waitcnt lgkmcnt(0)
	s_barrier
	buffer_gl0_inv
	v_cmpx_eq_u32_e32 42, v0
	s_cbranch_execz .LBB107_214
; %bb.212:
	ds_write_b64 v1, v[156:157]
	ds_write2_b64 v32, v[120:121], v[154:155] offset0:43 offset1:44
	ds_write2_b64 v32, v[118:119], v[152:153] offset0:45 offset1:46
	;; [unrolled: 1-line block ×5, first 2 shown]
	ds_write_b64 v32, v[218:219] offset:424
	ds_read_b64 v[8:9], v1
	s_waitcnt lgkmcnt(0)
	v_cmp_neq_f64_e32 vcc_lo, 0, v[8:9]
	s_and_b32 exec_lo, exec_lo, vcc_lo
	s_cbranch_execz .LBB107_214
; %bb.213:
	v_div_scale_f64 v[10:11], null, v[8:9], v[8:9], 1.0
	v_rcp_f64_e32 v[12:13], v[10:11]
	v_fma_f64 v[14:15], -v[10:11], v[12:13], 1.0
	v_fma_f64 v[12:13], v[12:13], v[14:15], v[12:13]
	v_fma_f64 v[14:15], -v[10:11], v[12:13], 1.0
	v_fma_f64 v[12:13], v[12:13], v[14:15], v[12:13]
	v_div_scale_f64 v[14:15], vcc_lo, 1.0, v[8:9], 1.0
	v_mul_f64 v[16:17], v[14:15], v[12:13]
	v_fma_f64 v[10:11], -v[10:11], v[16:17], v[14:15]
	v_div_fmas_f64 v[10:11], v[10:11], v[12:13], v[16:17]
	v_div_fixup_f64 v[8:9], v[10:11], v[8:9], 1.0
	ds_write_b64 v1, v[8:9]
.LBB107_214:
	s_or_b32 exec_lo, exec_lo, s1
	s_waitcnt lgkmcnt(0)
	s_barrier
	buffer_gl0_inv
	ds_read_b64 v[8:9], v1
	s_mov_b32 s1, exec_lo
	v_cmpx_lt_u32_e32 42, v0
	s_cbranch_execz .LBB107_216
; %bb.215:
	s_waitcnt lgkmcnt(0)
	v_mul_f64 v[156:157], v[8:9], v[156:157]
	ds_read2_b64 v[10:13], v32 offset0:43 offset1:44
	s_waitcnt lgkmcnt(0)
	v_fma_f64 v[120:121], -v[156:157], v[10:11], v[120:121]
	v_fma_f64 v[154:155], -v[156:157], v[12:13], v[154:155]
	ds_read2_b64 v[10:13], v32 offset0:45 offset1:46
	s_waitcnt lgkmcnt(0)
	v_fma_f64 v[118:119], -v[156:157], v[10:11], v[118:119]
	v_fma_f64 v[152:153], -v[156:157], v[12:13], v[152:153]
	;; [unrolled: 4-line block ×4, first 2 shown]
	ds_read2_b64 v[10:13], v32 offset0:51 offset1:52
	s_waitcnt lgkmcnt(0)
	v_fma_f64 v[112:113], -v[156:157], v[10:11], v[112:113]
	ds_read_b64 v[10:11], v32 offset:424
	v_fma_f64 v[146:147], -v[156:157], v[12:13], v[146:147]
	s_waitcnt lgkmcnt(0)
	v_fma_f64 v[218:219], -v[156:157], v[10:11], v[218:219]
.LBB107_216:
	s_or_b32 exec_lo, exec_lo, s1
	s_mov_b32 s1, exec_lo
	s_waitcnt lgkmcnt(0)
	s_barrier
	buffer_gl0_inv
	v_cmpx_eq_u32_e32 43, v0
	s_cbranch_execz .LBB107_219
; %bb.217:
	v_mov_b32_e32 v10, v154
	v_mov_b32_e32 v11, v155
	;; [unrolled: 1-line block ×4, first 2 shown]
	ds_write_b64 v1, v[120:121]
	ds_write2_b64 v32, v[10:11], v[12:13] offset0:44 offset1:45
	v_mov_b32_e32 v10, v152
	v_mov_b32_e32 v11, v153
	v_mov_b32_e32 v12, v116
	v_mov_b32_e32 v13, v117
	ds_write2_b64 v32, v[10:11], v[12:13] offset0:46 offset1:47
	v_mov_b32_e32 v10, v150
	v_mov_b32_e32 v11, v151
	v_mov_b32_e32 v12, v114
	v_mov_b32_e32 v13, v115
	;; [unrolled: 5-line block ×3, first 2 shown]
	ds_write2_b64 v32, v[10:11], v[12:13] offset0:50 offset1:51
	v_mov_b32_e32 v10, v146
	v_mov_b32_e32 v11, v147
	ds_write2_b64 v32, v[10:11], v[218:219] offset0:52 offset1:53
	ds_read_b64 v[10:11], v1
	s_waitcnt lgkmcnt(0)
	v_cmp_neq_f64_e32 vcc_lo, 0, v[10:11]
	s_and_b32 exec_lo, exec_lo, vcc_lo
	s_cbranch_execz .LBB107_219
; %bb.218:
	v_div_scale_f64 v[12:13], null, v[10:11], v[10:11], 1.0
	v_rcp_f64_e32 v[14:15], v[12:13]
	v_fma_f64 v[16:17], -v[12:13], v[14:15], 1.0
	v_fma_f64 v[14:15], v[14:15], v[16:17], v[14:15]
	v_fma_f64 v[16:17], -v[12:13], v[14:15], 1.0
	v_fma_f64 v[14:15], v[14:15], v[16:17], v[14:15]
	v_div_scale_f64 v[16:17], vcc_lo, 1.0, v[10:11], 1.0
	v_mul_f64 v[18:19], v[16:17], v[14:15]
	v_fma_f64 v[12:13], -v[12:13], v[18:19], v[16:17]
	v_div_fmas_f64 v[12:13], v[12:13], v[14:15], v[18:19]
	v_div_fixup_f64 v[10:11], v[12:13], v[10:11], 1.0
	ds_write_b64 v1, v[10:11]
.LBB107_219:
	s_or_b32 exec_lo, exec_lo, s1
	s_waitcnt lgkmcnt(0)
	s_barrier
	buffer_gl0_inv
	ds_read_b64 v[10:11], v1
	s_mov_b32 s1, exec_lo
	v_cmpx_lt_u32_e32 43, v0
	s_cbranch_execz .LBB107_221
; %bb.220:
	s_waitcnt lgkmcnt(0)
	v_mul_f64 v[120:121], v[10:11], v[120:121]
	ds_read2_b64 v[12:15], v32 offset0:44 offset1:45
	s_waitcnt lgkmcnt(0)
	v_fma_f64 v[154:155], -v[120:121], v[12:13], v[154:155]
	v_fma_f64 v[118:119], -v[120:121], v[14:15], v[118:119]
	ds_read2_b64 v[12:15], v32 offset0:46 offset1:47
	s_waitcnt lgkmcnt(0)
	v_fma_f64 v[152:153], -v[120:121], v[12:13], v[152:153]
	v_fma_f64 v[116:117], -v[120:121], v[14:15], v[116:117]
	;; [unrolled: 4-line block ×5, first 2 shown]
.LBB107_221:
	s_or_b32 exec_lo, exec_lo, s1
	s_mov_b32 s1, exec_lo
	s_waitcnt lgkmcnt(0)
	s_barrier
	buffer_gl0_inv
	v_cmpx_eq_u32_e32 44, v0
	s_cbranch_execz .LBB107_224
; %bb.222:
	ds_write_b64 v1, v[154:155]
	ds_write2_b64 v32, v[118:119], v[152:153] offset0:45 offset1:46
	ds_write2_b64 v32, v[116:117], v[150:151] offset0:47 offset1:48
	ds_write2_b64 v32, v[114:115], v[148:149] offset0:49 offset1:50
	ds_write2_b64 v32, v[112:113], v[146:147] offset0:51 offset1:52
	ds_write_b64 v32, v[218:219] offset:424
	ds_read_b64 v[12:13], v1
	s_waitcnt lgkmcnt(0)
	v_cmp_neq_f64_e32 vcc_lo, 0, v[12:13]
	s_and_b32 exec_lo, exec_lo, vcc_lo
	s_cbranch_execz .LBB107_224
; %bb.223:
	v_div_scale_f64 v[14:15], null, v[12:13], v[12:13], 1.0
	v_rcp_f64_e32 v[16:17], v[14:15]
	v_fma_f64 v[18:19], -v[14:15], v[16:17], 1.0
	v_fma_f64 v[16:17], v[16:17], v[18:19], v[16:17]
	v_fma_f64 v[18:19], -v[14:15], v[16:17], 1.0
	v_fma_f64 v[16:17], v[16:17], v[18:19], v[16:17]
	v_div_scale_f64 v[18:19], vcc_lo, 1.0, v[12:13], 1.0
	v_mul_f64 v[20:21], v[18:19], v[16:17]
	v_fma_f64 v[14:15], -v[14:15], v[20:21], v[18:19]
	v_div_fmas_f64 v[14:15], v[14:15], v[16:17], v[20:21]
	v_div_fixup_f64 v[12:13], v[14:15], v[12:13], 1.0
	ds_write_b64 v1, v[12:13]
.LBB107_224:
	s_or_b32 exec_lo, exec_lo, s1
	s_waitcnt lgkmcnt(0)
	s_barrier
	buffer_gl0_inv
	ds_read_b64 v[12:13], v1
	s_mov_b32 s1, exec_lo
	v_cmpx_lt_u32_e32 44, v0
	s_cbranch_execz .LBB107_226
; %bb.225:
	s_waitcnt lgkmcnt(0)
	v_mul_f64 v[154:155], v[12:13], v[154:155]
	ds_read2_b64 v[14:17], v32 offset0:45 offset1:46
	s_waitcnt lgkmcnt(0)
	v_fma_f64 v[118:119], -v[154:155], v[14:15], v[118:119]
	v_fma_f64 v[152:153], -v[154:155], v[16:17], v[152:153]
	ds_read2_b64 v[14:17], v32 offset0:47 offset1:48
	s_waitcnt lgkmcnt(0)
	v_fma_f64 v[116:117], -v[154:155], v[14:15], v[116:117]
	v_fma_f64 v[150:151], -v[154:155], v[16:17], v[150:151]
	;; [unrolled: 4-line block ×3, first 2 shown]
	ds_read2_b64 v[14:17], v32 offset0:51 offset1:52
	s_waitcnt lgkmcnt(0)
	v_fma_f64 v[112:113], -v[154:155], v[14:15], v[112:113]
	ds_read_b64 v[14:15], v32 offset:424
	v_fma_f64 v[146:147], -v[154:155], v[16:17], v[146:147]
	s_waitcnt lgkmcnt(0)
	v_fma_f64 v[218:219], -v[154:155], v[14:15], v[218:219]
.LBB107_226:
	s_or_b32 exec_lo, exec_lo, s1
	s_mov_b32 s1, exec_lo
	s_waitcnt lgkmcnt(0)
	s_barrier
	buffer_gl0_inv
	v_cmpx_eq_u32_e32 45, v0
	s_cbranch_execz .LBB107_229
; %bb.227:
	v_mov_b32_e32 v14, v152
	v_mov_b32_e32 v15, v153
	;; [unrolled: 1-line block ×4, first 2 shown]
	ds_write_b64 v1, v[118:119]
	ds_write2_b64 v32, v[14:15], v[16:17] offset0:46 offset1:47
	v_mov_b32_e32 v14, v150
	v_mov_b32_e32 v15, v151
	;; [unrolled: 1-line block ×4, first 2 shown]
	ds_write2_b64 v32, v[14:15], v[16:17] offset0:48 offset1:49
	v_mov_b32_e32 v14, v148
	v_mov_b32_e32 v15, v149
	v_mov_b32_e32 v16, v112
	v_mov_b32_e32 v17, v113
	ds_write2_b64 v32, v[14:15], v[16:17] offset0:50 offset1:51
	v_mov_b32_e32 v14, v146
	v_mov_b32_e32 v15, v147
	ds_write2_b64 v32, v[14:15], v[218:219] offset0:52 offset1:53
	ds_read_b64 v[14:15], v1
	s_waitcnt lgkmcnt(0)
	v_cmp_neq_f64_e32 vcc_lo, 0, v[14:15]
	s_and_b32 exec_lo, exec_lo, vcc_lo
	s_cbranch_execz .LBB107_229
; %bb.228:
	v_div_scale_f64 v[16:17], null, v[14:15], v[14:15], 1.0
	v_rcp_f64_e32 v[18:19], v[16:17]
	v_fma_f64 v[20:21], -v[16:17], v[18:19], 1.0
	v_fma_f64 v[18:19], v[18:19], v[20:21], v[18:19]
	v_fma_f64 v[20:21], -v[16:17], v[18:19], 1.0
	v_fma_f64 v[18:19], v[18:19], v[20:21], v[18:19]
	v_div_scale_f64 v[20:21], vcc_lo, 1.0, v[14:15], 1.0
	v_mul_f64 v[22:23], v[20:21], v[18:19]
	v_fma_f64 v[16:17], -v[16:17], v[22:23], v[20:21]
	v_div_fmas_f64 v[16:17], v[16:17], v[18:19], v[22:23]
	v_div_fixup_f64 v[14:15], v[16:17], v[14:15], 1.0
	ds_write_b64 v1, v[14:15]
.LBB107_229:
	s_or_b32 exec_lo, exec_lo, s1
	s_waitcnt lgkmcnt(0)
	s_barrier
	buffer_gl0_inv
	ds_read_b64 v[14:15], v1
	s_mov_b32 s1, exec_lo
	v_cmpx_lt_u32_e32 45, v0
	s_cbranch_execz .LBB107_231
; %bb.230:
	s_waitcnt lgkmcnt(0)
	v_mul_f64 v[118:119], v[14:15], v[118:119]
	ds_read2_b64 v[16:19], v32 offset0:46 offset1:47
	s_waitcnt lgkmcnt(0)
	v_fma_f64 v[152:153], -v[118:119], v[16:17], v[152:153]
	v_fma_f64 v[116:117], -v[118:119], v[18:19], v[116:117]
	ds_read2_b64 v[16:19], v32 offset0:48 offset1:49
	s_waitcnt lgkmcnt(0)
	v_fma_f64 v[150:151], -v[118:119], v[16:17], v[150:151]
	v_fma_f64 v[114:115], -v[118:119], v[18:19], v[114:115]
	;; [unrolled: 4-line block ×4, first 2 shown]
.LBB107_231:
	s_or_b32 exec_lo, exec_lo, s1
	s_mov_b32 s1, exec_lo
	s_waitcnt lgkmcnt(0)
	s_barrier
	buffer_gl0_inv
	v_cmpx_eq_u32_e32 46, v0
	s_cbranch_execz .LBB107_234
; %bb.232:
	ds_write_b64 v1, v[152:153]
	ds_write2_b64 v32, v[116:117], v[150:151] offset0:47 offset1:48
	ds_write2_b64 v32, v[114:115], v[148:149] offset0:49 offset1:50
	;; [unrolled: 1-line block ×3, first 2 shown]
	ds_write_b64 v32, v[218:219] offset:424
	ds_read_b64 v[16:17], v1
	s_waitcnt lgkmcnt(0)
	v_cmp_neq_f64_e32 vcc_lo, 0, v[16:17]
	s_and_b32 exec_lo, exec_lo, vcc_lo
	s_cbranch_execz .LBB107_234
; %bb.233:
	v_div_scale_f64 v[18:19], null, v[16:17], v[16:17], 1.0
	v_rcp_f64_e32 v[20:21], v[18:19]
	v_fma_f64 v[22:23], -v[18:19], v[20:21], 1.0
	v_fma_f64 v[20:21], v[20:21], v[22:23], v[20:21]
	v_fma_f64 v[22:23], -v[18:19], v[20:21], 1.0
	v_fma_f64 v[20:21], v[20:21], v[22:23], v[20:21]
	v_div_scale_f64 v[22:23], vcc_lo, 1.0, v[16:17], 1.0
	v_mul_f64 v[24:25], v[22:23], v[20:21]
	v_fma_f64 v[18:19], -v[18:19], v[24:25], v[22:23]
	v_div_fmas_f64 v[18:19], v[18:19], v[20:21], v[24:25]
	v_div_fixup_f64 v[16:17], v[18:19], v[16:17], 1.0
	ds_write_b64 v1, v[16:17]
.LBB107_234:
	s_or_b32 exec_lo, exec_lo, s1
	s_waitcnt lgkmcnt(0)
	s_barrier
	buffer_gl0_inv
	ds_read_b64 v[18:19], v1
	s_mov_b32 s1, exec_lo
	v_cmpx_lt_u32_e32 46, v0
	s_cbranch_execz .LBB107_236
; %bb.235:
	s_waitcnt lgkmcnt(0)
	v_mul_f64 v[152:153], v[18:19], v[152:153]
	ds_read2_b64 v[20:23], v32 offset0:47 offset1:48
	ds_read_b64 v[16:17], v32 offset:424
	s_waitcnt lgkmcnt(1)
	v_fma_f64 v[116:117], -v[152:153], v[20:21], v[116:117]
	v_fma_f64 v[150:151], -v[152:153], v[22:23], v[150:151]
	ds_read2_b64 v[20:23], v32 offset0:49 offset1:50
	s_waitcnt lgkmcnt(1)
	v_fma_f64 v[218:219], -v[152:153], v[16:17], v[218:219]
	s_waitcnt lgkmcnt(0)
	v_fma_f64 v[114:115], -v[152:153], v[20:21], v[114:115]
	v_fma_f64 v[148:149], -v[152:153], v[22:23], v[148:149]
	ds_read2_b64 v[20:23], v32 offset0:51 offset1:52
	s_waitcnt lgkmcnt(0)
	v_fma_f64 v[112:113], -v[152:153], v[20:21], v[112:113]
	v_fma_f64 v[146:147], -v[152:153], v[22:23], v[146:147]
.LBB107_236:
	s_or_b32 exec_lo, exec_lo, s1
	s_mov_b32 s1, exec_lo
	s_waitcnt lgkmcnt(0)
	s_barrier
	buffer_gl0_inv
	v_cmpx_eq_u32_e32 47, v0
	s_cbranch_execz .LBB107_239
; %bb.237:
	v_mov_b32_e32 v16, v150
	v_mov_b32_e32 v17, v151
	;; [unrolled: 1-line block ×4, first 2 shown]
	ds_write_b64 v1, v[116:117]
	ds_write2_b64 v32, v[16:17], v[20:21] offset0:48 offset1:49
	v_mov_b32_e32 v16, v148
	v_mov_b32_e32 v17, v149
	v_mov_b32_e32 v20, v112
	v_mov_b32_e32 v21, v113
	ds_write2_b64 v32, v[16:17], v[20:21] offset0:50 offset1:51
	v_mov_b32_e32 v16, v146
	v_mov_b32_e32 v17, v147
	ds_write2_b64 v32, v[16:17], v[218:219] offset0:52 offset1:53
	ds_read_b64 v[16:17], v1
	s_waitcnt lgkmcnt(0)
	v_cmp_neq_f64_e32 vcc_lo, 0, v[16:17]
	s_and_b32 exec_lo, exec_lo, vcc_lo
	s_cbranch_execz .LBB107_239
; %bb.238:
	v_div_scale_f64 v[20:21], null, v[16:17], v[16:17], 1.0
	v_rcp_f64_e32 v[22:23], v[20:21]
	v_fma_f64 v[24:25], -v[20:21], v[22:23], 1.0
	v_fma_f64 v[22:23], v[22:23], v[24:25], v[22:23]
	v_fma_f64 v[24:25], -v[20:21], v[22:23], 1.0
	v_fma_f64 v[22:23], v[22:23], v[24:25], v[22:23]
	v_div_scale_f64 v[24:25], vcc_lo, 1.0, v[16:17], 1.0
	v_mul_f64 v[26:27], v[24:25], v[22:23]
	v_fma_f64 v[20:21], -v[20:21], v[26:27], v[24:25]
	v_div_fmas_f64 v[20:21], v[20:21], v[22:23], v[26:27]
	v_div_fixup_f64 v[16:17], v[20:21], v[16:17], 1.0
	ds_write_b64 v1, v[16:17]
.LBB107_239:
	s_or_b32 exec_lo, exec_lo, s1
	s_waitcnt lgkmcnt(0)
	s_barrier
	buffer_gl0_inv
	ds_read_b64 v[20:21], v1
	s_mov_b32 s1, exec_lo
	v_cmpx_lt_u32_e32 47, v0
	s_cbranch_execz .LBB107_241
; %bb.240:
	s_waitcnt lgkmcnt(0)
	v_mul_f64 v[116:117], v[20:21], v[116:117]
	ds_read2_b64 v[22:25], v32 offset0:48 offset1:49
	s_waitcnt lgkmcnt(0)
	v_fma_f64 v[150:151], -v[116:117], v[22:23], v[150:151]
	v_fma_f64 v[114:115], -v[116:117], v[24:25], v[114:115]
	ds_read2_b64 v[22:25], v32 offset0:50 offset1:51
	s_waitcnt lgkmcnt(0)
	v_fma_f64 v[148:149], -v[116:117], v[22:23], v[148:149]
	v_fma_f64 v[112:113], -v[116:117], v[24:25], v[112:113]
	;; [unrolled: 4-line block ×3, first 2 shown]
.LBB107_241:
	s_or_b32 exec_lo, exec_lo, s1
	s_mov_b32 s1, exec_lo
	s_waitcnt lgkmcnt(0)
	s_barrier
	buffer_gl0_inv
	v_cmpx_eq_u32_e32 48, v0
	s_cbranch_execz .LBB107_244
; %bb.242:
	ds_write_b64 v1, v[150:151]
	ds_write2_b64 v32, v[114:115], v[148:149] offset0:49 offset1:50
	ds_write2_b64 v32, v[112:113], v[146:147] offset0:51 offset1:52
	ds_write_b64 v32, v[218:219] offset:424
	ds_read_b64 v[16:17], v1
	s_waitcnt lgkmcnt(0)
	v_cmp_neq_f64_e32 vcc_lo, 0, v[16:17]
	s_and_b32 exec_lo, exec_lo, vcc_lo
	s_cbranch_execz .LBB107_244
; %bb.243:
	v_div_scale_f64 v[22:23], null, v[16:17], v[16:17], 1.0
	v_rcp_f64_e32 v[24:25], v[22:23]
	v_fma_f64 v[26:27], -v[22:23], v[24:25], 1.0
	v_fma_f64 v[24:25], v[24:25], v[26:27], v[24:25]
	v_fma_f64 v[26:27], -v[22:23], v[24:25], 1.0
	v_fma_f64 v[24:25], v[24:25], v[26:27], v[24:25]
	v_div_scale_f64 v[26:27], vcc_lo, 1.0, v[16:17], 1.0
	v_mul_f64 v[28:29], v[26:27], v[24:25]
	v_fma_f64 v[22:23], -v[22:23], v[28:29], v[26:27]
	v_div_fmas_f64 v[22:23], v[22:23], v[24:25], v[28:29]
	v_div_fixup_f64 v[16:17], v[22:23], v[16:17], 1.0
	ds_write_b64 v1, v[16:17]
.LBB107_244:
	s_or_b32 exec_lo, exec_lo, s1
	s_waitcnt lgkmcnt(0)
	s_barrier
	buffer_gl0_inv
	ds_read_b64 v[22:23], v1
	s_mov_b32 s1, exec_lo
	v_cmpx_lt_u32_e32 48, v0
	s_cbranch_execz .LBB107_246
; %bb.245:
	s_waitcnt lgkmcnt(0)
	v_mul_f64 v[150:151], v[22:23], v[150:151]
	ds_read2_b64 v[24:27], v32 offset0:49 offset1:50
	ds_read_b64 v[16:17], v32 offset:424
	s_waitcnt lgkmcnt(1)
	v_fma_f64 v[114:115], -v[150:151], v[24:25], v[114:115]
	v_fma_f64 v[148:149], -v[150:151], v[26:27], v[148:149]
	ds_read2_b64 v[24:27], v32 offset0:51 offset1:52
	s_waitcnt lgkmcnt(1)
	v_fma_f64 v[218:219], -v[150:151], v[16:17], v[218:219]
	s_waitcnt lgkmcnt(0)
	v_fma_f64 v[112:113], -v[150:151], v[24:25], v[112:113]
	v_fma_f64 v[146:147], -v[150:151], v[26:27], v[146:147]
.LBB107_246:
	s_or_b32 exec_lo, exec_lo, s1
	s_mov_b32 s1, exec_lo
	s_waitcnt lgkmcnt(0)
	s_barrier
	buffer_gl0_inv
	v_cmpx_eq_u32_e32 49, v0
	s_cbranch_execz .LBB107_249
; %bb.247:
	v_mov_b32_e32 v16, v148
	v_mov_b32_e32 v17, v149
	;; [unrolled: 1-line block ×4, first 2 shown]
	ds_write_b64 v1, v[114:115]
	ds_write2_b64 v32, v[16:17], v[24:25] offset0:50 offset1:51
	v_mov_b32_e32 v16, v146
	v_mov_b32_e32 v17, v147
	ds_write2_b64 v32, v[16:17], v[218:219] offset0:52 offset1:53
	ds_read_b64 v[16:17], v1
	s_waitcnt lgkmcnt(0)
	v_cmp_neq_f64_e32 vcc_lo, 0, v[16:17]
	s_and_b32 exec_lo, exec_lo, vcc_lo
	s_cbranch_execz .LBB107_249
; %bb.248:
	v_div_scale_f64 v[24:25], null, v[16:17], v[16:17], 1.0
	v_rcp_f64_e32 v[26:27], v[24:25]
	v_fma_f64 v[28:29], -v[24:25], v[26:27], 1.0
	v_fma_f64 v[26:27], v[26:27], v[28:29], v[26:27]
	v_fma_f64 v[28:29], -v[24:25], v[26:27], 1.0
	v_fma_f64 v[26:27], v[26:27], v[28:29], v[26:27]
	v_div_scale_f64 v[28:29], vcc_lo, 1.0, v[16:17], 1.0
	v_mul_f64 v[30:31], v[28:29], v[26:27]
	v_fma_f64 v[24:25], -v[24:25], v[30:31], v[28:29]
	v_div_fmas_f64 v[24:25], v[24:25], v[26:27], v[30:31]
	v_div_fixup_f64 v[16:17], v[24:25], v[16:17], 1.0
	ds_write_b64 v1, v[16:17]
.LBB107_249:
	s_or_b32 exec_lo, exec_lo, s1
	s_waitcnt lgkmcnt(0)
	s_barrier
	buffer_gl0_inv
	ds_read_b64 v[24:25], v1
	s_mov_b32 s1, exec_lo
	v_cmpx_lt_u32_e32 49, v0
	s_cbranch_execz .LBB107_251
; %bb.250:
	s_waitcnt lgkmcnt(0)
	v_mul_f64 v[114:115], v[24:25], v[114:115]
	ds_read2_b64 v[26:29], v32 offset0:50 offset1:51
	s_waitcnt lgkmcnt(0)
	v_fma_f64 v[148:149], -v[114:115], v[26:27], v[148:149]
	v_fma_f64 v[112:113], -v[114:115], v[28:29], v[112:113]
	ds_read2_b64 v[26:29], v32 offset0:52 offset1:53
	s_waitcnt lgkmcnt(0)
	v_fma_f64 v[146:147], -v[114:115], v[26:27], v[146:147]
	v_fma_f64 v[218:219], -v[114:115], v[28:29], v[218:219]
.LBB107_251:
	s_or_b32 exec_lo, exec_lo, s1
	s_mov_b32 s1, exec_lo
	s_waitcnt lgkmcnt(0)
	s_barrier
	buffer_gl0_inv
	v_cmpx_eq_u32_e32 50, v0
	s_cbranch_execz .LBB107_254
; %bb.252:
	ds_write_b64 v1, v[148:149]
	ds_write2_b64 v32, v[112:113], v[146:147] offset0:51 offset1:52
	ds_write_b64 v32, v[218:219] offset:424
	ds_read_b64 v[16:17], v1
	s_waitcnt lgkmcnt(0)
	v_cmp_neq_f64_e32 vcc_lo, 0, v[16:17]
	s_and_b32 exec_lo, exec_lo, vcc_lo
	s_cbranch_execz .LBB107_254
; %bb.253:
	v_div_scale_f64 v[26:27], null, v[16:17], v[16:17], 1.0
	v_rcp_f64_e32 v[28:29], v[26:27]
	v_fma_f64 v[30:31], -v[26:27], v[28:29], 1.0
	v_fma_f64 v[28:29], v[28:29], v[30:31], v[28:29]
	v_fma_f64 v[30:31], -v[26:27], v[28:29], 1.0
	v_fma_f64 v[28:29], v[28:29], v[30:31], v[28:29]
	v_div_scale_f64 v[30:31], vcc_lo, 1.0, v[16:17], 1.0
	v_mul_f64 v[33:34], v[30:31], v[28:29]
	v_fma_f64 v[26:27], -v[26:27], v[33:34], v[30:31]
	v_div_fmas_f64 v[26:27], v[26:27], v[28:29], v[33:34]
	v_div_fixup_f64 v[16:17], v[26:27], v[16:17], 1.0
	ds_write_b64 v1, v[16:17]
.LBB107_254:
	s_or_b32 exec_lo, exec_lo, s1
	s_waitcnt lgkmcnt(0)
	s_barrier
	buffer_gl0_inv
	ds_read_b64 v[26:27], v1
	s_mov_b32 s1, exec_lo
	v_cmpx_lt_u32_e32 50, v0
	s_cbranch_execz .LBB107_256
; %bb.255:
	s_waitcnt lgkmcnt(0)
	v_mul_f64 v[148:149], v[26:27], v[148:149]
	ds_read2_b64 v[28:31], v32 offset0:51 offset1:52
	ds_read_b64 v[16:17], v32 offset:424
	s_waitcnt lgkmcnt(1)
	v_fma_f64 v[112:113], -v[148:149], v[28:29], v[112:113]
	v_fma_f64 v[146:147], -v[148:149], v[30:31], v[146:147]
	s_waitcnt lgkmcnt(0)
	v_fma_f64 v[218:219], -v[148:149], v[16:17], v[218:219]
.LBB107_256:
	s_or_b32 exec_lo, exec_lo, s1
	s_mov_b32 s1, exec_lo
	s_waitcnt lgkmcnt(0)
	s_barrier
	buffer_gl0_inv
	v_cmpx_eq_u32_e32 51, v0
	s_cbranch_execz .LBB107_259
; %bb.257:
	v_mov_b32_e32 v16, v146
	v_mov_b32_e32 v17, v147
	ds_write_b64 v1, v[112:113]
	ds_write2_b64 v32, v[16:17], v[218:219] offset0:52 offset1:53
	ds_read_b64 v[16:17], v1
	s_waitcnt lgkmcnt(0)
	v_cmp_neq_f64_e32 vcc_lo, 0, v[16:17]
	s_and_b32 exec_lo, exec_lo, vcc_lo
	s_cbranch_execz .LBB107_259
; %bb.258:
	v_div_scale_f64 v[28:29], null, v[16:17], v[16:17], 1.0
	v_rcp_f64_e32 v[30:31], v[28:29]
	v_fma_f64 v[33:34], -v[28:29], v[30:31], 1.0
	v_fma_f64 v[30:31], v[30:31], v[33:34], v[30:31]
	v_fma_f64 v[33:34], -v[28:29], v[30:31], 1.0
	v_fma_f64 v[30:31], v[30:31], v[33:34], v[30:31]
	v_div_scale_f64 v[33:34], vcc_lo, 1.0, v[16:17], 1.0
	v_mul_f64 v[35:36], v[33:34], v[30:31]
	v_fma_f64 v[28:29], -v[28:29], v[35:36], v[33:34]
	v_div_fmas_f64 v[28:29], v[28:29], v[30:31], v[35:36]
	v_div_fixup_f64 v[16:17], v[28:29], v[16:17], 1.0
	ds_write_b64 v1, v[16:17]
.LBB107_259:
	s_or_b32 exec_lo, exec_lo, s1
	s_waitcnt lgkmcnt(0)
	s_barrier
	buffer_gl0_inv
	ds_read_b64 v[28:29], v1
	s_mov_b32 s1, exec_lo
	v_cmpx_lt_u32_e32 51, v0
	s_cbranch_execz .LBB107_261
; %bb.260:
	s_waitcnt lgkmcnt(0)
	v_mul_f64 v[112:113], v[28:29], v[112:113]
	ds_read2_b64 v[33:36], v32 offset0:52 offset1:53
	s_waitcnt lgkmcnt(0)
	v_fma_f64 v[146:147], -v[112:113], v[33:34], v[146:147]
	v_fma_f64 v[218:219], -v[112:113], v[35:36], v[218:219]
.LBB107_261:
	s_or_b32 exec_lo, exec_lo, s1
	s_mov_b32 s1, exec_lo
	s_waitcnt lgkmcnt(0)
	s_barrier
	buffer_gl0_inv
	v_cmpx_eq_u32_e32 52, v0
	s_cbranch_execz .LBB107_264
; %bb.262:
	ds_write_b64 v1, v[146:147]
	ds_write_b64 v32, v[218:219] offset:424
	ds_read_b64 v[16:17], v1
	s_waitcnt lgkmcnt(0)
	v_cmp_neq_f64_e32 vcc_lo, 0, v[16:17]
	s_and_b32 exec_lo, exec_lo, vcc_lo
	s_cbranch_execz .LBB107_264
; %bb.263:
	v_div_scale_f64 v[30:31], null, v[16:17], v[16:17], 1.0
	v_mov_b32_e32 v231, v229
	v_mov_b32_e32 v230, v228
	;; [unrolled: 1-line block ×20, first 2 shown]
	v_rcp_f64_e32 v[33:34], v[30:31]
	v_mov_b32_e32 v84, v80
	v_mov_b32_e32 v83, v79
	;; [unrolled: 1-line block ×23, first 2 shown]
	v_fma_f64 v[35:36], -v[30:31], v[33:34], 1.0
	v_mov_b32_e32 v45, v43
	v_mov_b32_e32 v44, v39
	;; [unrolled: 1-line block ×21, first 2 shown]
	v_fma_f64 v[33:34], v[33:34], v[35:36], v[33:34]
	v_mov_b32_e32 v70, v66
	v_mov_b32_e32 v69, v65
	v_mov_b32_e32 v66, v62
	v_mov_b32_e32 v65, v61
	v_mov_b32_e32 v62, v58
	v_mov_b32_e32 v61, v57
	v_mov_b32_e32 v58, v54
	v_mov_b32_e32 v57, v53
	v_mov_b32_e32 v53, v108
	v_mov_b32_e32 v54, v109
	v_mov_b32_e32 v107, v238
	v_mov_b32_e32 v108, v239
	v_mov_b32_e32 v239, v108
	v_mov_b32_e32 v238, v107
	v_mov_b32_e32 v109, v54
	v_mov_b32_e32 v108, v53
	v_mov_b32_e32 v53, v57
	v_fma_f64 v[35:36], -v[30:31], v[33:34], 1.0
	v_mov_b32_e32 v54, v58
	v_mov_b32_e32 v57, v61
	;; [unrolled: 1-line block ×21, first 2 shown]
	v_fma_f64 v[33:34], v[33:34], v[35:36], v[33:34]
	v_div_scale_f64 v[35:36], vcc_lo, 1.0, v[16:17], 1.0
	v_mov_b32_e32 v97, v101
	v_mov_b32_e32 v98, v102
	;; [unrolled: 1-line block ×4, first 2 shown]
	v_mul_f64 v[37:38], v[35:36], v[33:34]
	v_fma_f64 v[30:31], -v[30:31], v[37:38], v[35:36]
	v_div_fmas_f64 v[30:31], v[30:31], v[33:34], v[37:38]
	v_mov_b32_e32 v38, v43
	v_mov_b32_e32 v39, v44
	;; [unrolled: 1-line block ×21, first 2 shown]
	v_div_fixup_f64 v[16:17], v[30:31], v[16:17], 1.0
	v_mov_b32_e32 v72, v76
	v_mov_b32_e32 v75, v79
	;; [unrolled: 1-line block ×25, first 2 shown]
	ds_write_b64 v1, v[16:17]
.LBB107_264:
	s_or_b32 exec_lo, exec_lo, s1
	s_waitcnt lgkmcnt(0)
	s_barrier
	buffer_gl0_inv
	ds_read_b64 v[30:31], v1
	s_mov_b32 s1, exec_lo
	v_cmpx_lt_u32_e32 52, v0
	s_cbranch_execz .LBB107_266
; %bb.265:
	s_waitcnt lgkmcnt(0)
	v_mul_f64 v[146:147], v[30:31], v[146:147]
	ds_read_b64 v[16:17], v32 offset:424
	s_waitcnt lgkmcnt(0)
	v_fma_f64 v[218:219], -v[146:147], v[16:17], v[218:219]
.LBB107_266:
	s_or_b32 exec_lo, exec_lo, s1
	s_mov_b32 s1, exec_lo
	s_waitcnt lgkmcnt(0)
	s_barrier
	buffer_gl0_inv
	v_cmpx_eq_u32_e32 53, v0
	s_cbranch_execz .LBB107_269
; %bb.267:
	v_cmp_neq_f64_e32 vcc_lo, 0, v[218:219]
	ds_write_b64 v1, v[218:219]
	s_and_b32 exec_lo, exec_lo, vcc_lo
	s_cbranch_execz .LBB107_269
; %bb.268:
	v_div_scale_f64 v[16:17], null, v[218:219], v[218:219], 1.0
	v_rcp_f64_e32 v[32:33], v[16:17]
	v_fma_f64 v[34:35], -v[16:17], v[32:33], 1.0
	v_fma_f64 v[32:33], v[32:33], v[34:35], v[32:33]
	v_fma_f64 v[34:35], -v[16:17], v[32:33], 1.0
	v_fma_f64 v[32:33], v[32:33], v[34:35], v[32:33]
	v_div_scale_f64 v[34:35], vcc_lo, 1.0, v[218:219], 1.0
	v_mul_f64 v[36:37], v[34:35], v[32:33]
	v_fma_f64 v[16:17], -v[16:17], v[36:37], v[34:35]
	v_div_fmas_f64 v[16:17], v[16:17], v[32:33], v[36:37]
	v_div_fixup_f64 v[16:17], v[16:17], v[218:219], 1.0
	ds_write_b64 v1, v[16:17]
.LBB107_269:
	s_or_b32 exec_lo, exec_lo, s1
	s_waitcnt lgkmcnt(0)
	s_barrier
	buffer_gl0_inv
	ds_read_b64 v[16:17], v1
	s_waitcnt lgkmcnt(0)
	s_barrier
	buffer_gl0_inv
	s_and_saveexec_b32 s1, s0
	s_cbranch_execz .LBB107_272
; %bb.270:
	v_cmp_eq_f64_e32 vcc_lo, 0, v[57:58]
	v_cmp_neq_f64_e64 s0, 0, v[59:60]
	s_load_dwordx2 s[2:3], s[4:5], 0x28
	v_cndmask_b32_e64 v1, 0, 1, vcc_lo
	s_or_b32 vcc_lo, s0, vcc_lo
	v_cndmask_b32_e32 v1, 2, v1, vcc_lo
	v_cmp_eq_f64_e32 vcc_lo, 0, v[61:62]
	v_cmp_eq_u32_e64 s0, 0, v1
	s_and_b32 s0, vcc_lo, s0
	v_cmp_eq_f64_e32 vcc_lo, 0, v[63:64]
	v_cndmask_b32_e64 v1, v1, 3, s0
	v_cmp_eq_u32_e64 s0, 0, v1
	s_and_b32 s0, vcc_lo, s0
	v_cmp_eq_f64_e32 vcc_lo, 0, v[65:66]
	v_cndmask_b32_e64 v1, v1, 4, s0
	;; [unrolled: 4-line block ×51, first 2 shown]
	v_cmp_eq_u32_e64 s0, 0, v1
	s_and_b32 s0, vcc_lo, s0
	v_cndmask_b32_e64 v4, v1, 54, s0
	v_lshlrev_b64 v[1:2], 2, v[2:3]
	v_cmp_ne_u32_e64 s0, 0, v4
	s_waitcnt lgkmcnt(0)
	v_add_co_u32 v1, vcc_lo, s2, v1
	v_add_co_ci_u32_e64 v2, null, s3, v2, vcc_lo
	global_load_dword v3, v[1:2], off
	s_waitcnt vmcnt(0)
	v_cmp_eq_u32_e32 vcc_lo, 0, v3
	s_and_b32 s0, vcc_lo, s0
	s_and_b32 exec_lo, exec_lo, s0
	s_cbranch_execz .LBB107_272
; %bb.271:
	v_add_nc_u32_e32 v3, s9, v4
	global_store_dword v[1:2], v3, off
.LBB107_272:
	s_or_b32 exec_lo, exec_lo, s1
	s_clause 0x1
	buffer_load_dword v3, off, s[12:15], 0 offset:96
	buffer_load_dword v4, off, s[12:15], 0 offset:100
	v_mul_f64 v[1:2], v[16:17], v[218:219]
	v_cmp_lt_u32_e32 vcc_lo, 53, v0
	v_cndmask_b32_e32 v2, v219, v2, vcc_lo
	v_cndmask_b32_e32 v1, v218, v1, vcc_lo
	s_waitcnt vmcnt(0)
	flat_store_dwordx2 v[3:4], v[180:181]
	s_clause 0x1
	buffer_load_dword v3, off, s[12:15], 0 offset:104
	buffer_load_dword v4, off, s[12:15], 0 offset:108
	s_waitcnt vmcnt(0)
	flat_store_dwordx2 v[3:4], v[198:199]
	s_clause 0x1
	buffer_load_dword v3, off, s[12:15], 0
	buffer_load_dword v4, off, s[12:15], 0 offset:4
	s_waitcnt vmcnt(0)
	flat_store_dwordx2 v[3:4], v[216:217]
	s_clause 0x1
	buffer_load_dword v3, off, s[12:15], 0 offset:8
	buffer_load_dword v4, off, s[12:15], 0 offset:12
	s_waitcnt vmcnt(0)
	flat_store_dwordx2 v[3:4], v[196:197]
	s_clause 0x1
	buffer_load_dword v3, off, s[12:15], 0 offset:16
	;; [unrolled: 5-line block ×38, first 2 shown]
	buffer_load_dword v4, off, s[12:15], 0 offset:324
	s_waitcnt vmcnt(0)
	flat_store_dwordx2 v[3:4], v[158:159]
	flat_store_dwordx2 v[234:235], v[122:123]
	;; [unrolled: 1-line block ×14, first 2 shown]
.LBB107_273:
	s_endpgm
	.section	.rodata,"a",@progbits
	.p2align	6, 0x0
	.amdhsa_kernel _ZN9rocsolver6v33100L23getf2_npvt_small_kernelILi54EdiiPKPdEEvT1_T3_lS5_lPT2_S5_S5_
		.amdhsa_group_segment_fixed_size 0
		.amdhsa_private_segment_fixed_size 332
		.amdhsa_kernarg_size 312
		.amdhsa_user_sgpr_count 6
		.amdhsa_user_sgpr_private_segment_buffer 1
		.amdhsa_user_sgpr_dispatch_ptr 0
		.amdhsa_user_sgpr_queue_ptr 0
		.amdhsa_user_sgpr_kernarg_segment_ptr 1
		.amdhsa_user_sgpr_dispatch_id 0
		.amdhsa_user_sgpr_flat_scratch_init 0
		.amdhsa_user_sgpr_private_segment_size 0
		.amdhsa_wavefront_size32 1
		.amdhsa_uses_dynamic_stack 0
		.amdhsa_system_sgpr_private_segment_wavefront_offset 1
		.amdhsa_system_sgpr_workgroup_id_x 1
		.amdhsa_system_sgpr_workgroup_id_y 1
		.amdhsa_system_sgpr_workgroup_id_z 0
		.amdhsa_system_sgpr_workgroup_info 0
		.amdhsa_system_vgpr_workitem_id 1
		.amdhsa_next_free_vgpr 256
		.amdhsa_next_free_sgpr 16
		.amdhsa_reserve_vcc 1
		.amdhsa_reserve_flat_scratch 1
		.amdhsa_float_round_mode_32 0
		.amdhsa_float_round_mode_16_64 0
		.amdhsa_float_denorm_mode_32 3
		.amdhsa_float_denorm_mode_16_64 3
		.amdhsa_dx10_clamp 1
		.amdhsa_ieee_mode 1
		.amdhsa_fp16_overflow 0
		.amdhsa_workgroup_processor_mode 1
		.amdhsa_memory_ordered 1
		.amdhsa_forward_progress 1
		.amdhsa_shared_vgpr_count 0
		.amdhsa_exception_fp_ieee_invalid_op 0
		.amdhsa_exception_fp_denorm_src 0
		.amdhsa_exception_fp_ieee_div_zero 0
		.amdhsa_exception_fp_ieee_overflow 0
		.amdhsa_exception_fp_ieee_underflow 0
		.amdhsa_exception_fp_ieee_inexact 0
		.amdhsa_exception_int_div_zero 0
	.end_amdhsa_kernel
	.section	.text._ZN9rocsolver6v33100L23getf2_npvt_small_kernelILi54EdiiPKPdEEvT1_T3_lS5_lPT2_S5_S5_,"axG",@progbits,_ZN9rocsolver6v33100L23getf2_npvt_small_kernelILi54EdiiPKPdEEvT1_T3_lS5_lPT2_S5_S5_,comdat
.Lfunc_end107:
	.size	_ZN9rocsolver6v33100L23getf2_npvt_small_kernelILi54EdiiPKPdEEvT1_T3_lS5_lPT2_S5_S5_, .Lfunc_end107-_ZN9rocsolver6v33100L23getf2_npvt_small_kernelILi54EdiiPKPdEEvT1_T3_lS5_lPT2_S5_S5_
                                        ; -- End function
	.set _ZN9rocsolver6v33100L23getf2_npvt_small_kernelILi54EdiiPKPdEEvT1_T3_lS5_lPT2_S5_S5_.num_vgpr, 256
	.set _ZN9rocsolver6v33100L23getf2_npvt_small_kernelILi54EdiiPKPdEEvT1_T3_lS5_lPT2_S5_S5_.num_agpr, 0
	.set _ZN9rocsolver6v33100L23getf2_npvt_small_kernelILi54EdiiPKPdEEvT1_T3_lS5_lPT2_S5_S5_.numbered_sgpr, 16
	.set _ZN9rocsolver6v33100L23getf2_npvt_small_kernelILi54EdiiPKPdEEvT1_T3_lS5_lPT2_S5_S5_.num_named_barrier, 0
	.set _ZN9rocsolver6v33100L23getf2_npvt_small_kernelILi54EdiiPKPdEEvT1_T3_lS5_lPT2_S5_S5_.private_seg_size, 332
	.set _ZN9rocsolver6v33100L23getf2_npvt_small_kernelILi54EdiiPKPdEEvT1_T3_lS5_lPT2_S5_S5_.uses_vcc, 1
	.set _ZN9rocsolver6v33100L23getf2_npvt_small_kernelILi54EdiiPKPdEEvT1_T3_lS5_lPT2_S5_S5_.uses_flat_scratch, 1
	.set _ZN9rocsolver6v33100L23getf2_npvt_small_kernelILi54EdiiPKPdEEvT1_T3_lS5_lPT2_S5_S5_.has_dyn_sized_stack, 0
	.set _ZN9rocsolver6v33100L23getf2_npvt_small_kernelILi54EdiiPKPdEEvT1_T3_lS5_lPT2_S5_S5_.has_recursion, 0
	.set _ZN9rocsolver6v33100L23getf2_npvt_small_kernelILi54EdiiPKPdEEvT1_T3_lS5_lPT2_S5_S5_.has_indirect_call, 0
	.section	.AMDGPU.csdata,"",@progbits
; Kernel info:
; codeLenInByte = 49468
; TotalNumSgprs: 18
; NumVgprs: 256
; ScratchSize: 332
; MemoryBound: 0
; FloatMode: 240
; IeeeMode: 1
; LDSByteSize: 0 bytes/workgroup (compile time only)
; SGPRBlocks: 0
; VGPRBlocks: 31
; NumSGPRsForWavesPerEU: 18
; NumVGPRsForWavesPerEU: 256
; Occupancy: 4
; WaveLimiterHint : 1
; COMPUTE_PGM_RSRC2:SCRATCH_EN: 1
; COMPUTE_PGM_RSRC2:USER_SGPR: 6
; COMPUTE_PGM_RSRC2:TRAP_HANDLER: 0
; COMPUTE_PGM_RSRC2:TGID_X_EN: 1
; COMPUTE_PGM_RSRC2:TGID_Y_EN: 1
; COMPUTE_PGM_RSRC2:TGID_Z_EN: 0
; COMPUTE_PGM_RSRC2:TIDIG_COMP_CNT: 1
	.section	.text._ZN9rocsolver6v33100L18getf2_small_kernelILi55EdiiPKPdEEvT1_T3_lS5_lPS5_llPT2_S5_S5_S7_l,"axG",@progbits,_ZN9rocsolver6v33100L18getf2_small_kernelILi55EdiiPKPdEEvT1_T3_lS5_lPS5_llPT2_S5_S5_S7_l,comdat
	.globl	_ZN9rocsolver6v33100L18getf2_small_kernelILi55EdiiPKPdEEvT1_T3_lS5_lPS5_llPT2_S5_S5_S7_l ; -- Begin function _ZN9rocsolver6v33100L18getf2_small_kernelILi55EdiiPKPdEEvT1_T3_lS5_lPS5_llPT2_S5_S5_S7_l
	.p2align	8
	.type	_ZN9rocsolver6v33100L18getf2_small_kernelILi55EdiiPKPdEEvT1_T3_lS5_lPS5_llPT2_S5_S5_S7_l,@function
_ZN9rocsolver6v33100L18getf2_small_kernelILi55EdiiPKPdEEvT1_T3_lS5_lPS5_llPT2_S5_S5_S7_l: ; @_ZN9rocsolver6v33100L18getf2_small_kernelILi55EdiiPKPdEEvT1_T3_lS5_lPS5_llPT2_S5_S5_S7_l
; %bb.0:
	s_clause 0x1
	s_load_dword s0, s[4:5], 0x6c
	s_load_dwordx2 s[12:13], s[4:5], 0x48
	s_waitcnt lgkmcnt(0)
	s_lshr_b32 s0, s0, 16
	v_mad_u64_u32 v[2:3], null, s7, s0, v[1:2]
	s_mov_b32 s0, exec_lo
	v_cmpx_gt_i32_e64 s12, v2
	s_cbranch_execz .LBB108_932
; %bb.1:
	s_clause 0x1
	s_load_dwordx4 s[0:3], s[4:5], 0x8
	s_load_dwordx4 s[8:11], s[4:5], 0x50
	v_ashrrev_i32_e32 v3, 31, v2
	v_lshlrev_b64 v[4:5], 3, v[2:3]
	s_waitcnt lgkmcnt(0)
	v_add_co_u32 v4, vcc_lo, s0, v4
	v_add_co_ci_u32_e64 v5, null, s1, v5, vcc_lo
	s_cmp_eq_u64 s[8:9], 0
	s_cselect_b32 s6, -1, 0
	global_load_dwordx2 v[6:7], v[4:5], off
	v_mov_b32_e32 v4, 0
	v_mov_b32_e32 v5, 0
	s_and_b32 vcc_lo, exec_lo, s6
	s_cbranch_vccnz .LBB108_3
; %bb.2:
	v_mul_lo_u32 v8, s11, v2
	v_mul_lo_u32 v9, s10, v3
	v_mad_u64_u32 v[4:5], null, s10, v2, 0
	v_add3_u32 v5, v5, v9, v8
	v_lshlrev_b64 v[4:5], 2, v[4:5]
	v_add_co_u32 v4, vcc_lo, s8, v4
	v_add_co_ci_u32_e64 v5, null, s9, v5, vcc_lo
.LBB108_3:
	s_clause 0x1
	s_load_dword s8, s[4:5], 0x18
	s_load_dword s7, s[4:5], 0x0
	s_lshl_b64 s[0:1], s[2:3], 3
	v_lshlrev_b32_e32 v170, 3, v0
	s_waitcnt vmcnt(0)
	v_add_co_u32 v120, vcc_lo, v6, s0
	v_add_co_ci_u32_e64 v121, null, s1, v7, vcc_lo
	s_waitcnt lgkmcnt(0)
	v_add3_u32 v8, s8, s8, v0
	s_ashr_i32 s9, s8, 31
	s_max_i32 s0, s7, 55
	s_lshl_b64 s[10:11], s[8:9], 3
	v_mul_lo_u32 v1, s0, v1
	v_add_nc_u32_e32 v10, s8, v8
	v_ashrrev_i32_e32 v9, 31, v8
	s_cmp_lt_i32 s7, 2
	v_ashrrev_i32_e32 v11, 31, v10
	v_add_nc_u32_e32 v12, s8, v10
	v_lshlrev_b64 v[8:9], 3, v[8:9]
	v_lshlrev_b64 v[6:7], 3, v[10:11]
	v_add_nc_u32_e32 v10, s8, v12
	v_ashrrev_i32_e32 v13, 31, v12
	v_add_co_u32 v8, vcc_lo, v120, v8
	v_add_co_ci_u32_e64 v9, null, v121, v9, vcc_lo
	v_add_nc_u32_e32 v14, s8, v10
	v_ashrrev_i32_e32 v11, 31, v10
	v_lshlrev_b64 v[12:13], 3, v[12:13]
	v_add_co_u32 v6, vcc_lo, v120, v6
	v_add_nc_u32_e32 v16, s8, v14
	v_ashrrev_i32_e32 v15, 31, v14
	v_lshlrev_b64 v[10:11], 3, v[10:11]
	v_add_co_ci_u32_e64 v7, null, v121, v7, vcc_lo
	v_add_nc_u32_e32 v18, s8, v16
	v_ashrrev_i32_e32 v17, 31, v16
	v_lshlrev_b64 v[14:15], 3, v[14:15]
	v_add_co_u32 v12, vcc_lo, v120, v12
	v_add_nc_u32_e32 v20, s8, v18
	v_ashrrev_i32_e32 v19, 31, v18
	v_lshlrev_b64 v[16:17], 3, v[16:17]
	v_add_co_ci_u32_e64 v13, null, v121, v13, vcc_lo
	v_add_nc_u32_e32 v22, s8, v20
	v_ashrrev_i32_e32 v21, 31, v20
	v_add_co_u32 v10, vcc_lo, v120, v10
	v_lshlrev_b64 v[18:19], 3, v[18:19]
	v_add_nc_u32_e32 v24, s8, v22
	v_ashrrev_i32_e32 v23, 31, v22
	v_add_co_ci_u32_e64 v11, null, v121, v11, vcc_lo
	v_add_co_u32 v14, vcc_lo, v120, v14
	v_add_nc_u32_e32 v26, s8, v24
	v_ashrrev_i32_e32 v25, 31, v24
	v_lshlrev_b64 v[20:21], 3, v[20:21]
	v_add_co_ci_u32_e64 v15, null, v121, v15, vcc_lo
	v_add_nc_u32_e32 v28, s8, v26
	v_ashrrev_i32_e32 v27, 31, v26
	v_add_co_u32 v16, vcc_lo, v120, v16
	v_lshlrev_b64 v[22:23], 3, v[22:23]
	v_add_nc_u32_e32 v30, s8, v28
	v_ashrrev_i32_e32 v29, 31, v28
	v_add_co_ci_u32_e64 v17, null, v121, v17, vcc_lo
	v_add_co_u32 v18, vcc_lo, v120, v18
	v_add_nc_u32_e32 v32, s8, v30
	v_lshlrev_b64 v[24:25], 3, v[24:25]
	v_ashrrev_i32_e32 v31, 31, v30
	v_add_co_ci_u32_e64 v19, null, v121, v19, vcc_lo
	v_add_nc_u32_e32 v34, s8, v32
	v_add_co_u32 v20, vcc_lo, v120, v20
	v_lshlrev_b64 v[26:27], 3, v[26:27]
	v_ashrrev_i32_e32 v33, 31, v32
	v_add_nc_u32_e32 v36, s8, v34
	v_add_co_ci_u32_e64 v21, null, v121, v21, vcc_lo
	v_add_co_u32 v22, vcc_lo, v120, v22
	v_add_nc_u32_e32 v38, s8, v36
	v_lshlrev_b64 v[28:29], 3, v[28:29]
	v_ashrrev_i32_e32 v35, 31, v34
	v_add_co_ci_u32_e64 v23, null, v121, v23, vcc_lo
	v_add_nc_u32_e32 v40, s8, v38
	v_add_co_u32 v24, vcc_lo, v120, v24
	v_lshlrev_b64 v[30:31], 3, v[30:31]
	v_ashrrev_i32_e32 v37, 31, v36
	v_add_nc_u32_e32 v42, s8, v40
	v_add_co_ci_u32_e64 v25, null, v121, v25, vcc_lo
	v_add_co_u32 v26, vcc_lo, v120, v26
	v_add_nc_u32_e32 v44, s8, v42
	v_lshlrev_b64 v[32:33], 3, v[32:33]
	v_ashrrev_i32_e32 v39, 31, v38
	v_add_co_ci_u32_e64 v27, null, v121, v27, vcc_lo
	v_add_nc_u32_e32 v46, s8, v44
	v_add_co_u32 v28, vcc_lo, v120, v28
	v_lshlrev_b64 v[34:35], 3, v[34:35]
	v_ashrrev_i32_e32 v41, 31, v40
	v_add_nc_u32_e32 v48, s8, v46
	v_add_co_ci_u32_e64 v29, null, v121, v29, vcc_lo
	v_add_co_u32 v30, vcc_lo, v120, v30
	v_add_nc_u32_e32 v50, s8, v48
	v_lshlrev_b64 v[36:37], 3, v[36:37]
	v_ashrrev_i32_e32 v43, 31, v42
	v_add_co_ci_u32_e64 v31, null, v121, v31, vcc_lo
	v_add_nc_u32_e32 v52, s8, v50
	v_add_co_u32 v32, vcc_lo, v120, v32
	v_lshlrev_b64 v[38:39], 3, v[38:39]
	v_ashrrev_i32_e32 v45, 31, v44
	v_add_nc_u32_e32 v54, s8, v52
	v_add_co_ci_u32_e64 v33, null, v121, v33, vcc_lo
	v_add_co_u32 v34, vcc_lo, v120, v34
	v_lshlrev_b64 v[40:41], 3, v[40:41]
	v_ashrrev_i32_e32 v47, 31, v46
	v_add_nc_u32_e32 v56, s8, v54
	v_add_co_ci_u32_e64 v35, null, v121, v35, vcc_lo
	v_add_co_u32 v36, vcc_lo, v120, v36
	v_lshlrev_b64 v[42:43], 3, v[42:43]
	v_ashrrev_i32_e32 v49, 31, v48
	v_add_co_ci_u32_e64 v37, null, v121, v37, vcc_lo
	v_add_co_u32 v38, vcc_lo, v120, v38
	v_lshlrev_b64 v[44:45], 3, v[44:45]
	v_ashrrev_i32_e32 v51, 31, v50
	v_add_co_ci_u32_e64 v39, null, v121, v39, vcc_lo
	v_add_co_u32 v40, vcc_lo, v120, v40
	v_lshlrev_b64 v[46:47], 3, v[46:47]
	v_add_nc_u32_e32 v58, s8, v56
	v_ashrrev_i32_e32 v53, 31, v52
	v_add_co_ci_u32_e64 v41, null, v121, v41, vcc_lo
	v_add_co_u32 v42, vcc_lo, v120, v42
	v_lshlrev_b64 v[48:49], 3, v[48:49]
	v_ashrrev_i32_e32 v55, 31, v54
	v_add_co_ci_u32_e64 v43, null, v121, v43, vcc_lo
	v_add_co_u32 v44, vcc_lo, v120, v44
	v_lshlrev_b64 v[50:51], 3, v[50:51]
	v_ashrrev_i32_e32 v57, 31, v56
	v_add_nc_u32_e32 v60, s8, v58
	v_add_co_ci_u32_e64 v45, null, v121, v45, vcc_lo
	v_add_co_u32 v46, vcc_lo, v120, v46
	v_lshlrev_b64 v[52:53], 3, v[52:53]
	v_ashrrev_i32_e32 v59, 31, v58
	v_add_co_ci_u32_e64 v47, null, v121, v47, vcc_lo
	v_add_co_u32 v48, vcc_lo, v120, v48
	v_lshlrev_b64 v[54:55], 3, v[54:55]
	v_add_co_ci_u32_e64 v49, null, v121, v49, vcc_lo
	v_add_co_u32 v50, vcc_lo, v120, v50
	v_lshlrev_b64 v[56:57], 3, v[56:57]
	v_add_nc_u32_e32 v62, s8, v60
	v_add_co_ci_u32_e64 v51, null, v121, v51, vcc_lo
	v_add_co_u32 v52, vcc_lo, v120, v52
	v_lshlrev_b64 v[58:59], 3, v[58:59]
	v_ashrrev_i32_e32 v61, 31, v60
	v_add_co_ci_u32_e64 v53, null, v121, v53, vcc_lo
	v_add_co_u32 v54, vcc_lo, v120, v54
	v_ashrrev_i32_e32 v63, 31, v62
	v_add_nc_u32_e32 v64, s8, v62
	v_add_co_ci_u32_e64 v55, null, v121, v55, vcc_lo
	v_add_co_u32 v56, vcc_lo, v120, v56
	v_lshlrev_b64 v[60:61], 3, v[60:61]
	v_add_co_ci_u32_e64 v57, null, v121, v57, vcc_lo
	v_add_co_u32 v114, vcc_lo, v120, v58
	v_add_co_ci_u32_e64 v115, null, v121, v59, vcc_lo
	v_lshlrev_b64 v[58:59], 3, v[62:63]
	v_ashrrev_i32_e32 v65, 31, v64
	v_add_nc_u32_e32 v62, s8, v64
	v_add_co_u32 v116, vcc_lo, v120, v60
	v_add_co_ci_u32_e64 v117, null, v121, v61, vcc_lo
	v_lshlrev_b64 v[60:61], 3, v[64:65]
	v_ashrrev_i32_e32 v63, 31, v62
	v_add_nc_u32_e32 v64, s8, v62
	;; [unrolled: 5-line block ×21, first 2 shown]
	v_add_co_u32 v158, vcc_lo, v120, v60
	v_add_co_ci_u32_e64 v159, null, v121, v61, vcc_lo
	v_lshlrev_b64 v[60:61], 3, v[64:65]
	v_add_nc_u32_e32 v64, s8, v62
	v_ashrrev_i32_e32 v63, 31, v62
	v_add_co_u32 v160, vcc_lo, v120, v58
	v_add_co_ci_u32_e64 v161, null, v121, v59, vcc_lo
	v_ashrrev_i32_e32 v65, 31, v64
	v_lshlrev_b64 v[58:59], 3, v[62:63]
	v_add_co_u32 v162, vcc_lo, v120, v60
	v_add_co_ci_u32_e64 v163, null, v121, v61, vcc_lo
	v_lshlrev_b64 v[60:61], 3, v[64:65]
	v_add_nc_u32_e32 v62, s8, v64
	v_add_co_u32 v164, vcc_lo, v120, v58
	v_add_co_ci_u32_e64 v165, null, v121, v59, vcc_lo
	v_ashrrev_i32_e32 v63, 31, v62
	v_add_co_u32 v166, vcc_lo, v120, v60
	v_add_co_ci_u32_e64 v167, null, v121, v61, vcc_lo
	v_add_co_u32 v60, vcc_lo, v120, v170
	v_add_co_ci_u32_e64 v61, null, 0, v121, vcc_lo
	v_lshlrev_b64 v[58:59], 3, v[62:63]
	v_add_co_u32 v62, vcc_lo, v60, s10
	v_add_co_ci_u32_e64 v63, null, s11, v61, vcc_lo
	v_add_co_u32 v168, vcc_lo, v120, v58
	v_add_co_ci_u32_e64 v169, null, v121, v59, vcc_lo
	s_clause 0x36
	flat_load_dwordx2 v[112:113], v[60:61]
	flat_load_dwordx2 v[108:109], v[62:63]
	;; [unrolled: 1-line block ×55, first 2 shown]
	v_lshl_add_u32 v122, v1, 3, 0
	v_lshlrev_b32_e32 v123, 3, v1
	v_mov_b32_e32 v118, 0
	v_add_nc_u32_e32 v116, v122, v170
	s_waitcnt vmcnt(54) lgkmcnt(54)
	ds_write_b64 v116, v[112:113]
	s_waitcnt vmcnt(0) lgkmcnt(0)
	s_barrier
	buffer_gl0_inv
	ds_read_b64 v[116:117], v122
	s_cbranch_scc1 .LBB108_6
; %bb.4:
	v_add3_u32 v1, v123, 0, 8
	v_mov_b32_e32 v118, 0
	s_mov_b32 s0, 1
.LBB108_5:                              ; =>This Inner Loop Header: Depth=1
	ds_read_b64 v[124:125], v1
	v_add_nc_u32_e32 v1, 8, v1
	s_waitcnt lgkmcnt(0)
	v_cmp_lt_f64_e64 vcc_lo, |v[116:117]|, |v[124:125]|
	v_cndmask_b32_e32 v117, v117, v125, vcc_lo
	v_cndmask_b32_e32 v116, v116, v124, vcc_lo
	v_cndmask_b32_e64 v118, v118, s0, vcc_lo
	s_add_i32 s0, s0, 1
	s_cmp_eq_u32 s7, s0
	s_cbranch_scc0 .LBB108_5
.LBB108_6:
	s_mov_b32 s0, exec_lo
                                        ; implicit-def: $vgpr125
	v_cmpx_ne_u32_e64 v0, v118
	s_xor_b32 s0, exec_lo, s0
	s_cbranch_execz .LBB108_12
; %bb.7:
	s_mov_b32 s1, exec_lo
	v_cmpx_eq_u32_e32 0, v0
	s_cbranch_execz .LBB108_11
; %bb.8:
	v_cmp_ne_u32_e32 vcc_lo, 0, v118
	s_xor_b32 s2, s6, -1
	s_and_b32 s3, s2, vcc_lo
	s_and_saveexec_b32 s2, s3
	s_cbranch_execz .LBB108_10
; %bb.9:
	v_ashrrev_i32_e32 v119, 31, v118
	v_lshlrev_b64 v[0:1], 2, v[118:119]
	v_add_co_u32 v0, vcc_lo, v4, v0
	v_add_co_ci_u32_e64 v1, null, v5, v1, vcc_lo
	s_clause 0x1
	global_load_dword v119, v[0:1], off
	global_load_dword v124, v[4:5], off
	s_waitcnt vmcnt(1)
	global_store_dword v[4:5], v119, off
	s_waitcnt vmcnt(0)
	global_store_dword v[0:1], v124, off
.LBB108_10:
	s_or_b32 exec_lo, exec_lo, s2
	v_mov_b32_e32 v0, v118
.LBB108_11:
	s_or_b32 exec_lo, exec_lo, s1
	v_mov_b32_e32 v125, v0
                                        ; implicit-def: $vgpr0
.LBB108_12:
	s_or_saveexec_b32 s0, s0
	v_mov_b32_e32 v124, v125
	s_xor_b32 exec_lo, exec_lo, s0
	s_cbranch_execz .LBB108_14
; %bb.13:
	v_mov_b32_e32 v125, 0
	v_mov_b32_e32 v124, v0
	ds_write2_b64 v122, v[108:109], v[110:111] offset0:1 offset1:2
	ds_write2_b64 v122, v[104:105], v[106:107] offset0:3 offset1:4
	;; [unrolled: 1-line block ×27, first 2 shown]
.LBB108_14:
	s_or_b32 exec_lo, exec_lo, s0
	s_waitcnt lgkmcnt(0)
	v_cmp_eq_f64_e64 s0, 0, v[116:117]
	s_mov_b32 s1, exec_lo
	s_waitcnt_vscnt null, 0x0
	s_barrier
	buffer_gl0_inv
	v_cmpx_lt_i32_e32 0, v125
	s_cbranch_execz .LBB108_16
; %bb.15:
	v_div_scale_f64 v[0:1], null, v[116:117], v[116:117], 1.0
	v_div_scale_f64 v[128:129], vcc_lo, 1.0, v[116:117], 1.0
	v_rcp_f64_e32 v[118:119], v[0:1]
	v_fma_f64 v[126:127], -v[0:1], v[118:119], 1.0
	v_fma_f64 v[118:119], v[118:119], v[126:127], v[118:119]
	v_fma_f64 v[126:127], -v[0:1], v[118:119], 1.0
	v_fma_f64 v[118:119], v[118:119], v[126:127], v[118:119]
	v_mul_f64 v[126:127], v[128:129], v[118:119]
	v_fma_f64 v[0:1], -v[0:1], v[126:127], v[128:129]
	v_div_fmas_f64 v[0:1], v[0:1], v[118:119], v[126:127]
	v_div_fixup_f64 v[0:1], v[0:1], v[116:117], 1.0
	v_cndmask_b32_e64 v1, v1, v117, s0
	v_cndmask_b32_e64 v0, v0, v116, s0
	ds_read2_b64 v[116:119], v122 offset0:1 offset1:2
	ds_read2_b64 v[126:129], v122 offset0:3 offset1:4
	;; [unrolled: 1-line block ×18, first 2 shown]
	v_mul_f64 v[112:113], v[0:1], v[112:113]
	s_waitcnt lgkmcnt(17)
	v_fma_f64 v[108:109], -v[112:113], v[116:117], v[108:109]
	v_fma_f64 v[110:111], -v[112:113], v[118:119], v[110:111]
	ds_read2_b64 v[116:119], v122 offset0:37 offset1:38
	ds_read2_b64 v[194:197], v122 offset0:39 offset1:40
	s_waitcnt lgkmcnt(18)
	v_fma_f64 v[104:105], -v[112:113], v[126:127], v[104:105]
	v_fma_f64 v[106:107], -v[112:113], v[128:129], v[106:107]
	s_waitcnt lgkmcnt(17)
	v_fma_f64 v[102:103], -v[112:113], v[130:131], v[102:103]
	v_fma_f64 v[100:101], -v[112:113], v[132:133], v[100:101]
	ds_read2_b64 v[126:129], v122 offset0:41 offset1:42
	ds_read2_b64 v[130:133], v122 offset0:43 offset1:44
	s_waitcnt lgkmcnt(18)
	v_fma_f64 v[98:99], -v[112:113], v[134:135], v[98:99]
	v_fma_f64 v[96:97], -v[112:113], v[136:137], v[96:97]
	;; [unrolled: 8-line block ×4, first 2 shown]
	ds_read2_b64 v[150:153], v122 offset0:53 offset1:54
	s_waitcnt lgkmcnt(18)
	v_fma_f64 v[78:79], -v[112:113], v[154:155], v[78:79]
	v_fma_f64 v[76:77], -v[112:113], v[156:157], v[76:77]
	s_waitcnt lgkmcnt(17)
	v_fma_f64 v[74:75], -v[112:113], v[158:159], v[74:75]
	v_fma_f64 v[72:73], -v[112:113], v[160:161], v[72:73]
	;; [unrolled: 3-line block ×19, first 2 shown]
.LBB108_16:
	s_or_b32 exec_lo, exec_lo, s1
	v_lshl_add_u32 v0, v125, 3, v122
	s_barrier
	buffer_gl0_inv
	v_mov_b32_e32 v116, 1
	ds_write_b64 v0, v[108:109]
	s_waitcnt lgkmcnt(0)
	s_barrier
	buffer_gl0_inv
	ds_read_b64 v[0:1], v122 offset:8
	s_cmp_lt_i32 s7, 3
	s_cbranch_scc1 .LBB108_19
; %bb.17:
	v_add3_u32 v117, v123, 0, 16
	v_mov_b32_e32 v116, 1
	s_mov_b32 s1, 2
.LBB108_18:                             ; =>This Inner Loop Header: Depth=1
	ds_read_b64 v[118:119], v117
	v_add_nc_u32_e32 v117, 8, v117
	s_waitcnt lgkmcnt(0)
	v_cmp_lt_f64_e64 vcc_lo, |v[0:1]|, |v[118:119]|
	v_cndmask_b32_e32 v1, v1, v119, vcc_lo
	v_cndmask_b32_e32 v0, v0, v118, vcc_lo
	v_cndmask_b32_e64 v116, v116, s1, vcc_lo
	s_add_i32 s1, s1, 1
	s_cmp_lg_u32 s7, s1
	s_cbranch_scc1 .LBB108_18
.LBB108_19:
	s_mov_b32 s1, exec_lo
	v_cmpx_ne_u32_e64 v125, v116
	s_xor_b32 s1, exec_lo, s1
	s_cbranch_execz .LBB108_25
; %bb.20:
	s_mov_b32 s2, exec_lo
	v_cmpx_eq_u32_e32 1, v125
	s_cbranch_execz .LBB108_24
; %bb.21:
	v_cmp_ne_u32_e32 vcc_lo, 1, v116
	s_xor_b32 s3, s6, -1
	s_and_b32 s9, s3, vcc_lo
	s_and_saveexec_b32 s3, s9
	s_cbranch_execz .LBB108_23
; %bb.22:
	v_ashrrev_i32_e32 v117, 31, v116
	v_lshlrev_b64 v[117:118], 2, v[116:117]
	v_add_co_u32 v117, vcc_lo, v4, v117
	v_add_co_ci_u32_e64 v118, null, v5, v118, vcc_lo
	s_clause 0x1
	global_load_dword v119, v[117:118], off
	global_load_dword v124, v[4:5], off offset:4
	s_waitcnt vmcnt(1)
	global_store_dword v[4:5], v119, off offset:4
	s_waitcnt vmcnt(0)
	global_store_dword v[117:118], v124, off
.LBB108_23:
	s_or_b32 exec_lo, exec_lo, s3
	v_mov_b32_e32 v124, v116
	v_mov_b32_e32 v125, v116
.LBB108_24:
	s_or_b32 exec_lo, exec_lo, s2
.LBB108_25:
	s_andn2_saveexec_b32 s1, s1
	s_cbranch_execz .LBB108_27
; %bb.26:
	v_mov_b32_e32 v116, v110
	v_mov_b32_e32 v117, v111
	;; [unrolled: 1-line block ×8, first 2 shown]
	ds_write2_b64 v122, v[116:117], v[118:119] offset0:2 offset1:3
	ds_write2_b64 v122, v[125:126], v[127:128] offset0:4 offset1:5
	v_mov_b32_e32 v116, v100
	v_mov_b32_e32 v117, v101
	v_mov_b32_e32 v118, v98
	v_mov_b32_e32 v119, v99
	v_mov_b32_e32 v125, v96
	v_mov_b32_e32 v126, v97
	v_mov_b32_e32 v127, v94
	v_mov_b32_e32 v128, v95
	v_mov_b32_e32 v129, v92
	v_mov_b32_e32 v130, v93
	v_mov_b32_e32 v131, v88
	v_mov_b32_e32 v132, v89
	v_mov_b32_e32 v133, v90
	v_mov_b32_e32 v134, v91
	v_mov_b32_e32 v135, v84
	v_mov_b32_e32 v136, v85
	v_mov_b32_e32 v137, v86
	v_mov_b32_e32 v138, v87
	v_mov_b32_e32 v139, v82
	v_mov_b32_e32 v140, v83
	ds_write2_b64 v122, v[116:117], v[118:119] offset0:6 offset1:7
	ds_write2_b64 v122, v[125:126], v[127:128] offset0:8 offset1:9
	ds_write2_b64 v122, v[129:130], v[131:132] offset0:10 offset1:11
	ds_write2_b64 v122, v[133:134], v[135:136] offset0:12 offset1:13
	ds_write2_b64 v122, v[137:138], v[139:140] offset0:14 offset1:15
	v_mov_b32_e32 v116, v80
	v_mov_b32_e32 v117, v81
	v_mov_b32_e32 v118, v78
	v_mov_b32_e32 v119, v79
	v_mov_b32_e32 v125, v76
	v_mov_b32_e32 v126, v77
	v_mov_b32_e32 v127, v74
	v_mov_b32_e32 v128, v75
	v_mov_b32_e32 v129, v72
	v_mov_b32_e32 v130, v73
	v_mov_b32_e32 v131, v68
	v_mov_b32_e32 v132, v69
	v_mov_b32_e32 v133, v70
	v_mov_b32_e32 v134, v71
	v_mov_b32_e32 v135, v64
	v_mov_b32_e32 v136, v65
	v_mov_b32_e32 v137, v66
	v_mov_b32_e32 v138, v67
	v_mov_b32_e32 v139, v62
	v_mov_b32_e32 v140, v63
	ds_write2_b64 v122, v[116:117], v[118:119] offset0:16 offset1:17
	ds_write2_b64 v122, v[125:126], v[127:128] offset0:18 offset1:19
	ds_write2_b64 v122, v[129:130], v[131:132] offset0:20 offset1:21
	;; [unrolled: 25-line block ×4, first 2 shown]
	ds_write2_b64 v122, v[133:134], v[135:136] offset0:42 offset1:43
	ds_write2_b64 v122, v[137:138], v[139:140] offset0:44 offset1:45
	v_mov_b32_e32 v116, v20
	v_mov_b32_e32 v117, v21
	;; [unrolled: 1-line block ×17, first 2 shown]
	ds_write2_b64 v122, v[116:117], v[118:119] offset0:46 offset1:47
	ds_write2_b64 v122, v[126:127], v[128:129] offset0:48 offset1:49
	;; [unrolled: 1-line block ×4, first 2 shown]
	ds_write_b64 v122, v[114:115] offset:432
.LBB108_27:
	s_or_b32 exec_lo, exec_lo, s1
	s_waitcnt lgkmcnt(0)
	v_cmp_neq_f64_e64 s1, 0, v[0:1]
	s_mov_b32 s2, exec_lo
	s_waitcnt_vscnt null, 0x0
	s_barrier
	buffer_gl0_inv
	v_cmpx_lt_i32_e32 1, v125
	s_cbranch_execz .LBB108_29
; %bb.28:
	v_div_scale_f64 v[116:117], null, v[0:1], v[0:1], 1.0
	v_div_scale_f64 v[128:129], vcc_lo, 1.0, v[0:1], 1.0
	v_rcp_f64_e32 v[118:119], v[116:117]
	v_fma_f64 v[126:127], -v[116:117], v[118:119], 1.0
	v_fma_f64 v[118:119], v[118:119], v[126:127], v[118:119]
	v_fma_f64 v[126:127], -v[116:117], v[118:119], 1.0
	v_fma_f64 v[118:119], v[118:119], v[126:127], v[118:119]
	v_mul_f64 v[126:127], v[128:129], v[118:119]
	v_fma_f64 v[116:117], -v[116:117], v[126:127], v[128:129]
	v_div_fmas_f64 v[116:117], v[116:117], v[118:119], v[126:127]
	v_div_fixup_f64 v[130:131], v[116:117], v[0:1], 1.0
	ds_read2_b64 v[116:119], v122 offset0:2 offset1:3
	ds_read2_b64 v[126:129], v122 offset0:4 offset1:5
	v_cndmask_b32_e64 v1, v1, v131, s1
	v_cndmask_b32_e64 v0, v0, v130, s1
	ds_read2_b64 v[130:133], v122 offset0:6 offset1:7
	ds_read2_b64 v[134:137], v122 offset0:8 offset1:9
	;; [unrolled: 1-line block ×4, first 2 shown]
	v_mul_f64 v[108:109], v[0:1], v[108:109]
	ds_read2_b64 v[146:149], v122 offset0:14 offset1:15
	ds_read2_b64 v[150:153], v122 offset0:16 offset1:17
	;; [unrolled: 1-line block ×20, first 2 shown]
	ds_read_b64 v[0:1], v122 offset:432
	s_waitcnt lgkmcnt(26)
	v_fma_f64 v[110:111], -v[108:109], v[116:117], v[110:111]
	v_fma_f64 v[104:105], -v[108:109], v[118:119], v[104:105]
	s_waitcnt lgkmcnt(25)
	v_fma_f64 v[106:107], -v[108:109], v[126:127], v[106:107]
	v_fma_f64 v[102:103], -v[108:109], v[128:129], v[102:103]
	;; [unrolled: 3-line block ×26, first 2 shown]
	s_waitcnt lgkmcnt(0)
	v_fma_f64 v[114:115], -v[108:109], v[0:1], v[114:115]
.LBB108_29:
	s_or_b32 exec_lo, exec_lo, s2
	v_lshl_add_u32 v0, v125, 3, v122
	s_barrier
	buffer_gl0_inv
	v_mov_b32_e32 v116, 2
	ds_write_b64 v0, v[110:111]
	s_waitcnt lgkmcnt(0)
	s_barrier
	buffer_gl0_inv
	ds_read_b64 v[0:1], v122 offset:16
	s_cmp_lt_i32 s7, 4
	s_mov_b32 s2, 3
	s_cbranch_scc1 .LBB108_32
; %bb.30:
	v_add3_u32 v117, v123, 0, 24
	v_mov_b32_e32 v116, 2
.LBB108_31:                             ; =>This Inner Loop Header: Depth=1
	ds_read_b64 v[118:119], v117
	v_add_nc_u32_e32 v117, 8, v117
	s_waitcnt lgkmcnt(0)
	v_cmp_lt_f64_e64 vcc_lo, |v[0:1]|, |v[118:119]|
	v_cndmask_b32_e32 v1, v1, v119, vcc_lo
	v_cndmask_b32_e32 v0, v0, v118, vcc_lo
	v_cndmask_b32_e64 v116, v116, s2, vcc_lo
	s_add_i32 s2, s2, 1
	s_cmp_lg_u32 s7, s2
	s_cbranch_scc1 .LBB108_31
.LBB108_32:
	v_cndmask_b32_e64 v117, 2, 1, s0
	v_cndmask_b32_e64 v118, 0, 1, s0
	s_mov_b32 s0, exec_lo
	v_cndmask_b32_e64 v119, v117, v118, s1
	s_waitcnt lgkmcnt(0)
	v_cmpx_eq_f64_e32 0, v[0:1]
	s_xor_b32 s0, exec_lo, s0
; %bb.33:
	v_cmp_ne_u32_e32 vcc_lo, 0, v119
	v_cndmask_b32_e32 v119, 3, v119, vcc_lo
; %bb.34:
	s_andn2_saveexec_b32 s0, s0
	s_cbranch_execz .LBB108_36
; %bb.35:
	v_div_scale_f64 v[117:118], null, v[0:1], v[0:1], 1.0
	v_rcp_f64_e32 v[126:127], v[117:118]
	v_fma_f64 v[128:129], -v[117:118], v[126:127], 1.0
	v_fma_f64 v[126:127], v[126:127], v[128:129], v[126:127]
	v_fma_f64 v[128:129], -v[117:118], v[126:127], 1.0
	v_fma_f64 v[126:127], v[126:127], v[128:129], v[126:127]
	v_div_scale_f64 v[128:129], vcc_lo, 1.0, v[0:1], 1.0
	v_mul_f64 v[130:131], v[128:129], v[126:127]
	v_fma_f64 v[117:118], -v[117:118], v[130:131], v[128:129]
	v_div_fmas_f64 v[117:118], v[117:118], v[126:127], v[130:131]
	v_div_fixup_f64 v[0:1], v[117:118], v[0:1], 1.0
.LBB108_36:
	s_or_b32 exec_lo, exec_lo, s0
	s_mov_b32 s0, exec_lo
	v_cmpx_ne_u32_e64 v125, v116
	s_xor_b32 s0, exec_lo, s0
	s_cbranch_execz .LBB108_42
; %bb.37:
	s_mov_b32 s1, exec_lo
	v_cmpx_eq_u32_e32 2, v125
	s_cbranch_execz .LBB108_41
; %bb.38:
	v_cmp_ne_u32_e32 vcc_lo, 2, v116
	s_xor_b32 s2, s6, -1
	s_and_b32 s3, s2, vcc_lo
	s_and_saveexec_b32 s2, s3
	s_cbranch_execz .LBB108_40
; %bb.39:
	v_ashrrev_i32_e32 v117, 31, v116
	v_lshlrev_b64 v[117:118], 2, v[116:117]
	v_add_co_u32 v117, vcc_lo, v4, v117
	v_add_co_ci_u32_e64 v118, null, v5, v118, vcc_lo
	s_clause 0x1
	global_load_dword v124, v[117:118], off
	global_load_dword v125, v[4:5], off offset:8
	s_waitcnt vmcnt(1)
	global_store_dword v[4:5], v124, off offset:8
	s_waitcnt vmcnt(0)
	global_store_dword v[117:118], v125, off
.LBB108_40:
	s_or_b32 exec_lo, exec_lo, s2
	v_mov_b32_e32 v124, v116
	v_mov_b32_e32 v125, v116
.LBB108_41:
	s_or_b32 exec_lo, exec_lo, s1
.LBB108_42:
	s_andn2_saveexec_b32 s0, s0
	s_cbranch_execz .LBB108_44
; %bb.43:
	v_mov_b32_e32 v125, 2
	ds_write2_b64 v122, v[104:105], v[106:107] offset0:3 offset1:4
	ds_write2_b64 v122, v[102:103], v[100:101] offset0:5 offset1:6
	;; [unrolled: 1-line block ×26, first 2 shown]
.LBB108_44:
	s_or_b32 exec_lo, exec_lo, s0
	s_mov_b32 s0, exec_lo
	s_waitcnt lgkmcnt(0)
	s_waitcnt_vscnt null, 0x0
	s_barrier
	buffer_gl0_inv
	v_cmpx_lt_i32_e32 2, v125
	s_cbranch_execz .LBB108_46
; %bb.45:
	v_mul_f64 v[110:111], v[0:1], v[110:111]
	ds_read2_b64 v[126:129], v122 offset0:3 offset1:4
	ds_read2_b64 v[130:133], v122 offset0:5 offset1:6
	;; [unrolled: 1-line block ×12, first 2 shown]
	s_waitcnt lgkmcnt(11)
	v_fma_f64 v[104:105], -v[110:111], v[126:127], v[104:105]
	v_fma_f64 v[106:107], -v[110:111], v[128:129], v[106:107]
	s_waitcnt lgkmcnt(10)
	v_fma_f64 v[102:103], -v[110:111], v[130:131], v[102:103]
	v_fma_f64 v[100:101], -v[110:111], v[132:133], v[100:101]
	;; [unrolled: 3-line block ×3, first 2 shown]
	ds_read2_b64 v[126:129], v122 offset0:27 offset1:28
	ds_read2_b64 v[130:133], v122 offset0:29 offset1:30
	;; [unrolled: 1-line block ×3, first 2 shown]
	s_waitcnt lgkmcnt(11)
	v_fma_f64 v[94:95], -v[110:111], v[138:139], v[94:95]
	v_fma_f64 v[92:93], -v[110:111], v[140:141], v[92:93]
	s_waitcnt lgkmcnt(10)
	v_fma_f64 v[88:89], -v[110:111], v[142:143], v[88:89]
	v_fma_f64 v[90:91], -v[110:111], v[144:145], v[90:91]
	s_waitcnt lgkmcnt(9)
	v_fma_f64 v[84:85], -v[110:111], v[146:147], v[84:85]
	v_fma_f64 v[86:87], -v[110:111], v[148:149], v[86:87]
	s_waitcnt lgkmcnt(8)
	v_fma_f64 v[82:83], -v[110:111], v[150:151], v[82:83]
	v_fma_f64 v[80:81], -v[110:111], v[152:153], v[80:81]
	s_waitcnt lgkmcnt(7)
	v_fma_f64 v[78:79], -v[110:111], v[154:155], v[78:79]
	v_fma_f64 v[76:77], -v[110:111], v[156:157], v[76:77]
	s_waitcnt lgkmcnt(6)
	v_fma_f64 v[74:75], -v[110:111], v[158:159], v[74:75]
	v_fma_f64 v[72:73], -v[110:111], v[160:161], v[72:73]
	s_waitcnt lgkmcnt(5)
	v_fma_f64 v[68:69], -v[110:111], v[162:163], v[68:69]
	v_fma_f64 v[70:71], -v[110:111], v[164:165], v[70:71]
	ds_read2_b64 v[138:141], v122 offset0:33 offset1:34
	s_waitcnt lgkmcnt(5)
	v_fma_f64 v[64:65], -v[110:111], v[166:167], v[64:65]
	v_fma_f64 v[66:67], -v[110:111], v[168:169], v[66:67]
	ds_read2_b64 v[142:145], v122 offset0:35 offset1:36
	ds_read2_b64 v[146:149], v122 offset0:37 offset1:38
	ds_read2_b64 v[150:153], v122 offset0:39 offset1:40
	ds_read2_b64 v[154:157], v122 offset0:41 offset1:42
	s_waitcnt lgkmcnt(7)
	v_fma_f64 v[58:59], -v[110:111], v[126:127], v[58:59]
	v_fma_f64 v[56:57], -v[110:111], v[128:129], v[56:57]
	ds_read2_b64 v[126:129], v122 offset0:43 offset1:44
	ds_read2_b64 v[158:161], v122 offset0:45 offset1:46
	s_waitcnt lgkmcnt(8)
	v_fma_f64 v[54:55], -v[110:111], v[130:131], v[54:55]
	v_fma_f64 v[52:53], -v[110:111], v[132:133], v[52:53]
	ds_read2_b64 v[130:133], v122 offset0:47 offset1:48
	ds_read2_b64 v[162:165], v122 offset0:49 offset1:50
	;; [unrolled: 5-line block ×3, first 2 shown]
	v_fma_f64 v[62:63], -v[110:111], v[170:171], v[62:63]
	v_fma_f64 v[60:61], -v[110:111], v[172:173], v[60:61]
	s_waitcnt lgkmcnt(10)
	v_fma_f64 v[44:45], -v[110:111], v[138:139], v[44:45]
	v_fma_f64 v[46:47], -v[110:111], v[140:141], v[46:47]
	s_waitcnt lgkmcnt(9)
	;; [unrolled: 3-line block ×11, first 2 shown]
	v_fma_f64 v[6:7], -v[110:111], v[166:167], v[6:7]
	v_fma_f64 v[114:115], -v[110:111], v[168:169], v[114:115]
.LBB108_46:
	s_or_b32 exec_lo, exec_lo, s0
	v_lshl_add_u32 v0, v125, 3, v122
	s_barrier
	buffer_gl0_inv
	v_mov_b32_e32 v116, 3
	ds_write_b64 v0, v[104:105]
	s_waitcnt lgkmcnt(0)
	s_barrier
	buffer_gl0_inv
	ds_read_b64 v[0:1], v122 offset:24
	s_cmp_lt_i32 s7, 5
	s_cbranch_scc1 .LBB108_49
; %bb.47:
	v_mov_b32_e32 v116, 3
	v_add3_u32 v117, v123, 0, 32
	s_mov_b32 s0, 4
.LBB108_48:                             ; =>This Inner Loop Header: Depth=1
	ds_read_b64 v[126:127], v117
	v_add_nc_u32_e32 v117, 8, v117
	s_waitcnt lgkmcnt(0)
	v_cmp_lt_f64_e64 vcc_lo, |v[0:1]|, |v[126:127]|
	v_cndmask_b32_e32 v1, v1, v127, vcc_lo
	v_cndmask_b32_e32 v0, v0, v126, vcc_lo
	v_cndmask_b32_e64 v116, v116, s0, vcc_lo
	s_add_i32 s0, s0, 1
	s_cmp_lg_u32 s7, s0
	s_cbranch_scc1 .LBB108_48
.LBB108_49:
	s_mov_b32 s0, exec_lo
	s_waitcnt lgkmcnt(0)
	v_cmpx_eq_f64_e32 0, v[0:1]
	s_xor_b32 s0, exec_lo, s0
; %bb.50:
	v_cmp_ne_u32_e32 vcc_lo, 0, v119
	v_cndmask_b32_e32 v119, 4, v119, vcc_lo
; %bb.51:
	s_andn2_saveexec_b32 s0, s0
	s_cbranch_execz .LBB108_53
; %bb.52:
	v_div_scale_f64 v[117:118], null, v[0:1], v[0:1], 1.0
	v_rcp_f64_e32 v[126:127], v[117:118]
	v_fma_f64 v[128:129], -v[117:118], v[126:127], 1.0
	v_fma_f64 v[126:127], v[126:127], v[128:129], v[126:127]
	v_fma_f64 v[128:129], -v[117:118], v[126:127], 1.0
	v_fma_f64 v[126:127], v[126:127], v[128:129], v[126:127]
	v_div_scale_f64 v[128:129], vcc_lo, 1.0, v[0:1], 1.0
	v_mul_f64 v[130:131], v[128:129], v[126:127]
	v_fma_f64 v[117:118], -v[117:118], v[130:131], v[128:129]
	v_div_fmas_f64 v[117:118], v[117:118], v[126:127], v[130:131]
	v_div_fixup_f64 v[0:1], v[117:118], v[0:1], 1.0
.LBB108_53:
	s_or_b32 exec_lo, exec_lo, s0
	s_mov_b32 s0, exec_lo
	v_cmpx_ne_u32_e64 v125, v116
	s_xor_b32 s0, exec_lo, s0
	s_cbranch_execz .LBB108_59
; %bb.54:
	s_mov_b32 s1, exec_lo
	v_cmpx_eq_u32_e32 3, v125
	s_cbranch_execz .LBB108_58
; %bb.55:
	v_cmp_ne_u32_e32 vcc_lo, 3, v116
	s_xor_b32 s2, s6, -1
	s_and_b32 s3, s2, vcc_lo
	s_and_saveexec_b32 s2, s3
	s_cbranch_execz .LBB108_57
; %bb.56:
	v_ashrrev_i32_e32 v117, 31, v116
	v_lshlrev_b64 v[117:118], 2, v[116:117]
	v_add_co_u32 v117, vcc_lo, v4, v117
	v_add_co_ci_u32_e64 v118, null, v5, v118, vcc_lo
	s_clause 0x1
	global_load_dword v124, v[117:118], off
	global_load_dword v125, v[4:5], off offset:12
	s_waitcnt vmcnt(1)
	global_store_dword v[4:5], v124, off offset:12
	s_waitcnt vmcnt(0)
	global_store_dword v[117:118], v125, off
.LBB108_57:
	s_or_b32 exec_lo, exec_lo, s2
	v_mov_b32_e32 v124, v116
	v_mov_b32_e32 v125, v116
.LBB108_58:
	s_or_b32 exec_lo, exec_lo, s1
.LBB108_59:
	s_andn2_saveexec_b32 s0, s0
	s_cbranch_execz .LBB108_61
; %bb.60:
	v_mov_b32_e32 v116, v106
	v_mov_b32_e32 v117, v107
	;; [unrolled: 1-line block ×8, first 2 shown]
	ds_write2_b64 v122, v[116:117], v[125:126] offset0:4 offset1:5
	v_mov_b32_e32 v116, v98
	v_mov_b32_e32 v117, v99
	v_mov_b32_e32 v125, v96
	v_mov_b32_e32 v126, v97
	v_mov_b32_e32 v131, v92
	v_mov_b32_e32 v132, v93
	v_mov_b32_e32 v133, v88
	v_mov_b32_e32 v134, v89
	v_mov_b32_e32 v135, v90
	v_mov_b32_e32 v136, v91
	v_mov_b32_e32 v137, v84
	v_mov_b32_e32 v138, v85
	v_mov_b32_e32 v139, v86
	v_mov_b32_e32 v140, v87
	v_mov_b32_e32 v141, v82
	v_mov_b32_e32 v142, v83
	ds_write2_b64 v122, v[127:128], v[116:117] offset0:6 offset1:7
	ds_write2_b64 v122, v[125:126], v[129:130] offset0:8 offset1:9
	ds_write2_b64 v122, v[131:132], v[133:134] offset0:10 offset1:11
	ds_write2_b64 v122, v[135:136], v[137:138] offset0:12 offset1:13
	ds_write2_b64 v122, v[139:140], v[141:142] offset0:14 offset1:15
	v_mov_b32_e32 v116, v80
	v_mov_b32_e32 v117, v81
	v_mov_b32_e32 v125, v78
	v_mov_b32_e32 v126, v79
	v_mov_b32_e32 v127, v76
	v_mov_b32_e32 v128, v77
	v_mov_b32_e32 v129, v74
	v_mov_b32_e32 v130, v75
	v_mov_b32_e32 v131, v72
	v_mov_b32_e32 v132, v73
	v_mov_b32_e32 v133, v68
	v_mov_b32_e32 v134, v69
	v_mov_b32_e32 v135, v70
	v_mov_b32_e32 v136, v71
	v_mov_b32_e32 v137, v64
	v_mov_b32_e32 v138, v65
	v_mov_b32_e32 v139, v66
	v_mov_b32_e32 v140, v67
	v_mov_b32_e32 v141, v62
	v_mov_b32_e32 v142, v63
	ds_write2_b64 v122, v[116:117], v[125:126] offset0:16 offset1:17
	ds_write2_b64 v122, v[127:128], v[129:130] offset0:18 offset1:19
	ds_write2_b64 v122, v[131:132], v[133:134] offset0:20 offset1:21
	ds_write2_b64 v122, v[135:136], v[137:138] offset0:22 offset1:23
	ds_write2_b64 v122, v[139:140], v[141:142] offset0:24 offset1:25
	v_mov_b32_e32 v116, v60
	v_mov_b32_e32 v117, v61
	v_mov_b32_e32 v125, v58
	v_mov_b32_e32 v126, v59
	;; [unrolled: 25-line block ×4, first 2 shown]
	v_mov_b32_e32 v127, v16
	v_mov_b32_e32 v128, v17
	;; [unrolled: 1-line block ×4, first 2 shown]
	ds_write2_b64 v122, v[116:117], v[125:126] offset0:46 offset1:47
	v_mov_b32_e32 v125, 3
	v_mov_b32_e32 v131, v12
	;; [unrolled: 1-line block ×9, first 2 shown]
	ds_write2_b64 v122, v[127:128], v[129:130] offset0:48 offset1:49
	ds_write2_b64 v122, v[131:132], v[133:134] offset0:50 offset1:51
	;; [unrolled: 1-line block ×3, first 2 shown]
	ds_write_b64 v122, v[114:115] offset:432
.LBB108_61:
	s_or_b32 exec_lo, exec_lo, s0
	s_mov_b32 s0, exec_lo
	s_waitcnt lgkmcnt(0)
	s_waitcnt_vscnt null, 0x0
	s_barrier
	buffer_gl0_inv
	v_cmpx_lt_i32_e32 3, v125
	s_cbranch_execz .LBB108_63
; %bb.62:
	v_mul_f64 v[104:105], v[0:1], v[104:105]
	ds_read2_b64 v[126:129], v122 offset0:4 offset1:5
	ds_read2_b64 v[130:133], v122 offset0:6 offset1:7
	;; [unrolled: 1-line block ×12, first 2 shown]
	ds_read_b64 v[0:1], v122 offset:432
	s_waitcnt lgkmcnt(12)
	v_fma_f64 v[106:107], -v[104:105], v[126:127], v[106:107]
	v_fma_f64 v[102:103], -v[104:105], v[128:129], v[102:103]
	s_waitcnt lgkmcnt(11)
	v_fma_f64 v[100:101], -v[104:105], v[130:131], v[100:101]
	v_fma_f64 v[98:99], -v[104:105], v[132:133], v[98:99]
	;; [unrolled: 3-line block ×3, first 2 shown]
	ds_read2_b64 v[126:129], v122 offset0:28 offset1:29
	ds_read2_b64 v[130:133], v122 offset0:30 offset1:31
	;; [unrolled: 1-line block ×3, first 2 shown]
	s_waitcnt lgkmcnt(12)
	v_fma_f64 v[92:93], -v[104:105], v[138:139], v[92:93]
	v_fma_f64 v[88:89], -v[104:105], v[140:141], v[88:89]
	s_waitcnt lgkmcnt(11)
	v_fma_f64 v[90:91], -v[104:105], v[142:143], v[90:91]
	v_fma_f64 v[84:85], -v[104:105], v[144:145], v[84:85]
	;; [unrolled: 3-line block ×7, first 2 shown]
	ds_read2_b64 v[138:141], v122 offset0:34 offset1:35
	ds_read2_b64 v[142:145], v122 offset0:36 offset1:37
	;; [unrolled: 1-line block ×5, first 2 shown]
	s_waitcnt lgkmcnt(7)
	v_fma_f64 v[56:57], -v[104:105], v[126:127], v[56:57]
	v_fma_f64 v[54:55], -v[104:105], v[128:129], v[54:55]
	ds_read2_b64 v[126:129], v122 offset0:44 offset1:45
	ds_read2_b64 v[158:161], v122 offset0:46 offset1:47
	s_waitcnt lgkmcnt(8)
	v_fma_f64 v[52:53], -v[104:105], v[130:131], v[52:53]
	v_fma_f64 v[48:49], -v[104:105], v[132:133], v[48:49]
	ds_read2_b64 v[130:133], v122 offset0:48 offset1:49
	ds_read2_b64 v[162:165], v122 offset0:50 offset1:51
	s_waitcnt lgkmcnt(9)
	v_fma_f64 v[50:51], -v[104:105], v[134:135], v[50:51]
	v_fma_f64 v[44:45], -v[104:105], v[136:137], v[44:45]
	ds_read2_b64 v[134:137], v122 offset0:52 offset1:53
	v_fma_f64 v[66:67], -v[104:105], v[166:167], v[66:67]
	v_fma_f64 v[62:63], -v[104:105], v[168:169], v[62:63]
	;; [unrolled: 1-line block ×4, first 2 shown]
	s_waitcnt lgkmcnt(9)
	v_fma_f64 v[46:47], -v[104:105], v[138:139], v[46:47]
	v_fma_f64 v[42:43], -v[104:105], v[140:141], v[42:43]
	s_waitcnt lgkmcnt(8)
	v_fma_f64 v[40:41], -v[104:105], v[142:143], v[40:41]
	v_fma_f64 v[38:39], -v[104:105], v[144:145], v[38:39]
	;; [unrolled: 3-line block ×10, first 2 shown]
	v_fma_f64 v[114:115], -v[104:105], v[0:1], v[114:115]
.LBB108_63:
	s_or_b32 exec_lo, exec_lo, s0
	v_lshl_add_u32 v0, v125, 3, v122
	s_barrier
	buffer_gl0_inv
	v_mov_b32_e32 v116, 4
	ds_write_b64 v0, v[106:107]
	s_waitcnt lgkmcnt(0)
	s_barrier
	buffer_gl0_inv
	ds_read_b64 v[0:1], v122 offset:32
	s_cmp_lt_i32 s7, 6
	s_cbranch_scc1 .LBB108_66
; %bb.64:
	v_add3_u32 v117, v123, 0, 40
	v_mov_b32_e32 v116, 4
	s_mov_b32 s0, 5
.LBB108_65:                             ; =>This Inner Loop Header: Depth=1
	ds_read_b64 v[126:127], v117
	v_add_nc_u32_e32 v117, 8, v117
	s_waitcnt lgkmcnt(0)
	v_cmp_lt_f64_e64 vcc_lo, |v[0:1]|, |v[126:127]|
	v_cndmask_b32_e32 v1, v1, v127, vcc_lo
	v_cndmask_b32_e32 v0, v0, v126, vcc_lo
	v_cndmask_b32_e64 v116, v116, s0, vcc_lo
	s_add_i32 s0, s0, 1
	s_cmp_lg_u32 s7, s0
	s_cbranch_scc1 .LBB108_65
.LBB108_66:
	s_mov_b32 s0, exec_lo
	s_waitcnt lgkmcnt(0)
	v_cmpx_eq_f64_e32 0, v[0:1]
	s_xor_b32 s0, exec_lo, s0
; %bb.67:
	v_cmp_ne_u32_e32 vcc_lo, 0, v119
	v_cndmask_b32_e32 v119, 5, v119, vcc_lo
; %bb.68:
	s_andn2_saveexec_b32 s0, s0
	s_cbranch_execz .LBB108_70
; %bb.69:
	v_div_scale_f64 v[117:118], null, v[0:1], v[0:1], 1.0
	v_rcp_f64_e32 v[126:127], v[117:118]
	v_fma_f64 v[128:129], -v[117:118], v[126:127], 1.0
	v_fma_f64 v[126:127], v[126:127], v[128:129], v[126:127]
	v_fma_f64 v[128:129], -v[117:118], v[126:127], 1.0
	v_fma_f64 v[126:127], v[126:127], v[128:129], v[126:127]
	v_div_scale_f64 v[128:129], vcc_lo, 1.0, v[0:1], 1.0
	v_mul_f64 v[130:131], v[128:129], v[126:127]
	v_fma_f64 v[117:118], -v[117:118], v[130:131], v[128:129]
	v_div_fmas_f64 v[117:118], v[117:118], v[126:127], v[130:131]
	v_div_fixup_f64 v[0:1], v[117:118], v[0:1], 1.0
.LBB108_70:
	s_or_b32 exec_lo, exec_lo, s0
	s_mov_b32 s0, exec_lo
	v_cmpx_ne_u32_e64 v125, v116
	s_xor_b32 s0, exec_lo, s0
	s_cbranch_execz .LBB108_76
; %bb.71:
	s_mov_b32 s1, exec_lo
	v_cmpx_eq_u32_e32 4, v125
	s_cbranch_execz .LBB108_75
; %bb.72:
	v_cmp_ne_u32_e32 vcc_lo, 4, v116
	s_xor_b32 s2, s6, -1
	s_and_b32 s3, s2, vcc_lo
	s_and_saveexec_b32 s2, s3
	s_cbranch_execz .LBB108_74
; %bb.73:
	v_ashrrev_i32_e32 v117, 31, v116
	v_lshlrev_b64 v[117:118], 2, v[116:117]
	v_add_co_u32 v117, vcc_lo, v4, v117
	v_add_co_ci_u32_e64 v118, null, v5, v118, vcc_lo
	s_clause 0x1
	global_load_dword v124, v[117:118], off
	global_load_dword v125, v[4:5], off offset:16
	s_waitcnt vmcnt(1)
	global_store_dword v[4:5], v124, off offset:16
	s_waitcnt vmcnt(0)
	global_store_dword v[117:118], v125, off
.LBB108_74:
	s_or_b32 exec_lo, exec_lo, s2
	v_mov_b32_e32 v124, v116
	v_mov_b32_e32 v125, v116
.LBB108_75:
	s_or_b32 exec_lo, exec_lo, s1
.LBB108_76:
	s_andn2_saveexec_b32 s0, s0
	s_cbranch_execz .LBB108_78
; %bb.77:
	v_mov_b32_e32 v125, 4
	ds_write2_b64 v122, v[102:103], v[100:101] offset0:5 offset1:6
	ds_write2_b64 v122, v[98:99], v[96:97] offset0:7 offset1:8
	ds_write2_b64 v122, v[94:95], v[92:93] offset0:9 offset1:10
	ds_write2_b64 v122, v[88:89], v[90:91] offset0:11 offset1:12
	ds_write2_b64 v122, v[84:85], v[86:87] offset0:13 offset1:14
	ds_write2_b64 v122, v[82:83], v[80:81] offset0:15 offset1:16
	ds_write2_b64 v122, v[78:79], v[76:77] offset0:17 offset1:18
	ds_write2_b64 v122, v[74:75], v[72:73] offset0:19 offset1:20
	ds_write2_b64 v122, v[68:69], v[70:71] offset0:21 offset1:22
	ds_write2_b64 v122, v[64:65], v[66:67] offset0:23 offset1:24
	ds_write2_b64 v122, v[62:63], v[60:61] offset0:25 offset1:26
	ds_write2_b64 v122, v[58:59], v[56:57] offset0:27 offset1:28
	ds_write2_b64 v122, v[54:55], v[52:53] offset0:29 offset1:30
	ds_write2_b64 v122, v[48:49], v[50:51] offset0:31 offset1:32
	ds_write2_b64 v122, v[44:45], v[46:47] offset0:33 offset1:34
	ds_write2_b64 v122, v[42:43], v[40:41] offset0:35 offset1:36
	ds_write2_b64 v122, v[38:39], v[36:37] offset0:37 offset1:38
	ds_write2_b64 v122, v[34:35], v[32:33] offset0:39 offset1:40
	ds_write2_b64 v122, v[28:29], v[30:31] offset0:41 offset1:42
	ds_write2_b64 v122, v[24:25], v[26:27] offset0:43 offset1:44
	ds_write2_b64 v122, v[22:23], v[20:21] offset0:45 offset1:46
	ds_write2_b64 v122, v[18:19], v[16:17] offset0:47 offset1:48
	ds_write2_b64 v122, v[14:15], v[12:13] offset0:49 offset1:50
	ds_write2_b64 v122, v[8:9], v[10:11] offset0:51 offset1:52
	ds_write2_b64 v122, v[6:7], v[114:115] offset0:53 offset1:54
.LBB108_78:
	s_or_b32 exec_lo, exec_lo, s0
	s_mov_b32 s0, exec_lo
	s_waitcnt lgkmcnt(0)
	s_waitcnt_vscnt null, 0x0
	s_barrier
	buffer_gl0_inv
	v_cmpx_lt_i32_e32 4, v125
	s_cbranch_execz .LBB108_80
; %bb.79:
	v_mul_f64 v[106:107], v[0:1], v[106:107]
	ds_read2_b64 v[126:129], v122 offset0:5 offset1:6
	ds_read2_b64 v[130:133], v122 offset0:7 offset1:8
	;; [unrolled: 1-line block ×12, first 2 shown]
	s_waitcnt lgkmcnt(11)
	v_fma_f64 v[102:103], -v[106:107], v[126:127], v[102:103]
	v_fma_f64 v[100:101], -v[106:107], v[128:129], v[100:101]
	s_waitcnt lgkmcnt(10)
	v_fma_f64 v[98:99], -v[106:107], v[130:131], v[98:99]
	v_fma_f64 v[96:97], -v[106:107], v[132:133], v[96:97]
	ds_read2_b64 v[126:129], v122 offset0:29 offset1:30
	ds_read2_b64 v[130:133], v122 offset0:31 offset1:32
	s_waitcnt lgkmcnt(11)
	v_fma_f64 v[94:95], -v[106:107], v[134:135], v[94:95]
	v_fma_f64 v[92:93], -v[106:107], v[136:137], v[92:93]
	s_waitcnt lgkmcnt(10)
	v_fma_f64 v[88:89], -v[106:107], v[138:139], v[88:89]
	v_fma_f64 v[90:91], -v[106:107], v[140:141], v[90:91]
	;; [unrolled: 3-line block ×7, first 2 shown]
	ds_read2_b64 v[134:137], v122 offset0:33 offset1:34
	ds_read2_b64 v[138:141], v122 offset0:35 offset1:36
	s_waitcnt lgkmcnt(6)
	v_fma_f64 v[64:65], -v[106:107], v[162:163], v[64:65]
	v_fma_f64 v[66:67], -v[106:107], v[164:165], v[66:67]
	s_waitcnt lgkmcnt(5)
	v_fma_f64 v[62:63], -v[106:107], v[166:167], v[62:63]
	ds_read2_b64 v[142:145], v122 offset0:37 offset1:38
	ds_read2_b64 v[146:149], v122 offset0:39 offset1:40
	v_fma_f64 v[60:61], -v[106:107], v[168:169], v[60:61]
	ds_read2_b64 v[150:153], v122 offset0:41 offset1:42
	ds_read2_b64 v[154:157], v122 offset0:43 offset1:44
	s_waitcnt lgkmcnt(7)
	v_fma_f64 v[54:55], -v[106:107], v[126:127], v[54:55]
	ds_read2_b64 v[158:161], v122 offset0:45 offset1:46
	v_fma_f64 v[52:53], -v[106:107], v[128:129], v[52:53]
	ds_read2_b64 v[126:129], v122 offset0:47 offset1:48
	s_waitcnt lgkmcnt(8)
	v_fma_f64 v[48:49], -v[106:107], v[130:131], v[48:49]
	ds_read2_b64 v[162:165], v122 offset0:49 offset1:50
	v_fma_f64 v[50:51], -v[106:107], v[132:133], v[50:51]
	ds_read2_b64 v[130:133], v122 offset0:51 offset1:52
	ds_read2_b64 v[166:169], v122 offset0:53 offset1:54
	v_fma_f64 v[58:59], -v[106:107], v[170:171], v[58:59]
	v_fma_f64 v[56:57], -v[106:107], v[172:173], v[56:57]
	s_waitcnt lgkmcnt(10)
	v_fma_f64 v[44:45], -v[106:107], v[134:135], v[44:45]
	v_fma_f64 v[46:47], -v[106:107], v[136:137], v[46:47]
	s_waitcnt lgkmcnt(9)
	;; [unrolled: 3-line block ×11, first 2 shown]
	v_fma_f64 v[6:7], -v[106:107], v[166:167], v[6:7]
	v_fma_f64 v[114:115], -v[106:107], v[168:169], v[114:115]
.LBB108_80:
	s_or_b32 exec_lo, exec_lo, s0
	v_lshl_add_u32 v0, v125, 3, v122
	s_barrier
	buffer_gl0_inv
	v_mov_b32_e32 v116, 5
	ds_write_b64 v0, v[102:103]
	s_waitcnt lgkmcnt(0)
	s_barrier
	buffer_gl0_inv
	ds_read_b64 v[0:1], v122 offset:40
	s_cmp_lt_i32 s7, 7
	s_cbranch_scc1 .LBB108_83
; %bb.81:
	v_add3_u32 v117, v123, 0, 48
	v_mov_b32_e32 v116, 5
	s_mov_b32 s0, 6
.LBB108_82:                             ; =>This Inner Loop Header: Depth=1
	ds_read_b64 v[126:127], v117
	v_add_nc_u32_e32 v117, 8, v117
	s_waitcnt lgkmcnt(0)
	v_cmp_lt_f64_e64 vcc_lo, |v[0:1]|, |v[126:127]|
	v_cndmask_b32_e32 v1, v1, v127, vcc_lo
	v_cndmask_b32_e32 v0, v0, v126, vcc_lo
	v_cndmask_b32_e64 v116, v116, s0, vcc_lo
	s_add_i32 s0, s0, 1
	s_cmp_lg_u32 s7, s0
	s_cbranch_scc1 .LBB108_82
.LBB108_83:
	s_mov_b32 s0, exec_lo
	s_waitcnt lgkmcnt(0)
	v_cmpx_eq_f64_e32 0, v[0:1]
	s_xor_b32 s0, exec_lo, s0
; %bb.84:
	v_cmp_ne_u32_e32 vcc_lo, 0, v119
	v_cndmask_b32_e32 v119, 6, v119, vcc_lo
; %bb.85:
	s_andn2_saveexec_b32 s0, s0
	s_cbranch_execz .LBB108_87
; %bb.86:
	v_div_scale_f64 v[117:118], null, v[0:1], v[0:1], 1.0
	v_rcp_f64_e32 v[126:127], v[117:118]
	v_fma_f64 v[128:129], -v[117:118], v[126:127], 1.0
	v_fma_f64 v[126:127], v[126:127], v[128:129], v[126:127]
	v_fma_f64 v[128:129], -v[117:118], v[126:127], 1.0
	v_fma_f64 v[126:127], v[126:127], v[128:129], v[126:127]
	v_div_scale_f64 v[128:129], vcc_lo, 1.0, v[0:1], 1.0
	v_mul_f64 v[130:131], v[128:129], v[126:127]
	v_fma_f64 v[117:118], -v[117:118], v[130:131], v[128:129]
	v_div_fmas_f64 v[117:118], v[117:118], v[126:127], v[130:131]
	v_div_fixup_f64 v[0:1], v[117:118], v[0:1], 1.0
.LBB108_87:
	s_or_b32 exec_lo, exec_lo, s0
	s_mov_b32 s0, exec_lo
	v_cmpx_ne_u32_e64 v125, v116
	s_xor_b32 s0, exec_lo, s0
	s_cbranch_execz .LBB108_93
; %bb.88:
	s_mov_b32 s1, exec_lo
	v_cmpx_eq_u32_e32 5, v125
	s_cbranch_execz .LBB108_92
; %bb.89:
	v_cmp_ne_u32_e32 vcc_lo, 5, v116
	s_xor_b32 s2, s6, -1
	s_and_b32 s3, s2, vcc_lo
	s_and_saveexec_b32 s2, s3
	s_cbranch_execz .LBB108_91
; %bb.90:
	v_ashrrev_i32_e32 v117, 31, v116
	v_lshlrev_b64 v[117:118], 2, v[116:117]
	v_add_co_u32 v117, vcc_lo, v4, v117
	v_add_co_ci_u32_e64 v118, null, v5, v118, vcc_lo
	s_clause 0x1
	global_load_dword v124, v[117:118], off
	global_load_dword v125, v[4:5], off offset:20
	s_waitcnt vmcnt(1)
	global_store_dword v[4:5], v124, off offset:20
	s_waitcnt vmcnt(0)
	global_store_dword v[117:118], v125, off
.LBB108_91:
	s_or_b32 exec_lo, exec_lo, s2
	v_mov_b32_e32 v124, v116
	v_mov_b32_e32 v125, v116
.LBB108_92:
	s_or_b32 exec_lo, exec_lo, s1
.LBB108_93:
	s_andn2_saveexec_b32 s0, s0
	s_cbranch_execz .LBB108_95
; %bb.94:
	v_mov_b32_e32 v116, v100
	v_mov_b32_e32 v117, v101
	v_mov_b32_e32 v125, v98
	v_mov_b32_e32 v126, v99
	v_mov_b32_e32 v127, v96
	v_mov_b32_e32 v128, v97
	v_mov_b32_e32 v129, v94
	v_mov_b32_e32 v130, v95
	v_mov_b32_e32 v131, v92
	v_mov_b32_e32 v132, v93
	v_mov_b32_e32 v133, v88
	v_mov_b32_e32 v134, v89
	v_mov_b32_e32 v135, v90
	v_mov_b32_e32 v136, v91
	v_mov_b32_e32 v137, v84
	v_mov_b32_e32 v138, v85
	v_mov_b32_e32 v139, v86
	v_mov_b32_e32 v140, v87
	v_mov_b32_e32 v141, v82
	v_mov_b32_e32 v142, v83
	ds_write2_b64 v122, v[116:117], v[125:126] offset0:6 offset1:7
	ds_write2_b64 v122, v[127:128], v[129:130] offset0:8 offset1:9
	ds_write2_b64 v122, v[131:132], v[133:134] offset0:10 offset1:11
	ds_write2_b64 v122, v[135:136], v[137:138] offset0:12 offset1:13
	ds_write2_b64 v122, v[139:140], v[141:142] offset0:14 offset1:15
	v_mov_b32_e32 v116, v80
	v_mov_b32_e32 v117, v81
	v_mov_b32_e32 v125, v78
	v_mov_b32_e32 v126, v79
	v_mov_b32_e32 v127, v76
	v_mov_b32_e32 v128, v77
	v_mov_b32_e32 v129, v74
	v_mov_b32_e32 v130, v75
	v_mov_b32_e32 v131, v72
	v_mov_b32_e32 v132, v73
	v_mov_b32_e32 v133, v68
	v_mov_b32_e32 v134, v69
	v_mov_b32_e32 v135, v70
	v_mov_b32_e32 v136, v71
	v_mov_b32_e32 v137, v64
	v_mov_b32_e32 v138, v65
	v_mov_b32_e32 v139, v66
	v_mov_b32_e32 v140, v67
	v_mov_b32_e32 v141, v62
	v_mov_b32_e32 v142, v63
	ds_write2_b64 v122, v[116:117], v[125:126] offset0:16 offset1:17
	ds_write2_b64 v122, v[127:128], v[129:130] offset0:18 offset1:19
	ds_write2_b64 v122, v[131:132], v[133:134] offset0:20 offset1:21
	ds_write2_b64 v122, v[135:136], v[137:138] offset0:22 offset1:23
	ds_write2_b64 v122, v[139:140], v[141:142] offset0:24 offset1:25
	;; [unrolled: 25-line block ×4, first 2 shown]
	v_mov_b32_e32 v116, v20
	v_mov_b32_e32 v117, v21
	;; [unrolled: 1-line block ×8, first 2 shown]
	ds_write2_b64 v122, v[116:117], v[125:126] offset0:46 offset1:47
	v_mov_b32_e32 v125, 5
	v_mov_b32_e32 v131, v12
	;; [unrolled: 1-line block ×9, first 2 shown]
	ds_write2_b64 v122, v[127:128], v[129:130] offset0:48 offset1:49
	ds_write2_b64 v122, v[131:132], v[133:134] offset0:50 offset1:51
	ds_write2_b64 v122, v[135:136], v[137:138] offset0:52 offset1:53
	ds_write_b64 v122, v[114:115] offset:432
.LBB108_95:
	s_or_b32 exec_lo, exec_lo, s0
	s_mov_b32 s0, exec_lo
	s_waitcnt lgkmcnt(0)
	s_waitcnt_vscnt null, 0x0
	s_barrier
	buffer_gl0_inv
	v_cmpx_lt_i32_e32 5, v125
	s_cbranch_execz .LBB108_97
; %bb.96:
	v_mul_f64 v[102:103], v[0:1], v[102:103]
	ds_read2_b64 v[126:129], v122 offset0:6 offset1:7
	ds_read2_b64 v[130:133], v122 offset0:8 offset1:9
	;; [unrolled: 1-line block ×12, first 2 shown]
	ds_read_b64 v[0:1], v122 offset:432
	s_waitcnt lgkmcnt(12)
	v_fma_f64 v[100:101], -v[102:103], v[126:127], v[100:101]
	v_fma_f64 v[98:99], -v[102:103], v[128:129], v[98:99]
	s_waitcnt lgkmcnt(11)
	v_fma_f64 v[96:97], -v[102:103], v[130:131], v[96:97]
	v_fma_f64 v[94:95], -v[102:103], v[132:133], v[94:95]
	ds_read2_b64 v[126:129], v122 offset0:30 offset1:31
	ds_read2_b64 v[130:133], v122 offset0:32 offset1:33
	s_waitcnt lgkmcnt(12)
	v_fma_f64 v[92:93], -v[102:103], v[134:135], v[92:93]
	v_fma_f64 v[88:89], -v[102:103], v[136:137], v[88:89]
	s_waitcnt lgkmcnt(11)
	v_fma_f64 v[90:91], -v[102:103], v[138:139], v[90:91]
	v_fma_f64 v[84:85], -v[102:103], v[140:141], v[84:85]
	;; [unrolled: 3-line block ×7, first 2 shown]
	ds_read2_b64 v[134:137], v122 offset0:34 offset1:35
	ds_read2_b64 v[138:141], v122 offset0:36 offset1:37
	s_waitcnt lgkmcnt(7)
	v_fma_f64 v[66:67], -v[102:103], v[162:163], v[66:67]
	v_fma_f64 v[62:63], -v[102:103], v[164:165], v[62:63]
	ds_read2_b64 v[142:145], v122 offset0:38 offset1:39
	ds_read2_b64 v[146:149], v122 offset0:40 offset1:41
	;; [unrolled: 1-line block ×4, first 2 shown]
	s_waitcnt lgkmcnt(7)
	v_fma_f64 v[52:53], -v[102:103], v[126:127], v[52:53]
	ds_read2_b64 v[158:161], v122 offset0:46 offset1:47
	v_fma_f64 v[48:49], -v[102:103], v[128:129], v[48:49]
	ds_read2_b64 v[126:129], v122 offset0:48 offset1:49
	s_waitcnt lgkmcnt(8)
	v_fma_f64 v[50:51], -v[102:103], v[130:131], v[50:51]
	ds_read2_b64 v[162:165], v122 offset0:50 offset1:51
	v_fma_f64 v[44:45], -v[102:103], v[132:133], v[44:45]
	ds_read2_b64 v[130:133], v122 offset0:52 offset1:53
	v_fma_f64 v[60:61], -v[102:103], v[166:167], v[60:61]
	v_fma_f64 v[58:59], -v[102:103], v[168:169], v[58:59]
	;; [unrolled: 1-line block ×4, first 2 shown]
	s_waitcnt lgkmcnt(9)
	v_fma_f64 v[46:47], -v[102:103], v[134:135], v[46:47]
	v_fma_f64 v[42:43], -v[102:103], v[136:137], v[42:43]
	s_waitcnt lgkmcnt(8)
	v_fma_f64 v[40:41], -v[102:103], v[138:139], v[40:41]
	v_fma_f64 v[38:39], -v[102:103], v[140:141], v[38:39]
	;; [unrolled: 3-line block ×10, first 2 shown]
	v_fma_f64 v[114:115], -v[102:103], v[0:1], v[114:115]
.LBB108_97:
	s_or_b32 exec_lo, exec_lo, s0
	v_lshl_add_u32 v0, v125, 3, v122
	s_barrier
	buffer_gl0_inv
	v_mov_b32_e32 v116, 6
	ds_write_b64 v0, v[100:101]
	s_waitcnt lgkmcnt(0)
	s_barrier
	buffer_gl0_inv
	ds_read_b64 v[0:1], v122 offset:48
	s_cmp_lt_i32 s7, 8
	s_cbranch_scc1 .LBB108_100
; %bb.98:
	v_add3_u32 v117, v123, 0, 56
	v_mov_b32_e32 v116, 6
	s_mov_b32 s0, 7
.LBB108_99:                             ; =>This Inner Loop Header: Depth=1
	ds_read_b64 v[126:127], v117
	v_add_nc_u32_e32 v117, 8, v117
	s_waitcnt lgkmcnt(0)
	v_cmp_lt_f64_e64 vcc_lo, |v[0:1]|, |v[126:127]|
	v_cndmask_b32_e32 v1, v1, v127, vcc_lo
	v_cndmask_b32_e32 v0, v0, v126, vcc_lo
	v_cndmask_b32_e64 v116, v116, s0, vcc_lo
	s_add_i32 s0, s0, 1
	s_cmp_lg_u32 s7, s0
	s_cbranch_scc1 .LBB108_99
.LBB108_100:
	s_mov_b32 s0, exec_lo
	s_waitcnt lgkmcnt(0)
	v_cmpx_eq_f64_e32 0, v[0:1]
	s_xor_b32 s0, exec_lo, s0
; %bb.101:
	v_cmp_ne_u32_e32 vcc_lo, 0, v119
	v_cndmask_b32_e32 v119, 7, v119, vcc_lo
; %bb.102:
	s_andn2_saveexec_b32 s0, s0
	s_cbranch_execz .LBB108_104
; %bb.103:
	v_div_scale_f64 v[117:118], null, v[0:1], v[0:1], 1.0
	v_rcp_f64_e32 v[126:127], v[117:118]
	v_fma_f64 v[128:129], -v[117:118], v[126:127], 1.0
	v_fma_f64 v[126:127], v[126:127], v[128:129], v[126:127]
	v_fma_f64 v[128:129], -v[117:118], v[126:127], 1.0
	v_fma_f64 v[126:127], v[126:127], v[128:129], v[126:127]
	v_div_scale_f64 v[128:129], vcc_lo, 1.0, v[0:1], 1.0
	v_mul_f64 v[130:131], v[128:129], v[126:127]
	v_fma_f64 v[117:118], -v[117:118], v[130:131], v[128:129]
	v_div_fmas_f64 v[117:118], v[117:118], v[126:127], v[130:131]
	v_div_fixup_f64 v[0:1], v[117:118], v[0:1], 1.0
.LBB108_104:
	s_or_b32 exec_lo, exec_lo, s0
	s_mov_b32 s0, exec_lo
	v_cmpx_ne_u32_e64 v125, v116
	s_xor_b32 s0, exec_lo, s0
	s_cbranch_execz .LBB108_110
; %bb.105:
	s_mov_b32 s1, exec_lo
	v_cmpx_eq_u32_e32 6, v125
	s_cbranch_execz .LBB108_109
; %bb.106:
	v_cmp_ne_u32_e32 vcc_lo, 6, v116
	s_xor_b32 s2, s6, -1
	s_and_b32 s3, s2, vcc_lo
	s_and_saveexec_b32 s2, s3
	s_cbranch_execz .LBB108_108
; %bb.107:
	v_ashrrev_i32_e32 v117, 31, v116
	v_lshlrev_b64 v[117:118], 2, v[116:117]
	v_add_co_u32 v117, vcc_lo, v4, v117
	v_add_co_ci_u32_e64 v118, null, v5, v118, vcc_lo
	s_clause 0x1
	global_load_dword v124, v[117:118], off
	global_load_dword v125, v[4:5], off offset:24
	s_waitcnt vmcnt(1)
	global_store_dword v[4:5], v124, off offset:24
	s_waitcnt vmcnt(0)
	global_store_dword v[117:118], v125, off
.LBB108_108:
	s_or_b32 exec_lo, exec_lo, s2
	v_mov_b32_e32 v124, v116
	v_mov_b32_e32 v125, v116
.LBB108_109:
	s_or_b32 exec_lo, exec_lo, s1
.LBB108_110:
	s_andn2_saveexec_b32 s0, s0
	s_cbranch_execz .LBB108_112
; %bb.111:
	v_mov_b32_e32 v125, 6
	ds_write2_b64 v122, v[98:99], v[96:97] offset0:7 offset1:8
	ds_write2_b64 v122, v[94:95], v[92:93] offset0:9 offset1:10
	;; [unrolled: 1-line block ×24, first 2 shown]
.LBB108_112:
	s_or_b32 exec_lo, exec_lo, s0
	s_mov_b32 s0, exec_lo
	s_waitcnt lgkmcnt(0)
	s_waitcnt_vscnt null, 0x0
	s_barrier
	buffer_gl0_inv
	v_cmpx_lt_i32_e32 6, v125
	s_cbranch_execz .LBB108_114
; %bb.113:
	v_mul_f64 v[100:101], v[0:1], v[100:101]
	ds_read2_b64 v[126:129], v122 offset0:7 offset1:8
	ds_read2_b64 v[130:133], v122 offset0:9 offset1:10
	ds_read2_b64 v[134:137], v122 offset0:11 offset1:12
	ds_read2_b64 v[138:141], v122 offset0:13 offset1:14
	ds_read2_b64 v[142:145], v122 offset0:15 offset1:16
	ds_read2_b64 v[146:149], v122 offset0:17 offset1:18
	ds_read2_b64 v[150:153], v122 offset0:19 offset1:20
	ds_read2_b64 v[154:157], v122 offset0:21 offset1:22
	ds_read2_b64 v[158:161], v122 offset0:23 offset1:24
	ds_read2_b64 v[162:165], v122 offset0:25 offset1:26
	ds_read2_b64 v[166:169], v122 offset0:27 offset1:28
	ds_read2_b64 v[170:173], v122 offset0:29 offset1:30
	s_waitcnt lgkmcnt(11)
	v_fma_f64 v[98:99], -v[100:101], v[126:127], v[98:99]
	v_fma_f64 v[96:97], -v[100:101], v[128:129], v[96:97]
	ds_read2_b64 v[126:129], v122 offset0:31 offset1:32
	s_waitcnt lgkmcnt(11)
	v_fma_f64 v[94:95], -v[100:101], v[130:131], v[94:95]
	v_fma_f64 v[92:93], -v[100:101], v[132:133], v[92:93]
	s_waitcnt lgkmcnt(10)
	v_fma_f64 v[88:89], -v[100:101], v[134:135], v[88:89]
	v_fma_f64 v[90:91], -v[100:101], v[136:137], v[90:91]
	;; [unrolled: 3-line block ×7, first 2 shown]
	ds_read2_b64 v[130:133], v122 offset0:33 offset1:34
	s_waitcnt lgkmcnt(5)
	v_fma_f64 v[64:65], -v[100:101], v[158:159], v[64:65]
	v_fma_f64 v[66:67], -v[100:101], v[160:161], v[66:67]
	ds_read2_b64 v[134:137], v122 offset0:35 offset1:36
	ds_read2_b64 v[138:141], v122 offset0:37 offset1:38
	s_waitcnt lgkmcnt(6)
	v_fma_f64 v[62:63], -v[100:101], v[162:163], v[62:63]
	v_fma_f64 v[60:61], -v[100:101], v[164:165], v[60:61]
	ds_read2_b64 v[142:145], v122 offset0:39 offset1:40
	;; [unrolled: 5-line block ×3, first 2 shown]
	ds_read2_b64 v[154:157], v122 offset0:45 offset1:46
	ds_read2_b64 v[158:161], v122 offset0:47 offset1:48
	;; [unrolled: 1-line block ×3, first 2 shown]
	s_waitcnt lgkmcnt(9)
	v_fma_f64 v[48:49], -v[100:101], v[126:127], v[48:49]
	v_fma_f64 v[50:51], -v[100:101], v[128:129], v[50:51]
	ds_read2_b64 v[126:129], v122 offset0:51 offset1:52
	ds_read2_b64 v[166:169], v122 offset0:53 offset1:54
	v_fma_f64 v[54:55], -v[100:101], v[170:171], v[54:55]
	v_fma_f64 v[52:53], -v[100:101], v[172:173], v[52:53]
	s_waitcnt lgkmcnt(10)
	v_fma_f64 v[44:45], -v[100:101], v[130:131], v[44:45]
	v_fma_f64 v[46:47], -v[100:101], v[132:133], v[46:47]
	s_waitcnt lgkmcnt(9)
	;; [unrolled: 3-line block ×11, first 2 shown]
	v_fma_f64 v[6:7], -v[100:101], v[166:167], v[6:7]
	v_fma_f64 v[114:115], -v[100:101], v[168:169], v[114:115]
.LBB108_114:
	s_or_b32 exec_lo, exec_lo, s0
	v_lshl_add_u32 v0, v125, 3, v122
	s_barrier
	buffer_gl0_inv
	v_mov_b32_e32 v116, 7
	ds_write_b64 v0, v[98:99]
	s_waitcnt lgkmcnt(0)
	s_barrier
	buffer_gl0_inv
	ds_read_b64 v[0:1], v122 offset:56
	s_cmp_lt_i32 s7, 9
	s_cbranch_scc1 .LBB108_117
; %bb.115:
	v_add3_u32 v117, v123, 0, 64
	v_mov_b32_e32 v116, 7
	s_mov_b32 s0, 8
.LBB108_116:                            ; =>This Inner Loop Header: Depth=1
	ds_read_b64 v[126:127], v117
	v_add_nc_u32_e32 v117, 8, v117
	s_waitcnt lgkmcnt(0)
	v_cmp_lt_f64_e64 vcc_lo, |v[0:1]|, |v[126:127]|
	v_cndmask_b32_e32 v1, v1, v127, vcc_lo
	v_cndmask_b32_e32 v0, v0, v126, vcc_lo
	v_cndmask_b32_e64 v116, v116, s0, vcc_lo
	s_add_i32 s0, s0, 1
	s_cmp_lg_u32 s7, s0
	s_cbranch_scc1 .LBB108_116
.LBB108_117:
	s_mov_b32 s0, exec_lo
	s_waitcnt lgkmcnt(0)
	v_cmpx_eq_f64_e32 0, v[0:1]
	s_xor_b32 s0, exec_lo, s0
; %bb.118:
	v_cmp_ne_u32_e32 vcc_lo, 0, v119
	v_cndmask_b32_e32 v119, 8, v119, vcc_lo
; %bb.119:
	s_andn2_saveexec_b32 s0, s0
	s_cbranch_execz .LBB108_121
; %bb.120:
	v_div_scale_f64 v[117:118], null, v[0:1], v[0:1], 1.0
	v_rcp_f64_e32 v[126:127], v[117:118]
	v_fma_f64 v[128:129], -v[117:118], v[126:127], 1.0
	v_fma_f64 v[126:127], v[126:127], v[128:129], v[126:127]
	v_fma_f64 v[128:129], -v[117:118], v[126:127], 1.0
	v_fma_f64 v[126:127], v[126:127], v[128:129], v[126:127]
	v_div_scale_f64 v[128:129], vcc_lo, 1.0, v[0:1], 1.0
	v_mul_f64 v[130:131], v[128:129], v[126:127]
	v_fma_f64 v[117:118], -v[117:118], v[130:131], v[128:129]
	v_div_fmas_f64 v[117:118], v[117:118], v[126:127], v[130:131]
	v_div_fixup_f64 v[0:1], v[117:118], v[0:1], 1.0
.LBB108_121:
	s_or_b32 exec_lo, exec_lo, s0
	s_mov_b32 s0, exec_lo
	v_cmpx_ne_u32_e64 v125, v116
	s_xor_b32 s0, exec_lo, s0
	s_cbranch_execz .LBB108_127
; %bb.122:
	s_mov_b32 s1, exec_lo
	v_cmpx_eq_u32_e32 7, v125
	s_cbranch_execz .LBB108_126
; %bb.123:
	v_cmp_ne_u32_e32 vcc_lo, 7, v116
	s_xor_b32 s2, s6, -1
	s_and_b32 s3, s2, vcc_lo
	s_and_saveexec_b32 s2, s3
	s_cbranch_execz .LBB108_125
; %bb.124:
	v_ashrrev_i32_e32 v117, 31, v116
	v_lshlrev_b64 v[117:118], 2, v[116:117]
	v_add_co_u32 v117, vcc_lo, v4, v117
	v_add_co_ci_u32_e64 v118, null, v5, v118, vcc_lo
	s_clause 0x1
	global_load_dword v124, v[117:118], off
	global_load_dword v125, v[4:5], off offset:28
	s_waitcnt vmcnt(1)
	global_store_dword v[4:5], v124, off offset:28
	s_waitcnt vmcnt(0)
	global_store_dword v[117:118], v125, off
.LBB108_125:
	s_or_b32 exec_lo, exec_lo, s2
	v_mov_b32_e32 v124, v116
	v_mov_b32_e32 v125, v116
.LBB108_126:
	s_or_b32 exec_lo, exec_lo, s1
.LBB108_127:
	s_andn2_saveexec_b32 s0, s0
	s_cbranch_execz .LBB108_129
; %bb.128:
	v_mov_b32_e32 v116, v96
	v_mov_b32_e32 v117, v97
	;; [unrolled: 1-line block ×16, first 2 shown]
	ds_write2_b64 v122, v[116:117], v[125:126] offset0:8 offset1:9
	ds_write2_b64 v122, v[127:128], v[129:130] offset0:10 offset1:11
	ds_write2_b64 v122, v[131:132], v[133:134] offset0:12 offset1:13
	ds_write2_b64 v122, v[135:136], v[137:138] offset0:14 offset1:15
	v_mov_b32_e32 v116, v80
	v_mov_b32_e32 v117, v81
	v_mov_b32_e32 v125, v78
	v_mov_b32_e32 v126, v79
	v_mov_b32_e32 v127, v76
	v_mov_b32_e32 v128, v77
	v_mov_b32_e32 v129, v74
	v_mov_b32_e32 v130, v75
	v_mov_b32_e32 v131, v72
	v_mov_b32_e32 v132, v73
	v_mov_b32_e32 v133, v68
	v_mov_b32_e32 v134, v69
	v_mov_b32_e32 v135, v70
	v_mov_b32_e32 v136, v71
	v_mov_b32_e32 v137, v64
	v_mov_b32_e32 v138, v65
	v_mov_b32_e32 v139, v66
	v_mov_b32_e32 v140, v67
	v_mov_b32_e32 v141, v62
	v_mov_b32_e32 v142, v63
	ds_write2_b64 v122, v[116:117], v[125:126] offset0:16 offset1:17
	ds_write2_b64 v122, v[127:128], v[129:130] offset0:18 offset1:19
	ds_write2_b64 v122, v[131:132], v[133:134] offset0:20 offset1:21
	ds_write2_b64 v122, v[135:136], v[137:138] offset0:22 offset1:23
	ds_write2_b64 v122, v[139:140], v[141:142] offset0:24 offset1:25
	v_mov_b32_e32 v116, v60
	v_mov_b32_e32 v117, v61
	v_mov_b32_e32 v125, v58
	v_mov_b32_e32 v126, v59
	v_mov_b32_e32 v127, v56
	v_mov_b32_e32 v128, v57
	v_mov_b32_e32 v129, v54
	v_mov_b32_e32 v130, v55
	v_mov_b32_e32 v131, v52
	v_mov_b32_e32 v132, v53
	v_mov_b32_e32 v133, v48
	v_mov_b32_e32 v134, v49
	v_mov_b32_e32 v135, v50
	v_mov_b32_e32 v136, v51
	v_mov_b32_e32 v137, v44
	v_mov_b32_e32 v138, v45
	v_mov_b32_e32 v139, v46
	v_mov_b32_e32 v140, v47
	v_mov_b32_e32 v141, v42
	v_mov_b32_e32 v142, v43
	ds_write2_b64 v122, v[116:117], v[125:126] offset0:26 offset1:27
	;; [unrolled: 25-line block ×3, first 2 shown]
	ds_write2_b64 v122, v[127:128], v[129:130] offset0:38 offset1:39
	ds_write2_b64 v122, v[131:132], v[133:134] offset0:40 offset1:41
	;; [unrolled: 1-line block ×4, first 2 shown]
	v_mov_b32_e32 v116, v20
	v_mov_b32_e32 v117, v21
	;; [unrolled: 1-line block ×8, first 2 shown]
	ds_write2_b64 v122, v[116:117], v[125:126] offset0:46 offset1:47
	v_mov_b32_e32 v125, 7
	v_mov_b32_e32 v131, v12
	;; [unrolled: 1-line block ×9, first 2 shown]
	ds_write2_b64 v122, v[127:128], v[129:130] offset0:48 offset1:49
	ds_write2_b64 v122, v[131:132], v[133:134] offset0:50 offset1:51
	;; [unrolled: 1-line block ×3, first 2 shown]
	ds_write_b64 v122, v[114:115] offset:432
.LBB108_129:
	s_or_b32 exec_lo, exec_lo, s0
	s_mov_b32 s0, exec_lo
	s_waitcnt lgkmcnt(0)
	s_waitcnt_vscnt null, 0x0
	s_barrier
	buffer_gl0_inv
	v_cmpx_lt_i32_e32 7, v125
	s_cbranch_execz .LBB108_131
; %bb.130:
	v_mul_f64 v[98:99], v[0:1], v[98:99]
	ds_read2_b64 v[126:129], v122 offset0:8 offset1:9
	ds_read2_b64 v[130:133], v122 offset0:10 offset1:11
	;; [unrolled: 1-line block ×12, first 2 shown]
	ds_read_b64 v[0:1], v122 offset:432
	s_waitcnt lgkmcnt(12)
	v_fma_f64 v[96:97], -v[98:99], v[126:127], v[96:97]
	v_fma_f64 v[94:95], -v[98:99], v[128:129], v[94:95]
	ds_read2_b64 v[126:129], v122 offset0:32 offset1:33
	s_waitcnt lgkmcnt(12)
	v_fma_f64 v[92:93], -v[98:99], v[130:131], v[92:93]
	v_fma_f64 v[88:89], -v[98:99], v[132:133], v[88:89]
	s_waitcnt lgkmcnt(11)
	v_fma_f64 v[90:91], -v[98:99], v[134:135], v[90:91]
	v_fma_f64 v[84:85], -v[98:99], v[136:137], v[84:85]
	;; [unrolled: 3-line block ×7, first 2 shown]
	ds_read2_b64 v[130:133], v122 offset0:34 offset1:35
	s_waitcnt lgkmcnt(6)
	v_fma_f64 v[66:67], -v[98:99], v[158:159], v[66:67]
	v_fma_f64 v[62:63], -v[98:99], v[160:161], v[62:63]
	ds_read2_b64 v[134:137], v122 offset0:36 offset1:37
	ds_read2_b64 v[138:141], v122 offset0:38 offset1:39
	s_waitcnt lgkmcnt(7)
	v_fma_f64 v[60:61], -v[98:99], v[162:163], v[60:61]
	v_fma_f64 v[58:59], -v[98:99], v[164:165], v[58:59]
	ds_read2_b64 v[142:145], v122 offset0:40 offset1:41
	ds_read2_b64 v[146:149], v122 offset0:42 offset1:43
	;; [unrolled: 1-line block ×6, first 2 shown]
	s_waitcnt lgkmcnt(9)
	v_fma_f64 v[50:51], -v[98:99], v[126:127], v[50:51]
	v_fma_f64 v[44:45], -v[98:99], v[128:129], v[44:45]
	ds_read2_b64 v[126:129], v122 offset0:52 offset1:53
	v_fma_f64 v[56:57], -v[98:99], v[166:167], v[56:57]
	v_fma_f64 v[54:55], -v[98:99], v[168:169], v[54:55]
	;; [unrolled: 1-line block ×4, first 2 shown]
	s_waitcnt lgkmcnt(9)
	v_fma_f64 v[46:47], -v[98:99], v[130:131], v[46:47]
	v_fma_f64 v[42:43], -v[98:99], v[132:133], v[42:43]
	;; [unrolled: 1-line block ×3, first 2 shown]
	s_waitcnt lgkmcnt(8)
	v_fma_f64 v[40:41], -v[98:99], v[134:135], v[40:41]
	v_fma_f64 v[38:39], -v[98:99], v[136:137], v[38:39]
	s_waitcnt lgkmcnt(7)
	v_fma_f64 v[36:37], -v[98:99], v[138:139], v[36:37]
	v_fma_f64 v[34:35], -v[98:99], v[140:141], v[34:35]
	;; [unrolled: 3-line block ×9, first 2 shown]
.LBB108_131:
	s_or_b32 exec_lo, exec_lo, s0
	v_lshl_add_u32 v0, v125, 3, v122
	s_barrier
	buffer_gl0_inv
	v_mov_b32_e32 v116, 8
	ds_write_b64 v0, v[96:97]
	s_waitcnt lgkmcnt(0)
	s_barrier
	buffer_gl0_inv
	ds_read_b64 v[0:1], v122 offset:64
	s_cmp_lt_i32 s7, 10
	s_cbranch_scc1 .LBB108_134
; %bb.132:
	v_add3_u32 v117, v123, 0, 0x48
	v_mov_b32_e32 v116, 8
	s_mov_b32 s0, 9
.LBB108_133:                            ; =>This Inner Loop Header: Depth=1
	ds_read_b64 v[126:127], v117
	v_add_nc_u32_e32 v117, 8, v117
	s_waitcnt lgkmcnt(0)
	v_cmp_lt_f64_e64 vcc_lo, |v[0:1]|, |v[126:127]|
	v_cndmask_b32_e32 v1, v1, v127, vcc_lo
	v_cndmask_b32_e32 v0, v0, v126, vcc_lo
	v_cndmask_b32_e64 v116, v116, s0, vcc_lo
	s_add_i32 s0, s0, 1
	s_cmp_lg_u32 s7, s0
	s_cbranch_scc1 .LBB108_133
.LBB108_134:
	s_mov_b32 s0, exec_lo
	s_waitcnt lgkmcnt(0)
	v_cmpx_eq_f64_e32 0, v[0:1]
	s_xor_b32 s0, exec_lo, s0
; %bb.135:
	v_cmp_ne_u32_e32 vcc_lo, 0, v119
	v_cndmask_b32_e32 v119, 9, v119, vcc_lo
; %bb.136:
	s_andn2_saveexec_b32 s0, s0
	s_cbranch_execz .LBB108_138
; %bb.137:
	v_div_scale_f64 v[117:118], null, v[0:1], v[0:1], 1.0
	v_rcp_f64_e32 v[126:127], v[117:118]
	v_fma_f64 v[128:129], -v[117:118], v[126:127], 1.0
	v_fma_f64 v[126:127], v[126:127], v[128:129], v[126:127]
	v_fma_f64 v[128:129], -v[117:118], v[126:127], 1.0
	v_fma_f64 v[126:127], v[126:127], v[128:129], v[126:127]
	v_div_scale_f64 v[128:129], vcc_lo, 1.0, v[0:1], 1.0
	v_mul_f64 v[130:131], v[128:129], v[126:127]
	v_fma_f64 v[117:118], -v[117:118], v[130:131], v[128:129]
	v_div_fmas_f64 v[117:118], v[117:118], v[126:127], v[130:131]
	v_div_fixup_f64 v[0:1], v[117:118], v[0:1], 1.0
.LBB108_138:
	s_or_b32 exec_lo, exec_lo, s0
	s_mov_b32 s0, exec_lo
	v_cmpx_ne_u32_e64 v125, v116
	s_xor_b32 s0, exec_lo, s0
	s_cbranch_execz .LBB108_144
; %bb.139:
	s_mov_b32 s1, exec_lo
	v_cmpx_eq_u32_e32 8, v125
	s_cbranch_execz .LBB108_143
; %bb.140:
	v_cmp_ne_u32_e32 vcc_lo, 8, v116
	s_xor_b32 s2, s6, -1
	s_and_b32 s3, s2, vcc_lo
	s_and_saveexec_b32 s2, s3
	s_cbranch_execz .LBB108_142
; %bb.141:
	v_ashrrev_i32_e32 v117, 31, v116
	v_lshlrev_b64 v[117:118], 2, v[116:117]
	v_add_co_u32 v117, vcc_lo, v4, v117
	v_add_co_ci_u32_e64 v118, null, v5, v118, vcc_lo
	s_clause 0x1
	global_load_dword v124, v[117:118], off
	global_load_dword v125, v[4:5], off offset:32
	s_waitcnt vmcnt(1)
	global_store_dword v[4:5], v124, off offset:32
	s_waitcnt vmcnt(0)
	global_store_dword v[117:118], v125, off
.LBB108_142:
	s_or_b32 exec_lo, exec_lo, s2
	v_mov_b32_e32 v124, v116
	v_mov_b32_e32 v125, v116
.LBB108_143:
	s_or_b32 exec_lo, exec_lo, s1
.LBB108_144:
	s_andn2_saveexec_b32 s0, s0
	s_cbranch_execz .LBB108_146
; %bb.145:
	v_mov_b32_e32 v125, 8
	ds_write2_b64 v122, v[94:95], v[92:93] offset0:9 offset1:10
	ds_write2_b64 v122, v[88:89], v[90:91] offset0:11 offset1:12
	;; [unrolled: 1-line block ×23, first 2 shown]
.LBB108_146:
	s_or_b32 exec_lo, exec_lo, s0
	s_mov_b32 s0, exec_lo
	s_waitcnt lgkmcnt(0)
	s_waitcnt_vscnt null, 0x0
	s_barrier
	buffer_gl0_inv
	v_cmpx_lt_i32_e32 8, v125
	s_cbranch_execz .LBB108_148
; %bb.147:
	v_mul_f64 v[96:97], v[0:1], v[96:97]
	ds_read2_b64 v[126:129], v122 offset0:9 offset1:10
	ds_read2_b64 v[130:133], v122 offset0:11 offset1:12
	;; [unrolled: 1-line block ×11, first 2 shown]
	s_waitcnt lgkmcnt(10)
	v_fma_f64 v[94:95], -v[96:97], v[126:127], v[94:95]
	v_fma_f64 v[92:93], -v[96:97], v[128:129], v[92:93]
	ds_read2_b64 v[126:129], v122 offset0:31 offset1:32
	s_waitcnt lgkmcnt(10)
	v_fma_f64 v[88:89], -v[96:97], v[130:131], v[88:89]
	v_fma_f64 v[90:91], -v[96:97], v[132:133], v[90:91]
	s_waitcnt lgkmcnt(9)
	v_fma_f64 v[84:85], -v[96:97], v[134:135], v[84:85]
	v_fma_f64 v[86:87], -v[96:97], v[136:137], v[86:87]
	;; [unrolled: 3-line block ×6, first 2 shown]
	ds_read2_b64 v[130:133], v122 offset0:33 offset1:34
	s_waitcnt lgkmcnt(5)
	v_fma_f64 v[64:65], -v[96:97], v[154:155], v[64:65]
	v_fma_f64 v[66:67], -v[96:97], v[156:157], v[66:67]
	ds_read2_b64 v[134:137], v122 offset0:35 offset1:36
	ds_read2_b64 v[138:141], v122 offset0:37 offset1:38
	s_waitcnt lgkmcnt(6)
	v_fma_f64 v[62:63], -v[96:97], v[158:159], v[62:63]
	v_fma_f64 v[60:61], -v[96:97], v[160:161], v[60:61]
	ds_read2_b64 v[142:145], v122 offset0:39 offset1:40
	;; [unrolled: 5-line block ×5, first 2 shown]
	ds_read2_b64 v[166:169], v122 offset0:53 offset1:54
	s_waitcnt lgkmcnt(10)
	v_fma_f64 v[44:45], -v[96:97], v[130:131], v[44:45]
	v_fma_f64 v[46:47], -v[96:97], v[132:133], v[46:47]
	s_waitcnt lgkmcnt(9)
	v_fma_f64 v[42:43], -v[96:97], v[134:135], v[42:43]
	v_fma_f64 v[40:41], -v[96:97], v[136:137], v[40:41]
	;; [unrolled: 3-line block ×11, first 2 shown]
.LBB108_148:
	s_or_b32 exec_lo, exec_lo, s0
	v_lshl_add_u32 v0, v125, 3, v122
	s_barrier
	buffer_gl0_inv
	v_mov_b32_e32 v116, 9
	ds_write_b64 v0, v[94:95]
	s_waitcnt lgkmcnt(0)
	s_barrier
	buffer_gl0_inv
	ds_read_b64 v[0:1], v122 offset:72
	s_cmp_lt_i32 s7, 11
	s_cbranch_scc1 .LBB108_151
; %bb.149:
	v_add3_u32 v117, v123, 0, 0x50
	v_mov_b32_e32 v116, 9
	s_mov_b32 s0, 10
.LBB108_150:                            ; =>This Inner Loop Header: Depth=1
	ds_read_b64 v[126:127], v117
	v_add_nc_u32_e32 v117, 8, v117
	s_waitcnt lgkmcnt(0)
	v_cmp_lt_f64_e64 vcc_lo, |v[0:1]|, |v[126:127]|
	v_cndmask_b32_e32 v1, v1, v127, vcc_lo
	v_cndmask_b32_e32 v0, v0, v126, vcc_lo
	v_cndmask_b32_e64 v116, v116, s0, vcc_lo
	s_add_i32 s0, s0, 1
	s_cmp_lg_u32 s7, s0
	s_cbranch_scc1 .LBB108_150
.LBB108_151:
	s_mov_b32 s0, exec_lo
	s_waitcnt lgkmcnt(0)
	v_cmpx_eq_f64_e32 0, v[0:1]
	s_xor_b32 s0, exec_lo, s0
; %bb.152:
	v_cmp_ne_u32_e32 vcc_lo, 0, v119
	v_cndmask_b32_e32 v119, 10, v119, vcc_lo
; %bb.153:
	s_andn2_saveexec_b32 s0, s0
	s_cbranch_execz .LBB108_155
; %bb.154:
	v_div_scale_f64 v[117:118], null, v[0:1], v[0:1], 1.0
	v_rcp_f64_e32 v[126:127], v[117:118]
	v_fma_f64 v[128:129], -v[117:118], v[126:127], 1.0
	v_fma_f64 v[126:127], v[126:127], v[128:129], v[126:127]
	v_fma_f64 v[128:129], -v[117:118], v[126:127], 1.0
	v_fma_f64 v[126:127], v[126:127], v[128:129], v[126:127]
	v_div_scale_f64 v[128:129], vcc_lo, 1.0, v[0:1], 1.0
	v_mul_f64 v[130:131], v[128:129], v[126:127]
	v_fma_f64 v[117:118], -v[117:118], v[130:131], v[128:129]
	v_div_fmas_f64 v[117:118], v[117:118], v[126:127], v[130:131]
	v_div_fixup_f64 v[0:1], v[117:118], v[0:1], 1.0
.LBB108_155:
	s_or_b32 exec_lo, exec_lo, s0
	s_mov_b32 s0, exec_lo
	v_cmpx_ne_u32_e64 v125, v116
	s_xor_b32 s0, exec_lo, s0
	s_cbranch_execz .LBB108_161
; %bb.156:
	s_mov_b32 s1, exec_lo
	v_cmpx_eq_u32_e32 9, v125
	s_cbranch_execz .LBB108_160
; %bb.157:
	v_cmp_ne_u32_e32 vcc_lo, 9, v116
	s_xor_b32 s2, s6, -1
	s_and_b32 s3, s2, vcc_lo
	s_and_saveexec_b32 s2, s3
	s_cbranch_execz .LBB108_159
; %bb.158:
	v_ashrrev_i32_e32 v117, 31, v116
	v_lshlrev_b64 v[117:118], 2, v[116:117]
	v_add_co_u32 v117, vcc_lo, v4, v117
	v_add_co_ci_u32_e64 v118, null, v5, v118, vcc_lo
	s_clause 0x1
	global_load_dword v124, v[117:118], off
	global_load_dword v125, v[4:5], off offset:36
	s_waitcnt vmcnt(1)
	global_store_dword v[4:5], v124, off offset:36
	s_waitcnt vmcnt(0)
	global_store_dword v[117:118], v125, off
.LBB108_159:
	s_or_b32 exec_lo, exec_lo, s2
	v_mov_b32_e32 v124, v116
	v_mov_b32_e32 v125, v116
.LBB108_160:
	s_or_b32 exec_lo, exec_lo, s1
.LBB108_161:
	s_andn2_saveexec_b32 s0, s0
	s_cbranch_execz .LBB108_163
; %bb.162:
	v_mov_b32_e32 v116, v92
	v_mov_b32_e32 v117, v93
	;; [unrolled: 1-line block ×12, first 2 shown]
	ds_write2_b64 v122, v[116:117], v[125:126] offset0:10 offset1:11
	ds_write2_b64 v122, v[127:128], v[129:130] offset0:12 offset1:13
	ds_write2_b64 v122, v[131:132], v[133:134] offset0:14 offset1:15
	v_mov_b32_e32 v116, v80
	v_mov_b32_e32 v117, v81
	v_mov_b32_e32 v125, v78
	v_mov_b32_e32 v126, v79
	v_mov_b32_e32 v127, v76
	v_mov_b32_e32 v128, v77
	v_mov_b32_e32 v129, v74
	v_mov_b32_e32 v130, v75
	v_mov_b32_e32 v131, v72
	v_mov_b32_e32 v132, v73
	v_mov_b32_e32 v133, v68
	v_mov_b32_e32 v134, v69
	v_mov_b32_e32 v135, v70
	v_mov_b32_e32 v136, v71
	v_mov_b32_e32 v137, v64
	v_mov_b32_e32 v138, v65
	v_mov_b32_e32 v139, v66
	v_mov_b32_e32 v140, v67
	v_mov_b32_e32 v141, v62
	v_mov_b32_e32 v142, v63
	ds_write2_b64 v122, v[116:117], v[125:126] offset0:16 offset1:17
	ds_write2_b64 v122, v[127:128], v[129:130] offset0:18 offset1:19
	ds_write2_b64 v122, v[131:132], v[133:134] offset0:20 offset1:21
	ds_write2_b64 v122, v[135:136], v[137:138] offset0:22 offset1:23
	ds_write2_b64 v122, v[139:140], v[141:142] offset0:24 offset1:25
	v_mov_b32_e32 v116, v60
	v_mov_b32_e32 v117, v61
	v_mov_b32_e32 v125, v58
	v_mov_b32_e32 v126, v59
	v_mov_b32_e32 v127, v56
	v_mov_b32_e32 v128, v57
	v_mov_b32_e32 v129, v54
	v_mov_b32_e32 v130, v55
	v_mov_b32_e32 v131, v52
	v_mov_b32_e32 v132, v53
	v_mov_b32_e32 v133, v48
	v_mov_b32_e32 v134, v49
	v_mov_b32_e32 v135, v50
	v_mov_b32_e32 v136, v51
	v_mov_b32_e32 v137, v44
	v_mov_b32_e32 v138, v45
	v_mov_b32_e32 v139, v46
	v_mov_b32_e32 v140, v47
	v_mov_b32_e32 v141, v42
	v_mov_b32_e32 v142, v43
	ds_write2_b64 v122, v[116:117], v[125:126] offset0:26 offset1:27
	ds_write2_b64 v122, v[127:128], v[129:130] offset0:28 offset1:29
	ds_write2_b64 v122, v[131:132], v[133:134] offset0:30 offset1:31
	ds_write2_b64 v122, v[135:136], v[137:138] offset0:32 offset1:33
	ds_write2_b64 v122, v[139:140], v[141:142] offset0:34 offset1:35
	v_mov_b32_e32 v116, v40
	v_mov_b32_e32 v117, v41
	v_mov_b32_e32 v125, v38
	v_mov_b32_e32 v126, v39
	v_mov_b32_e32 v127, v36
	v_mov_b32_e32 v128, v37
	v_mov_b32_e32 v129, v34
	v_mov_b32_e32 v130, v35
	v_mov_b32_e32 v131, v32
	v_mov_b32_e32 v132, v33
	v_mov_b32_e32 v133, v28
	v_mov_b32_e32 v134, v29
	v_mov_b32_e32 v135, v30
	v_mov_b32_e32 v136, v31
	v_mov_b32_e32 v137, v24
	v_mov_b32_e32 v138, v25
	v_mov_b32_e32 v139, v26
	v_mov_b32_e32 v140, v27
	v_mov_b32_e32 v141, v22
	v_mov_b32_e32 v142, v23
	ds_write2_b64 v122, v[116:117], v[125:126] offset0:36 offset1:37
	ds_write2_b64 v122, v[127:128], v[129:130] offset0:38 offset1:39
	ds_write2_b64 v122, v[131:132], v[133:134] offset0:40 offset1:41
	ds_write2_b64 v122, v[135:136], v[137:138] offset0:42 offset1:43
	ds_write2_b64 v122, v[139:140], v[141:142] offset0:44 offset1:45
	v_mov_b32_e32 v116, v20
	v_mov_b32_e32 v117, v21
	v_mov_b32_e32 v125, v18
	v_mov_b32_e32 v126, v19
	v_mov_b32_e32 v127, v16
	v_mov_b32_e32 v128, v17
	v_mov_b32_e32 v129, v14
	v_mov_b32_e32 v130, v15
	ds_write2_b64 v122, v[116:117], v[125:126] offset0:46 offset1:47
	v_mov_b32_e32 v125, 9
	v_mov_b32_e32 v131, v12
	;; [unrolled: 1-line block ×9, first 2 shown]
	ds_write2_b64 v122, v[127:128], v[129:130] offset0:48 offset1:49
	ds_write2_b64 v122, v[131:132], v[133:134] offset0:50 offset1:51
	;; [unrolled: 1-line block ×3, first 2 shown]
	ds_write_b64 v122, v[114:115] offset:432
.LBB108_163:
	s_or_b32 exec_lo, exec_lo, s0
	s_mov_b32 s0, exec_lo
	s_waitcnt lgkmcnt(0)
	s_waitcnt_vscnt null, 0x0
	s_barrier
	buffer_gl0_inv
	v_cmpx_lt_i32_e32 9, v125
	s_cbranch_execz .LBB108_165
; %bb.164:
	v_mul_f64 v[94:95], v[0:1], v[94:95]
	ds_read2_b64 v[126:129], v122 offset0:10 offset1:11
	ds_read2_b64 v[130:133], v122 offset0:12 offset1:13
	;; [unrolled: 1-line block ×11, first 2 shown]
	ds_read_b64 v[0:1], v122 offset:432
	s_waitcnt lgkmcnt(11)
	v_fma_f64 v[92:93], -v[94:95], v[126:127], v[92:93]
	v_fma_f64 v[88:89], -v[94:95], v[128:129], v[88:89]
	ds_read2_b64 v[126:129], v122 offset0:32 offset1:33
	s_waitcnt lgkmcnt(11)
	v_fma_f64 v[90:91], -v[94:95], v[130:131], v[90:91]
	v_fma_f64 v[84:85], -v[94:95], v[132:133], v[84:85]
	s_waitcnt lgkmcnt(10)
	v_fma_f64 v[86:87], -v[94:95], v[134:135], v[86:87]
	v_fma_f64 v[82:83], -v[94:95], v[136:137], v[82:83]
	;; [unrolled: 3-line block ×6, first 2 shown]
	ds_read2_b64 v[130:133], v122 offset0:34 offset1:35
	s_waitcnt lgkmcnt(6)
	v_fma_f64 v[66:67], -v[94:95], v[154:155], v[66:67]
	v_fma_f64 v[62:63], -v[94:95], v[156:157], v[62:63]
	ds_read2_b64 v[134:137], v122 offset0:36 offset1:37
	ds_read2_b64 v[138:141], v122 offset0:38 offset1:39
	s_waitcnt lgkmcnt(7)
	v_fma_f64 v[60:61], -v[94:95], v[158:159], v[60:61]
	v_fma_f64 v[58:59], -v[94:95], v[160:161], v[58:59]
	ds_read2_b64 v[142:145], v122 offset0:40 offset1:41
	;; [unrolled: 5-line block ×3, first 2 shown]
	ds_read2_b64 v[154:157], v122 offset0:46 offset1:47
	ds_read2_b64 v[158:161], v122 offset0:48 offset1:49
	;; [unrolled: 1-line block ×3, first 2 shown]
	s_waitcnt lgkmcnt(9)
	v_fma_f64 v[50:51], -v[94:95], v[126:127], v[50:51]
	v_fma_f64 v[44:45], -v[94:95], v[128:129], v[44:45]
	ds_read2_b64 v[126:129], v122 offset0:52 offset1:53
	v_fma_f64 v[52:53], -v[94:95], v[166:167], v[52:53]
	v_fma_f64 v[48:49], -v[94:95], v[168:169], v[48:49]
	s_waitcnt lgkmcnt(9)
	v_fma_f64 v[46:47], -v[94:95], v[130:131], v[46:47]
	v_fma_f64 v[42:43], -v[94:95], v[132:133], v[42:43]
	;; [unrolled: 1-line block ×3, first 2 shown]
	s_waitcnt lgkmcnt(8)
	v_fma_f64 v[40:41], -v[94:95], v[134:135], v[40:41]
	v_fma_f64 v[38:39], -v[94:95], v[136:137], v[38:39]
	s_waitcnt lgkmcnt(7)
	v_fma_f64 v[36:37], -v[94:95], v[138:139], v[36:37]
	v_fma_f64 v[34:35], -v[94:95], v[140:141], v[34:35]
	;; [unrolled: 3-line block ×9, first 2 shown]
.LBB108_165:
	s_or_b32 exec_lo, exec_lo, s0
	v_lshl_add_u32 v0, v125, 3, v122
	s_barrier
	buffer_gl0_inv
	v_mov_b32_e32 v116, 10
	ds_write_b64 v0, v[92:93]
	s_waitcnt lgkmcnt(0)
	s_barrier
	buffer_gl0_inv
	ds_read_b64 v[0:1], v122 offset:80
	s_cmp_lt_i32 s7, 12
	s_cbranch_scc1 .LBB108_168
; %bb.166:
	v_add3_u32 v117, v123, 0, 0x58
	v_mov_b32_e32 v116, 10
	s_mov_b32 s0, 11
.LBB108_167:                            ; =>This Inner Loop Header: Depth=1
	ds_read_b64 v[126:127], v117
	v_add_nc_u32_e32 v117, 8, v117
	s_waitcnt lgkmcnt(0)
	v_cmp_lt_f64_e64 vcc_lo, |v[0:1]|, |v[126:127]|
	v_cndmask_b32_e32 v1, v1, v127, vcc_lo
	v_cndmask_b32_e32 v0, v0, v126, vcc_lo
	v_cndmask_b32_e64 v116, v116, s0, vcc_lo
	s_add_i32 s0, s0, 1
	s_cmp_lg_u32 s7, s0
	s_cbranch_scc1 .LBB108_167
.LBB108_168:
	s_mov_b32 s0, exec_lo
	s_waitcnt lgkmcnt(0)
	v_cmpx_eq_f64_e32 0, v[0:1]
	s_xor_b32 s0, exec_lo, s0
; %bb.169:
	v_cmp_ne_u32_e32 vcc_lo, 0, v119
	v_cndmask_b32_e32 v119, 11, v119, vcc_lo
; %bb.170:
	s_andn2_saveexec_b32 s0, s0
	s_cbranch_execz .LBB108_172
; %bb.171:
	v_div_scale_f64 v[117:118], null, v[0:1], v[0:1], 1.0
	v_rcp_f64_e32 v[126:127], v[117:118]
	v_fma_f64 v[128:129], -v[117:118], v[126:127], 1.0
	v_fma_f64 v[126:127], v[126:127], v[128:129], v[126:127]
	v_fma_f64 v[128:129], -v[117:118], v[126:127], 1.0
	v_fma_f64 v[126:127], v[126:127], v[128:129], v[126:127]
	v_div_scale_f64 v[128:129], vcc_lo, 1.0, v[0:1], 1.0
	v_mul_f64 v[130:131], v[128:129], v[126:127]
	v_fma_f64 v[117:118], -v[117:118], v[130:131], v[128:129]
	v_div_fmas_f64 v[117:118], v[117:118], v[126:127], v[130:131]
	v_div_fixup_f64 v[0:1], v[117:118], v[0:1], 1.0
.LBB108_172:
	s_or_b32 exec_lo, exec_lo, s0
	s_mov_b32 s0, exec_lo
	v_cmpx_ne_u32_e64 v125, v116
	s_xor_b32 s0, exec_lo, s0
	s_cbranch_execz .LBB108_178
; %bb.173:
	s_mov_b32 s1, exec_lo
	v_cmpx_eq_u32_e32 10, v125
	s_cbranch_execz .LBB108_177
; %bb.174:
	v_cmp_ne_u32_e32 vcc_lo, 10, v116
	s_xor_b32 s2, s6, -1
	s_and_b32 s3, s2, vcc_lo
	s_and_saveexec_b32 s2, s3
	s_cbranch_execz .LBB108_176
; %bb.175:
	v_ashrrev_i32_e32 v117, 31, v116
	v_lshlrev_b64 v[117:118], 2, v[116:117]
	v_add_co_u32 v117, vcc_lo, v4, v117
	v_add_co_ci_u32_e64 v118, null, v5, v118, vcc_lo
	s_clause 0x1
	global_load_dword v124, v[117:118], off
	global_load_dword v125, v[4:5], off offset:40
	s_waitcnt vmcnt(1)
	global_store_dword v[4:5], v124, off offset:40
	s_waitcnt vmcnt(0)
	global_store_dword v[117:118], v125, off
.LBB108_176:
	s_or_b32 exec_lo, exec_lo, s2
	v_mov_b32_e32 v124, v116
	v_mov_b32_e32 v125, v116
.LBB108_177:
	s_or_b32 exec_lo, exec_lo, s1
.LBB108_178:
	s_andn2_saveexec_b32 s0, s0
	s_cbranch_execz .LBB108_180
; %bb.179:
	v_mov_b32_e32 v125, 10
	ds_write2_b64 v122, v[88:89], v[90:91] offset0:11 offset1:12
	ds_write2_b64 v122, v[84:85], v[86:87] offset0:13 offset1:14
	;; [unrolled: 1-line block ×22, first 2 shown]
.LBB108_180:
	s_or_b32 exec_lo, exec_lo, s0
	s_mov_b32 s0, exec_lo
	s_waitcnt lgkmcnt(0)
	s_waitcnt_vscnt null, 0x0
	s_barrier
	buffer_gl0_inv
	v_cmpx_lt_i32_e32 10, v125
	s_cbranch_execz .LBB108_182
; %bb.181:
	v_mul_f64 v[92:93], v[0:1], v[92:93]
	ds_read2_b64 v[126:129], v122 offset0:11 offset1:12
	ds_read2_b64 v[130:133], v122 offset0:13 offset1:14
	;; [unrolled: 1-line block ×11, first 2 shown]
	s_waitcnt lgkmcnt(10)
	v_fma_f64 v[88:89], -v[92:93], v[126:127], v[88:89]
	v_fma_f64 v[90:91], -v[92:93], v[128:129], v[90:91]
	s_waitcnt lgkmcnt(9)
	v_fma_f64 v[84:85], -v[92:93], v[130:131], v[84:85]
	v_fma_f64 v[86:87], -v[92:93], v[132:133], v[86:87]
	;; [unrolled: 3-line block ×6, first 2 shown]
	ds_read2_b64 v[126:129], v122 offset0:33 offset1:34
	ds_read2_b64 v[130:133], v122 offset0:35 offset1:36
	s_waitcnt lgkmcnt(6)
	v_fma_f64 v[64:65], -v[92:93], v[150:151], v[64:65]
	v_fma_f64 v[66:67], -v[92:93], v[152:153], v[66:67]
	s_waitcnt lgkmcnt(5)
	v_fma_f64 v[62:63], -v[92:93], v[154:155], v[62:63]
	ds_read2_b64 v[134:137], v122 offset0:37 offset1:38
	ds_read2_b64 v[138:141], v122 offset0:39 offset1:40
	v_fma_f64 v[60:61], -v[92:93], v[156:157], v[60:61]
	s_waitcnt lgkmcnt(6)
	v_fma_f64 v[58:59], -v[92:93], v[158:159], v[58:59]
	ds_read2_b64 v[142:145], v122 offset0:41 offset1:42
	ds_read2_b64 v[146:149], v122 offset0:43 offset1:44
	;; [unrolled: 5-line block ×4, first 2 shown]
	v_fma_f64 v[50:51], -v[92:93], v[168:169], v[50:51]
	ds_read2_b64 v[166:169], v122 offset0:53 offset1:54
	s_waitcnt lgkmcnt(10)
	v_fma_f64 v[44:45], -v[92:93], v[126:127], v[44:45]
	v_fma_f64 v[46:47], -v[92:93], v[128:129], v[46:47]
	s_waitcnt lgkmcnt(9)
	v_fma_f64 v[42:43], -v[92:93], v[130:131], v[42:43]
	v_fma_f64 v[40:41], -v[92:93], v[132:133], v[40:41]
	;; [unrolled: 3-line block ×11, first 2 shown]
.LBB108_182:
	s_or_b32 exec_lo, exec_lo, s0
	v_lshl_add_u32 v0, v125, 3, v122
	s_barrier
	buffer_gl0_inv
	v_mov_b32_e32 v116, 11
	ds_write_b64 v0, v[88:89]
	s_waitcnt lgkmcnt(0)
	s_barrier
	buffer_gl0_inv
	ds_read_b64 v[0:1], v122 offset:88
	s_cmp_lt_i32 s7, 13
	s_cbranch_scc1 .LBB108_185
; %bb.183:
	v_add3_u32 v117, v123, 0, 0x60
	v_mov_b32_e32 v116, 11
	s_mov_b32 s0, 12
.LBB108_184:                            ; =>This Inner Loop Header: Depth=1
	ds_read_b64 v[126:127], v117
	v_add_nc_u32_e32 v117, 8, v117
	s_waitcnt lgkmcnt(0)
	v_cmp_lt_f64_e64 vcc_lo, |v[0:1]|, |v[126:127]|
	v_cndmask_b32_e32 v1, v1, v127, vcc_lo
	v_cndmask_b32_e32 v0, v0, v126, vcc_lo
	v_cndmask_b32_e64 v116, v116, s0, vcc_lo
	s_add_i32 s0, s0, 1
	s_cmp_lg_u32 s7, s0
	s_cbranch_scc1 .LBB108_184
.LBB108_185:
	s_mov_b32 s0, exec_lo
	s_waitcnt lgkmcnt(0)
	v_cmpx_eq_f64_e32 0, v[0:1]
	s_xor_b32 s0, exec_lo, s0
; %bb.186:
	v_cmp_ne_u32_e32 vcc_lo, 0, v119
	v_cndmask_b32_e32 v119, 12, v119, vcc_lo
; %bb.187:
	s_andn2_saveexec_b32 s0, s0
	s_cbranch_execz .LBB108_189
; %bb.188:
	v_div_scale_f64 v[117:118], null, v[0:1], v[0:1], 1.0
	v_rcp_f64_e32 v[126:127], v[117:118]
	v_fma_f64 v[128:129], -v[117:118], v[126:127], 1.0
	v_fma_f64 v[126:127], v[126:127], v[128:129], v[126:127]
	v_fma_f64 v[128:129], -v[117:118], v[126:127], 1.0
	v_fma_f64 v[126:127], v[126:127], v[128:129], v[126:127]
	v_div_scale_f64 v[128:129], vcc_lo, 1.0, v[0:1], 1.0
	v_mul_f64 v[130:131], v[128:129], v[126:127]
	v_fma_f64 v[117:118], -v[117:118], v[130:131], v[128:129]
	v_div_fmas_f64 v[117:118], v[117:118], v[126:127], v[130:131]
	v_div_fixup_f64 v[0:1], v[117:118], v[0:1], 1.0
.LBB108_189:
	s_or_b32 exec_lo, exec_lo, s0
	s_mov_b32 s0, exec_lo
	v_cmpx_ne_u32_e64 v125, v116
	s_xor_b32 s0, exec_lo, s0
	s_cbranch_execz .LBB108_195
; %bb.190:
	s_mov_b32 s1, exec_lo
	v_cmpx_eq_u32_e32 11, v125
	s_cbranch_execz .LBB108_194
; %bb.191:
	v_cmp_ne_u32_e32 vcc_lo, 11, v116
	s_xor_b32 s2, s6, -1
	s_and_b32 s3, s2, vcc_lo
	s_and_saveexec_b32 s2, s3
	s_cbranch_execz .LBB108_193
; %bb.192:
	v_ashrrev_i32_e32 v117, 31, v116
	v_lshlrev_b64 v[117:118], 2, v[116:117]
	v_add_co_u32 v117, vcc_lo, v4, v117
	v_add_co_ci_u32_e64 v118, null, v5, v118, vcc_lo
	s_clause 0x1
	global_load_dword v124, v[117:118], off
	global_load_dword v125, v[4:5], off offset:44
	s_waitcnt vmcnt(1)
	global_store_dword v[4:5], v124, off offset:44
	s_waitcnt vmcnt(0)
	global_store_dword v[117:118], v125, off
.LBB108_193:
	s_or_b32 exec_lo, exec_lo, s2
	v_mov_b32_e32 v124, v116
	v_mov_b32_e32 v125, v116
.LBB108_194:
	s_or_b32 exec_lo, exec_lo, s1
.LBB108_195:
	s_andn2_saveexec_b32 s0, s0
	s_cbranch_execz .LBB108_197
; %bb.196:
	v_mov_b32_e32 v116, v90
	v_mov_b32_e32 v117, v91
	v_mov_b32_e32 v125, v84
	v_mov_b32_e32 v126, v85
	v_mov_b32_e32 v127, v86
	v_mov_b32_e32 v128, v87
	v_mov_b32_e32 v129, v82
	v_mov_b32_e32 v130, v83
	ds_write2_b64 v122, v[116:117], v[125:126] offset0:12 offset1:13
	ds_write2_b64 v122, v[127:128], v[129:130] offset0:14 offset1:15
	v_mov_b32_e32 v116, v80
	v_mov_b32_e32 v117, v81
	v_mov_b32_e32 v125, v78
	v_mov_b32_e32 v126, v79
	v_mov_b32_e32 v127, v76
	v_mov_b32_e32 v128, v77
	v_mov_b32_e32 v129, v74
	v_mov_b32_e32 v130, v75
	v_mov_b32_e32 v131, v72
	v_mov_b32_e32 v132, v73
	v_mov_b32_e32 v133, v68
	v_mov_b32_e32 v134, v69
	v_mov_b32_e32 v135, v70
	v_mov_b32_e32 v136, v71
	v_mov_b32_e32 v137, v64
	v_mov_b32_e32 v138, v65
	v_mov_b32_e32 v139, v66
	v_mov_b32_e32 v140, v67
	v_mov_b32_e32 v141, v62
	v_mov_b32_e32 v142, v63
	ds_write2_b64 v122, v[116:117], v[125:126] offset0:16 offset1:17
	ds_write2_b64 v122, v[127:128], v[129:130] offset0:18 offset1:19
	ds_write2_b64 v122, v[131:132], v[133:134] offset0:20 offset1:21
	ds_write2_b64 v122, v[135:136], v[137:138] offset0:22 offset1:23
	ds_write2_b64 v122, v[139:140], v[141:142] offset0:24 offset1:25
	v_mov_b32_e32 v116, v60
	v_mov_b32_e32 v117, v61
	v_mov_b32_e32 v125, v58
	v_mov_b32_e32 v126, v59
	v_mov_b32_e32 v127, v56
	v_mov_b32_e32 v128, v57
	v_mov_b32_e32 v129, v54
	v_mov_b32_e32 v130, v55
	v_mov_b32_e32 v131, v52
	v_mov_b32_e32 v132, v53
	v_mov_b32_e32 v133, v48
	v_mov_b32_e32 v134, v49
	v_mov_b32_e32 v135, v50
	v_mov_b32_e32 v136, v51
	v_mov_b32_e32 v137, v44
	v_mov_b32_e32 v138, v45
	v_mov_b32_e32 v139, v46
	v_mov_b32_e32 v140, v47
	v_mov_b32_e32 v141, v42
	v_mov_b32_e32 v142, v43
	ds_write2_b64 v122, v[116:117], v[125:126] offset0:26 offset1:27
	ds_write2_b64 v122, v[127:128], v[129:130] offset0:28 offset1:29
	ds_write2_b64 v122, v[131:132], v[133:134] offset0:30 offset1:31
	;; [unrolled: 25-line block ×3, first 2 shown]
	ds_write2_b64 v122, v[135:136], v[137:138] offset0:42 offset1:43
	ds_write2_b64 v122, v[139:140], v[141:142] offset0:44 offset1:45
	v_mov_b32_e32 v116, v20
	v_mov_b32_e32 v117, v21
	;; [unrolled: 1-line block ×8, first 2 shown]
	ds_write2_b64 v122, v[116:117], v[125:126] offset0:46 offset1:47
	v_mov_b32_e32 v125, 11
	v_mov_b32_e32 v131, v12
	;; [unrolled: 1-line block ×9, first 2 shown]
	ds_write2_b64 v122, v[127:128], v[129:130] offset0:48 offset1:49
	ds_write2_b64 v122, v[131:132], v[133:134] offset0:50 offset1:51
	;; [unrolled: 1-line block ×3, first 2 shown]
	ds_write_b64 v122, v[114:115] offset:432
.LBB108_197:
	s_or_b32 exec_lo, exec_lo, s0
	s_mov_b32 s0, exec_lo
	s_waitcnt lgkmcnt(0)
	s_waitcnt_vscnt null, 0x0
	s_barrier
	buffer_gl0_inv
	v_cmpx_lt_i32_e32 11, v125
	s_cbranch_execz .LBB108_199
; %bb.198:
	v_mul_f64 v[88:89], v[0:1], v[88:89]
	ds_read2_b64 v[126:129], v122 offset0:12 offset1:13
	ds_read2_b64 v[130:133], v122 offset0:14 offset1:15
	;; [unrolled: 1-line block ×11, first 2 shown]
	ds_read_b64 v[0:1], v122 offset:432
	s_waitcnt lgkmcnt(11)
	v_fma_f64 v[90:91], -v[88:89], v[126:127], v[90:91]
	v_fma_f64 v[84:85], -v[88:89], v[128:129], v[84:85]
	s_waitcnt lgkmcnt(10)
	v_fma_f64 v[86:87], -v[88:89], v[130:131], v[86:87]
	v_fma_f64 v[82:83], -v[88:89], v[132:133], v[82:83]
	;; [unrolled: 3-line block ×6, first 2 shown]
	ds_read2_b64 v[126:129], v122 offset0:34 offset1:35
	ds_read2_b64 v[130:133], v122 offset0:36 offset1:37
	s_waitcnt lgkmcnt(7)
	v_fma_f64 v[66:67], -v[88:89], v[150:151], v[66:67]
	v_fma_f64 v[62:63], -v[88:89], v[152:153], v[62:63]
	s_waitcnt lgkmcnt(6)
	v_fma_f64 v[60:61], -v[88:89], v[154:155], v[60:61]
	ds_read2_b64 v[134:137], v122 offset0:38 offset1:39
	ds_read2_b64 v[138:141], v122 offset0:40 offset1:41
	v_fma_f64 v[58:59], -v[88:89], v[156:157], v[58:59]
	s_waitcnt lgkmcnt(7)
	v_fma_f64 v[56:57], -v[88:89], v[158:159], v[56:57]
	ds_read2_b64 v[142:145], v122 offset0:42 offset1:43
	ds_read2_b64 v[146:149], v122 offset0:44 offset1:45
	;; [unrolled: 5-line block ×3, first 2 shown]
	v_fma_f64 v[48:49], -v[88:89], v[164:165], v[48:49]
	ds_read2_b64 v[158:161], v122 offset0:50 offset1:51
	ds_read2_b64 v[162:165], v122 offset0:52 offset1:53
	s_waitcnt lgkmcnt(11)
	v_fma_f64 v[50:51], -v[88:89], v[166:167], v[50:51]
	v_fma_f64 v[44:45], -v[88:89], v[168:169], v[44:45]
	s_waitcnt lgkmcnt(9)
	v_fma_f64 v[46:47], -v[88:89], v[126:127], v[46:47]
	v_fma_f64 v[42:43], -v[88:89], v[128:129], v[42:43]
	;; [unrolled: 3-line block ×3, first 2 shown]
	v_fma_f64 v[114:115], -v[88:89], v[0:1], v[114:115]
	s_waitcnt lgkmcnt(7)
	v_fma_f64 v[36:37], -v[88:89], v[134:135], v[36:37]
	v_fma_f64 v[34:35], -v[88:89], v[136:137], v[34:35]
	s_waitcnt lgkmcnt(6)
	v_fma_f64 v[32:33], -v[88:89], v[138:139], v[32:33]
	;; [unrolled: 3-line block ×8, first 2 shown]
	v_fma_f64 v[6:7], -v[88:89], v[164:165], v[6:7]
.LBB108_199:
	s_or_b32 exec_lo, exec_lo, s0
	v_lshl_add_u32 v0, v125, 3, v122
	s_barrier
	buffer_gl0_inv
	v_mov_b32_e32 v116, 12
	ds_write_b64 v0, v[90:91]
	s_waitcnt lgkmcnt(0)
	s_barrier
	buffer_gl0_inv
	ds_read_b64 v[0:1], v122 offset:96
	s_cmp_lt_i32 s7, 14
	s_cbranch_scc1 .LBB108_202
; %bb.200:
	v_add3_u32 v117, v123, 0, 0x68
	v_mov_b32_e32 v116, 12
	s_mov_b32 s0, 13
.LBB108_201:                            ; =>This Inner Loop Header: Depth=1
	ds_read_b64 v[126:127], v117
	v_add_nc_u32_e32 v117, 8, v117
	s_waitcnt lgkmcnt(0)
	v_cmp_lt_f64_e64 vcc_lo, |v[0:1]|, |v[126:127]|
	v_cndmask_b32_e32 v1, v1, v127, vcc_lo
	v_cndmask_b32_e32 v0, v0, v126, vcc_lo
	v_cndmask_b32_e64 v116, v116, s0, vcc_lo
	s_add_i32 s0, s0, 1
	s_cmp_lg_u32 s7, s0
	s_cbranch_scc1 .LBB108_201
.LBB108_202:
	s_mov_b32 s0, exec_lo
	s_waitcnt lgkmcnt(0)
	v_cmpx_eq_f64_e32 0, v[0:1]
	s_xor_b32 s0, exec_lo, s0
; %bb.203:
	v_cmp_ne_u32_e32 vcc_lo, 0, v119
	v_cndmask_b32_e32 v119, 13, v119, vcc_lo
; %bb.204:
	s_andn2_saveexec_b32 s0, s0
	s_cbranch_execz .LBB108_206
; %bb.205:
	v_div_scale_f64 v[117:118], null, v[0:1], v[0:1], 1.0
	v_rcp_f64_e32 v[126:127], v[117:118]
	v_fma_f64 v[128:129], -v[117:118], v[126:127], 1.0
	v_fma_f64 v[126:127], v[126:127], v[128:129], v[126:127]
	v_fma_f64 v[128:129], -v[117:118], v[126:127], 1.0
	v_fma_f64 v[126:127], v[126:127], v[128:129], v[126:127]
	v_div_scale_f64 v[128:129], vcc_lo, 1.0, v[0:1], 1.0
	v_mul_f64 v[130:131], v[128:129], v[126:127]
	v_fma_f64 v[117:118], -v[117:118], v[130:131], v[128:129]
	v_div_fmas_f64 v[117:118], v[117:118], v[126:127], v[130:131]
	v_div_fixup_f64 v[0:1], v[117:118], v[0:1], 1.0
.LBB108_206:
	s_or_b32 exec_lo, exec_lo, s0
	s_mov_b32 s0, exec_lo
	v_cmpx_ne_u32_e64 v125, v116
	s_xor_b32 s0, exec_lo, s0
	s_cbranch_execz .LBB108_212
; %bb.207:
	s_mov_b32 s1, exec_lo
	v_cmpx_eq_u32_e32 12, v125
	s_cbranch_execz .LBB108_211
; %bb.208:
	v_cmp_ne_u32_e32 vcc_lo, 12, v116
	s_xor_b32 s2, s6, -1
	s_and_b32 s3, s2, vcc_lo
	s_and_saveexec_b32 s2, s3
	s_cbranch_execz .LBB108_210
; %bb.209:
	v_ashrrev_i32_e32 v117, 31, v116
	v_lshlrev_b64 v[117:118], 2, v[116:117]
	v_add_co_u32 v117, vcc_lo, v4, v117
	v_add_co_ci_u32_e64 v118, null, v5, v118, vcc_lo
	s_clause 0x1
	global_load_dword v124, v[117:118], off
	global_load_dword v125, v[4:5], off offset:48
	s_waitcnt vmcnt(1)
	global_store_dword v[4:5], v124, off offset:48
	s_waitcnt vmcnt(0)
	global_store_dword v[117:118], v125, off
.LBB108_210:
	s_or_b32 exec_lo, exec_lo, s2
	v_mov_b32_e32 v124, v116
	v_mov_b32_e32 v125, v116
.LBB108_211:
	s_or_b32 exec_lo, exec_lo, s1
.LBB108_212:
	s_andn2_saveexec_b32 s0, s0
	s_cbranch_execz .LBB108_214
; %bb.213:
	v_mov_b32_e32 v125, 12
	ds_write2_b64 v122, v[84:85], v[86:87] offset0:13 offset1:14
	ds_write2_b64 v122, v[82:83], v[80:81] offset0:15 offset1:16
	;; [unrolled: 1-line block ×21, first 2 shown]
.LBB108_214:
	s_or_b32 exec_lo, exec_lo, s0
	s_mov_b32 s0, exec_lo
	s_waitcnt lgkmcnt(0)
	s_waitcnt_vscnt null, 0x0
	s_barrier
	buffer_gl0_inv
	v_cmpx_lt_i32_e32 12, v125
	s_cbranch_execz .LBB108_216
; %bb.215:
	v_mul_f64 v[90:91], v[0:1], v[90:91]
	ds_read2_b64 v[126:129], v122 offset0:13 offset1:14
	ds_read2_b64 v[130:133], v122 offset0:15 offset1:16
	;; [unrolled: 1-line block ×11, first 2 shown]
	s_waitcnt lgkmcnt(10)
	v_fma_f64 v[84:85], -v[90:91], v[126:127], v[84:85]
	v_fma_f64 v[86:87], -v[90:91], v[128:129], v[86:87]
	s_waitcnt lgkmcnt(9)
	v_fma_f64 v[82:83], -v[90:91], v[130:131], v[82:83]
	v_fma_f64 v[80:81], -v[90:91], v[132:133], v[80:81]
	;; [unrolled: 3-line block ×6, first 2 shown]
	ds_read2_b64 v[126:129], v122 offset0:35 offset1:36
	ds_read2_b64 v[130:133], v122 offset0:37 offset1:38
	s_waitcnt lgkmcnt(6)
	v_fma_f64 v[62:63], -v[90:91], v[150:151], v[62:63]
	v_fma_f64 v[60:61], -v[90:91], v[152:153], v[60:61]
	ds_read2_b64 v[134:137], v122 offset0:39 offset1:40
	ds_read2_b64 v[138:141], v122 offset0:41 offset1:42
	s_waitcnt lgkmcnt(7)
	v_fma_f64 v[58:59], -v[90:91], v[154:155], v[58:59]
	v_fma_f64 v[56:57], -v[90:91], v[156:157], v[56:57]
	;; [unrolled: 5-line block ×5, first 2 shown]
	s_waitcnt lgkmcnt(9)
	v_fma_f64 v[42:43], -v[90:91], v[126:127], v[42:43]
	v_fma_f64 v[40:41], -v[90:91], v[128:129], v[40:41]
	s_waitcnt lgkmcnt(8)
	v_fma_f64 v[38:39], -v[90:91], v[130:131], v[38:39]
	v_fma_f64 v[36:37], -v[90:91], v[132:133], v[36:37]
	s_waitcnt lgkmcnt(7)
	v_fma_f64 v[34:35], -v[90:91], v[134:135], v[34:35]
	v_fma_f64 v[32:33], -v[90:91], v[136:137], v[32:33]
	s_waitcnt lgkmcnt(6)
	v_fma_f64 v[28:29], -v[90:91], v[138:139], v[28:29]
	v_fma_f64 v[30:31], -v[90:91], v[140:141], v[30:31]
	s_waitcnt lgkmcnt(5)
	v_fma_f64 v[24:25], -v[90:91], v[142:143], v[24:25]
	v_fma_f64 v[26:27], -v[90:91], v[144:145], v[26:27]
	s_waitcnt lgkmcnt(4)
	v_fma_f64 v[22:23], -v[90:91], v[146:147], v[22:23]
	v_fma_f64 v[20:21], -v[90:91], v[148:149], v[20:21]
	s_waitcnt lgkmcnt(3)
	v_fma_f64 v[18:19], -v[90:91], v[150:151], v[18:19]
	v_fma_f64 v[16:17], -v[90:91], v[152:153], v[16:17]
	s_waitcnt lgkmcnt(2)
	v_fma_f64 v[14:15], -v[90:91], v[154:155], v[14:15]
	v_fma_f64 v[12:13], -v[90:91], v[156:157], v[12:13]
	s_waitcnt lgkmcnt(1)
	v_fma_f64 v[8:9], -v[90:91], v[158:159], v[8:9]
	v_fma_f64 v[10:11], -v[90:91], v[160:161], v[10:11]
	s_waitcnt lgkmcnt(0)
	v_fma_f64 v[6:7], -v[90:91], v[162:163], v[6:7]
	v_fma_f64 v[114:115], -v[90:91], v[164:165], v[114:115]
.LBB108_216:
	s_or_b32 exec_lo, exec_lo, s0
	v_lshl_add_u32 v0, v125, 3, v122
	s_barrier
	buffer_gl0_inv
	v_mov_b32_e32 v116, 13
	ds_write_b64 v0, v[84:85]
	s_waitcnt lgkmcnt(0)
	s_barrier
	buffer_gl0_inv
	ds_read_b64 v[0:1], v122 offset:104
	s_cmp_lt_i32 s7, 15
	s_cbranch_scc1 .LBB108_219
; %bb.217:
	v_add3_u32 v117, v123, 0, 0x70
	v_mov_b32_e32 v116, 13
	s_mov_b32 s0, 14
.LBB108_218:                            ; =>This Inner Loop Header: Depth=1
	ds_read_b64 v[126:127], v117
	v_add_nc_u32_e32 v117, 8, v117
	s_waitcnt lgkmcnt(0)
	v_cmp_lt_f64_e64 vcc_lo, |v[0:1]|, |v[126:127]|
	v_cndmask_b32_e32 v1, v1, v127, vcc_lo
	v_cndmask_b32_e32 v0, v0, v126, vcc_lo
	v_cndmask_b32_e64 v116, v116, s0, vcc_lo
	s_add_i32 s0, s0, 1
	s_cmp_lg_u32 s7, s0
	s_cbranch_scc1 .LBB108_218
.LBB108_219:
	s_mov_b32 s0, exec_lo
	s_waitcnt lgkmcnt(0)
	v_cmpx_eq_f64_e32 0, v[0:1]
	s_xor_b32 s0, exec_lo, s0
; %bb.220:
	v_cmp_ne_u32_e32 vcc_lo, 0, v119
	v_cndmask_b32_e32 v119, 14, v119, vcc_lo
; %bb.221:
	s_andn2_saveexec_b32 s0, s0
	s_cbranch_execz .LBB108_223
; %bb.222:
	v_div_scale_f64 v[117:118], null, v[0:1], v[0:1], 1.0
	v_rcp_f64_e32 v[126:127], v[117:118]
	v_fma_f64 v[128:129], -v[117:118], v[126:127], 1.0
	v_fma_f64 v[126:127], v[126:127], v[128:129], v[126:127]
	v_fma_f64 v[128:129], -v[117:118], v[126:127], 1.0
	v_fma_f64 v[126:127], v[126:127], v[128:129], v[126:127]
	v_div_scale_f64 v[128:129], vcc_lo, 1.0, v[0:1], 1.0
	v_mul_f64 v[130:131], v[128:129], v[126:127]
	v_fma_f64 v[117:118], -v[117:118], v[130:131], v[128:129]
	v_div_fmas_f64 v[117:118], v[117:118], v[126:127], v[130:131]
	v_div_fixup_f64 v[0:1], v[117:118], v[0:1], 1.0
.LBB108_223:
	s_or_b32 exec_lo, exec_lo, s0
	s_mov_b32 s0, exec_lo
	v_cmpx_ne_u32_e64 v125, v116
	s_xor_b32 s0, exec_lo, s0
	s_cbranch_execz .LBB108_229
; %bb.224:
	s_mov_b32 s1, exec_lo
	v_cmpx_eq_u32_e32 13, v125
	s_cbranch_execz .LBB108_228
; %bb.225:
	v_cmp_ne_u32_e32 vcc_lo, 13, v116
	s_xor_b32 s2, s6, -1
	s_and_b32 s3, s2, vcc_lo
	s_and_saveexec_b32 s2, s3
	s_cbranch_execz .LBB108_227
; %bb.226:
	v_ashrrev_i32_e32 v117, 31, v116
	v_lshlrev_b64 v[117:118], 2, v[116:117]
	v_add_co_u32 v117, vcc_lo, v4, v117
	v_add_co_ci_u32_e64 v118, null, v5, v118, vcc_lo
	s_clause 0x1
	global_load_dword v124, v[117:118], off
	global_load_dword v125, v[4:5], off offset:52
	s_waitcnt vmcnt(1)
	global_store_dword v[4:5], v124, off offset:52
	s_waitcnt vmcnt(0)
	global_store_dword v[117:118], v125, off
.LBB108_227:
	s_or_b32 exec_lo, exec_lo, s2
	v_mov_b32_e32 v124, v116
	v_mov_b32_e32 v125, v116
.LBB108_228:
	s_or_b32 exec_lo, exec_lo, s1
.LBB108_229:
	s_andn2_saveexec_b32 s0, s0
	s_cbranch_execz .LBB108_231
; %bb.230:
	v_mov_b32_e32 v116, v86
	v_mov_b32_e32 v117, v87
	;; [unrolled: 1-line block ×8, first 2 shown]
	ds_write2_b64 v122, v[116:117], v[125:126] offset0:14 offset1:15
	v_mov_b32_e32 v116, v78
	v_mov_b32_e32 v117, v79
	v_mov_b32_e32 v125, v76
	v_mov_b32_e32 v126, v77
	v_mov_b32_e32 v131, v72
	v_mov_b32_e32 v132, v73
	v_mov_b32_e32 v133, v68
	v_mov_b32_e32 v134, v69
	v_mov_b32_e32 v135, v70
	v_mov_b32_e32 v136, v71
	v_mov_b32_e32 v137, v64
	v_mov_b32_e32 v138, v65
	v_mov_b32_e32 v139, v66
	v_mov_b32_e32 v140, v67
	v_mov_b32_e32 v141, v62
	v_mov_b32_e32 v142, v63
	ds_write2_b64 v122, v[127:128], v[116:117] offset0:16 offset1:17
	ds_write2_b64 v122, v[125:126], v[129:130] offset0:18 offset1:19
	ds_write2_b64 v122, v[131:132], v[133:134] offset0:20 offset1:21
	ds_write2_b64 v122, v[135:136], v[137:138] offset0:22 offset1:23
	ds_write2_b64 v122, v[139:140], v[141:142] offset0:24 offset1:25
	v_mov_b32_e32 v116, v60
	v_mov_b32_e32 v117, v61
	v_mov_b32_e32 v125, v58
	v_mov_b32_e32 v126, v59
	v_mov_b32_e32 v127, v56
	v_mov_b32_e32 v128, v57
	v_mov_b32_e32 v129, v54
	v_mov_b32_e32 v130, v55
	v_mov_b32_e32 v131, v52
	v_mov_b32_e32 v132, v53
	v_mov_b32_e32 v133, v48
	v_mov_b32_e32 v134, v49
	v_mov_b32_e32 v135, v50
	v_mov_b32_e32 v136, v51
	v_mov_b32_e32 v137, v44
	v_mov_b32_e32 v138, v45
	v_mov_b32_e32 v139, v46
	v_mov_b32_e32 v140, v47
	v_mov_b32_e32 v141, v42
	v_mov_b32_e32 v142, v43
	ds_write2_b64 v122, v[116:117], v[125:126] offset0:26 offset1:27
	ds_write2_b64 v122, v[127:128], v[129:130] offset0:28 offset1:29
	ds_write2_b64 v122, v[131:132], v[133:134] offset0:30 offset1:31
	ds_write2_b64 v122, v[135:136], v[137:138] offset0:32 offset1:33
	ds_write2_b64 v122, v[139:140], v[141:142] offset0:34 offset1:35
	v_mov_b32_e32 v116, v40
	v_mov_b32_e32 v117, v41
	v_mov_b32_e32 v125, v38
	v_mov_b32_e32 v126, v39
	;; [unrolled: 25-line block ×3, first 2 shown]
	v_mov_b32_e32 v127, v16
	v_mov_b32_e32 v128, v17
	;; [unrolled: 1-line block ×4, first 2 shown]
	ds_write2_b64 v122, v[116:117], v[125:126] offset0:46 offset1:47
	v_mov_b32_e32 v125, 13
	v_mov_b32_e32 v131, v12
	;; [unrolled: 1-line block ×9, first 2 shown]
	ds_write2_b64 v122, v[127:128], v[129:130] offset0:48 offset1:49
	ds_write2_b64 v122, v[131:132], v[133:134] offset0:50 offset1:51
	;; [unrolled: 1-line block ×3, first 2 shown]
	ds_write_b64 v122, v[114:115] offset:432
.LBB108_231:
	s_or_b32 exec_lo, exec_lo, s0
	s_mov_b32 s0, exec_lo
	s_waitcnt lgkmcnt(0)
	s_waitcnt_vscnt null, 0x0
	s_barrier
	buffer_gl0_inv
	v_cmpx_lt_i32_e32 13, v125
	s_cbranch_execz .LBB108_233
; %bb.232:
	v_mul_f64 v[84:85], v[0:1], v[84:85]
	ds_read2_b64 v[126:129], v122 offset0:14 offset1:15
	ds_read2_b64 v[130:133], v122 offset0:16 offset1:17
	;; [unrolled: 1-line block ×11, first 2 shown]
	ds_read_b64 v[0:1], v122 offset:432
	s_waitcnt lgkmcnt(11)
	v_fma_f64 v[86:87], -v[84:85], v[126:127], v[86:87]
	v_fma_f64 v[82:83], -v[84:85], v[128:129], v[82:83]
	s_waitcnt lgkmcnt(10)
	v_fma_f64 v[80:81], -v[84:85], v[130:131], v[80:81]
	v_fma_f64 v[78:79], -v[84:85], v[132:133], v[78:79]
	;; [unrolled: 3-line block ×6, first 2 shown]
	ds_read2_b64 v[126:129], v122 offset0:36 offset1:37
	ds_read2_b64 v[130:133], v122 offset0:38 offset1:39
	s_waitcnt lgkmcnt(7)
	v_fma_f64 v[60:61], -v[84:85], v[150:151], v[60:61]
	v_fma_f64 v[58:59], -v[84:85], v[152:153], v[58:59]
	ds_read2_b64 v[134:137], v122 offset0:40 offset1:41
	ds_read2_b64 v[138:141], v122 offset0:42 offset1:43
	s_waitcnt lgkmcnt(8)
	v_fma_f64 v[56:57], -v[84:85], v[154:155], v[56:57]
	v_fma_f64 v[54:55], -v[84:85], v[156:157], v[54:55]
	;; [unrolled: 5-line block ×3, first 2 shown]
	ds_read2_b64 v[150:153], v122 offset0:48 offset1:49
	ds_read2_b64 v[154:157], v122 offset0:50 offset1:51
	;; [unrolled: 1-line block ×3, first 2 shown]
	s_waitcnt lgkmcnt(11)
	v_fma_f64 v[50:51], -v[84:85], v[162:163], v[50:51]
	v_fma_f64 v[44:45], -v[84:85], v[164:165], v[44:45]
	s_waitcnt lgkmcnt(10)
	v_fma_f64 v[46:47], -v[84:85], v[166:167], v[46:47]
	v_fma_f64 v[42:43], -v[84:85], v[168:169], v[42:43]
	s_waitcnt lgkmcnt(9)
	v_fma_f64 v[114:115], -v[84:85], v[0:1], v[114:115]
	s_waitcnt lgkmcnt(8)
	v_fma_f64 v[40:41], -v[84:85], v[126:127], v[40:41]
	v_fma_f64 v[38:39], -v[84:85], v[128:129], v[38:39]
	s_waitcnt lgkmcnt(7)
	v_fma_f64 v[36:37], -v[84:85], v[130:131], v[36:37]
	v_fma_f64 v[34:35], -v[84:85], v[132:133], v[34:35]
	s_waitcnt lgkmcnt(6)
	v_fma_f64 v[32:33], -v[84:85], v[134:135], v[32:33]
	v_fma_f64 v[28:29], -v[84:85], v[136:137], v[28:29]
	s_waitcnt lgkmcnt(5)
	v_fma_f64 v[30:31], -v[84:85], v[138:139], v[30:31]
	v_fma_f64 v[24:25], -v[84:85], v[140:141], v[24:25]
	s_waitcnt lgkmcnt(4)
	v_fma_f64 v[26:27], -v[84:85], v[142:143], v[26:27]
	v_fma_f64 v[22:23], -v[84:85], v[144:145], v[22:23]
	s_waitcnt lgkmcnt(3)
	v_fma_f64 v[20:21], -v[84:85], v[146:147], v[20:21]
	v_fma_f64 v[18:19], -v[84:85], v[148:149], v[18:19]
	s_waitcnt lgkmcnt(2)
	v_fma_f64 v[16:17], -v[84:85], v[150:151], v[16:17]
	v_fma_f64 v[14:15], -v[84:85], v[152:153], v[14:15]
	s_waitcnt lgkmcnt(1)
	v_fma_f64 v[12:13], -v[84:85], v[154:155], v[12:13]
	v_fma_f64 v[8:9], -v[84:85], v[156:157], v[8:9]
	s_waitcnt lgkmcnt(0)
	v_fma_f64 v[10:11], -v[84:85], v[158:159], v[10:11]
	v_fma_f64 v[6:7], -v[84:85], v[160:161], v[6:7]
.LBB108_233:
	s_or_b32 exec_lo, exec_lo, s0
	v_lshl_add_u32 v0, v125, 3, v122
	s_barrier
	buffer_gl0_inv
	v_mov_b32_e32 v116, 14
	ds_write_b64 v0, v[86:87]
	s_waitcnt lgkmcnt(0)
	s_barrier
	buffer_gl0_inv
	ds_read_b64 v[0:1], v122 offset:112
	s_cmp_lt_i32 s7, 16
	s_cbranch_scc1 .LBB108_236
; %bb.234:
	v_add3_u32 v117, v123, 0, 0x78
	v_mov_b32_e32 v116, 14
	s_mov_b32 s0, 15
.LBB108_235:                            ; =>This Inner Loop Header: Depth=1
	ds_read_b64 v[126:127], v117
	v_add_nc_u32_e32 v117, 8, v117
	s_waitcnt lgkmcnt(0)
	v_cmp_lt_f64_e64 vcc_lo, |v[0:1]|, |v[126:127]|
	v_cndmask_b32_e32 v1, v1, v127, vcc_lo
	v_cndmask_b32_e32 v0, v0, v126, vcc_lo
	v_cndmask_b32_e64 v116, v116, s0, vcc_lo
	s_add_i32 s0, s0, 1
	s_cmp_lg_u32 s7, s0
	s_cbranch_scc1 .LBB108_235
.LBB108_236:
	s_mov_b32 s0, exec_lo
	s_waitcnt lgkmcnt(0)
	v_cmpx_eq_f64_e32 0, v[0:1]
	s_xor_b32 s0, exec_lo, s0
; %bb.237:
	v_cmp_ne_u32_e32 vcc_lo, 0, v119
	v_cndmask_b32_e32 v119, 15, v119, vcc_lo
; %bb.238:
	s_andn2_saveexec_b32 s0, s0
	s_cbranch_execz .LBB108_240
; %bb.239:
	v_div_scale_f64 v[117:118], null, v[0:1], v[0:1], 1.0
	v_rcp_f64_e32 v[126:127], v[117:118]
	v_fma_f64 v[128:129], -v[117:118], v[126:127], 1.0
	v_fma_f64 v[126:127], v[126:127], v[128:129], v[126:127]
	v_fma_f64 v[128:129], -v[117:118], v[126:127], 1.0
	v_fma_f64 v[126:127], v[126:127], v[128:129], v[126:127]
	v_div_scale_f64 v[128:129], vcc_lo, 1.0, v[0:1], 1.0
	v_mul_f64 v[130:131], v[128:129], v[126:127]
	v_fma_f64 v[117:118], -v[117:118], v[130:131], v[128:129]
	v_div_fmas_f64 v[117:118], v[117:118], v[126:127], v[130:131]
	v_div_fixup_f64 v[0:1], v[117:118], v[0:1], 1.0
.LBB108_240:
	s_or_b32 exec_lo, exec_lo, s0
	s_mov_b32 s0, exec_lo
	v_cmpx_ne_u32_e64 v125, v116
	s_xor_b32 s0, exec_lo, s0
	s_cbranch_execz .LBB108_246
; %bb.241:
	s_mov_b32 s1, exec_lo
	v_cmpx_eq_u32_e32 14, v125
	s_cbranch_execz .LBB108_245
; %bb.242:
	v_cmp_ne_u32_e32 vcc_lo, 14, v116
	s_xor_b32 s2, s6, -1
	s_and_b32 s3, s2, vcc_lo
	s_and_saveexec_b32 s2, s3
	s_cbranch_execz .LBB108_244
; %bb.243:
	v_ashrrev_i32_e32 v117, 31, v116
	v_lshlrev_b64 v[117:118], 2, v[116:117]
	v_add_co_u32 v117, vcc_lo, v4, v117
	v_add_co_ci_u32_e64 v118, null, v5, v118, vcc_lo
	s_clause 0x1
	global_load_dword v124, v[117:118], off
	global_load_dword v125, v[4:5], off offset:56
	s_waitcnt vmcnt(1)
	global_store_dword v[4:5], v124, off offset:56
	s_waitcnt vmcnt(0)
	global_store_dword v[117:118], v125, off
.LBB108_244:
	s_or_b32 exec_lo, exec_lo, s2
	v_mov_b32_e32 v124, v116
	v_mov_b32_e32 v125, v116
.LBB108_245:
	s_or_b32 exec_lo, exec_lo, s1
.LBB108_246:
	s_andn2_saveexec_b32 s0, s0
	s_cbranch_execz .LBB108_248
; %bb.247:
	v_mov_b32_e32 v125, 14
	ds_write2_b64 v122, v[82:83], v[80:81] offset0:15 offset1:16
	ds_write2_b64 v122, v[78:79], v[76:77] offset0:17 offset1:18
	;; [unrolled: 1-line block ×20, first 2 shown]
.LBB108_248:
	s_or_b32 exec_lo, exec_lo, s0
	s_mov_b32 s0, exec_lo
	s_waitcnt lgkmcnt(0)
	s_waitcnt_vscnt null, 0x0
	s_barrier
	buffer_gl0_inv
	v_cmpx_lt_i32_e32 14, v125
	s_cbranch_execz .LBB108_250
; %bb.249:
	v_mul_f64 v[86:87], v[0:1], v[86:87]
	ds_read2_b64 v[126:129], v122 offset0:15 offset1:16
	ds_read2_b64 v[130:133], v122 offset0:17 offset1:18
	;; [unrolled: 1-line block ×11, first 2 shown]
	s_waitcnt lgkmcnt(10)
	v_fma_f64 v[82:83], -v[86:87], v[126:127], v[82:83]
	v_fma_f64 v[80:81], -v[86:87], v[128:129], v[80:81]
	s_waitcnt lgkmcnt(9)
	v_fma_f64 v[78:79], -v[86:87], v[130:131], v[78:79]
	v_fma_f64 v[76:77], -v[86:87], v[132:133], v[76:77]
	;; [unrolled: 3-line block ×5, first 2 shown]
	s_waitcnt lgkmcnt(5)
	v_fma_f64 v[62:63], -v[86:87], v[146:147], v[62:63]
	ds_read2_b64 v[126:129], v122 offset0:37 offset1:38
	ds_read2_b64 v[130:133], v122 offset0:39 offset1:40
	v_fma_f64 v[60:61], -v[86:87], v[148:149], v[60:61]
	s_waitcnt lgkmcnt(6)
	v_fma_f64 v[58:59], -v[86:87], v[150:151], v[58:59]
	ds_read2_b64 v[134:137], v122 offset0:41 offset1:42
	ds_read2_b64 v[138:141], v122 offset0:43 offset1:44
	v_fma_f64 v[56:57], -v[86:87], v[152:153], v[56:57]
	;; [unrolled: 5-line block ×4, first 2 shown]
	ds_read2_b64 v[158:161], v122 offset0:53 offset1:54
	s_waitcnt lgkmcnt(10)
	v_fma_f64 v[44:45], -v[86:87], v[162:163], v[44:45]
	v_fma_f64 v[46:47], -v[86:87], v[164:165], v[46:47]
	s_waitcnt lgkmcnt(9)
	v_fma_f64 v[42:43], -v[86:87], v[166:167], v[42:43]
	v_fma_f64 v[40:41], -v[86:87], v[168:169], v[40:41]
	;; [unrolled: 3-line block ×11, first 2 shown]
.LBB108_250:
	s_or_b32 exec_lo, exec_lo, s0
	v_lshl_add_u32 v0, v125, 3, v122
	s_barrier
	buffer_gl0_inv
	v_mov_b32_e32 v116, 15
	ds_write_b64 v0, v[82:83]
	s_waitcnt lgkmcnt(0)
	s_barrier
	buffer_gl0_inv
	ds_read_b64 v[0:1], v122 offset:120
	s_cmp_lt_i32 s7, 17
	s_cbranch_scc1 .LBB108_253
; %bb.251:
	v_add3_u32 v117, v123, 0, 0x80
	v_mov_b32_e32 v116, 15
	s_mov_b32 s0, 16
.LBB108_252:                            ; =>This Inner Loop Header: Depth=1
	ds_read_b64 v[126:127], v117
	v_add_nc_u32_e32 v117, 8, v117
	s_waitcnt lgkmcnt(0)
	v_cmp_lt_f64_e64 vcc_lo, |v[0:1]|, |v[126:127]|
	v_cndmask_b32_e32 v1, v1, v127, vcc_lo
	v_cndmask_b32_e32 v0, v0, v126, vcc_lo
	v_cndmask_b32_e64 v116, v116, s0, vcc_lo
	s_add_i32 s0, s0, 1
	s_cmp_lg_u32 s7, s0
	s_cbranch_scc1 .LBB108_252
.LBB108_253:
	s_mov_b32 s0, exec_lo
	s_waitcnt lgkmcnt(0)
	v_cmpx_eq_f64_e32 0, v[0:1]
	s_xor_b32 s0, exec_lo, s0
; %bb.254:
	v_cmp_ne_u32_e32 vcc_lo, 0, v119
	v_cndmask_b32_e32 v119, 16, v119, vcc_lo
; %bb.255:
	s_andn2_saveexec_b32 s0, s0
	s_cbranch_execz .LBB108_257
; %bb.256:
	v_div_scale_f64 v[117:118], null, v[0:1], v[0:1], 1.0
	v_rcp_f64_e32 v[126:127], v[117:118]
	v_fma_f64 v[128:129], -v[117:118], v[126:127], 1.0
	v_fma_f64 v[126:127], v[126:127], v[128:129], v[126:127]
	v_fma_f64 v[128:129], -v[117:118], v[126:127], 1.0
	v_fma_f64 v[126:127], v[126:127], v[128:129], v[126:127]
	v_div_scale_f64 v[128:129], vcc_lo, 1.0, v[0:1], 1.0
	v_mul_f64 v[130:131], v[128:129], v[126:127]
	v_fma_f64 v[117:118], -v[117:118], v[130:131], v[128:129]
	v_div_fmas_f64 v[117:118], v[117:118], v[126:127], v[130:131]
	v_div_fixup_f64 v[0:1], v[117:118], v[0:1], 1.0
.LBB108_257:
	s_or_b32 exec_lo, exec_lo, s0
	s_mov_b32 s0, exec_lo
	v_cmpx_ne_u32_e64 v125, v116
	s_xor_b32 s0, exec_lo, s0
	s_cbranch_execz .LBB108_263
; %bb.258:
	s_mov_b32 s1, exec_lo
	v_cmpx_eq_u32_e32 15, v125
	s_cbranch_execz .LBB108_262
; %bb.259:
	v_cmp_ne_u32_e32 vcc_lo, 15, v116
	s_xor_b32 s2, s6, -1
	s_and_b32 s3, s2, vcc_lo
	s_and_saveexec_b32 s2, s3
	s_cbranch_execz .LBB108_261
; %bb.260:
	v_ashrrev_i32_e32 v117, 31, v116
	v_lshlrev_b64 v[117:118], 2, v[116:117]
	v_add_co_u32 v117, vcc_lo, v4, v117
	v_add_co_ci_u32_e64 v118, null, v5, v118, vcc_lo
	s_clause 0x1
	global_load_dword v124, v[117:118], off
	global_load_dword v125, v[4:5], off offset:60
	s_waitcnt vmcnt(1)
	global_store_dword v[4:5], v124, off offset:60
	s_waitcnt vmcnt(0)
	global_store_dword v[117:118], v125, off
.LBB108_261:
	s_or_b32 exec_lo, exec_lo, s2
	v_mov_b32_e32 v124, v116
	v_mov_b32_e32 v125, v116
.LBB108_262:
	s_or_b32 exec_lo, exec_lo, s1
.LBB108_263:
	s_andn2_saveexec_b32 s0, s0
	s_cbranch_execz .LBB108_265
; %bb.264:
	v_mov_b32_e32 v116, v80
	v_mov_b32_e32 v117, v81
	v_mov_b32_e32 v125, v78
	v_mov_b32_e32 v126, v79
	v_mov_b32_e32 v127, v76
	v_mov_b32_e32 v128, v77
	v_mov_b32_e32 v129, v74
	v_mov_b32_e32 v130, v75
	v_mov_b32_e32 v131, v72
	v_mov_b32_e32 v132, v73
	v_mov_b32_e32 v133, v68
	v_mov_b32_e32 v134, v69
	v_mov_b32_e32 v135, v70
	v_mov_b32_e32 v136, v71
	v_mov_b32_e32 v137, v64
	v_mov_b32_e32 v138, v65
	v_mov_b32_e32 v139, v66
	v_mov_b32_e32 v140, v67
	v_mov_b32_e32 v141, v62
	v_mov_b32_e32 v142, v63
	ds_write2_b64 v122, v[116:117], v[125:126] offset0:16 offset1:17
	ds_write2_b64 v122, v[127:128], v[129:130] offset0:18 offset1:19
	ds_write2_b64 v122, v[131:132], v[133:134] offset0:20 offset1:21
	ds_write2_b64 v122, v[135:136], v[137:138] offset0:22 offset1:23
	ds_write2_b64 v122, v[139:140], v[141:142] offset0:24 offset1:25
	v_mov_b32_e32 v116, v60
	v_mov_b32_e32 v117, v61
	v_mov_b32_e32 v125, v58
	v_mov_b32_e32 v126, v59
	v_mov_b32_e32 v127, v56
	v_mov_b32_e32 v128, v57
	v_mov_b32_e32 v129, v54
	v_mov_b32_e32 v130, v55
	v_mov_b32_e32 v131, v52
	v_mov_b32_e32 v132, v53
	v_mov_b32_e32 v133, v48
	v_mov_b32_e32 v134, v49
	v_mov_b32_e32 v135, v50
	v_mov_b32_e32 v136, v51
	v_mov_b32_e32 v137, v44
	v_mov_b32_e32 v138, v45
	v_mov_b32_e32 v139, v46
	v_mov_b32_e32 v140, v47
	v_mov_b32_e32 v141, v42
	v_mov_b32_e32 v142, v43
	ds_write2_b64 v122, v[116:117], v[125:126] offset0:26 offset1:27
	ds_write2_b64 v122, v[127:128], v[129:130] offset0:28 offset1:29
	ds_write2_b64 v122, v[131:132], v[133:134] offset0:30 offset1:31
	ds_write2_b64 v122, v[135:136], v[137:138] offset0:32 offset1:33
	ds_write2_b64 v122, v[139:140], v[141:142] offset0:34 offset1:35
	;; [unrolled: 25-line block ×3, first 2 shown]
	v_mov_b32_e32 v116, v20
	v_mov_b32_e32 v117, v21
	;; [unrolled: 1-line block ×8, first 2 shown]
	ds_write2_b64 v122, v[116:117], v[125:126] offset0:46 offset1:47
	v_mov_b32_e32 v125, 15
	v_mov_b32_e32 v131, v12
	;; [unrolled: 1-line block ×9, first 2 shown]
	ds_write2_b64 v122, v[127:128], v[129:130] offset0:48 offset1:49
	ds_write2_b64 v122, v[131:132], v[133:134] offset0:50 offset1:51
	;; [unrolled: 1-line block ×3, first 2 shown]
	ds_write_b64 v122, v[114:115] offset:432
.LBB108_265:
	s_or_b32 exec_lo, exec_lo, s0
	s_mov_b32 s0, exec_lo
	s_waitcnt lgkmcnt(0)
	s_waitcnt_vscnt null, 0x0
	s_barrier
	buffer_gl0_inv
	v_cmpx_lt_i32_e32 15, v125
	s_cbranch_execz .LBB108_267
; %bb.266:
	v_mul_f64 v[82:83], v[0:1], v[82:83]
	ds_read2_b64 v[126:129], v122 offset0:16 offset1:17
	ds_read2_b64 v[130:133], v122 offset0:18 offset1:19
	;; [unrolled: 1-line block ×11, first 2 shown]
	ds_read_b64 v[0:1], v122 offset:432
	s_waitcnt lgkmcnt(11)
	v_fma_f64 v[80:81], -v[82:83], v[126:127], v[80:81]
	v_fma_f64 v[78:79], -v[82:83], v[128:129], v[78:79]
	s_waitcnt lgkmcnt(10)
	v_fma_f64 v[76:77], -v[82:83], v[130:131], v[76:77]
	v_fma_f64 v[74:75], -v[82:83], v[132:133], v[74:75]
	;; [unrolled: 3-line block ×5, first 2 shown]
	s_waitcnt lgkmcnt(6)
	v_fma_f64 v[60:61], -v[82:83], v[146:147], v[60:61]
	ds_read2_b64 v[126:129], v122 offset0:38 offset1:39
	ds_read2_b64 v[130:133], v122 offset0:40 offset1:41
	v_fma_f64 v[58:59], -v[82:83], v[148:149], v[58:59]
	s_waitcnt lgkmcnt(7)
	v_fma_f64 v[56:57], -v[82:83], v[150:151], v[56:57]
	ds_read2_b64 v[134:137], v122 offset0:42 offset1:43
	ds_read2_b64 v[138:141], v122 offset0:44 offset1:45
	v_fma_f64 v[54:55], -v[82:83], v[152:153], v[54:55]
	;; [unrolled: 5-line block ×3, first 2 shown]
	ds_read2_b64 v[150:153], v122 offset0:50 offset1:51
	ds_read2_b64 v[154:157], v122 offset0:52 offset1:53
	s_waitcnt lgkmcnt(11)
	v_fma_f64 v[50:51], -v[82:83], v[158:159], v[50:51]
	v_fma_f64 v[44:45], -v[82:83], v[160:161], v[44:45]
	s_waitcnt lgkmcnt(10)
	v_fma_f64 v[46:47], -v[82:83], v[162:163], v[46:47]
	v_fma_f64 v[42:43], -v[82:83], v[164:165], v[42:43]
	;; [unrolled: 3-line block ×3, first 2 shown]
	s_waitcnt lgkmcnt(8)
	v_fma_f64 v[114:115], -v[82:83], v[0:1], v[114:115]
	s_waitcnt lgkmcnt(7)
	v_fma_f64 v[36:37], -v[82:83], v[126:127], v[36:37]
	v_fma_f64 v[34:35], -v[82:83], v[128:129], v[34:35]
	s_waitcnt lgkmcnt(6)
	v_fma_f64 v[32:33], -v[82:83], v[130:131], v[32:33]
	;; [unrolled: 3-line block ×8, first 2 shown]
	v_fma_f64 v[6:7], -v[82:83], v[156:157], v[6:7]
.LBB108_267:
	s_or_b32 exec_lo, exec_lo, s0
	v_lshl_add_u32 v0, v125, 3, v122
	s_barrier
	buffer_gl0_inv
	v_mov_b32_e32 v116, 16
	ds_write_b64 v0, v[80:81]
	s_waitcnt lgkmcnt(0)
	s_barrier
	buffer_gl0_inv
	ds_read_b64 v[0:1], v122 offset:128
	s_cmp_lt_i32 s7, 18
	s_cbranch_scc1 .LBB108_270
; %bb.268:
	v_add3_u32 v117, v123, 0, 0x88
	v_mov_b32_e32 v116, 16
	s_mov_b32 s0, 17
.LBB108_269:                            ; =>This Inner Loop Header: Depth=1
	ds_read_b64 v[126:127], v117
	v_add_nc_u32_e32 v117, 8, v117
	s_waitcnt lgkmcnt(0)
	v_cmp_lt_f64_e64 vcc_lo, |v[0:1]|, |v[126:127]|
	v_cndmask_b32_e32 v1, v1, v127, vcc_lo
	v_cndmask_b32_e32 v0, v0, v126, vcc_lo
	v_cndmask_b32_e64 v116, v116, s0, vcc_lo
	s_add_i32 s0, s0, 1
	s_cmp_lg_u32 s7, s0
	s_cbranch_scc1 .LBB108_269
.LBB108_270:
	s_mov_b32 s0, exec_lo
	s_waitcnt lgkmcnt(0)
	v_cmpx_eq_f64_e32 0, v[0:1]
	s_xor_b32 s0, exec_lo, s0
; %bb.271:
	v_cmp_ne_u32_e32 vcc_lo, 0, v119
	v_cndmask_b32_e32 v119, 17, v119, vcc_lo
; %bb.272:
	s_andn2_saveexec_b32 s0, s0
	s_cbranch_execz .LBB108_274
; %bb.273:
	v_div_scale_f64 v[117:118], null, v[0:1], v[0:1], 1.0
	v_rcp_f64_e32 v[126:127], v[117:118]
	v_fma_f64 v[128:129], -v[117:118], v[126:127], 1.0
	v_fma_f64 v[126:127], v[126:127], v[128:129], v[126:127]
	v_fma_f64 v[128:129], -v[117:118], v[126:127], 1.0
	v_fma_f64 v[126:127], v[126:127], v[128:129], v[126:127]
	v_div_scale_f64 v[128:129], vcc_lo, 1.0, v[0:1], 1.0
	v_mul_f64 v[130:131], v[128:129], v[126:127]
	v_fma_f64 v[117:118], -v[117:118], v[130:131], v[128:129]
	v_div_fmas_f64 v[117:118], v[117:118], v[126:127], v[130:131]
	v_div_fixup_f64 v[0:1], v[117:118], v[0:1], 1.0
.LBB108_274:
	s_or_b32 exec_lo, exec_lo, s0
	s_mov_b32 s0, exec_lo
	v_cmpx_ne_u32_e64 v125, v116
	s_xor_b32 s0, exec_lo, s0
	s_cbranch_execz .LBB108_280
; %bb.275:
	s_mov_b32 s1, exec_lo
	v_cmpx_eq_u32_e32 16, v125
	s_cbranch_execz .LBB108_279
; %bb.276:
	v_cmp_ne_u32_e32 vcc_lo, 16, v116
	s_xor_b32 s2, s6, -1
	s_and_b32 s3, s2, vcc_lo
	s_and_saveexec_b32 s2, s3
	s_cbranch_execz .LBB108_278
; %bb.277:
	v_ashrrev_i32_e32 v117, 31, v116
	v_lshlrev_b64 v[117:118], 2, v[116:117]
	v_add_co_u32 v117, vcc_lo, v4, v117
	v_add_co_ci_u32_e64 v118, null, v5, v118, vcc_lo
	s_clause 0x1
	global_load_dword v124, v[117:118], off
	global_load_dword v125, v[4:5], off offset:64
	s_waitcnt vmcnt(1)
	global_store_dword v[4:5], v124, off offset:64
	s_waitcnt vmcnt(0)
	global_store_dword v[117:118], v125, off
.LBB108_278:
	s_or_b32 exec_lo, exec_lo, s2
	v_mov_b32_e32 v124, v116
	v_mov_b32_e32 v125, v116
.LBB108_279:
	s_or_b32 exec_lo, exec_lo, s1
.LBB108_280:
	s_andn2_saveexec_b32 s0, s0
	s_cbranch_execz .LBB108_282
; %bb.281:
	v_mov_b32_e32 v125, 16
	ds_write2_b64 v122, v[78:79], v[76:77] offset0:17 offset1:18
	ds_write2_b64 v122, v[74:75], v[72:73] offset0:19 offset1:20
	;; [unrolled: 1-line block ×19, first 2 shown]
.LBB108_282:
	s_or_b32 exec_lo, exec_lo, s0
	s_mov_b32 s0, exec_lo
	s_waitcnt lgkmcnt(0)
	s_waitcnt_vscnt null, 0x0
	s_barrier
	buffer_gl0_inv
	v_cmpx_lt_i32_e32 16, v125
	s_cbranch_execz .LBB108_284
; %bb.283:
	v_mul_f64 v[80:81], v[0:1], v[80:81]
	ds_read2_b64 v[126:129], v122 offset0:17 offset1:18
	ds_read2_b64 v[130:133], v122 offset0:19 offset1:20
	;; [unrolled: 1-line block ×12, first 2 shown]
	s_waitcnt lgkmcnt(11)
	v_fma_f64 v[78:79], -v[80:81], v[126:127], v[78:79]
	v_fma_f64 v[76:77], -v[80:81], v[128:129], v[76:77]
	s_waitcnt lgkmcnt(10)
	v_fma_f64 v[74:75], -v[80:81], v[130:131], v[74:75]
	v_fma_f64 v[72:73], -v[80:81], v[132:133], v[72:73]
	;; [unrolled: 3-line block ×5, first 2 shown]
	s_waitcnt lgkmcnt(6)
	v_fma_f64 v[58:59], -v[80:81], v[146:147], v[58:59]
	ds_read2_b64 v[126:129], v122 offset0:41 offset1:42
	ds_read2_b64 v[130:133], v122 offset0:43 offset1:44
	v_fma_f64 v[56:57], -v[80:81], v[148:149], v[56:57]
	s_waitcnt lgkmcnt(7)
	v_fma_f64 v[54:55], -v[80:81], v[150:151], v[54:55]
	ds_read2_b64 v[134:137], v122 offset0:45 offset1:46
	ds_read2_b64 v[138:141], v122 offset0:47 offset1:48
	v_fma_f64 v[52:53], -v[80:81], v[152:153], v[52:53]
	ds_read2_b64 v[142:145], v122 offset0:49 offset1:50
	ds_read2_b64 v[146:149], v122 offset0:51 offset1:52
	;; [unrolled: 1-line block ×3, first 2 shown]
	s_waitcnt lgkmcnt(11)
	v_fma_f64 v[48:49], -v[80:81], v[154:155], v[48:49]
	v_fma_f64 v[50:51], -v[80:81], v[156:157], v[50:51]
	s_waitcnt lgkmcnt(10)
	v_fma_f64 v[44:45], -v[80:81], v[158:159], v[44:45]
	v_fma_f64 v[46:47], -v[80:81], v[160:161], v[46:47]
	;; [unrolled: 3-line block ×12, first 2 shown]
.LBB108_284:
	s_or_b32 exec_lo, exec_lo, s0
	v_lshl_add_u32 v0, v125, 3, v122
	s_barrier
	buffer_gl0_inv
	v_mov_b32_e32 v116, 17
	ds_write_b64 v0, v[78:79]
	s_waitcnt lgkmcnt(0)
	s_barrier
	buffer_gl0_inv
	ds_read_b64 v[0:1], v122 offset:136
	s_cmp_lt_i32 s7, 19
	s_cbranch_scc1 .LBB108_287
; %bb.285:
	v_add3_u32 v117, v123, 0, 0x90
	v_mov_b32_e32 v116, 17
	s_mov_b32 s0, 18
.LBB108_286:                            ; =>This Inner Loop Header: Depth=1
	ds_read_b64 v[126:127], v117
	v_add_nc_u32_e32 v117, 8, v117
	s_waitcnt lgkmcnt(0)
	v_cmp_lt_f64_e64 vcc_lo, |v[0:1]|, |v[126:127]|
	v_cndmask_b32_e32 v1, v1, v127, vcc_lo
	v_cndmask_b32_e32 v0, v0, v126, vcc_lo
	v_cndmask_b32_e64 v116, v116, s0, vcc_lo
	s_add_i32 s0, s0, 1
	s_cmp_lg_u32 s7, s0
	s_cbranch_scc1 .LBB108_286
.LBB108_287:
	s_mov_b32 s0, exec_lo
	s_waitcnt lgkmcnt(0)
	v_cmpx_eq_f64_e32 0, v[0:1]
	s_xor_b32 s0, exec_lo, s0
; %bb.288:
	v_cmp_ne_u32_e32 vcc_lo, 0, v119
	v_cndmask_b32_e32 v119, 18, v119, vcc_lo
; %bb.289:
	s_andn2_saveexec_b32 s0, s0
	s_cbranch_execz .LBB108_291
; %bb.290:
	v_div_scale_f64 v[117:118], null, v[0:1], v[0:1], 1.0
	v_rcp_f64_e32 v[126:127], v[117:118]
	v_fma_f64 v[128:129], -v[117:118], v[126:127], 1.0
	v_fma_f64 v[126:127], v[126:127], v[128:129], v[126:127]
	v_fma_f64 v[128:129], -v[117:118], v[126:127], 1.0
	v_fma_f64 v[126:127], v[126:127], v[128:129], v[126:127]
	v_div_scale_f64 v[128:129], vcc_lo, 1.0, v[0:1], 1.0
	v_mul_f64 v[130:131], v[128:129], v[126:127]
	v_fma_f64 v[117:118], -v[117:118], v[130:131], v[128:129]
	v_div_fmas_f64 v[117:118], v[117:118], v[126:127], v[130:131]
	v_div_fixup_f64 v[0:1], v[117:118], v[0:1], 1.0
.LBB108_291:
	s_or_b32 exec_lo, exec_lo, s0
	s_mov_b32 s0, exec_lo
	v_cmpx_ne_u32_e64 v125, v116
	s_xor_b32 s0, exec_lo, s0
	s_cbranch_execz .LBB108_297
; %bb.292:
	s_mov_b32 s1, exec_lo
	v_cmpx_eq_u32_e32 17, v125
	s_cbranch_execz .LBB108_296
; %bb.293:
	v_cmp_ne_u32_e32 vcc_lo, 17, v116
	s_xor_b32 s2, s6, -1
	s_and_b32 s3, s2, vcc_lo
	s_and_saveexec_b32 s2, s3
	s_cbranch_execz .LBB108_295
; %bb.294:
	v_ashrrev_i32_e32 v117, 31, v116
	v_lshlrev_b64 v[117:118], 2, v[116:117]
	v_add_co_u32 v117, vcc_lo, v4, v117
	v_add_co_ci_u32_e64 v118, null, v5, v118, vcc_lo
	s_clause 0x1
	global_load_dword v124, v[117:118], off
	global_load_dword v125, v[4:5], off offset:68
	s_waitcnt vmcnt(1)
	global_store_dword v[4:5], v124, off offset:68
	s_waitcnt vmcnt(0)
	global_store_dword v[117:118], v125, off
.LBB108_295:
	s_or_b32 exec_lo, exec_lo, s2
	v_mov_b32_e32 v124, v116
	v_mov_b32_e32 v125, v116
.LBB108_296:
	s_or_b32 exec_lo, exec_lo, s1
.LBB108_297:
	s_andn2_saveexec_b32 s0, s0
	s_cbranch_execz .LBB108_299
; %bb.298:
	v_mov_b32_e32 v116, v76
	v_mov_b32_e32 v117, v77
	;; [unrolled: 1-line block ×16, first 2 shown]
	ds_write2_b64 v122, v[116:117], v[125:126] offset0:18 offset1:19
	ds_write2_b64 v122, v[127:128], v[129:130] offset0:20 offset1:21
	;; [unrolled: 1-line block ×4, first 2 shown]
	v_mov_b32_e32 v116, v60
	v_mov_b32_e32 v117, v61
	;; [unrolled: 1-line block ×20, first 2 shown]
	ds_write2_b64 v122, v[116:117], v[125:126] offset0:26 offset1:27
	ds_write2_b64 v122, v[127:128], v[129:130] offset0:28 offset1:29
	;; [unrolled: 1-line block ×5, first 2 shown]
	v_mov_b32_e32 v116, v40
	v_mov_b32_e32 v117, v41
	;; [unrolled: 1-line block ×20, first 2 shown]
	ds_write2_b64 v122, v[116:117], v[125:126] offset0:36 offset1:37
	ds_write2_b64 v122, v[127:128], v[129:130] offset0:38 offset1:39
	;; [unrolled: 1-line block ×5, first 2 shown]
	v_mov_b32_e32 v116, v20
	v_mov_b32_e32 v117, v21
	;; [unrolled: 1-line block ×8, first 2 shown]
	ds_write2_b64 v122, v[116:117], v[125:126] offset0:46 offset1:47
	v_mov_b32_e32 v125, 17
	v_mov_b32_e32 v131, v12
	;; [unrolled: 1-line block ×9, first 2 shown]
	ds_write2_b64 v122, v[127:128], v[129:130] offset0:48 offset1:49
	ds_write2_b64 v122, v[131:132], v[133:134] offset0:50 offset1:51
	;; [unrolled: 1-line block ×3, first 2 shown]
	ds_write_b64 v122, v[114:115] offset:432
.LBB108_299:
	s_or_b32 exec_lo, exec_lo, s0
	s_mov_b32 s0, exec_lo
	s_waitcnt lgkmcnt(0)
	s_waitcnt_vscnt null, 0x0
	s_barrier
	buffer_gl0_inv
	v_cmpx_lt_i32_e32 17, v125
	s_cbranch_execz .LBB108_301
; %bb.300:
	v_mul_f64 v[78:79], v[0:1], v[78:79]
	ds_read2_b64 v[126:129], v122 offset0:18 offset1:19
	ds_read2_b64 v[130:133], v122 offset0:20 offset1:21
	;; [unrolled: 1-line block ×12, first 2 shown]
	ds_read_b64 v[0:1], v122 offset:432
	s_waitcnt lgkmcnt(12)
	v_fma_f64 v[76:77], -v[78:79], v[126:127], v[76:77]
	v_fma_f64 v[74:75], -v[78:79], v[128:129], v[74:75]
	s_waitcnt lgkmcnt(11)
	v_fma_f64 v[72:73], -v[78:79], v[130:131], v[72:73]
	v_fma_f64 v[68:69], -v[78:79], v[132:133], v[68:69]
	s_waitcnt lgkmcnt(10)
	v_fma_f64 v[70:71], -v[78:79], v[134:135], v[70:71]
	v_fma_f64 v[64:65], -v[78:79], v[136:137], v[64:65]
	s_waitcnt lgkmcnt(9)
	v_fma_f64 v[66:67], -v[78:79], v[138:139], v[66:67]
	v_fma_f64 v[62:63], -v[78:79], v[140:141], v[62:63]
	s_waitcnt lgkmcnt(8)
	v_fma_f64 v[60:61], -v[78:79], v[142:143], v[60:61]
	v_fma_f64 v[58:59], -v[78:79], v[144:145], v[58:59]
	s_waitcnt lgkmcnt(7)
	v_fma_f64 v[56:57], -v[78:79], v[146:147], v[56:57]
	ds_read2_b64 v[126:129], v122 offset0:42 offset1:43
	ds_read2_b64 v[130:133], v122 offset0:44 offset1:45
	v_fma_f64 v[54:55], -v[78:79], v[148:149], v[54:55]
	ds_read2_b64 v[134:137], v122 offset0:46 offset1:47
	ds_read2_b64 v[138:141], v122 offset0:48 offset1:49
	;; [unrolled: 1-line block ×4, first 2 shown]
	s_waitcnt lgkmcnt(12)
	v_fma_f64 v[52:53], -v[78:79], v[150:151], v[52:53]
	v_fma_f64 v[48:49], -v[78:79], v[152:153], v[48:49]
	s_waitcnt lgkmcnt(11)
	v_fma_f64 v[50:51], -v[78:79], v[154:155], v[50:51]
	v_fma_f64 v[44:45], -v[78:79], v[156:157], v[44:45]
	;; [unrolled: 3-line block ×6, first 2 shown]
	s_waitcnt lgkmcnt(6)
	v_fma_f64 v[114:115], -v[78:79], v[0:1], v[114:115]
	s_waitcnt lgkmcnt(5)
	v_fma_f64 v[30:31], -v[78:79], v[126:127], v[30:31]
	v_fma_f64 v[24:25], -v[78:79], v[128:129], v[24:25]
	s_waitcnt lgkmcnt(4)
	v_fma_f64 v[26:27], -v[78:79], v[130:131], v[26:27]
	;; [unrolled: 3-line block ×6, first 2 shown]
	v_fma_f64 v[6:7], -v[78:79], v[148:149], v[6:7]
.LBB108_301:
	s_or_b32 exec_lo, exec_lo, s0
	v_lshl_add_u32 v0, v125, 3, v122
	s_barrier
	buffer_gl0_inv
	v_mov_b32_e32 v116, 18
	ds_write_b64 v0, v[76:77]
	s_waitcnt lgkmcnt(0)
	s_barrier
	buffer_gl0_inv
	ds_read_b64 v[0:1], v122 offset:144
	s_cmp_lt_i32 s7, 20
	s_cbranch_scc1 .LBB108_304
; %bb.302:
	v_add3_u32 v117, v123, 0, 0x98
	v_mov_b32_e32 v116, 18
	s_mov_b32 s0, 19
.LBB108_303:                            ; =>This Inner Loop Header: Depth=1
	ds_read_b64 v[126:127], v117
	v_add_nc_u32_e32 v117, 8, v117
	s_waitcnt lgkmcnt(0)
	v_cmp_lt_f64_e64 vcc_lo, |v[0:1]|, |v[126:127]|
	v_cndmask_b32_e32 v1, v1, v127, vcc_lo
	v_cndmask_b32_e32 v0, v0, v126, vcc_lo
	v_cndmask_b32_e64 v116, v116, s0, vcc_lo
	s_add_i32 s0, s0, 1
	s_cmp_lg_u32 s7, s0
	s_cbranch_scc1 .LBB108_303
.LBB108_304:
	s_mov_b32 s0, exec_lo
	s_waitcnt lgkmcnt(0)
	v_cmpx_eq_f64_e32 0, v[0:1]
	s_xor_b32 s0, exec_lo, s0
; %bb.305:
	v_cmp_ne_u32_e32 vcc_lo, 0, v119
	v_cndmask_b32_e32 v119, 19, v119, vcc_lo
; %bb.306:
	s_andn2_saveexec_b32 s0, s0
	s_cbranch_execz .LBB108_308
; %bb.307:
	v_div_scale_f64 v[117:118], null, v[0:1], v[0:1], 1.0
	v_rcp_f64_e32 v[126:127], v[117:118]
	v_fma_f64 v[128:129], -v[117:118], v[126:127], 1.0
	v_fma_f64 v[126:127], v[126:127], v[128:129], v[126:127]
	v_fma_f64 v[128:129], -v[117:118], v[126:127], 1.0
	v_fma_f64 v[126:127], v[126:127], v[128:129], v[126:127]
	v_div_scale_f64 v[128:129], vcc_lo, 1.0, v[0:1], 1.0
	v_mul_f64 v[130:131], v[128:129], v[126:127]
	v_fma_f64 v[117:118], -v[117:118], v[130:131], v[128:129]
	v_div_fmas_f64 v[117:118], v[117:118], v[126:127], v[130:131]
	v_div_fixup_f64 v[0:1], v[117:118], v[0:1], 1.0
.LBB108_308:
	s_or_b32 exec_lo, exec_lo, s0
	s_mov_b32 s0, exec_lo
	v_cmpx_ne_u32_e64 v125, v116
	s_xor_b32 s0, exec_lo, s0
	s_cbranch_execz .LBB108_314
; %bb.309:
	s_mov_b32 s1, exec_lo
	v_cmpx_eq_u32_e32 18, v125
	s_cbranch_execz .LBB108_313
; %bb.310:
	v_cmp_ne_u32_e32 vcc_lo, 18, v116
	s_xor_b32 s2, s6, -1
	s_and_b32 s3, s2, vcc_lo
	s_and_saveexec_b32 s2, s3
	s_cbranch_execz .LBB108_312
; %bb.311:
	v_ashrrev_i32_e32 v117, 31, v116
	v_lshlrev_b64 v[117:118], 2, v[116:117]
	v_add_co_u32 v117, vcc_lo, v4, v117
	v_add_co_ci_u32_e64 v118, null, v5, v118, vcc_lo
	s_clause 0x1
	global_load_dword v124, v[117:118], off
	global_load_dword v125, v[4:5], off offset:72
	s_waitcnt vmcnt(1)
	global_store_dword v[4:5], v124, off offset:72
	s_waitcnt vmcnt(0)
	global_store_dword v[117:118], v125, off
.LBB108_312:
	s_or_b32 exec_lo, exec_lo, s2
	v_mov_b32_e32 v124, v116
	v_mov_b32_e32 v125, v116
.LBB108_313:
	s_or_b32 exec_lo, exec_lo, s1
.LBB108_314:
	s_andn2_saveexec_b32 s0, s0
	s_cbranch_execz .LBB108_316
; %bb.315:
	v_mov_b32_e32 v125, 18
	ds_write2_b64 v122, v[74:75], v[72:73] offset0:19 offset1:20
	ds_write2_b64 v122, v[68:69], v[70:71] offset0:21 offset1:22
	;; [unrolled: 1-line block ×18, first 2 shown]
.LBB108_316:
	s_or_b32 exec_lo, exec_lo, s0
	s_mov_b32 s0, exec_lo
	s_waitcnt lgkmcnt(0)
	s_waitcnt_vscnt null, 0x0
	s_barrier
	buffer_gl0_inv
	v_cmpx_lt_i32_e32 18, v125
	s_cbranch_execz .LBB108_318
; %bb.317:
	v_mul_f64 v[76:77], v[0:1], v[76:77]
	ds_read2_b64 v[126:129], v122 offset0:19 offset1:20
	ds_read2_b64 v[130:133], v122 offset0:21 offset1:22
	;; [unrolled: 1-line block ×12, first 2 shown]
	s_waitcnt lgkmcnt(11)
	v_fma_f64 v[74:75], -v[76:77], v[126:127], v[74:75]
	v_fma_f64 v[72:73], -v[76:77], v[128:129], v[72:73]
	s_waitcnt lgkmcnt(10)
	v_fma_f64 v[68:69], -v[76:77], v[130:131], v[68:69]
	v_fma_f64 v[70:71], -v[76:77], v[132:133], v[70:71]
	;; [unrolled: 3-line block ×5, first 2 shown]
	ds_read2_b64 v[126:129], v122 offset0:43 offset1:44
	ds_read2_b64 v[130:133], v122 offset0:45 offset1:46
	s_waitcnt lgkmcnt(8)
	v_fma_f64 v[54:55], -v[76:77], v[146:147], v[54:55]
	v_fma_f64 v[52:53], -v[76:77], v[148:149], v[52:53]
	ds_read2_b64 v[134:137], v122 offset0:47 offset1:48
	ds_read2_b64 v[138:141], v122 offset0:49 offset1:50
	;; [unrolled: 1-line block ×4, first 2 shown]
	s_waitcnt lgkmcnt(11)
	v_fma_f64 v[48:49], -v[76:77], v[150:151], v[48:49]
	v_fma_f64 v[50:51], -v[76:77], v[152:153], v[50:51]
	s_waitcnt lgkmcnt(10)
	v_fma_f64 v[44:45], -v[76:77], v[154:155], v[44:45]
	v_fma_f64 v[46:47], -v[76:77], v[156:157], v[46:47]
	;; [unrolled: 3-line block ×12, first 2 shown]
.LBB108_318:
	s_or_b32 exec_lo, exec_lo, s0
	v_lshl_add_u32 v0, v125, 3, v122
	s_barrier
	buffer_gl0_inv
	v_mov_b32_e32 v116, 19
	ds_write_b64 v0, v[74:75]
	s_waitcnt lgkmcnt(0)
	s_barrier
	buffer_gl0_inv
	ds_read_b64 v[0:1], v122 offset:152
	s_cmp_lt_i32 s7, 21
	s_cbranch_scc1 .LBB108_321
; %bb.319:
	v_add3_u32 v117, v123, 0, 0xa0
	v_mov_b32_e32 v116, 19
	s_mov_b32 s0, 20
.LBB108_320:                            ; =>This Inner Loop Header: Depth=1
	ds_read_b64 v[126:127], v117
	v_add_nc_u32_e32 v117, 8, v117
	s_waitcnt lgkmcnt(0)
	v_cmp_lt_f64_e64 vcc_lo, |v[0:1]|, |v[126:127]|
	v_cndmask_b32_e32 v1, v1, v127, vcc_lo
	v_cndmask_b32_e32 v0, v0, v126, vcc_lo
	v_cndmask_b32_e64 v116, v116, s0, vcc_lo
	s_add_i32 s0, s0, 1
	s_cmp_lg_u32 s7, s0
	s_cbranch_scc1 .LBB108_320
.LBB108_321:
	s_mov_b32 s0, exec_lo
	s_waitcnt lgkmcnt(0)
	v_cmpx_eq_f64_e32 0, v[0:1]
	s_xor_b32 s0, exec_lo, s0
; %bb.322:
	v_cmp_ne_u32_e32 vcc_lo, 0, v119
	v_cndmask_b32_e32 v119, 20, v119, vcc_lo
; %bb.323:
	s_andn2_saveexec_b32 s0, s0
	s_cbranch_execz .LBB108_325
; %bb.324:
	v_div_scale_f64 v[117:118], null, v[0:1], v[0:1], 1.0
	v_rcp_f64_e32 v[126:127], v[117:118]
	v_fma_f64 v[128:129], -v[117:118], v[126:127], 1.0
	v_fma_f64 v[126:127], v[126:127], v[128:129], v[126:127]
	v_fma_f64 v[128:129], -v[117:118], v[126:127], 1.0
	v_fma_f64 v[126:127], v[126:127], v[128:129], v[126:127]
	v_div_scale_f64 v[128:129], vcc_lo, 1.0, v[0:1], 1.0
	v_mul_f64 v[130:131], v[128:129], v[126:127]
	v_fma_f64 v[117:118], -v[117:118], v[130:131], v[128:129]
	v_div_fmas_f64 v[117:118], v[117:118], v[126:127], v[130:131]
	v_div_fixup_f64 v[0:1], v[117:118], v[0:1], 1.0
.LBB108_325:
	s_or_b32 exec_lo, exec_lo, s0
	s_mov_b32 s0, exec_lo
	v_cmpx_ne_u32_e64 v125, v116
	s_xor_b32 s0, exec_lo, s0
	s_cbranch_execz .LBB108_331
; %bb.326:
	s_mov_b32 s1, exec_lo
	v_cmpx_eq_u32_e32 19, v125
	s_cbranch_execz .LBB108_330
; %bb.327:
	v_cmp_ne_u32_e32 vcc_lo, 19, v116
	s_xor_b32 s2, s6, -1
	s_and_b32 s3, s2, vcc_lo
	s_and_saveexec_b32 s2, s3
	s_cbranch_execz .LBB108_329
; %bb.328:
	v_ashrrev_i32_e32 v117, 31, v116
	v_lshlrev_b64 v[117:118], 2, v[116:117]
	v_add_co_u32 v117, vcc_lo, v4, v117
	v_add_co_ci_u32_e64 v118, null, v5, v118, vcc_lo
	s_clause 0x1
	global_load_dword v124, v[117:118], off
	global_load_dword v125, v[4:5], off offset:76
	s_waitcnt vmcnt(1)
	global_store_dword v[4:5], v124, off offset:76
	s_waitcnt vmcnt(0)
	global_store_dword v[117:118], v125, off
.LBB108_329:
	s_or_b32 exec_lo, exec_lo, s2
	v_mov_b32_e32 v124, v116
	v_mov_b32_e32 v125, v116
.LBB108_330:
	s_or_b32 exec_lo, exec_lo, s1
.LBB108_331:
	s_andn2_saveexec_b32 s0, s0
	s_cbranch_execz .LBB108_333
; %bb.332:
	v_mov_b32_e32 v116, v72
	v_mov_b32_e32 v117, v73
	;; [unrolled: 1-line block ×12, first 2 shown]
	ds_write2_b64 v122, v[116:117], v[125:126] offset0:20 offset1:21
	ds_write2_b64 v122, v[127:128], v[129:130] offset0:22 offset1:23
	;; [unrolled: 1-line block ×3, first 2 shown]
	v_mov_b32_e32 v116, v60
	v_mov_b32_e32 v117, v61
	;; [unrolled: 1-line block ×20, first 2 shown]
	ds_write2_b64 v122, v[116:117], v[125:126] offset0:26 offset1:27
	ds_write2_b64 v122, v[127:128], v[129:130] offset0:28 offset1:29
	;; [unrolled: 1-line block ×5, first 2 shown]
	v_mov_b32_e32 v116, v40
	v_mov_b32_e32 v117, v41
	;; [unrolled: 1-line block ×20, first 2 shown]
	ds_write2_b64 v122, v[116:117], v[125:126] offset0:36 offset1:37
	ds_write2_b64 v122, v[127:128], v[129:130] offset0:38 offset1:39
	;; [unrolled: 1-line block ×5, first 2 shown]
	v_mov_b32_e32 v116, v20
	v_mov_b32_e32 v117, v21
	;; [unrolled: 1-line block ×8, first 2 shown]
	ds_write2_b64 v122, v[116:117], v[125:126] offset0:46 offset1:47
	v_mov_b32_e32 v125, 19
	v_mov_b32_e32 v131, v12
	;; [unrolled: 1-line block ×9, first 2 shown]
	ds_write2_b64 v122, v[127:128], v[129:130] offset0:48 offset1:49
	ds_write2_b64 v122, v[131:132], v[133:134] offset0:50 offset1:51
	;; [unrolled: 1-line block ×3, first 2 shown]
	ds_write_b64 v122, v[114:115] offset:432
.LBB108_333:
	s_or_b32 exec_lo, exec_lo, s0
	s_mov_b32 s0, exec_lo
	s_waitcnt lgkmcnt(0)
	s_waitcnt_vscnt null, 0x0
	s_barrier
	buffer_gl0_inv
	v_cmpx_lt_i32_e32 19, v125
	s_cbranch_execz .LBB108_335
; %bb.334:
	v_mul_f64 v[74:75], v[0:1], v[74:75]
	ds_read2_b64 v[126:129], v122 offset0:20 offset1:21
	ds_read2_b64 v[130:133], v122 offset0:22 offset1:23
	;; [unrolled: 1-line block ×12, first 2 shown]
	ds_read_b64 v[0:1], v122 offset:432
	s_waitcnt lgkmcnt(12)
	v_fma_f64 v[72:73], -v[74:75], v[126:127], v[72:73]
	v_fma_f64 v[68:69], -v[74:75], v[128:129], v[68:69]
	s_waitcnt lgkmcnt(11)
	v_fma_f64 v[70:71], -v[74:75], v[130:131], v[70:71]
	v_fma_f64 v[64:65], -v[74:75], v[132:133], v[64:65]
	;; [unrolled: 3-line block ×5, first 2 shown]
	ds_read2_b64 v[126:129], v122 offset0:44 offset1:45
	ds_read2_b64 v[130:133], v122 offset0:46 offset1:47
	;; [unrolled: 1-line block ×5, first 2 shown]
	s_waitcnt lgkmcnt(12)
	v_fma_f64 v[52:53], -v[74:75], v[146:147], v[52:53]
	v_fma_f64 v[48:49], -v[74:75], v[148:149], v[48:49]
	s_waitcnt lgkmcnt(11)
	v_fma_f64 v[50:51], -v[74:75], v[150:151], v[50:51]
	v_fma_f64 v[44:45], -v[74:75], v[152:153], v[44:45]
	;; [unrolled: 3-line block ×7, first 2 shown]
	s_waitcnt lgkmcnt(5)
	v_fma_f64 v[114:115], -v[74:75], v[0:1], v[114:115]
	s_waitcnt lgkmcnt(4)
	v_fma_f64 v[26:27], -v[74:75], v[126:127], v[26:27]
	v_fma_f64 v[22:23], -v[74:75], v[128:129], v[22:23]
	s_waitcnt lgkmcnt(3)
	v_fma_f64 v[20:21], -v[74:75], v[130:131], v[20:21]
	;; [unrolled: 3-line block ×5, first 2 shown]
	v_fma_f64 v[6:7], -v[74:75], v[144:145], v[6:7]
.LBB108_335:
	s_or_b32 exec_lo, exec_lo, s0
	v_lshl_add_u32 v0, v125, 3, v122
	s_barrier
	buffer_gl0_inv
	v_mov_b32_e32 v116, 20
	ds_write_b64 v0, v[72:73]
	s_waitcnt lgkmcnt(0)
	s_barrier
	buffer_gl0_inv
	ds_read_b64 v[0:1], v122 offset:160
	s_cmp_lt_i32 s7, 22
	s_cbranch_scc1 .LBB108_338
; %bb.336:
	v_add3_u32 v117, v123, 0, 0xa8
	v_mov_b32_e32 v116, 20
	s_mov_b32 s0, 21
.LBB108_337:                            ; =>This Inner Loop Header: Depth=1
	ds_read_b64 v[126:127], v117
	v_add_nc_u32_e32 v117, 8, v117
	s_waitcnt lgkmcnt(0)
	v_cmp_lt_f64_e64 vcc_lo, |v[0:1]|, |v[126:127]|
	v_cndmask_b32_e32 v1, v1, v127, vcc_lo
	v_cndmask_b32_e32 v0, v0, v126, vcc_lo
	v_cndmask_b32_e64 v116, v116, s0, vcc_lo
	s_add_i32 s0, s0, 1
	s_cmp_lg_u32 s7, s0
	s_cbranch_scc1 .LBB108_337
.LBB108_338:
	s_mov_b32 s0, exec_lo
	s_waitcnt lgkmcnt(0)
	v_cmpx_eq_f64_e32 0, v[0:1]
	s_xor_b32 s0, exec_lo, s0
; %bb.339:
	v_cmp_ne_u32_e32 vcc_lo, 0, v119
	v_cndmask_b32_e32 v119, 21, v119, vcc_lo
; %bb.340:
	s_andn2_saveexec_b32 s0, s0
	s_cbranch_execz .LBB108_342
; %bb.341:
	v_div_scale_f64 v[117:118], null, v[0:1], v[0:1], 1.0
	v_rcp_f64_e32 v[126:127], v[117:118]
	v_fma_f64 v[128:129], -v[117:118], v[126:127], 1.0
	v_fma_f64 v[126:127], v[126:127], v[128:129], v[126:127]
	v_fma_f64 v[128:129], -v[117:118], v[126:127], 1.0
	v_fma_f64 v[126:127], v[126:127], v[128:129], v[126:127]
	v_div_scale_f64 v[128:129], vcc_lo, 1.0, v[0:1], 1.0
	v_mul_f64 v[130:131], v[128:129], v[126:127]
	v_fma_f64 v[117:118], -v[117:118], v[130:131], v[128:129]
	v_div_fmas_f64 v[117:118], v[117:118], v[126:127], v[130:131]
	v_div_fixup_f64 v[0:1], v[117:118], v[0:1], 1.0
.LBB108_342:
	s_or_b32 exec_lo, exec_lo, s0
	s_mov_b32 s0, exec_lo
	v_cmpx_ne_u32_e64 v125, v116
	s_xor_b32 s0, exec_lo, s0
	s_cbranch_execz .LBB108_348
; %bb.343:
	s_mov_b32 s1, exec_lo
	v_cmpx_eq_u32_e32 20, v125
	s_cbranch_execz .LBB108_347
; %bb.344:
	v_cmp_ne_u32_e32 vcc_lo, 20, v116
	s_xor_b32 s2, s6, -1
	s_and_b32 s3, s2, vcc_lo
	s_and_saveexec_b32 s2, s3
	s_cbranch_execz .LBB108_346
; %bb.345:
	v_ashrrev_i32_e32 v117, 31, v116
	v_lshlrev_b64 v[117:118], 2, v[116:117]
	v_add_co_u32 v117, vcc_lo, v4, v117
	v_add_co_ci_u32_e64 v118, null, v5, v118, vcc_lo
	s_clause 0x1
	global_load_dword v124, v[117:118], off
	global_load_dword v125, v[4:5], off offset:80
	s_waitcnt vmcnt(1)
	global_store_dword v[4:5], v124, off offset:80
	s_waitcnt vmcnt(0)
	global_store_dword v[117:118], v125, off
.LBB108_346:
	s_or_b32 exec_lo, exec_lo, s2
	v_mov_b32_e32 v124, v116
	v_mov_b32_e32 v125, v116
.LBB108_347:
	s_or_b32 exec_lo, exec_lo, s1
.LBB108_348:
	s_andn2_saveexec_b32 s0, s0
	s_cbranch_execz .LBB108_350
; %bb.349:
	v_mov_b32_e32 v125, 20
	ds_write2_b64 v122, v[68:69], v[70:71] offset0:21 offset1:22
	ds_write2_b64 v122, v[64:65], v[66:67] offset0:23 offset1:24
	;; [unrolled: 1-line block ×17, first 2 shown]
.LBB108_350:
	s_or_b32 exec_lo, exec_lo, s0
	s_mov_b32 s0, exec_lo
	s_waitcnt lgkmcnt(0)
	s_waitcnt_vscnt null, 0x0
	s_barrier
	buffer_gl0_inv
	v_cmpx_lt_i32_e32 20, v125
	s_cbranch_execz .LBB108_352
; %bb.351:
	v_mul_f64 v[72:73], v[0:1], v[72:73]
	ds_read2_b64 v[126:129], v122 offset0:21 offset1:22
	ds_read2_b64 v[130:133], v122 offset0:23 offset1:24
	ds_read2_b64 v[134:137], v122 offset0:25 offset1:26
	ds_read2_b64 v[138:141], v122 offset0:27 offset1:28
	ds_read2_b64 v[142:145], v122 offset0:29 offset1:30
	ds_read2_b64 v[146:149], v122 offset0:31 offset1:32
	ds_read2_b64 v[150:153], v122 offset0:33 offset1:34
	ds_read2_b64 v[154:157], v122 offset0:35 offset1:36
	ds_read2_b64 v[158:161], v122 offset0:37 offset1:38
	ds_read2_b64 v[162:165], v122 offset0:39 offset1:40
	ds_read2_b64 v[166:169], v122 offset0:41 offset1:42
	ds_read2_b64 v[170:173], v122 offset0:43 offset1:44
	ds_read2_b64 v[174:177], v122 offset0:45 offset1:46
	s_waitcnt lgkmcnt(12)
	v_fma_f64 v[68:69], -v[72:73], v[126:127], v[68:69]
	v_fma_f64 v[70:71], -v[72:73], v[128:129], v[70:71]
	s_waitcnt lgkmcnt(11)
	v_fma_f64 v[64:65], -v[72:73], v[130:131], v[64:65]
	v_fma_f64 v[66:67], -v[72:73], v[132:133], v[66:67]
	;; [unrolled: 3-line block ×4, first 2 shown]
	ds_read2_b64 v[126:129], v122 offset0:47 offset1:48
	ds_read2_b64 v[130:133], v122 offset0:49 offset1:50
	;; [unrolled: 1-line block ×4, first 2 shown]
	s_waitcnt lgkmcnt(12)
	v_fma_f64 v[54:55], -v[72:73], v[142:143], v[54:55]
	v_fma_f64 v[52:53], -v[72:73], v[144:145], v[52:53]
	s_waitcnt lgkmcnt(11)
	v_fma_f64 v[48:49], -v[72:73], v[146:147], v[48:49]
	v_fma_f64 v[50:51], -v[72:73], v[148:149], v[50:51]
	;; [unrolled: 3-line block ×13, first 2 shown]
.LBB108_352:
	s_or_b32 exec_lo, exec_lo, s0
	v_lshl_add_u32 v0, v125, 3, v122
	s_barrier
	buffer_gl0_inv
	v_mov_b32_e32 v116, 21
	ds_write_b64 v0, v[68:69]
	s_waitcnt lgkmcnt(0)
	s_barrier
	buffer_gl0_inv
	ds_read_b64 v[0:1], v122 offset:168
	s_cmp_lt_i32 s7, 23
	s_cbranch_scc1 .LBB108_355
; %bb.353:
	v_add3_u32 v117, v123, 0, 0xb0
	v_mov_b32_e32 v116, 21
	s_mov_b32 s0, 22
.LBB108_354:                            ; =>This Inner Loop Header: Depth=1
	ds_read_b64 v[126:127], v117
	v_add_nc_u32_e32 v117, 8, v117
	s_waitcnt lgkmcnt(0)
	v_cmp_lt_f64_e64 vcc_lo, |v[0:1]|, |v[126:127]|
	v_cndmask_b32_e32 v1, v1, v127, vcc_lo
	v_cndmask_b32_e32 v0, v0, v126, vcc_lo
	v_cndmask_b32_e64 v116, v116, s0, vcc_lo
	s_add_i32 s0, s0, 1
	s_cmp_lg_u32 s7, s0
	s_cbranch_scc1 .LBB108_354
.LBB108_355:
	s_mov_b32 s0, exec_lo
	s_waitcnt lgkmcnt(0)
	v_cmpx_eq_f64_e32 0, v[0:1]
	s_xor_b32 s0, exec_lo, s0
; %bb.356:
	v_cmp_ne_u32_e32 vcc_lo, 0, v119
	v_cndmask_b32_e32 v119, 22, v119, vcc_lo
; %bb.357:
	s_andn2_saveexec_b32 s0, s0
	s_cbranch_execz .LBB108_359
; %bb.358:
	v_div_scale_f64 v[117:118], null, v[0:1], v[0:1], 1.0
	v_rcp_f64_e32 v[126:127], v[117:118]
	v_fma_f64 v[128:129], -v[117:118], v[126:127], 1.0
	v_fma_f64 v[126:127], v[126:127], v[128:129], v[126:127]
	v_fma_f64 v[128:129], -v[117:118], v[126:127], 1.0
	v_fma_f64 v[126:127], v[126:127], v[128:129], v[126:127]
	v_div_scale_f64 v[128:129], vcc_lo, 1.0, v[0:1], 1.0
	v_mul_f64 v[130:131], v[128:129], v[126:127]
	v_fma_f64 v[117:118], -v[117:118], v[130:131], v[128:129]
	v_div_fmas_f64 v[117:118], v[117:118], v[126:127], v[130:131]
	v_div_fixup_f64 v[0:1], v[117:118], v[0:1], 1.0
.LBB108_359:
	s_or_b32 exec_lo, exec_lo, s0
	s_mov_b32 s0, exec_lo
	v_cmpx_ne_u32_e64 v125, v116
	s_xor_b32 s0, exec_lo, s0
	s_cbranch_execz .LBB108_365
; %bb.360:
	s_mov_b32 s1, exec_lo
	v_cmpx_eq_u32_e32 21, v125
	s_cbranch_execz .LBB108_364
; %bb.361:
	v_cmp_ne_u32_e32 vcc_lo, 21, v116
	s_xor_b32 s2, s6, -1
	s_and_b32 s3, s2, vcc_lo
	s_and_saveexec_b32 s2, s3
	s_cbranch_execz .LBB108_363
; %bb.362:
	v_ashrrev_i32_e32 v117, 31, v116
	v_lshlrev_b64 v[117:118], 2, v[116:117]
	v_add_co_u32 v117, vcc_lo, v4, v117
	v_add_co_ci_u32_e64 v118, null, v5, v118, vcc_lo
	s_clause 0x1
	global_load_dword v124, v[117:118], off
	global_load_dword v125, v[4:5], off offset:84
	s_waitcnt vmcnt(1)
	global_store_dword v[4:5], v124, off offset:84
	s_waitcnt vmcnt(0)
	global_store_dword v[117:118], v125, off
.LBB108_363:
	s_or_b32 exec_lo, exec_lo, s2
	v_mov_b32_e32 v124, v116
	v_mov_b32_e32 v125, v116
.LBB108_364:
	s_or_b32 exec_lo, exec_lo, s1
.LBB108_365:
	s_andn2_saveexec_b32 s0, s0
	s_cbranch_execz .LBB108_367
; %bb.366:
	v_mov_b32_e32 v116, v70
	v_mov_b32_e32 v117, v71
	;; [unrolled: 1-line block ×8, first 2 shown]
	ds_write2_b64 v122, v[116:117], v[125:126] offset0:22 offset1:23
	ds_write2_b64 v122, v[127:128], v[129:130] offset0:24 offset1:25
	v_mov_b32_e32 v116, v60
	v_mov_b32_e32 v117, v61
	;; [unrolled: 1-line block ×20, first 2 shown]
	ds_write2_b64 v122, v[116:117], v[125:126] offset0:26 offset1:27
	ds_write2_b64 v122, v[127:128], v[129:130] offset0:28 offset1:29
	;; [unrolled: 1-line block ×5, first 2 shown]
	v_mov_b32_e32 v116, v40
	v_mov_b32_e32 v117, v41
	;; [unrolled: 1-line block ×20, first 2 shown]
	ds_write2_b64 v122, v[116:117], v[125:126] offset0:36 offset1:37
	ds_write2_b64 v122, v[127:128], v[129:130] offset0:38 offset1:39
	;; [unrolled: 1-line block ×5, first 2 shown]
	v_mov_b32_e32 v116, v20
	v_mov_b32_e32 v117, v21
	;; [unrolled: 1-line block ×8, first 2 shown]
	ds_write2_b64 v122, v[116:117], v[125:126] offset0:46 offset1:47
	v_mov_b32_e32 v125, 21
	v_mov_b32_e32 v131, v12
	;; [unrolled: 1-line block ×9, first 2 shown]
	ds_write2_b64 v122, v[127:128], v[129:130] offset0:48 offset1:49
	ds_write2_b64 v122, v[131:132], v[133:134] offset0:50 offset1:51
	;; [unrolled: 1-line block ×3, first 2 shown]
	ds_write_b64 v122, v[114:115] offset:432
.LBB108_367:
	s_or_b32 exec_lo, exec_lo, s0
	s_mov_b32 s0, exec_lo
	s_waitcnt lgkmcnt(0)
	s_waitcnt_vscnt null, 0x0
	s_barrier
	buffer_gl0_inv
	v_cmpx_lt_i32_e32 21, v125
	s_cbranch_execz .LBB108_369
; %bb.368:
	v_mul_f64 v[68:69], v[0:1], v[68:69]
	ds_read2_b64 v[126:129], v122 offset0:22 offset1:23
	ds_read2_b64 v[130:133], v122 offset0:24 offset1:25
	;; [unrolled: 1-line block ×13, first 2 shown]
	ds_read_b64 v[0:1], v122 offset:432
	s_waitcnt lgkmcnt(13)
	v_fma_f64 v[70:71], -v[68:69], v[126:127], v[70:71]
	v_fma_f64 v[64:65], -v[68:69], v[128:129], v[64:65]
	s_waitcnt lgkmcnt(12)
	v_fma_f64 v[66:67], -v[68:69], v[130:131], v[66:67]
	v_fma_f64 v[62:63], -v[68:69], v[132:133], v[62:63]
	;; [unrolled: 3-line block ×3, first 2 shown]
	ds_read2_b64 v[126:129], v122 offset0:48 offset1:49
	ds_read2_b64 v[130:133], v122 offset0:50 offset1:51
	;; [unrolled: 1-line block ×3, first 2 shown]
	s_waitcnt lgkmcnt(13)
	v_fma_f64 v[56:57], -v[68:69], v[138:139], v[56:57]
	v_fma_f64 v[54:55], -v[68:69], v[140:141], v[54:55]
	s_waitcnt lgkmcnt(12)
	v_fma_f64 v[52:53], -v[68:69], v[142:143], v[52:53]
	v_fma_f64 v[48:49], -v[68:69], v[144:145], v[48:49]
	;; [unrolled: 3-line block ×13, first 2 shown]
	v_fma_f64 v[114:115], -v[68:69], v[0:1], v[114:115]
.LBB108_369:
	s_or_b32 exec_lo, exec_lo, s0
	v_lshl_add_u32 v0, v125, 3, v122
	s_barrier
	buffer_gl0_inv
	v_mov_b32_e32 v116, 22
	ds_write_b64 v0, v[70:71]
	s_waitcnt lgkmcnt(0)
	s_barrier
	buffer_gl0_inv
	ds_read_b64 v[0:1], v122 offset:176
	s_cmp_lt_i32 s7, 24
	s_cbranch_scc1 .LBB108_372
; %bb.370:
	v_add3_u32 v117, v123, 0, 0xb8
	v_mov_b32_e32 v116, 22
	s_mov_b32 s0, 23
.LBB108_371:                            ; =>This Inner Loop Header: Depth=1
	ds_read_b64 v[126:127], v117
	v_add_nc_u32_e32 v117, 8, v117
	s_waitcnt lgkmcnt(0)
	v_cmp_lt_f64_e64 vcc_lo, |v[0:1]|, |v[126:127]|
	v_cndmask_b32_e32 v1, v1, v127, vcc_lo
	v_cndmask_b32_e32 v0, v0, v126, vcc_lo
	v_cndmask_b32_e64 v116, v116, s0, vcc_lo
	s_add_i32 s0, s0, 1
	s_cmp_lg_u32 s7, s0
	s_cbranch_scc1 .LBB108_371
.LBB108_372:
	s_mov_b32 s0, exec_lo
	s_waitcnt lgkmcnt(0)
	v_cmpx_eq_f64_e32 0, v[0:1]
	s_xor_b32 s0, exec_lo, s0
; %bb.373:
	v_cmp_ne_u32_e32 vcc_lo, 0, v119
	v_cndmask_b32_e32 v119, 23, v119, vcc_lo
; %bb.374:
	s_andn2_saveexec_b32 s0, s0
	s_cbranch_execz .LBB108_376
; %bb.375:
	v_div_scale_f64 v[117:118], null, v[0:1], v[0:1], 1.0
	v_rcp_f64_e32 v[126:127], v[117:118]
	v_fma_f64 v[128:129], -v[117:118], v[126:127], 1.0
	v_fma_f64 v[126:127], v[126:127], v[128:129], v[126:127]
	v_fma_f64 v[128:129], -v[117:118], v[126:127], 1.0
	v_fma_f64 v[126:127], v[126:127], v[128:129], v[126:127]
	v_div_scale_f64 v[128:129], vcc_lo, 1.0, v[0:1], 1.0
	v_mul_f64 v[130:131], v[128:129], v[126:127]
	v_fma_f64 v[117:118], -v[117:118], v[130:131], v[128:129]
	v_div_fmas_f64 v[117:118], v[117:118], v[126:127], v[130:131]
	v_div_fixup_f64 v[0:1], v[117:118], v[0:1], 1.0
.LBB108_376:
	s_or_b32 exec_lo, exec_lo, s0
	s_mov_b32 s0, exec_lo
	v_cmpx_ne_u32_e64 v125, v116
	s_xor_b32 s0, exec_lo, s0
	s_cbranch_execz .LBB108_382
; %bb.377:
	s_mov_b32 s1, exec_lo
	v_cmpx_eq_u32_e32 22, v125
	s_cbranch_execz .LBB108_381
; %bb.378:
	v_cmp_ne_u32_e32 vcc_lo, 22, v116
	s_xor_b32 s2, s6, -1
	s_and_b32 s3, s2, vcc_lo
	s_and_saveexec_b32 s2, s3
	s_cbranch_execz .LBB108_380
; %bb.379:
	v_ashrrev_i32_e32 v117, 31, v116
	v_lshlrev_b64 v[117:118], 2, v[116:117]
	v_add_co_u32 v117, vcc_lo, v4, v117
	v_add_co_ci_u32_e64 v118, null, v5, v118, vcc_lo
	s_clause 0x1
	global_load_dword v124, v[117:118], off
	global_load_dword v125, v[4:5], off offset:88
	s_waitcnt vmcnt(1)
	global_store_dword v[4:5], v124, off offset:88
	s_waitcnt vmcnt(0)
	global_store_dword v[117:118], v125, off
.LBB108_380:
	s_or_b32 exec_lo, exec_lo, s2
	v_mov_b32_e32 v124, v116
	v_mov_b32_e32 v125, v116
.LBB108_381:
	s_or_b32 exec_lo, exec_lo, s1
.LBB108_382:
	s_andn2_saveexec_b32 s0, s0
	s_cbranch_execz .LBB108_384
; %bb.383:
	v_mov_b32_e32 v125, 22
	ds_write2_b64 v122, v[64:65], v[66:67] offset0:23 offset1:24
	ds_write2_b64 v122, v[62:63], v[60:61] offset0:25 offset1:26
	;; [unrolled: 1-line block ×16, first 2 shown]
.LBB108_384:
	s_or_b32 exec_lo, exec_lo, s0
	s_mov_b32 s0, exec_lo
	s_waitcnt lgkmcnt(0)
	s_waitcnt_vscnt null, 0x0
	s_barrier
	buffer_gl0_inv
	v_cmpx_lt_i32_e32 22, v125
	s_cbranch_execz .LBB108_386
; %bb.385:
	v_mul_f64 v[70:71], v[0:1], v[70:71]
	ds_read2_b64 v[126:129], v122 offset0:23 offset1:24
	ds_read2_b64 v[130:133], v122 offset0:25 offset1:26
	;; [unrolled: 1-line block ×13, first 2 shown]
	s_waitcnt lgkmcnt(12)
	v_fma_f64 v[64:65], -v[70:71], v[126:127], v[64:65]
	v_fma_f64 v[66:67], -v[70:71], v[128:129], v[66:67]
	s_waitcnt lgkmcnt(11)
	v_fma_f64 v[62:63], -v[70:71], v[130:131], v[62:63]
	v_fma_f64 v[60:61], -v[70:71], v[132:133], v[60:61]
	;; [unrolled: 3-line block ×3, first 2 shown]
	ds_read2_b64 v[126:129], v122 offset0:49 offset1:50
	ds_read2_b64 v[130:133], v122 offset0:51 offset1:52
	;; [unrolled: 1-line block ×3, first 2 shown]
	s_waitcnt lgkmcnt(12)
	v_fma_f64 v[54:55], -v[70:71], v[138:139], v[54:55]
	v_fma_f64 v[52:53], -v[70:71], v[140:141], v[52:53]
	s_waitcnt lgkmcnt(11)
	v_fma_f64 v[48:49], -v[70:71], v[142:143], v[48:49]
	v_fma_f64 v[50:51], -v[70:71], v[144:145], v[50:51]
	;; [unrolled: 3-line block ×13, first 2 shown]
.LBB108_386:
	s_or_b32 exec_lo, exec_lo, s0
	v_lshl_add_u32 v0, v125, 3, v122
	s_barrier
	buffer_gl0_inv
	v_mov_b32_e32 v116, 23
	ds_write_b64 v0, v[64:65]
	s_waitcnt lgkmcnt(0)
	s_barrier
	buffer_gl0_inv
	ds_read_b64 v[0:1], v122 offset:184
	s_cmp_lt_i32 s7, 25
	s_cbranch_scc1 .LBB108_389
; %bb.387:
	v_add3_u32 v117, v123, 0, 0xc0
	v_mov_b32_e32 v116, 23
	s_mov_b32 s0, 24
.LBB108_388:                            ; =>This Inner Loop Header: Depth=1
	ds_read_b64 v[126:127], v117
	v_add_nc_u32_e32 v117, 8, v117
	s_waitcnt lgkmcnt(0)
	v_cmp_lt_f64_e64 vcc_lo, |v[0:1]|, |v[126:127]|
	v_cndmask_b32_e32 v1, v1, v127, vcc_lo
	v_cndmask_b32_e32 v0, v0, v126, vcc_lo
	v_cndmask_b32_e64 v116, v116, s0, vcc_lo
	s_add_i32 s0, s0, 1
	s_cmp_lg_u32 s7, s0
	s_cbranch_scc1 .LBB108_388
.LBB108_389:
	s_mov_b32 s0, exec_lo
	s_waitcnt lgkmcnt(0)
	v_cmpx_eq_f64_e32 0, v[0:1]
	s_xor_b32 s0, exec_lo, s0
; %bb.390:
	v_cmp_ne_u32_e32 vcc_lo, 0, v119
	v_cndmask_b32_e32 v119, 24, v119, vcc_lo
; %bb.391:
	s_andn2_saveexec_b32 s0, s0
	s_cbranch_execz .LBB108_393
; %bb.392:
	v_div_scale_f64 v[117:118], null, v[0:1], v[0:1], 1.0
	v_rcp_f64_e32 v[126:127], v[117:118]
	v_fma_f64 v[128:129], -v[117:118], v[126:127], 1.0
	v_fma_f64 v[126:127], v[126:127], v[128:129], v[126:127]
	v_fma_f64 v[128:129], -v[117:118], v[126:127], 1.0
	v_fma_f64 v[126:127], v[126:127], v[128:129], v[126:127]
	v_div_scale_f64 v[128:129], vcc_lo, 1.0, v[0:1], 1.0
	v_mul_f64 v[130:131], v[128:129], v[126:127]
	v_fma_f64 v[117:118], -v[117:118], v[130:131], v[128:129]
	v_div_fmas_f64 v[117:118], v[117:118], v[126:127], v[130:131]
	v_div_fixup_f64 v[0:1], v[117:118], v[0:1], 1.0
.LBB108_393:
	s_or_b32 exec_lo, exec_lo, s0
	s_mov_b32 s0, exec_lo
	v_cmpx_ne_u32_e64 v125, v116
	s_xor_b32 s0, exec_lo, s0
	s_cbranch_execz .LBB108_399
; %bb.394:
	s_mov_b32 s1, exec_lo
	v_cmpx_eq_u32_e32 23, v125
	s_cbranch_execz .LBB108_398
; %bb.395:
	v_cmp_ne_u32_e32 vcc_lo, 23, v116
	s_xor_b32 s2, s6, -1
	s_and_b32 s3, s2, vcc_lo
	s_and_saveexec_b32 s2, s3
	s_cbranch_execz .LBB108_397
; %bb.396:
	v_ashrrev_i32_e32 v117, 31, v116
	v_lshlrev_b64 v[117:118], 2, v[116:117]
	v_add_co_u32 v117, vcc_lo, v4, v117
	v_add_co_ci_u32_e64 v118, null, v5, v118, vcc_lo
	s_clause 0x1
	global_load_dword v124, v[117:118], off
	global_load_dword v125, v[4:5], off offset:92
	s_waitcnt vmcnt(1)
	global_store_dword v[4:5], v124, off offset:92
	s_waitcnt vmcnt(0)
	global_store_dword v[117:118], v125, off
.LBB108_397:
	s_or_b32 exec_lo, exec_lo, s2
	v_mov_b32_e32 v124, v116
	v_mov_b32_e32 v125, v116
.LBB108_398:
	s_or_b32 exec_lo, exec_lo, s1
.LBB108_399:
	s_andn2_saveexec_b32 s0, s0
	s_cbranch_execz .LBB108_401
; %bb.400:
	v_mov_b32_e32 v116, v66
	v_mov_b32_e32 v117, v67
	;; [unrolled: 1-line block ×8, first 2 shown]
	ds_write2_b64 v122, v[116:117], v[125:126] offset0:24 offset1:25
	v_mov_b32_e32 v116, v58
	v_mov_b32_e32 v117, v59
	;; [unrolled: 1-line block ×16, first 2 shown]
	ds_write2_b64 v122, v[127:128], v[116:117] offset0:26 offset1:27
	ds_write2_b64 v122, v[125:126], v[129:130] offset0:28 offset1:29
	ds_write2_b64 v122, v[131:132], v[133:134] offset0:30 offset1:31
	ds_write2_b64 v122, v[135:136], v[137:138] offset0:32 offset1:33
	ds_write2_b64 v122, v[139:140], v[141:142] offset0:34 offset1:35
	v_mov_b32_e32 v116, v40
	v_mov_b32_e32 v117, v41
	;; [unrolled: 1-line block ×20, first 2 shown]
	ds_write2_b64 v122, v[116:117], v[125:126] offset0:36 offset1:37
	ds_write2_b64 v122, v[127:128], v[129:130] offset0:38 offset1:39
	;; [unrolled: 1-line block ×5, first 2 shown]
	v_mov_b32_e32 v116, v20
	v_mov_b32_e32 v117, v21
	;; [unrolled: 1-line block ×8, first 2 shown]
	ds_write2_b64 v122, v[116:117], v[125:126] offset0:46 offset1:47
	v_mov_b32_e32 v125, 23
	v_mov_b32_e32 v131, v12
	;; [unrolled: 1-line block ×9, first 2 shown]
	ds_write2_b64 v122, v[127:128], v[129:130] offset0:48 offset1:49
	ds_write2_b64 v122, v[131:132], v[133:134] offset0:50 offset1:51
	;; [unrolled: 1-line block ×3, first 2 shown]
	ds_write_b64 v122, v[114:115] offset:432
.LBB108_401:
	s_or_b32 exec_lo, exec_lo, s0
	s_mov_b32 s0, exec_lo
	s_waitcnt lgkmcnt(0)
	s_waitcnt_vscnt null, 0x0
	s_barrier
	buffer_gl0_inv
	v_cmpx_lt_i32_e32 23, v125
	s_cbranch_execz .LBB108_403
; %bb.402:
	v_mul_f64 v[64:65], v[0:1], v[64:65]
	ds_read2_b64 v[126:129], v122 offset0:24 offset1:25
	ds_read2_b64 v[130:133], v122 offset0:26 offset1:27
	;; [unrolled: 1-line block ×13, first 2 shown]
	ds_read_b64 v[0:1], v122 offset:432
	s_waitcnt lgkmcnt(13)
	v_fma_f64 v[66:67], -v[64:65], v[126:127], v[66:67]
	v_fma_f64 v[62:63], -v[64:65], v[128:129], v[62:63]
	s_waitcnt lgkmcnt(12)
	v_fma_f64 v[60:61], -v[64:65], v[130:131], v[60:61]
	v_fma_f64 v[58:59], -v[64:65], v[132:133], v[58:59]
	ds_read2_b64 v[126:129], v122 offset0:50 offset1:51
	ds_read2_b64 v[130:133], v122 offset0:52 offset1:53
	s_waitcnt lgkmcnt(13)
	v_fma_f64 v[56:57], -v[64:65], v[134:135], v[56:57]
	v_fma_f64 v[54:55], -v[64:65], v[136:137], v[54:55]
	s_waitcnt lgkmcnt(12)
	v_fma_f64 v[52:53], -v[64:65], v[138:139], v[52:53]
	v_fma_f64 v[48:49], -v[64:65], v[140:141], v[48:49]
	;; [unrolled: 3-line block ×13, first 2 shown]
	v_fma_f64 v[114:115], -v[64:65], v[0:1], v[114:115]
.LBB108_403:
	s_or_b32 exec_lo, exec_lo, s0
	v_lshl_add_u32 v0, v125, 3, v122
	s_barrier
	buffer_gl0_inv
	v_mov_b32_e32 v116, 24
	ds_write_b64 v0, v[66:67]
	s_waitcnt lgkmcnt(0)
	s_barrier
	buffer_gl0_inv
	ds_read_b64 v[0:1], v122 offset:192
	s_cmp_lt_i32 s7, 26
	s_cbranch_scc1 .LBB108_406
; %bb.404:
	v_add3_u32 v117, v123, 0, 0xc8
	v_mov_b32_e32 v116, 24
	s_mov_b32 s0, 25
.LBB108_405:                            ; =>This Inner Loop Header: Depth=1
	ds_read_b64 v[126:127], v117
	v_add_nc_u32_e32 v117, 8, v117
	s_waitcnt lgkmcnt(0)
	v_cmp_lt_f64_e64 vcc_lo, |v[0:1]|, |v[126:127]|
	v_cndmask_b32_e32 v1, v1, v127, vcc_lo
	v_cndmask_b32_e32 v0, v0, v126, vcc_lo
	v_cndmask_b32_e64 v116, v116, s0, vcc_lo
	s_add_i32 s0, s0, 1
	s_cmp_lg_u32 s7, s0
	s_cbranch_scc1 .LBB108_405
.LBB108_406:
	s_mov_b32 s0, exec_lo
	s_waitcnt lgkmcnt(0)
	v_cmpx_eq_f64_e32 0, v[0:1]
	s_xor_b32 s0, exec_lo, s0
; %bb.407:
	v_cmp_ne_u32_e32 vcc_lo, 0, v119
	v_cndmask_b32_e32 v119, 25, v119, vcc_lo
; %bb.408:
	s_andn2_saveexec_b32 s0, s0
	s_cbranch_execz .LBB108_410
; %bb.409:
	v_div_scale_f64 v[117:118], null, v[0:1], v[0:1], 1.0
	v_rcp_f64_e32 v[126:127], v[117:118]
	v_fma_f64 v[128:129], -v[117:118], v[126:127], 1.0
	v_fma_f64 v[126:127], v[126:127], v[128:129], v[126:127]
	v_fma_f64 v[128:129], -v[117:118], v[126:127], 1.0
	v_fma_f64 v[126:127], v[126:127], v[128:129], v[126:127]
	v_div_scale_f64 v[128:129], vcc_lo, 1.0, v[0:1], 1.0
	v_mul_f64 v[130:131], v[128:129], v[126:127]
	v_fma_f64 v[117:118], -v[117:118], v[130:131], v[128:129]
	v_div_fmas_f64 v[117:118], v[117:118], v[126:127], v[130:131]
	v_div_fixup_f64 v[0:1], v[117:118], v[0:1], 1.0
.LBB108_410:
	s_or_b32 exec_lo, exec_lo, s0
	s_mov_b32 s0, exec_lo
	v_cmpx_ne_u32_e64 v125, v116
	s_xor_b32 s0, exec_lo, s0
	s_cbranch_execz .LBB108_416
; %bb.411:
	s_mov_b32 s1, exec_lo
	v_cmpx_eq_u32_e32 24, v125
	s_cbranch_execz .LBB108_415
; %bb.412:
	v_cmp_ne_u32_e32 vcc_lo, 24, v116
	s_xor_b32 s2, s6, -1
	s_and_b32 s3, s2, vcc_lo
	s_and_saveexec_b32 s2, s3
	s_cbranch_execz .LBB108_414
; %bb.413:
	v_ashrrev_i32_e32 v117, 31, v116
	v_lshlrev_b64 v[117:118], 2, v[116:117]
	v_add_co_u32 v117, vcc_lo, v4, v117
	v_add_co_ci_u32_e64 v118, null, v5, v118, vcc_lo
	s_clause 0x1
	global_load_dword v124, v[117:118], off
	global_load_dword v125, v[4:5], off offset:96
	s_waitcnt vmcnt(1)
	global_store_dword v[4:5], v124, off offset:96
	s_waitcnt vmcnt(0)
	global_store_dword v[117:118], v125, off
.LBB108_414:
	s_or_b32 exec_lo, exec_lo, s2
	v_mov_b32_e32 v124, v116
	v_mov_b32_e32 v125, v116
.LBB108_415:
	s_or_b32 exec_lo, exec_lo, s1
.LBB108_416:
	s_andn2_saveexec_b32 s0, s0
	s_cbranch_execz .LBB108_418
; %bb.417:
	v_mov_b32_e32 v125, 24
	ds_write2_b64 v122, v[62:63], v[60:61] offset0:25 offset1:26
	ds_write2_b64 v122, v[58:59], v[56:57] offset0:27 offset1:28
	;; [unrolled: 1-line block ×15, first 2 shown]
.LBB108_418:
	s_or_b32 exec_lo, exec_lo, s0
	s_mov_b32 s0, exec_lo
	s_waitcnt lgkmcnt(0)
	s_waitcnt_vscnt null, 0x0
	s_barrier
	buffer_gl0_inv
	v_cmpx_lt_i32_e32 24, v125
	s_cbranch_execz .LBB108_420
; %bb.419:
	v_mul_f64 v[66:67], v[0:1], v[66:67]
	ds_read2_b64 v[126:129], v122 offset0:25 offset1:26
	ds_read2_b64 v[130:133], v122 offset0:27 offset1:28
	ds_read2_b64 v[134:137], v122 offset0:29 offset1:30
	ds_read2_b64 v[138:141], v122 offset0:31 offset1:32
	ds_read2_b64 v[142:145], v122 offset0:33 offset1:34
	ds_read2_b64 v[146:149], v122 offset0:35 offset1:36
	ds_read2_b64 v[150:153], v122 offset0:37 offset1:38
	ds_read2_b64 v[154:157], v122 offset0:39 offset1:40
	ds_read2_b64 v[158:161], v122 offset0:41 offset1:42
	ds_read2_b64 v[162:165], v122 offset0:43 offset1:44
	ds_read2_b64 v[166:169], v122 offset0:45 offset1:46
	ds_read2_b64 v[170:173], v122 offset0:47 offset1:48
	ds_read2_b64 v[174:177], v122 offset0:49 offset1:50
	ds_read2_b64 v[178:181], v122 offset0:51 offset1:52
	s_waitcnt lgkmcnt(13)
	v_fma_f64 v[62:63], -v[66:67], v[126:127], v[62:63]
	v_fma_f64 v[60:61], -v[66:67], v[128:129], v[60:61]
	ds_read2_b64 v[126:129], v122 offset0:53 offset1:54
	s_waitcnt lgkmcnt(13)
	v_fma_f64 v[58:59], -v[66:67], v[130:131], v[58:59]
	v_fma_f64 v[56:57], -v[66:67], v[132:133], v[56:57]
	s_waitcnt lgkmcnt(12)
	v_fma_f64 v[54:55], -v[66:67], v[134:135], v[54:55]
	v_fma_f64 v[52:53], -v[66:67], v[136:137], v[52:53]
	;; [unrolled: 3-line block ×14, first 2 shown]
.LBB108_420:
	s_or_b32 exec_lo, exec_lo, s0
	v_lshl_add_u32 v0, v125, 3, v122
	s_barrier
	buffer_gl0_inv
	v_mov_b32_e32 v116, 25
	ds_write_b64 v0, v[62:63]
	s_waitcnt lgkmcnt(0)
	s_barrier
	buffer_gl0_inv
	ds_read_b64 v[0:1], v122 offset:200
	s_cmp_lt_i32 s7, 27
	s_cbranch_scc1 .LBB108_423
; %bb.421:
	v_add3_u32 v117, v123, 0, 0xd0
	v_mov_b32_e32 v116, 25
	s_mov_b32 s0, 26
.LBB108_422:                            ; =>This Inner Loop Header: Depth=1
	ds_read_b64 v[126:127], v117
	v_add_nc_u32_e32 v117, 8, v117
	s_waitcnt lgkmcnt(0)
	v_cmp_lt_f64_e64 vcc_lo, |v[0:1]|, |v[126:127]|
	v_cndmask_b32_e32 v1, v1, v127, vcc_lo
	v_cndmask_b32_e32 v0, v0, v126, vcc_lo
	v_cndmask_b32_e64 v116, v116, s0, vcc_lo
	s_add_i32 s0, s0, 1
	s_cmp_lg_u32 s7, s0
	s_cbranch_scc1 .LBB108_422
.LBB108_423:
	s_mov_b32 s0, exec_lo
	s_waitcnt lgkmcnt(0)
	v_cmpx_eq_f64_e32 0, v[0:1]
	s_xor_b32 s0, exec_lo, s0
; %bb.424:
	v_cmp_ne_u32_e32 vcc_lo, 0, v119
	v_cndmask_b32_e32 v119, 26, v119, vcc_lo
; %bb.425:
	s_andn2_saveexec_b32 s0, s0
	s_cbranch_execz .LBB108_427
; %bb.426:
	v_div_scale_f64 v[117:118], null, v[0:1], v[0:1], 1.0
	v_rcp_f64_e32 v[126:127], v[117:118]
	v_fma_f64 v[128:129], -v[117:118], v[126:127], 1.0
	v_fma_f64 v[126:127], v[126:127], v[128:129], v[126:127]
	v_fma_f64 v[128:129], -v[117:118], v[126:127], 1.0
	v_fma_f64 v[126:127], v[126:127], v[128:129], v[126:127]
	v_div_scale_f64 v[128:129], vcc_lo, 1.0, v[0:1], 1.0
	v_mul_f64 v[130:131], v[128:129], v[126:127]
	v_fma_f64 v[117:118], -v[117:118], v[130:131], v[128:129]
	v_div_fmas_f64 v[117:118], v[117:118], v[126:127], v[130:131]
	v_div_fixup_f64 v[0:1], v[117:118], v[0:1], 1.0
.LBB108_427:
	s_or_b32 exec_lo, exec_lo, s0
	s_mov_b32 s0, exec_lo
	v_cmpx_ne_u32_e64 v125, v116
	s_xor_b32 s0, exec_lo, s0
	s_cbranch_execz .LBB108_433
; %bb.428:
	s_mov_b32 s1, exec_lo
	v_cmpx_eq_u32_e32 25, v125
	s_cbranch_execz .LBB108_432
; %bb.429:
	v_cmp_ne_u32_e32 vcc_lo, 25, v116
	s_xor_b32 s2, s6, -1
	s_and_b32 s3, s2, vcc_lo
	s_and_saveexec_b32 s2, s3
	s_cbranch_execz .LBB108_431
; %bb.430:
	v_ashrrev_i32_e32 v117, 31, v116
	v_lshlrev_b64 v[117:118], 2, v[116:117]
	v_add_co_u32 v117, vcc_lo, v4, v117
	v_add_co_ci_u32_e64 v118, null, v5, v118, vcc_lo
	s_clause 0x1
	global_load_dword v124, v[117:118], off
	global_load_dword v125, v[4:5], off offset:100
	s_waitcnt vmcnt(1)
	global_store_dword v[4:5], v124, off offset:100
	s_waitcnt vmcnt(0)
	global_store_dword v[117:118], v125, off
.LBB108_431:
	s_or_b32 exec_lo, exec_lo, s2
	v_mov_b32_e32 v124, v116
	v_mov_b32_e32 v125, v116
.LBB108_432:
	s_or_b32 exec_lo, exec_lo, s1
.LBB108_433:
	s_andn2_saveexec_b32 s0, s0
	s_cbranch_execz .LBB108_435
; %bb.434:
	v_mov_b32_e32 v116, v60
	v_mov_b32_e32 v117, v61
	;; [unrolled: 1-line block ×20, first 2 shown]
	ds_write2_b64 v122, v[116:117], v[125:126] offset0:26 offset1:27
	ds_write2_b64 v122, v[127:128], v[129:130] offset0:28 offset1:29
	;; [unrolled: 1-line block ×5, first 2 shown]
	v_mov_b32_e32 v116, v40
	v_mov_b32_e32 v117, v41
	;; [unrolled: 1-line block ×20, first 2 shown]
	ds_write2_b64 v122, v[116:117], v[125:126] offset0:36 offset1:37
	ds_write2_b64 v122, v[127:128], v[129:130] offset0:38 offset1:39
	;; [unrolled: 1-line block ×5, first 2 shown]
	v_mov_b32_e32 v116, v20
	v_mov_b32_e32 v117, v21
	;; [unrolled: 1-line block ×8, first 2 shown]
	ds_write2_b64 v122, v[116:117], v[125:126] offset0:46 offset1:47
	v_mov_b32_e32 v125, 25
	v_mov_b32_e32 v131, v12
	;; [unrolled: 1-line block ×9, first 2 shown]
	ds_write2_b64 v122, v[127:128], v[129:130] offset0:48 offset1:49
	ds_write2_b64 v122, v[131:132], v[133:134] offset0:50 offset1:51
	;; [unrolled: 1-line block ×3, first 2 shown]
	ds_write_b64 v122, v[114:115] offset:432
.LBB108_435:
	s_or_b32 exec_lo, exec_lo, s0
	s_mov_b32 s0, exec_lo
	s_waitcnt lgkmcnt(0)
	s_waitcnt_vscnt null, 0x0
	s_barrier
	buffer_gl0_inv
	v_cmpx_lt_i32_e32 25, v125
	s_cbranch_execz .LBB108_437
; %bb.436:
	v_mul_f64 v[62:63], v[0:1], v[62:63]
	ds_read2_b64 v[126:129], v122 offset0:26 offset1:27
	ds_read2_b64 v[130:133], v122 offset0:28 offset1:29
	;; [unrolled: 1-line block ×14, first 2 shown]
	ds_read_b64 v[0:1], v122 offset:432
	s_waitcnt lgkmcnt(14)
	v_fma_f64 v[60:61], -v[62:63], v[126:127], v[60:61]
	v_fma_f64 v[58:59], -v[62:63], v[128:129], v[58:59]
	s_waitcnt lgkmcnt(13)
	v_fma_f64 v[56:57], -v[62:63], v[130:131], v[56:57]
	v_fma_f64 v[54:55], -v[62:63], v[132:133], v[54:55]
	;; [unrolled: 3-line block ×14, first 2 shown]
	s_waitcnt lgkmcnt(0)
	v_fma_f64 v[114:115], -v[62:63], v[0:1], v[114:115]
.LBB108_437:
	s_or_b32 exec_lo, exec_lo, s0
	v_lshl_add_u32 v0, v125, 3, v122
	s_barrier
	buffer_gl0_inv
	v_mov_b32_e32 v116, 26
	ds_write_b64 v0, v[60:61]
	s_waitcnt lgkmcnt(0)
	s_barrier
	buffer_gl0_inv
	ds_read_b64 v[0:1], v122 offset:208
	s_cmp_lt_i32 s7, 28
	s_cbranch_scc1 .LBB108_440
; %bb.438:
	v_add3_u32 v117, v123, 0, 0xd8
	v_mov_b32_e32 v116, 26
	s_mov_b32 s0, 27
.LBB108_439:                            ; =>This Inner Loop Header: Depth=1
	ds_read_b64 v[126:127], v117
	v_add_nc_u32_e32 v117, 8, v117
	s_waitcnt lgkmcnt(0)
	v_cmp_lt_f64_e64 vcc_lo, |v[0:1]|, |v[126:127]|
	v_cndmask_b32_e32 v1, v1, v127, vcc_lo
	v_cndmask_b32_e32 v0, v0, v126, vcc_lo
	v_cndmask_b32_e64 v116, v116, s0, vcc_lo
	s_add_i32 s0, s0, 1
	s_cmp_lg_u32 s7, s0
	s_cbranch_scc1 .LBB108_439
.LBB108_440:
	s_mov_b32 s0, exec_lo
	s_waitcnt lgkmcnt(0)
	v_cmpx_eq_f64_e32 0, v[0:1]
	s_xor_b32 s0, exec_lo, s0
; %bb.441:
	v_cmp_ne_u32_e32 vcc_lo, 0, v119
	v_cndmask_b32_e32 v119, 27, v119, vcc_lo
; %bb.442:
	s_andn2_saveexec_b32 s0, s0
	s_cbranch_execz .LBB108_444
; %bb.443:
	v_div_scale_f64 v[117:118], null, v[0:1], v[0:1], 1.0
	v_rcp_f64_e32 v[126:127], v[117:118]
	v_fma_f64 v[128:129], -v[117:118], v[126:127], 1.0
	v_fma_f64 v[126:127], v[126:127], v[128:129], v[126:127]
	v_fma_f64 v[128:129], -v[117:118], v[126:127], 1.0
	v_fma_f64 v[126:127], v[126:127], v[128:129], v[126:127]
	v_div_scale_f64 v[128:129], vcc_lo, 1.0, v[0:1], 1.0
	v_mul_f64 v[130:131], v[128:129], v[126:127]
	v_fma_f64 v[117:118], -v[117:118], v[130:131], v[128:129]
	v_div_fmas_f64 v[117:118], v[117:118], v[126:127], v[130:131]
	v_div_fixup_f64 v[0:1], v[117:118], v[0:1], 1.0
.LBB108_444:
	s_or_b32 exec_lo, exec_lo, s0
	s_mov_b32 s0, exec_lo
	v_cmpx_ne_u32_e64 v125, v116
	s_xor_b32 s0, exec_lo, s0
	s_cbranch_execz .LBB108_450
; %bb.445:
	s_mov_b32 s1, exec_lo
	v_cmpx_eq_u32_e32 26, v125
	s_cbranch_execz .LBB108_449
; %bb.446:
	v_cmp_ne_u32_e32 vcc_lo, 26, v116
	s_xor_b32 s2, s6, -1
	s_and_b32 s3, s2, vcc_lo
	s_and_saveexec_b32 s2, s3
	s_cbranch_execz .LBB108_448
; %bb.447:
	v_ashrrev_i32_e32 v117, 31, v116
	v_lshlrev_b64 v[117:118], 2, v[116:117]
	v_add_co_u32 v117, vcc_lo, v4, v117
	v_add_co_ci_u32_e64 v118, null, v5, v118, vcc_lo
	s_clause 0x1
	global_load_dword v124, v[117:118], off
	global_load_dword v125, v[4:5], off offset:104
	s_waitcnt vmcnt(1)
	global_store_dword v[4:5], v124, off offset:104
	s_waitcnt vmcnt(0)
	global_store_dword v[117:118], v125, off
.LBB108_448:
	s_or_b32 exec_lo, exec_lo, s2
	v_mov_b32_e32 v124, v116
	v_mov_b32_e32 v125, v116
.LBB108_449:
	s_or_b32 exec_lo, exec_lo, s1
.LBB108_450:
	s_andn2_saveexec_b32 s0, s0
	s_cbranch_execz .LBB108_452
; %bb.451:
	v_mov_b32_e32 v125, 26
	ds_write2_b64 v122, v[58:59], v[56:57] offset0:27 offset1:28
	ds_write2_b64 v122, v[54:55], v[52:53] offset0:29 offset1:30
	;; [unrolled: 1-line block ×14, first 2 shown]
.LBB108_452:
	s_or_b32 exec_lo, exec_lo, s0
	s_mov_b32 s0, exec_lo
	s_waitcnt lgkmcnt(0)
	s_waitcnt_vscnt null, 0x0
	s_barrier
	buffer_gl0_inv
	v_cmpx_lt_i32_e32 26, v125
	s_cbranch_execz .LBB108_454
; %bb.453:
	v_mul_f64 v[60:61], v[0:1], v[60:61]
	ds_read2_b64 v[126:129], v122 offset0:27 offset1:28
	ds_read2_b64 v[130:133], v122 offset0:29 offset1:30
	ds_read2_b64 v[134:137], v122 offset0:31 offset1:32
	ds_read2_b64 v[138:141], v122 offset0:33 offset1:34
	ds_read2_b64 v[142:145], v122 offset0:35 offset1:36
	ds_read2_b64 v[146:149], v122 offset0:37 offset1:38
	ds_read2_b64 v[150:153], v122 offset0:39 offset1:40
	ds_read2_b64 v[154:157], v122 offset0:41 offset1:42
	ds_read2_b64 v[158:161], v122 offset0:43 offset1:44
	ds_read2_b64 v[162:165], v122 offset0:45 offset1:46
	ds_read2_b64 v[166:169], v122 offset0:47 offset1:48
	ds_read2_b64 v[170:173], v122 offset0:49 offset1:50
	ds_read2_b64 v[174:177], v122 offset0:51 offset1:52
	ds_read2_b64 v[178:181], v122 offset0:53 offset1:54
	s_waitcnt lgkmcnt(13)
	v_fma_f64 v[58:59], -v[60:61], v[126:127], v[58:59]
	v_fma_f64 v[56:57], -v[60:61], v[128:129], v[56:57]
	s_waitcnt lgkmcnt(12)
	v_fma_f64 v[54:55], -v[60:61], v[130:131], v[54:55]
	v_fma_f64 v[52:53], -v[60:61], v[132:133], v[52:53]
	;; [unrolled: 3-line block ×14, first 2 shown]
.LBB108_454:
	s_or_b32 exec_lo, exec_lo, s0
	v_lshl_add_u32 v0, v125, 3, v122
	s_barrier
	buffer_gl0_inv
	v_mov_b32_e32 v116, 27
	ds_write_b64 v0, v[58:59]
	s_waitcnt lgkmcnt(0)
	s_barrier
	buffer_gl0_inv
	ds_read_b64 v[0:1], v122 offset:216
	s_cmp_lt_i32 s7, 29
	s_cbranch_scc1 .LBB108_457
; %bb.455:
	v_add3_u32 v117, v123, 0, 0xe0
	v_mov_b32_e32 v116, 27
	s_mov_b32 s0, 28
.LBB108_456:                            ; =>This Inner Loop Header: Depth=1
	ds_read_b64 v[126:127], v117
	v_add_nc_u32_e32 v117, 8, v117
	s_waitcnt lgkmcnt(0)
	v_cmp_lt_f64_e64 vcc_lo, |v[0:1]|, |v[126:127]|
	v_cndmask_b32_e32 v1, v1, v127, vcc_lo
	v_cndmask_b32_e32 v0, v0, v126, vcc_lo
	v_cndmask_b32_e64 v116, v116, s0, vcc_lo
	s_add_i32 s0, s0, 1
	s_cmp_lg_u32 s7, s0
	s_cbranch_scc1 .LBB108_456
.LBB108_457:
	s_mov_b32 s0, exec_lo
	s_waitcnt lgkmcnt(0)
	v_cmpx_eq_f64_e32 0, v[0:1]
	s_xor_b32 s0, exec_lo, s0
; %bb.458:
	v_cmp_ne_u32_e32 vcc_lo, 0, v119
	v_cndmask_b32_e32 v119, 28, v119, vcc_lo
; %bb.459:
	s_andn2_saveexec_b32 s0, s0
	s_cbranch_execz .LBB108_461
; %bb.460:
	v_div_scale_f64 v[117:118], null, v[0:1], v[0:1], 1.0
	v_rcp_f64_e32 v[126:127], v[117:118]
	v_fma_f64 v[128:129], -v[117:118], v[126:127], 1.0
	v_fma_f64 v[126:127], v[126:127], v[128:129], v[126:127]
	v_fma_f64 v[128:129], -v[117:118], v[126:127], 1.0
	v_fma_f64 v[126:127], v[126:127], v[128:129], v[126:127]
	v_div_scale_f64 v[128:129], vcc_lo, 1.0, v[0:1], 1.0
	v_mul_f64 v[130:131], v[128:129], v[126:127]
	v_fma_f64 v[117:118], -v[117:118], v[130:131], v[128:129]
	v_div_fmas_f64 v[117:118], v[117:118], v[126:127], v[130:131]
	v_div_fixup_f64 v[0:1], v[117:118], v[0:1], 1.0
.LBB108_461:
	s_or_b32 exec_lo, exec_lo, s0
	s_mov_b32 s0, exec_lo
	v_cmpx_ne_u32_e64 v125, v116
	s_xor_b32 s0, exec_lo, s0
	s_cbranch_execz .LBB108_467
; %bb.462:
	s_mov_b32 s1, exec_lo
	v_cmpx_eq_u32_e32 27, v125
	s_cbranch_execz .LBB108_466
; %bb.463:
	v_cmp_ne_u32_e32 vcc_lo, 27, v116
	s_xor_b32 s2, s6, -1
	s_and_b32 s3, s2, vcc_lo
	s_and_saveexec_b32 s2, s3
	s_cbranch_execz .LBB108_465
; %bb.464:
	v_ashrrev_i32_e32 v117, 31, v116
	v_lshlrev_b64 v[117:118], 2, v[116:117]
	v_add_co_u32 v117, vcc_lo, v4, v117
	v_add_co_ci_u32_e64 v118, null, v5, v118, vcc_lo
	s_clause 0x1
	global_load_dword v124, v[117:118], off
	global_load_dword v125, v[4:5], off offset:108
	s_waitcnt vmcnt(1)
	global_store_dword v[4:5], v124, off offset:108
	s_waitcnt vmcnt(0)
	global_store_dword v[117:118], v125, off
.LBB108_465:
	s_or_b32 exec_lo, exec_lo, s2
	v_mov_b32_e32 v124, v116
	v_mov_b32_e32 v125, v116
.LBB108_466:
	s_or_b32 exec_lo, exec_lo, s1
.LBB108_467:
	s_andn2_saveexec_b32 s0, s0
	s_cbranch_execz .LBB108_469
; %bb.468:
	v_mov_b32_e32 v116, v56
	v_mov_b32_e32 v117, v57
	;; [unrolled: 1-line block ×16, first 2 shown]
	ds_write2_b64 v122, v[116:117], v[125:126] offset0:28 offset1:29
	ds_write2_b64 v122, v[127:128], v[129:130] offset0:30 offset1:31
	;; [unrolled: 1-line block ×4, first 2 shown]
	v_mov_b32_e32 v116, v40
	v_mov_b32_e32 v117, v41
	;; [unrolled: 1-line block ×20, first 2 shown]
	ds_write2_b64 v122, v[116:117], v[125:126] offset0:36 offset1:37
	ds_write2_b64 v122, v[127:128], v[129:130] offset0:38 offset1:39
	;; [unrolled: 1-line block ×5, first 2 shown]
	v_mov_b32_e32 v116, v20
	v_mov_b32_e32 v117, v21
	;; [unrolled: 1-line block ×8, first 2 shown]
	ds_write2_b64 v122, v[116:117], v[125:126] offset0:46 offset1:47
	v_mov_b32_e32 v125, 27
	v_mov_b32_e32 v131, v12
	;; [unrolled: 1-line block ×9, first 2 shown]
	ds_write2_b64 v122, v[127:128], v[129:130] offset0:48 offset1:49
	ds_write2_b64 v122, v[131:132], v[133:134] offset0:50 offset1:51
	;; [unrolled: 1-line block ×3, first 2 shown]
	ds_write_b64 v122, v[114:115] offset:432
.LBB108_469:
	s_or_b32 exec_lo, exec_lo, s0
	s_mov_b32 s0, exec_lo
	s_waitcnt lgkmcnt(0)
	s_waitcnt_vscnt null, 0x0
	s_barrier
	buffer_gl0_inv
	v_cmpx_lt_i32_e32 27, v125
	s_cbranch_execz .LBB108_471
; %bb.470:
	v_mul_f64 v[58:59], v[0:1], v[58:59]
	ds_read2_b64 v[126:129], v122 offset0:28 offset1:29
	ds_read2_b64 v[130:133], v122 offset0:30 offset1:31
	;; [unrolled: 1-line block ×13, first 2 shown]
	ds_read_b64 v[0:1], v122 offset:432
	s_waitcnt lgkmcnt(13)
	v_fma_f64 v[56:57], -v[58:59], v[126:127], v[56:57]
	v_fma_f64 v[54:55], -v[58:59], v[128:129], v[54:55]
	s_waitcnt lgkmcnt(12)
	v_fma_f64 v[52:53], -v[58:59], v[130:131], v[52:53]
	v_fma_f64 v[48:49], -v[58:59], v[132:133], v[48:49]
	;; [unrolled: 3-line block ×13, first 2 shown]
	s_waitcnt lgkmcnt(0)
	v_fma_f64 v[114:115], -v[58:59], v[0:1], v[114:115]
.LBB108_471:
	s_or_b32 exec_lo, exec_lo, s0
	v_lshl_add_u32 v0, v125, 3, v122
	s_barrier
	buffer_gl0_inv
	v_mov_b32_e32 v116, 28
	ds_write_b64 v0, v[56:57]
	s_waitcnt lgkmcnt(0)
	s_barrier
	buffer_gl0_inv
	ds_read_b64 v[0:1], v122 offset:224
	s_cmp_lt_i32 s7, 30
	s_cbranch_scc1 .LBB108_474
; %bb.472:
	v_add3_u32 v117, v123, 0, 0xe8
	v_mov_b32_e32 v116, 28
	s_mov_b32 s0, 29
.LBB108_473:                            ; =>This Inner Loop Header: Depth=1
	ds_read_b64 v[126:127], v117
	v_add_nc_u32_e32 v117, 8, v117
	s_waitcnt lgkmcnt(0)
	v_cmp_lt_f64_e64 vcc_lo, |v[0:1]|, |v[126:127]|
	v_cndmask_b32_e32 v1, v1, v127, vcc_lo
	v_cndmask_b32_e32 v0, v0, v126, vcc_lo
	v_cndmask_b32_e64 v116, v116, s0, vcc_lo
	s_add_i32 s0, s0, 1
	s_cmp_lg_u32 s7, s0
	s_cbranch_scc1 .LBB108_473
.LBB108_474:
	s_mov_b32 s0, exec_lo
	s_waitcnt lgkmcnt(0)
	v_cmpx_eq_f64_e32 0, v[0:1]
	s_xor_b32 s0, exec_lo, s0
; %bb.475:
	v_cmp_ne_u32_e32 vcc_lo, 0, v119
	v_cndmask_b32_e32 v119, 29, v119, vcc_lo
; %bb.476:
	s_andn2_saveexec_b32 s0, s0
	s_cbranch_execz .LBB108_478
; %bb.477:
	v_div_scale_f64 v[117:118], null, v[0:1], v[0:1], 1.0
	v_rcp_f64_e32 v[126:127], v[117:118]
	v_fma_f64 v[128:129], -v[117:118], v[126:127], 1.0
	v_fma_f64 v[126:127], v[126:127], v[128:129], v[126:127]
	v_fma_f64 v[128:129], -v[117:118], v[126:127], 1.0
	v_fma_f64 v[126:127], v[126:127], v[128:129], v[126:127]
	v_div_scale_f64 v[128:129], vcc_lo, 1.0, v[0:1], 1.0
	v_mul_f64 v[130:131], v[128:129], v[126:127]
	v_fma_f64 v[117:118], -v[117:118], v[130:131], v[128:129]
	v_div_fmas_f64 v[117:118], v[117:118], v[126:127], v[130:131]
	v_div_fixup_f64 v[0:1], v[117:118], v[0:1], 1.0
.LBB108_478:
	s_or_b32 exec_lo, exec_lo, s0
	s_mov_b32 s0, exec_lo
	v_cmpx_ne_u32_e64 v125, v116
	s_xor_b32 s0, exec_lo, s0
	s_cbranch_execz .LBB108_484
; %bb.479:
	s_mov_b32 s1, exec_lo
	v_cmpx_eq_u32_e32 28, v125
	s_cbranch_execz .LBB108_483
; %bb.480:
	v_cmp_ne_u32_e32 vcc_lo, 28, v116
	s_xor_b32 s2, s6, -1
	s_and_b32 s3, s2, vcc_lo
	s_and_saveexec_b32 s2, s3
	s_cbranch_execz .LBB108_482
; %bb.481:
	v_ashrrev_i32_e32 v117, 31, v116
	v_lshlrev_b64 v[117:118], 2, v[116:117]
	v_add_co_u32 v117, vcc_lo, v4, v117
	v_add_co_ci_u32_e64 v118, null, v5, v118, vcc_lo
	s_clause 0x1
	global_load_dword v124, v[117:118], off
	global_load_dword v125, v[4:5], off offset:112
	s_waitcnt vmcnt(1)
	global_store_dword v[4:5], v124, off offset:112
	s_waitcnt vmcnt(0)
	global_store_dword v[117:118], v125, off
.LBB108_482:
	s_or_b32 exec_lo, exec_lo, s2
	v_mov_b32_e32 v124, v116
	v_mov_b32_e32 v125, v116
.LBB108_483:
	s_or_b32 exec_lo, exec_lo, s1
.LBB108_484:
	s_andn2_saveexec_b32 s0, s0
	s_cbranch_execz .LBB108_486
; %bb.485:
	v_mov_b32_e32 v125, 28
	ds_write2_b64 v122, v[54:55], v[52:53] offset0:29 offset1:30
	ds_write2_b64 v122, v[48:49], v[50:51] offset0:31 offset1:32
	;; [unrolled: 1-line block ×13, first 2 shown]
.LBB108_486:
	s_or_b32 exec_lo, exec_lo, s0
	s_mov_b32 s0, exec_lo
	s_waitcnt lgkmcnt(0)
	s_waitcnt_vscnt null, 0x0
	s_barrier
	buffer_gl0_inv
	v_cmpx_lt_i32_e32 28, v125
	s_cbranch_execz .LBB108_488
; %bb.487:
	v_mul_f64 v[56:57], v[0:1], v[56:57]
	ds_read2_b64 v[126:129], v122 offset0:29 offset1:30
	ds_read2_b64 v[130:133], v122 offset0:31 offset1:32
	;; [unrolled: 1-line block ×13, first 2 shown]
	s_waitcnt lgkmcnt(12)
	v_fma_f64 v[54:55], -v[56:57], v[126:127], v[54:55]
	v_fma_f64 v[52:53], -v[56:57], v[128:129], v[52:53]
	s_waitcnt lgkmcnt(11)
	v_fma_f64 v[48:49], -v[56:57], v[130:131], v[48:49]
	v_fma_f64 v[50:51], -v[56:57], v[132:133], v[50:51]
	;; [unrolled: 3-line block ×13, first 2 shown]
.LBB108_488:
	s_or_b32 exec_lo, exec_lo, s0
	v_lshl_add_u32 v0, v125, 3, v122
	s_barrier
	buffer_gl0_inv
	v_mov_b32_e32 v116, 29
	ds_write_b64 v0, v[54:55]
	s_waitcnt lgkmcnt(0)
	s_barrier
	buffer_gl0_inv
	ds_read_b64 v[0:1], v122 offset:232
	s_cmp_lt_i32 s7, 31
	s_cbranch_scc1 .LBB108_491
; %bb.489:
	v_add3_u32 v117, v123, 0, 0xf0
	v_mov_b32_e32 v116, 29
	s_mov_b32 s0, 30
.LBB108_490:                            ; =>This Inner Loop Header: Depth=1
	ds_read_b64 v[126:127], v117
	v_add_nc_u32_e32 v117, 8, v117
	s_waitcnt lgkmcnt(0)
	v_cmp_lt_f64_e64 vcc_lo, |v[0:1]|, |v[126:127]|
	v_cndmask_b32_e32 v1, v1, v127, vcc_lo
	v_cndmask_b32_e32 v0, v0, v126, vcc_lo
	v_cndmask_b32_e64 v116, v116, s0, vcc_lo
	s_add_i32 s0, s0, 1
	s_cmp_lg_u32 s7, s0
	s_cbranch_scc1 .LBB108_490
.LBB108_491:
	s_mov_b32 s0, exec_lo
	s_waitcnt lgkmcnt(0)
	v_cmpx_eq_f64_e32 0, v[0:1]
	s_xor_b32 s0, exec_lo, s0
; %bb.492:
	v_cmp_ne_u32_e32 vcc_lo, 0, v119
	v_cndmask_b32_e32 v119, 30, v119, vcc_lo
; %bb.493:
	s_andn2_saveexec_b32 s0, s0
	s_cbranch_execz .LBB108_495
; %bb.494:
	v_div_scale_f64 v[117:118], null, v[0:1], v[0:1], 1.0
	v_rcp_f64_e32 v[126:127], v[117:118]
	v_fma_f64 v[128:129], -v[117:118], v[126:127], 1.0
	v_fma_f64 v[126:127], v[126:127], v[128:129], v[126:127]
	v_fma_f64 v[128:129], -v[117:118], v[126:127], 1.0
	v_fma_f64 v[126:127], v[126:127], v[128:129], v[126:127]
	v_div_scale_f64 v[128:129], vcc_lo, 1.0, v[0:1], 1.0
	v_mul_f64 v[130:131], v[128:129], v[126:127]
	v_fma_f64 v[117:118], -v[117:118], v[130:131], v[128:129]
	v_div_fmas_f64 v[117:118], v[117:118], v[126:127], v[130:131]
	v_div_fixup_f64 v[0:1], v[117:118], v[0:1], 1.0
.LBB108_495:
	s_or_b32 exec_lo, exec_lo, s0
	s_mov_b32 s0, exec_lo
	v_cmpx_ne_u32_e64 v125, v116
	s_xor_b32 s0, exec_lo, s0
	s_cbranch_execz .LBB108_501
; %bb.496:
	s_mov_b32 s1, exec_lo
	v_cmpx_eq_u32_e32 29, v125
	s_cbranch_execz .LBB108_500
; %bb.497:
	v_cmp_ne_u32_e32 vcc_lo, 29, v116
	s_xor_b32 s2, s6, -1
	s_and_b32 s3, s2, vcc_lo
	s_and_saveexec_b32 s2, s3
	s_cbranch_execz .LBB108_499
; %bb.498:
	v_ashrrev_i32_e32 v117, 31, v116
	v_lshlrev_b64 v[117:118], 2, v[116:117]
	v_add_co_u32 v117, vcc_lo, v4, v117
	v_add_co_ci_u32_e64 v118, null, v5, v118, vcc_lo
	s_clause 0x1
	global_load_dword v124, v[117:118], off
	global_load_dword v125, v[4:5], off offset:116
	s_waitcnt vmcnt(1)
	global_store_dword v[4:5], v124, off offset:116
	s_waitcnt vmcnt(0)
	global_store_dword v[117:118], v125, off
.LBB108_499:
	s_or_b32 exec_lo, exec_lo, s2
	v_mov_b32_e32 v124, v116
	v_mov_b32_e32 v125, v116
.LBB108_500:
	s_or_b32 exec_lo, exec_lo, s1
.LBB108_501:
	s_andn2_saveexec_b32 s0, s0
	s_cbranch_execz .LBB108_503
; %bb.502:
	v_mov_b32_e32 v116, v52
	v_mov_b32_e32 v117, v53
	;; [unrolled: 1-line block ×12, first 2 shown]
	ds_write2_b64 v122, v[116:117], v[125:126] offset0:30 offset1:31
	ds_write2_b64 v122, v[127:128], v[129:130] offset0:32 offset1:33
	;; [unrolled: 1-line block ×3, first 2 shown]
	v_mov_b32_e32 v116, v40
	v_mov_b32_e32 v117, v41
	;; [unrolled: 1-line block ×20, first 2 shown]
	ds_write2_b64 v122, v[116:117], v[125:126] offset0:36 offset1:37
	ds_write2_b64 v122, v[127:128], v[129:130] offset0:38 offset1:39
	;; [unrolled: 1-line block ×5, first 2 shown]
	v_mov_b32_e32 v116, v20
	v_mov_b32_e32 v117, v21
	;; [unrolled: 1-line block ×8, first 2 shown]
	ds_write2_b64 v122, v[116:117], v[125:126] offset0:46 offset1:47
	v_mov_b32_e32 v125, 29
	v_mov_b32_e32 v131, v12
	;; [unrolled: 1-line block ×9, first 2 shown]
	ds_write2_b64 v122, v[127:128], v[129:130] offset0:48 offset1:49
	ds_write2_b64 v122, v[131:132], v[133:134] offset0:50 offset1:51
	ds_write2_b64 v122, v[135:136], v[137:138] offset0:52 offset1:53
	ds_write_b64 v122, v[114:115] offset:432
.LBB108_503:
	s_or_b32 exec_lo, exec_lo, s0
	s_mov_b32 s0, exec_lo
	s_waitcnt lgkmcnt(0)
	s_waitcnt_vscnt null, 0x0
	s_barrier
	buffer_gl0_inv
	v_cmpx_lt_i32_e32 29, v125
	s_cbranch_execz .LBB108_505
; %bb.504:
	v_mul_f64 v[54:55], v[0:1], v[54:55]
	ds_read2_b64 v[126:129], v122 offset0:30 offset1:31
	ds_read2_b64 v[130:133], v122 offset0:32 offset1:33
	;; [unrolled: 1-line block ×12, first 2 shown]
	ds_read_b64 v[0:1], v122 offset:432
	s_waitcnt lgkmcnt(12)
	v_fma_f64 v[52:53], -v[54:55], v[126:127], v[52:53]
	v_fma_f64 v[48:49], -v[54:55], v[128:129], v[48:49]
	s_waitcnt lgkmcnt(11)
	v_fma_f64 v[50:51], -v[54:55], v[130:131], v[50:51]
	v_fma_f64 v[44:45], -v[54:55], v[132:133], v[44:45]
	;; [unrolled: 3-line block ×12, first 2 shown]
	s_waitcnt lgkmcnt(0)
	v_fma_f64 v[114:115], -v[54:55], v[0:1], v[114:115]
.LBB108_505:
	s_or_b32 exec_lo, exec_lo, s0
	v_lshl_add_u32 v0, v125, 3, v122
	s_barrier
	buffer_gl0_inv
	v_mov_b32_e32 v116, 30
	ds_write_b64 v0, v[52:53]
	s_waitcnt lgkmcnt(0)
	s_barrier
	buffer_gl0_inv
	ds_read_b64 v[0:1], v122 offset:240
	s_cmp_lt_i32 s7, 32
	s_cbranch_scc1 .LBB108_508
; %bb.506:
	v_add3_u32 v117, v123, 0, 0xf8
	v_mov_b32_e32 v116, 30
	s_mov_b32 s0, 31
.LBB108_507:                            ; =>This Inner Loop Header: Depth=1
	ds_read_b64 v[126:127], v117
	v_add_nc_u32_e32 v117, 8, v117
	s_waitcnt lgkmcnt(0)
	v_cmp_lt_f64_e64 vcc_lo, |v[0:1]|, |v[126:127]|
	v_cndmask_b32_e32 v1, v1, v127, vcc_lo
	v_cndmask_b32_e32 v0, v0, v126, vcc_lo
	v_cndmask_b32_e64 v116, v116, s0, vcc_lo
	s_add_i32 s0, s0, 1
	s_cmp_lg_u32 s7, s0
	s_cbranch_scc1 .LBB108_507
.LBB108_508:
	s_mov_b32 s0, exec_lo
	s_waitcnt lgkmcnt(0)
	v_cmpx_eq_f64_e32 0, v[0:1]
	s_xor_b32 s0, exec_lo, s0
; %bb.509:
	v_cmp_ne_u32_e32 vcc_lo, 0, v119
	v_cndmask_b32_e32 v119, 31, v119, vcc_lo
; %bb.510:
	s_andn2_saveexec_b32 s0, s0
	s_cbranch_execz .LBB108_512
; %bb.511:
	v_div_scale_f64 v[117:118], null, v[0:1], v[0:1], 1.0
	v_rcp_f64_e32 v[126:127], v[117:118]
	v_fma_f64 v[128:129], -v[117:118], v[126:127], 1.0
	v_fma_f64 v[126:127], v[126:127], v[128:129], v[126:127]
	v_fma_f64 v[128:129], -v[117:118], v[126:127], 1.0
	v_fma_f64 v[126:127], v[126:127], v[128:129], v[126:127]
	v_div_scale_f64 v[128:129], vcc_lo, 1.0, v[0:1], 1.0
	v_mul_f64 v[130:131], v[128:129], v[126:127]
	v_fma_f64 v[117:118], -v[117:118], v[130:131], v[128:129]
	v_div_fmas_f64 v[117:118], v[117:118], v[126:127], v[130:131]
	v_div_fixup_f64 v[0:1], v[117:118], v[0:1], 1.0
.LBB108_512:
	s_or_b32 exec_lo, exec_lo, s0
	s_mov_b32 s0, exec_lo
	v_cmpx_ne_u32_e64 v125, v116
	s_xor_b32 s0, exec_lo, s0
	s_cbranch_execz .LBB108_518
; %bb.513:
	s_mov_b32 s1, exec_lo
	v_cmpx_eq_u32_e32 30, v125
	s_cbranch_execz .LBB108_517
; %bb.514:
	v_cmp_ne_u32_e32 vcc_lo, 30, v116
	s_xor_b32 s2, s6, -1
	s_and_b32 s3, s2, vcc_lo
	s_and_saveexec_b32 s2, s3
	s_cbranch_execz .LBB108_516
; %bb.515:
	v_ashrrev_i32_e32 v117, 31, v116
	v_lshlrev_b64 v[117:118], 2, v[116:117]
	v_add_co_u32 v117, vcc_lo, v4, v117
	v_add_co_ci_u32_e64 v118, null, v5, v118, vcc_lo
	s_clause 0x1
	global_load_dword v124, v[117:118], off
	global_load_dword v125, v[4:5], off offset:120
	s_waitcnt vmcnt(1)
	global_store_dword v[4:5], v124, off offset:120
	s_waitcnt vmcnt(0)
	global_store_dword v[117:118], v125, off
.LBB108_516:
	s_or_b32 exec_lo, exec_lo, s2
	v_mov_b32_e32 v124, v116
	v_mov_b32_e32 v125, v116
.LBB108_517:
	s_or_b32 exec_lo, exec_lo, s1
.LBB108_518:
	s_andn2_saveexec_b32 s0, s0
	s_cbranch_execz .LBB108_520
; %bb.519:
	v_mov_b32_e32 v125, 30
	ds_write2_b64 v122, v[48:49], v[50:51] offset0:31 offset1:32
	ds_write2_b64 v122, v[44:45], v[46:47] offset0:33 offset1:34
	;; [unrolled: 1-line block ×12, first 2 shown]
.LBB108_520:
	s_or_b32 exec_lo, exec_lo, s0
	s_mov_b32 s0, exec_lo
	s_waitcnt lgkmcnt(0)
	s_waitcnt_vscnt null, 0x0
	s_barrier
	buffer_gl0_inv
	v_cmpx_lt_i32_e32 30, v125
	s_cbranch_execz .LBB108_522
; %bb.521:
	v_mul_f64 v[52:53], v[0:1], v[52:53]
	ds_read2_b64 v[126:129], v122 offset0:31 offset1:32
	ds_read2_b64 v[130:133], v122 offset0:33 offset1:34
	;; [unrolled: 1-line block ×12, first 2 shown]
	s_waitcnt lgkmcnt(11)
	v_fma_f64 v[48:49], -v[52:53], v[126:127], v[48:49]
	v_fma_f64 v[50:51], -v[52:53], v[128:129], v[50:51]
	s_waitcnt lgkmcnt(10)
	v_fma_f64 v[44:45], -v[52:53], v[130:131], v[44:45]
	v_fma_f64 v[46:47], -v[52:53], v[132:133], v[46:47]
	;; [unrolled: 3-line block ×12, first 2 shown]
.LBB108_522:
	s_or_b32 exec_lo, exec_lo, s0
	v_lshl_add_u32 v0, v125, 3, v122
	s_barrier
	buffer_gl0_inv
	v_mov_b32_e32 v116, 31
	ds_write_b64 v0, v[48:49]
	s_waitcnt lgkmcnt(0)
	s_barrier
	buffer_gl0_inv
	ds_read_b64 v[0:1], v122 offset:248
	s_cmp_lt_i32 s7, 33
	s_cbranch_scc1 .LBB108_525
; %bb.523:
	v_add3_u32 v117, v123, 0, 0x100
	v_mov_b32_e32 v116, 31
	s_mov_b32 s0, 32
.LBB108_524:                            ; =>This Inner Loop Header: Depth=1
	ds_read_b64 v[126:127], v117
	v_add_nc_u32_e32 v117, 8, v117
	s_waitcnt lgkmcnt(0)
	v_cmp_lt_f64_e64 vcc_lo, |v[0:1]|, |v[126:127]|
	v_cndmask_b32_e32 v1, v1, v127, vcc_lo
	v_cndmask_b32_e32 v0, v0, v126, vcc_lo
	v_cndmask_b32_e64 v116, v116, s0, vcc_lo
	s_add_i32 s0, s0, 1
	s_cmp_lg_u32 s7, s0
	s_cbranch_scc1 .LBB108_524
.LBB108_525:
	s_mov_b32 s0, exec_lo
	s_waitcnt lgkmcnt(0)
	v_cmpx_eq_f64_e32 0, v[0:1]
	s_xor_b32 s0, exec_lo, s0
; %bb.526:
	v_cmp_ne_u32_e32 vcc_lo, 0, v119
	v_cndmask_b32_e32 v119, 32, v119, vcc_lo
; %bb.527:
	s_andn2_saveexec_b32 s0, s0
	s_cbranch_execz .LBB108_529
; %bb.528:
	v_div_scale_f64 v[117:118], null, v[0:1], v[0:1], 1.0
	v_rcp_f64_e32 v[126:127], v[117:118]
	v_fma_f64 v[128:129], -v[117:118], v[126:127], 1.0
	v_fma_f64 v[126:127], v[126:127], v[128:129], v[126:127]
	v_fma_f64 v[128:129], -v[117:118], v[126:127], 1.0
	v_fma_f64 v[126:127], v[126:127], v[128:129], v[126:127]
	v_div_scale_f64 v[128:129], vcc_lo, 1.0, v[0:1], 1.0
	v_mul_f64 v[130:131], v[128:129], v[126:127]
	v_fma_f64 v[117:118], -v[117:118], v[130:131], v[128:129]
	v_div_fmas_f64 v[117:118], v[117:118], v[126:127], v[130:131]
	v_div_fixup_f64 v[0:1], v[117:118], v[0:1], 1.0
.LBB108_529:
	s_or_b32 exec_lo, exec_lo, s0
	s_mov_b32 s0, exec_lo
	v_cmpx_ne_u32_e64 v125, v116
	s_xor_b32 s0, exec_lo, s0
	s_cbranch_execz .LBB108_535
; %bb.530:
	s_mov_b32 s1, exec_lo
	v_cmpx_eq_u32_e32 31, v125
	s_cbranch_execz .LBB108_534
; %bb.531:
	v_cmp_ne_u32_e32 vcc_lo, 31, v116
	s_xor_b32 s2, s6, -1
	s_and_b32 s3, s2, vcc_lo
	s_and_saveexec_b32 s2, s3
	s_cbranch_execz .LBB108_533
; %bb.532:
	v_ashrrev_i32_e32 v117, 31, v116
	v_lshlrev_b64 v[117:118], 2, v[116:117]
	v_add_co_u32 v117, vcc_lo, v4, v117
	v_add_co_ci_u32_e64 v118, null, v5, v118, vcc_lo
	s_clause 0x1
	global_load_dword v124, v[117:118], off
	global_load_dword v125, v[4:5], off offset:124
	s_waitcnt vmcnt(1)
	global_store_dword v[4:5], v124, off offset:124
	s_waitcnt vmcnt(0)
	global_store_dword v[117:118], v125, off
.LBB108_533:
	s_or_b32 exec_lo, exec_lo, s2
	v_mov_b32_e32 v124, v116
	v_mov_b32_e32 v125, v116
.LBB108_534:
	s_or_b32 exec_lo, exec_lo, s1
.LBB108_535:
	s_andn2_saveexec_b32 s0, s0
	s_cbranch_execz .LBB108_537
; %bb.536:
	v_mov_b32_e32 v116, v50
	v_mov_b32_e32 v117, v51
	;; [unrolled: 1-line block ×8, first 2 shown]
	ds_write2_b64 v122, v[116:117], v[125:126] offset0:32 offset1:33
	ds_write2_b64 v122, v[127:128], v[129:130] offset0:34 offset1:35
	v_mov_b32_e32 v116, v40
	v_mov_b32_e32 v117, v41
	;; [unrolled: 1-line block ×20, first 2 shown]
	ds_write2_b64 v122, v[116:117], v[125:126] offset0:36 offset1:37
	ds_write2_b64 v122, v[127:128], v[129:130] offset0:38 offset1:39
	;; [unrolled: 1-line block ×5, first 2 shown]
	v_mov_b32_e32 v116, v20
	v_mov_b32_e32 v117, v21
	;; [unrolled: 1-line block ×8, first 2 shown]
	ds_write2_b64 v122, v[116:117], v[125:126] offset0:46 offset1:47
	v_mov_b32_e32 v125, 31
	v_mov_b32_e32 v131, v12
	;; [unrolled: 1-line block ×9, first 2 shown]
	ds_write2_b64 v122, v[127:128], v[129:130] offset0:48 offset1:49
	ds_write2_b64 v122, v[131:132], v[133:134] offset0:50 offset1:51
	;; [unrolled: 1-line block ×3, first 2 shown]
	ds_write_b64 v122, v[114:115] offset:432
.LBB108_537:
	s_or_b32 exec_lo, exec_lo, s0
	s_mov_b32 s0, exec_lo
	s_waitcnt lgkmcnt(0)
	s_waitcnt_vscnt null, 0x0
	s_barrier
	buffer_gl0_inv
	v_cmpx_lt_i32_e32 31, v125
	s_cbranch_execz .LBB108_539
; %bb.538:
	v_mul_f64 v[48:49], v[0:1], v[48:49]
	ds_read2_b64 v[126:129], v122 offset0:32 offset1:33
	ds_read2_b64 v[130:133], v122 offset0:34 offset1:35
	;; [unrolled: 1-line block ×11, first 2 shown]
	ds_read_b64 v[0:1], v122 offset:432
	s_waitcnt lgkmcnt(11)
	v_fma_f64 v[50:51], -v[48:49], v[126:127], v[50:51]
	v_fma_f64 v[44:45], -v[48:49], v[128:129], v[44:45]
	s_waitcnt lgkmcnt(10)
	v_fma_f64 v[46:47], -v[48:49], v[130:131], v[46:47]
	v_fma_f64 v[42:43], -v[48:49], v[132:133], v[42:43]
	;; [unrolled: 3-line block ×11, first 2 shown]
	s_waitcnt lgkmcnt(0)
	v_fma_f64 v[114:115], -v[48:49], v[0:1], v[114:115]
.LBB108_539:
	s_or_b32 exec_lo, exec_lo, s0
	v_lshl_add_u32 v0, v125, 3, v122
	s_barrier
	buffer_gl0_inv
	v_mov_b32_e32 v116, 32
	ds_write_b64 v0, v[50:51]
	s_waitcnt lgkmcnt(0)
	s_barrier
	buffer_gl0_inv
	ds_read_b64 v[0:1], v122 offset:256
	s_cmp_lt_i32 s7, 34
	s_cbranch_scc1 .LBB108_542
; %bb.540:
	v_add3_u32 v117, v123, 0, 0x108
	v_mov_b32_e32 v116, 32
	s_mov_b32 s0, 33
.LBB108_541:                            ; =>This Inner Loop Header: Depth=1
	ds_read_b64 v[126:127], v117
	v_add_nc_u32_e32 v117, 8, v117
	s_waitcnt lgkmcnt(0)
	v_cmp_lt_f64_e64 vcc_lo, |v[0:1]|, |v[126:127]|
	v_cndmask_b32_e32 v1, v1, v127, vcc_lo
	v_cndmask_b32_e32 v0, v0, v126, vcc_lo
	v_cndmask_b32_e64 v116, v116, s0, vcc_lo
	s_add_i32 s0, s0, 1
	s_cmp_lg_u32 s7, s0
	s_cbranch_scc1 .LBB108_541
.LBB108_542:
	s_mov_b32 s0, exec_lo
	s_waitcnt lgkmcnt(0)
	v_cmpx_eq_f64_e32 0, v[0:1]
	s_xor_b32 s0, exec_lo, s0
; %bb.543:
	v_cmp_ne_u32_e32 vcc_lo, 0, v119
	v_cndmask_b32_e32 v119, 33, v119, vcc_lo
; %bb.544:
	s_andn2_saveexec_b32 s0, s0
	s_cbranch_execz .LBB108_546
; %bb.545:
	v_div_scale_f64 v[117:118], null, v[0:1], v[0:1], 1.0
	v_rcp_f64_e32 v[126:127], v[117:118]
	v_fma_f64 v[128:129], -v[117:118], v[126:127], 1.0
	v_fma_f64 v[126:127], v[126:127], v[128:129], v[126:127]
	v_fma_f64 v[128:129], -v[117:118], v[126:127], 1.0
	v_fma_f64 v[126:127], v[126:127], v[128:129], v[126:127]
	v_div_scale_f64 v[128:129], vcc_lo, 1.0, v[0:1], 1.0
	v_mul_f64 v[130:131], v[128:129], v[126:127]
	v_fma_f64 v[117:118], -v[117:118], v[130:131], v[128:129]
	v_div_fmas_f64 v[117:118], v[117:118], v[126:127], v[130:131]
	v_div_fixup_f64 v[0:1], v[117:118], v[0:1], 1.0
.LBB108_546:
	s_or_b32 exec_lo, exec_lo, s0
	s_mov_b32 s0, exec_lo
	v_cmpx_ne_u32_e64 v125, v116
	s_xor_b32 s0, exec_lo, s0
	s_cbranch_execz .LBB108_552
; %bb.547:
	s_mov_b32 s1, exec_lo
	v_cmpx_eq_u32_e32 32, v125
	s_cbranch_execz .LBB108_551
; %bb.548:
	v_cmp_ne_u32_e32 vcc_lo, 32, v116
	s_xor_b32 s2, s6, -1
	s_and_b32 s3, s2, vcc_lo
	s_and_saveexec_b32 s2, s3
	s_cbranch_execz .LBB108_550
; %bb.549:
	v_ashrrev_i32_e32 v117, 31, v116
	v_lshlrev_b64 v[117:118], 2, v[116:117]
	v_add_co_u32 v117, vcc_lo, v4, v117
	v_add_co_ci_u32_e64 v118, null, v5, v118, vcc_lo
	s_clause 0x1
	global_load_dword v124, v[117:118], off
	global_load_dword v125, v[4:5], off offset:128
	s_waitcnt vmcnt(1)
	global_store_dword v[4:5], v124, off offset:128
	s_waitcnt vmcnt(0)
	global_store_dword v[117:118], v125, off
.LBB108_550:
	s_or_b32 exec_lo, exec_lo, s2
	v_mov_b32_e32 v124, v116
	v_mov_b32_e32 v125, v116
.LBB108_551:
	s_or_b32 exec_lo, exec_lo, s1
.LBB108_552:
	s_andn2_saveexec_b32 s0, s0
	s_cbranch_execz .LBB108_554
; %bb.553:
	v_mov_b32_e32 v125, 32
	ds_write2_b64 v122, v[44:45], v[46:47] offset0:33 offset1:34
	ds_write2_b64 v122, v[42:43], v[40:41] offset0:35 offset1:36
	;; [unrolled: 1-line block ×11, first 2 shown]
.LBB108_554:
	s_or_b32 exec_lo, exec_lo, s0
	s_mov_b32 s0, exec_lo
	s_waitcnt lgkmcnt(0)
	s_waitcnt_vscnt null, 0x0
	s_barrier
	buffer_gl0_inv
	v_cmpx_lt_i32_e32 32, v125
	s_cbranch_execz .LBB108_556
; %bb.555:
	v_mul_f64 v[50:51], v[0:1], v[50:51]
	ds_read2_b64 v[126:129], v122 offset0:33 offset1:34
	ds_read2_b64 v[130:133], v122 offset0:35 offset1:36
	;; [unrolled: 1-line block ×11, first 2 shown]
	s_waitcnt lgkmcnt(10)
	v_fma_f64 v[44:45], -v[50:51], v[126:127], v[44:45]
	v_fma_f64 v[46:47], -v[50:51], v[128:129], v[46:47]
	s_waitcnt lgkmcnt(9)
	v_fma_f64 v[42:43], -v[50:51], v[130:131], v[42:43]
	v_fma_f64 v[40:41], -v[50:51], v[132:133], v[40:41]
	;; [unrolled: 3-line block ×11, first 2 shown]
.LBB108_556:
	s_or_b32 exec_lo, exec_lo, s0
	v_lshl_add_u32 v0, v125, 3, v122
	s_barrier
	buffer_gl0_inv
	v_mov_b32_e32 v116, 33
	ds_write_b64 v0, v[44:45]
	s_waitcnt lgkmcnt(0)
	s_barrier
	buffer_gl0_inv
	ds_read_b64 v[0:1], v122 offset:264
	s_cmp_lt_i32 s7, 35
	s_cbranch_scc1 .LBB108_559
; %bb.557:
	v_add3_u32 v117, v123, 0, 0x110
	v_mov_b32_e32 v116, 33
	s_mov_b32 s0, 34
.LBB108_558:                            ; =>This Inner Loop Header: Depth=1
	ds_read_b64 v[126:127], v117
	v_add_nc_u32_e32 v117, 8, v117
	s_waitcnt lgkmcnt(0)
	v_cmp_lt_f64_e64 vcc_lo, |v[0:1]|, |v[126:127]|
	v_cndmask_b32_e32 v1, v1, v127, vcc_lo
	v_cndmask_b32_e32 v0, v0, v126, vcc_lo
	v_cndmask_b32_e64 v116, v116, s0, vcc_lo
	s_add_i32 s0, s0, 1
	s_cmp_lg_u32 s7, s0
	s_cbranch_scc1 .LBB108_558
.LBB108_559:
	s_mov_b32 s0, exec_lo
	s_waitcnt lgkmcnt(0)
	v_cmpx_eq_f64_e32 0, v[0:1]
	s_xor_b32 s0, exec_lo, s0
; %bb.560:
	v_cmp_ne_u32_e32 vcc_lo, 0, v119
	v_cndmask_b32_e32 v119, 34, v119, vcc_lo
; %bb.561:
	s_andn2_saveexec_b32 s0, s0
	s_cbranch_execz .LBB108_563
; %bb.562:
	v_div_scale_f64 v[117:118], null, v[0:1], v[0:1], 1.0
	v_rcp_f64_e32 v[126:127], v[117:118]
	v_fma_f64 v[128:129], -v[117:118], v[126:127], 1.0
	v_fma_f64 v[126:127], v[126:127], v[128:129], v[126:127]
	v_fma_f64 v[128:129], -v[117:118], v[126:127], 1.0
	v_fma_f64 v[126:127], v[126:127], v[128:129], v[126:127]
	v_div_scale_f64 v[128:129], vcc_lo, 1.0, v[0:1], 1.0
	v_mul_f64 v[130:131], v[128:129], v[126:127]
	v_fma_f64 v[117:118], -v[117:118], v[130:131], v[128:129]
	v_div_fmas_f64 v[117:118], v[117:118], v[126:127], v[130:131]
	v_div_fixup_f64 v[0:1], v[117:118], v[0:1], 1.0
.LBB108_563:
	s_or_b32 exec_lo, exec_lo, s0
	s_mov_b32 s0, exec_lo
	v_cmpx_ne_u32_e64 v125, v116
	s_xor_b32 s0, exec_lo, s0
	s_cbranch_execz .LBB108_569
; %bb.564:
	s_mov_b32 s1, exec_lo
	v_cmpx_eq_u32_e32 33, v125
	s_cbranch_execz .LBB108_568
; %bb.565:
	v_cmp_ne_u32_e32 vcc_lo, 33, v116
	s_xor_b32 s2, s6, -1
	s_and_b32 s3, s2, vcc_lo
	s_and_saveexec_b32 s2, s3
	s_cbranch_execz .LBB108_567
; %bb.566:
	v_ashrrev_i32_e32 v117, 31, v116
	v_lshlrev_b64 v[117:118], 2, v[116:117]
	v_add_co_u32 v117, vcc_lo, v4, v117
	v_add_co_ci_u32_e64 v118, null, v5, v118, vcc_lo
	s_clause 0x1
	global_load_dword v124, v[117:118], off
	global_load_dword v125, v[4:5], off offset:132
	s_waitcnt vmcnt(1)
	global_store_dword v[4:5], v124, off offset:132
	s_waitcnt vmcnt(0)
	global_store_dword v[117:118], v125, off
.LBB108_567:
	s_or_b32 exec_lo, exec_lo, s2
	v_mov_b32_e32 v124, v116
	v_mov_b32_e32 v125, v116
.LBB108_568:
	s_or_b32 exec_lo, exec_lo, s1
.LBB108_569:
	s_andn2_saveexec_b32 s0, s0
	s_cbranch_execz .LBB108_571
; %bb.570:
	v_mov_b32_e32 v116, v46
	v_mov_b32_e32 v117, v47
	;; [unrolled: 1-line block ×8, first 2 shown]
	ds_write2_b64 v122, v[116:117], v[125:126] offset0:34 offset1:35
	v_mov_b32_e32 v116, v38
	v_mov_b32_e32 v117, v39
	;; [unrolled: 1-line block ×16, first 2 shown]
	ds_write2_b64 v122, v[127:128], v[116:117] offset0:36 offset1:37
	ds_write2_b64 v122, v[125:126], v[129:130] offset0:38 offset1:39
	;; [unrolled: 1-line block ×5, first 2 shown]
	v_mov_b32_e32 v116, v20
	v_mov_b32_e32 v117, v21
	;; [unrolled: 1-line block ×8, first 2 shown]
	ds_write2_b64 v122, v[116:117], v[125:126] offset0:46 offset1:47
	v_mov_b32_e32 v125, 33
	v_mov_b32_e32 v131, v12
	;; [unrolled: 1-line block ×9, first 2 shown]
	ds_write2_b64 v122, v[127:128], v[129:130] offset0:48 offset1:49
	ds_write2_b64 v122, v[131:132], v[133:134] offset0:50 offset1:51
	;; [unrolled: 1-line block ×3, first 2 shown]
	ds_write_b64 v122, v[114:115] offset:432
.LBB108_571:
	s_or_b32 exec_lo, exec_lo, s0
	s_mov_b32 s0, exec_lo
	s_waitcnt lgkmcnt(0)
	s_waitcnt_vscnt null, 0x0
	s_barrier
	buffer_gl0_inv
	v_cmpx_lt_i32_e32 33, v125
	s_cbranch_execz .LBB108_573
; %bb.572:
	v_mul_f64 v[44:45], v[0:1], v[44:45]
	ds_read2_b64 v[126:129], v122 offset0:34 offset1:35
	ds_read2_b64 v[130:133], v122 offset0:36 offset1:37
	;; [unrolled: 1-line block ×10, first 2 shown]
	ds_read_b64 v[0:1], v122 offset:432
	s_waitcnt lgkmcnt(10)
	v_fma_f64 v[46:47], -v[44:45], v[126:127], v[46:47]
	v_fma_f64 v[42:43], -v[44:45], v[128:129], v[42:43]
	s_waitcnt lgkmcnt(9)
	v_fma_f64 v[40:41], -v[44:45], v[130:131], v[40:41]
	v_fma_f64 v[38:39], -v[44:45], v[132:133], v[38:39]
	;; [unrolled: 3-line block ×10, first 2 shown]
	s_waitcnt lgkmcnt(0)
	v_fma_f64 v[114:115], -v[44:45], v[0:1], v[114:115]
.LBB108_573:
	s_or_b32 exec_lo, exec_lo, s0
	v_lshl_add_u32 v0, v125, 3, v122
	s_barrier
	buffer_gl0_inv
	v_mov_b32_e32 v116, 34
	ds_write_b64 v0, v[46:47]
	s_waitcnt lgkmcnt(0)
	s_barrier
	buffer_gl0_inv
	ds_read_b64 v[0:1], v122 offset:272
	s_cmp_lt_i32 s7, 36
	s_cbranch_scc1 .LBB108_576
; %bb.574:
	v_add3_u32 v117, v123, 0, 0x118
	v_mov_b32_e32 v116, 34
	s_mov_b32 s0, 35
.LBB108_575:                            ; =>This Inner Loop Header: Depth=1
	ds_read_b64 v[126:127], v117
	v_add_nc_u32_e32 v117, 8, v117
	s_waitcnt lgkmcnt(0)
	v_cmp_lt_f64_e64 vcc_lo, |v[0:1]|, |v[126:127]|
	v_cndmask_b32_e32 v1, v1, v127, vcc_lo
	v_cndmask_b32_e32 v0, v0, v126, vcc_lo
	v_cndmask_b32_e64 v116, v116, s0, vcc_lo
	s_add_i32 s0, s0, 1
	s_cmp_lg_u32 s7, s0
	s_cbranch_scc1 .LBB108_575
.LBB108_576:
	s_mov_b32 s0, exec_lo
	s_waitcnt lgkmcnt(0)
	v_cmpx_eq_f64_e32 0, v[0:1]
	s_xor_b32 s0, exec_lo, s0
; %bb.577:
	v_cmp_ne_u32_e32 vcc_lo, 0, v119
	v_cndmask_b32_e32 v119, 35, v119, vcc_lo
; %bb.578:
	s_andn2_saveexec_b32 s0, s0
	s_cbranch_execz .LBB108_580
; %bb.579:
	v_div_scale_f64 v[117:118], null, v[0:1], v[0:1], 1.0
	v_rcp_f64_e32 v[126:127], v[117:118]
	v_fma_f64 v[128:129], -v[117:118], v[126:127], 1.0
	v_fma_f64 v[126:127], v[126:127], v[128:129], v[126:127]
	v_fma_f64 v[128:129], -v[117:118], v[126:127], 1.0
	v_fma_f64 v[126:127], v[126:127], v[128:129], v[126:127]
	v_div_scale_f64 v[128:129], vcc_lo, 1.0, v[0:1], 1.0
	v_mul_f64 v[130:131], v[128:129], v[126:127]
	v_fma_f64 v[117:118], -v[117:118], v[130:131], v[128:129]
	v_div_fmas_f64 v[117:118], v[117:118], v[126:127], v[130:131]
	v_div_fixup_f64 v[0:1], v[117:118], v[0:1], 1.0
.LBB108_580:
	s_or_b32 exec_lo, exec_lo, s0
	s_mov_b32 s0, exec_lo
	v_cmpx_ne_u32_e64 v125, v116
	s_xor_b32 s0, exec_lo, s0
	s_cbranch_execz .LBB108_586
; %bb.581:
	s_mov_b32 s1, exec_lo
	v_cmpx_eq_u32_e32 34, v125
	s_cbranch_execz .LBB108_585
; %bb.582:
	v_cmp_ne_u32_e32 vcc_lo, 34, v116
	s_xor_b32 s2, s6, -1
	s_and_b32 s3, s2, vcc_lo
	s_and_saveexec_b32 s2, s3
	s_cbranch_execz .LBB108_584
; %bb.583:
	v_ashrrev_i32_e32 v117, 31, v116
	v_lshlrev_b64 v[117:118], 2, v[116:117]
	v_add_co_u32 v117, vcc_lo, v4, v117
	v_add_co_ci_u32_e64 v118, null, v5, v118, vcc_lo
	s_clause 0x1
	global_load_dword v124, v[117:118], off
	global_load_dword v125, v[4:5], off offset:136
	s_waitcnt vmcnt(1)
	global_store_dword v[4:5], v124, off offset:136
	s_waitcnt vmcnt(0)
	global_store_dword v[117:118], v125, off
.LBB108_584:
	s_or_b32 exec_lo, exec_lo, s2
	v_mov_b32_e32 v124, v116
	v_mov_b32_e32 v125, v116
.LBB108_585:
	s_or_b32 exec_lo, exec_lo, s1
.LBB108_586:
	s_andn2_saveexec_b32 s0, s0
	s_cbranch_execz .LBB108_588
; %bb.587:
	v_mov_b32_e32 v125, 34
	ds_write2_b64 v122, v[42:43], v[40:41] offset0:35 offset1:36
	ds_write2_b64 v122, v[38:39], v[36:37] offset0:37 offset1:38
	;; [unrolled: 1-line block ×10, first 2 shown]
.LBB108_588:
	s_or_b32 exec_lo, exec_lo, s0
	s_mov_b32 s0, exec_lo
	s_waitcnt lgkmcnt(0)
	s_waitcnt_vscnt null, 0x0
	s_barrier
	buffer_gl0_inv
	v_cmpx_lt_i32_e32 34, v125
	s_cbranch_execz .LBB108_590
; %bb.589:
	v_mul_f64 v[46:47], v[0:1], v[46:47]
	ds_read2_b64 v[126:129], v122 offset0:35 offset1:36
	ds_read2_b64 v[130:133], v122 offset0:37 offset1:38
	;; [unrolled: 1-line block ×10, first 2 shown]
	s_waitcnt lgkmcnt(9)
	v_fma_f64 v[42:43], -v[46:47], v[126:127], v[42:43]
	v_fma_f64 v[40:41], -v[46:47], v[128:129], v[40:41]
	s_waitcnt lgkmcnt(8)
	v_fma_f64 v[38:39], -v[46:47], v[130:131], v[38:39]
	v_fma_f64 v[36:37], -v[46:47], v[132:133], v[36:37]
	;; [unrolled: 3-line block ×10, first 2 shown]
.LBB108_590:
	s_or_b32 exec_lo, exec_lo, s0
	v_lshl_add_u32 v0, v125, 3, v122
	s_barrier
	buffer_gl0_inv
	v_mov_b32_e32 v116, 35
	ds_write_b64 v0, v[42:43]
	s_waitcnt lgkmcnt(0)
	s_barrier
	buffer_gl0_inv
	ds_read_b64 v[0:1], v122 offset:280
	s_cmp_lt_i32 s7, 37
	s_cbranch_scc1 .LBB108_593
; %bb.591:
	v_add3_u32 v117, v123, 0, 0x120
	v_mov_b32_e32 v116, 35
	s_mov_b32 s0, 36
.LBB108_592:                            ; =>This Inner Loop Header: Depth=1
	ds_read_b64 v[126:127], v117
	v_add_nc_u32_e32 v117, 8, v117
	s_waitcnt lgkmcnt(0)
	v_cmp_lt_f64_e64 vcc_lo, |v[0:1]|, |v[126:127]|
	v_cndmask_b32_e32 v1, v1, v127, vcc_lo
	v_cndmask_b32_e32 v0, v0, v126, vcc_lo
	v_cndmask_b32_e64 v116, v116, s0, vcc_lo
	s_add_i32 s0, s0, 1
	s_cmp_lg_u32 s7, s0
	s_cbranch_scc1 .LBB108_592
.LBB108_593:
	s_mov_b32 s0, exec_lo
	s_waitcnt lgkmcnt(0)
	v_cmpx_eq_f64_e32 0, v[0:1]
	s_xor_b32 s0, exec_lo, s0
; %bb.594:
	v_cmp_ne_u32_e32 vcc_lo, 0, v119
	v_cndmask_b32_e32 v119, 36, v119, vcc_lo
; %bb.595:
	s_andn2_saveexec_b32 s0, s0
	s_cbranch_execz .LBB108_597
; %bb.596:
	v_div_scale_f64 v[117:118], null, v[0:1], v[0:1], 1.0
	v_rcp_f64_e32 v[126:127], v[117:118]
	v_fma_f64 v[128:129], -v[117:118], v[126:127], 1.0
	v_fma_f64 v[126:127], v[126:127], v[128:129], v[126:127]
	v_fma_f64 v[128:129], -v[117:118], v[126:127], 1.0
	v_fma_f64 v[126:127], v[126:127], v[128:129], v[126:127]
	v_div_scale_f64 v[128:129], vcc_lo, 1.0, v[0:1], 1.0
	v_mul_f64 v[130:131], v[128:129], v[126:127]
	v_fma_f64 v[117:118], -v[117:118], v[130:131], v[128:129]
	v_div_fmas_f64 v[117:118], v[117:118], v[126:127], v[130:131]
	v_div_fixup_f64 v[0:1], v[117:118], v[0:1], 1.0
.LBB108_597:
	s_or_b32 exec_lo, exec_lo, s0
	s_mov_b32 s0, exec_lo
	v_cmpx_ne_u32_e64 v125, v116
	s_xor_b32 s0, exec_lo, s0
	s_cbranch_execz .LBB108_603
; %bb.598:
	s_mov_b32 s1, exec_lo
	v_cmpx_eq_u32_e32 35, v125
	s_cbranch_execz .LBB108_602
; %bb.599:
	v_cmp_ne_u32_e32 vcc_lo, 35, v116
	s_xor_b32 s2, s6, -1
	s_and_b32 s3, s2, vcc_lo
	s_and_saveexec_b32 s2, s3
	s_cbranch_execz .LBB108_601
; %bb.600:
	v_ashrrev_i32_e32 v117, 31, v116
	v_lshlrev_b64 v[117:118], 2, v[116:117]
	v_add_co_u32 v117, vcc_lo, v4, v117
	v_add_co_ci_u32_e64 v118, null, v5, v118, vcc_lo
	s_clause 0x1
	global_load_dword v124, v[117:118], off
	global_load_dword v125, v[4:5], off offset:140
	s_waitcnt vmcnt(1)
	global_store_dword v[4:5], v124, off offset:140
	s_waitcnt vmcnt(0)
	global_store_dword v[117:118], v125, off
.LBB108_601:
	s_or_b32 exec_lo, exec_lo, s2
	v_mov_b32_e32 v124, v116
	v_mov_b32_e32 v125, v116
.LBB108_602:
	s_or_b32 exec_lo, exec_lo, s1
.LBB108_603:
	s_andn2_saveexec_b32 s0, s0
	s_cbranch_execz .LBB108_605
; %bb.604:
	v_mov_b32_e32 v116, v40
	v_mov_b32_e32 v117, v41
	;; [unrolled: 1-line block ×20, first 2 shown]
	ds_write2_b64 v122, v[116:117], v[125:126] offset0:36 offset1:37
	ds_write2_b64 v122, v[127:128], v[129:130] offset0:38 offset1:39
	;; [unrolled: 1-line block ×5, first 2 shown]
	v_mov_b32_e32 v116, v20
	v_mov_b32_e32 v117, v21
	;; [unrolled: 1-line block ×8, first 2 shown]
	ds_write2_b64 v122, v[116:117], v[125:126] offset0:46 offset1:47
	v_mov_b32_e32 v125, 35
	v_mov_b32_e32 v131, v12
	;; [unrolled: 1-line block ×9, first 2 shown]
	ds_write2_b64 v122, v[127:128], v[129:130] offset0:48 offset1:49
	ds_write2_b64 v122, v[131:132], v[133:134] offset0:50 offset1:51
	;; [unrolled: 1-line block ×3, first 2 shown]
	ds_write_b64 v122, v[114:115] offset:432
.LBB108_605:
	s_or_b32 exec_lo, exec_lo, s0
	s_mov_b32 s0, exec_lo
	s_waitcnt lgkmcnt(0)
	s_waitcnt_vscnt null, 0x0
	s_barrier
	buffer_gl0_inv
	v_cmpx_lt_i32_e32 35, v125
	s_cbranch_execz .LBB108_607
; %bb.606:
	v_mul_f64 v[42:43], v[0:1], v[42:43]
	ds_read2_b64 v[126:129], v122 offset0:36 offset1:37
	ds_read2_b64 v[130:133], v122 offset0:38 offset1:39
	;; [unrolled: 1-line block ×9, first 2 shown]
	ds_read_b64 v[0:1], v122 offset:432
	s_waitcnt lgkmcnt(9)
	v_fma_f64 v[40:41], -v[42:43], v[126:127], v[40:41]
	v_fma_f64 v[38:39], -v[42:43], v[128:129], v[38:39]
	s_waitcnt lgkmcnt(8)
	v_fma_f64 v[36:37], -v[42:43], v[130:131], v[36:37]
	v_fma_f64 v[34:35], -v[42:43], v[132:133], v[34:35]
	;; [unrolled: 3-line block ×9, first 2 shown]
	s_waitcnt lgkmcnt(0)
	v_fma_f64 v[114:115], -v[42:43], v[0:1], v[114:115]
.LBB108_607:
	s_or_b32 exec_lo, exec_lo, s0
	v_lshl_add_u32 v0, v125, 3, v122
	s_barrier
	buffer_gl0_inv
	v_mov_b32_e32 v116, 36
	ds_write_b64 v0, v[40:41]
	s_waitcnt lgkmcnt(0)
	s_barrier
	buffer_gl0_inv
	ds_read_b64 v[0:1], v122 offset:288
	s_cmp_lt_i32 s7, 38
	s_cbranch_scc1 .LBB108_610
; %bb.608:
	v_add3_u32 v117, v123, 0, 0x128
	v_mov_b32_e32 v116, 36
	s_mov_b32 s0, 37
.LBB108_609:                            ; =>This Inner Loop Header: Depth=1
	ds_read_b64 v[126:127], v117
	v_add_nc_u32_e32 v117, 8, v117
	s_waitcnt lgkmcnt(0)
	v_cmp_lt_f64_e64 vcc_lo, |v[0:1]|, |v[126:127]|
	v_cndmask_b32_e32 v1, v1, v127, vcc_lo
	v_cndmask_b32_e32 v0, v0, v126, vcc_lo
	v_cndmask_b32_e64 v116, v116, s0, vcc_lo
	s_add_i32 s0, s0, 1
	s_cmp_lg_u32 s7, s0
	s_cbranch_scc1 .LBB108_609
.LBB108_610:
	s_mov_b32 s0, exec_lo
	s_waitcnt lgkmcnt(0)
	v_cmpx_eq_f64_e32 0, v[0:1]
	s_xor_b32 s0, exec_lo, s0
; %bb.611:
	v_cmp_ne_u32_e32 vcc_lo, 0, v119
	v_cndmask_b32_e32 v119, 37, v119, vcc_lo
; %bb.612:
	s_andn2_saveexec_b32 s0, s0
	s_cbranch_execz .LBB108_614
; %bb.613:
	v_div_scale_f64 v[117:118], null, v[0:1], v[0:1], 1.0
	v_rcp_f64_e32 v[126:127], v[117:118]
	v_fma_f64 v[128:129], -v[117:118], v[126:127], 1.0
	v_fma_f64 v[126:127], v[126:127], v[128:129], v[126:127]
	v_fma_f64 v[128:129], -v[117:118], v[126:127], 1.0
	v_fma_f64 v[126:127], v[126:127], v[128:129], v[126:127]
	v_div_scale_f64 v[128:129], vcc_lo, 1.0, v[0:1], 1.0
	v_mul_f64 v[130:131], v[128:129], v[126:127]
	v_fma_f64 v[117:118], -v[117:118], v[130:131], v[128:129]
	v_div_fmas_f64 v[117:118], v[117:118], v[126:127], v[130:131]
	v_div_fixup_f64 v[0:1], v[117:118], v[0:1], 1.0
.LBB108_614:
	s_or_b32 exec_lo, exec_lo, s0
	s_mov_b32 s0, exec_lo
	v_cmpx_ne_u32_e64 v125, v116
	s_xor_b32 s0, exec_lo, s0
	s_cbranch_execz .LBB108_620
; %bb.615:
	s_mov_b32 s1, exec_lo
	v_cmpx_eq_u32_e32 36, v125
	s_cbranch_execz .LBB108_619
; %bb.616:
	v_cmp_ne_u32_e32 vcc_lo, 36, v116
	s_xor_b32 s2, s6, -1
	s_and_b32 s3, s2, vcc_lo
	s_and_saveexec_b32 s2, s3
	s_cbranch_execz .LBB108_618
; %bb.617:
	v_ashrrev_i32_e32 v117, 31, v116
	v_lshlrev_b64 v[117:118], 2, v[116:117]
	v_add_co_u32 v117, vcc_lo, v4, v117
	v_add_co_ci_u32_e64 v118, null, v5, v118, vcc_lo
	s_clause 0x1
	global_load_dword v124, v[117:118], off
	global_load_dword v125, v[4:5], off offset:144
	s_waitcnt vmcnt(1)
	global_store_dword v[4:5], v124, off offset:144
	s_waitcnt vmcnt(0)
	global_store_dword v[117:118], v125, off
.LBB108_618:
	s_or_b32 exec_lo, exec_lo, s2
	v_mov_b32_e32 v124, v116
	v_mov_b32_e32 v125, v116
.LBB108_619:
	s_or_b32 exec_lo, exec_lo, s1
.LBB108_620:
	s_andn2_saveexec_b32 s0, s0
	s_cbranch_execz .LBB108_622
; %bb.621:
	v_mov_b32_e32 v125, 36
	ds_write2_b64 v122, v[38:39], v[36:37] offset0:37 offset1:38
	ds_write2_b64 v122, v[34:35], v[32:33] offset0:39 offset1:40
	;; [unrolled: 1-line block ×9, first 2 shown]
.LBB108_622:
	s_or_b32 exec_lo, exec_lo, s0
	s_mov_b32 s0, exec_lo
	s_waitcnt lgkmcnt(0)
	s_waitcnt_vscnt null, 0x0
	s_barrier
	buffer_gl0_inv
	v_cmpx_lt_i32_e32 36, v125
	s_cbranch_execz .LBB108_624
; %bb.623:
	v_mul_f64 v[40:41], v[0:1], v[40:41]
	ds_read2_b64 v[126:129], v122 offset0:37 offset1:38
	ds_read2_b64 v[130:133], v122 offset0:39 offset1:40
	;; [unrolled: 1-line block ×9, first 2 shown]
	s_waitcnt lgkmcnt(8)
	v_fma_f64 v[38:39], -v[40:41], v[126:127], v[38:39]
	v_fma_f64 v[36:37], -v[40:41], v[128:129], v[36:37]
	s_waitcnt lgkmcnt(7)
	v_fma_f64 v[34:35], -v[40:41], v[130:131], v[34:35]
	v_fma_f64 v[32:33], -v[40:41], v[132:133], v[32:33]
	;; [unrolled: 3-line block ×9, first 2 shown]
.LBB108_624:
	s_or_b32 exec_lo, exec_lo, s0
	v_lshl_add_u32 v0, v125, 3, v122
	s_barrier
	buffer_gl0_inv
	v_mov_b32_e32 v116, 37
	ds_write_b64 v0, v[38:39]
	s_waitcnt lgkmcnt(0)
	s_barrier
	buffer_gl0_inv
	ds_read_b64 v[0:1], v122 offset:296
	s_cmp_lt_i32 s7, 39
	s_cbranch_scc1 .LBB108_627
; %bb.625:
	v_add3_u32 v117, v123, 0, 0x130
	v_mov_b32_e32 v116, 37
	s_mov_b32 s0, 38
.LBB108_626:                            ; =>This Inner Loop Header: Depth=1
	ds_read_b64 v[126:127], v117
	v_add_nc_u32_e32 v117, 8, v117
	s_waitcnt lgkmcnt(0)
	v_cmp_lt_f64_e64 vcc_lo, |v[0:1]|, |v[126:127]|
	v_cndmask_b32_e32 v1, v1, v127, vcc_lo
	v_cndmask_b32_e32 v0, v0, v126, vcc_lo
	v_cndmask_b32_e64 v116, v116, s0, vcc_lo
	s_add_i32 s0, s0, 1
	s_cmp_lg_u32 s7, s0
	s_cbranch_scc1 .LBB108_626
.LBB108_627:
	s_mov_b32 s0, exec_lo
	s_waitcnt lgkmcnt(0)
	v_cmpx_eq_f64_e32 0, v[0:1]
	s_xor_b32 s0, exec_lo, s0
; %bb.628:
	v_cmp_ne_u32_e32 vcc_lo, 0, v119
	v_cndmask_b32_e32 v119, 38, v119, vcc_lo
; %bb.629:
	s_andn2_saveexec_b32 s0, s0
	s_cbranch_execz .LBB108_631
; %bb.630:
	v_div_scale_f64 v[117:118], null, v[0:1], v[0:1], 1.0
	v_rcp_f64_e32 v[126:127], v[117:118]
	v_fma_f64 v[128:129], -v[117:118], v[126:127], 1.0
	v_fma_f64 v[126:127], v[126:127], v[128:129], v[126:127]
	v_fma_f64 v[128:129], -v[117:118], v[126:127], 1.0
	v_fma_f64 v[126:127], v[126:127], v[128:129], v[126:127]
	v_div_scale_f64 v[128:129], vcc_lo, 1.0, v[0:1], 1.0
	v_mul_f64 v[130:131], v[128:129], v[126:127]
	v_fma_f64 v[117:118], -v[117:118], v[130:131], v[128:129]
	v_div_fmas_f64 v[117:118], v[117:118], v[126:127], v[130:131]
	v_div_fixup_f64 v[0:1], v[117:118], v[0:1], 1.0
.LBB108_631:
	s_or_b32 exec_lo, exec_lo, s0
	s_mov_b32 s0, exec_lo
	v_cmpx_ne_u32_e64 v125, v116
	s_xor_b32 s0, exec_lo, s0
	s_cbranch_execz .LBB108_637
; %bb.632:
	s_mov_b32 s1, exec_lo
	v_cmpx_eq_u32_e32 37, v125
	s_cbranch_execz .LBB108_636
; %bb.633:
	v_cmp_ne_u32_e32 vcc_lo, 37, v116
	s_xor_b32 s2, s6, -1
	s_and_b32 s3, s2, vcc_lo
	s_and_saveexec_b32 s2, s3
	s_cbranch_execz .LBB108_635
; %bb.634:
	v_ashrrev_i32_e32 v117, 31, v116
	v_lshlrev_b64 v[117:118], 2, v[116:117]
	v_add_co_u32 v117, vcc_lo, v4, v117
	v_add_co_ci_u32_e64 v118, null, v5, v118, vcc_lo
	s_clause 0x1
	global_load_dword v124, v[117:118], off
	global_load_dword v125, v[4:5], off offset:148
	s_waitcnt vmcnt(1)
	global_store_dword v[4:5], v124, off offset:148
	s_waitcnt vmcnt(0)
	global_store_dword v[117:118], v125, off
.LBB108_635:
	s_or_b32 exec_lo, exec_lo, s2
	v_mov_b32_e32 v124, v116
	v_mov_b32_e32 v125, v116
.LBB108_636:
	s_or_b32 exec_lo, exec_lo, s1
.LBB108_637:
	s_andn2_saveexec_b32 s0, s0
	s_cbranch_execz .LBB108_639
; %bb.638:
	v_mov_b32_e32 v116, v36
	v_mov_b32_e32 v117, v37
	;; [unrolled: 1-line block ×16, first 2 shown]
	ds_write2_b64 v122, v[116:117], v[125:126] offset0:38 offset1:39
	ds_write2_b64 v122, v[127:128], v[129:130] offset0:40 offset1:41
	;; [unrolled: 1-line block ×4, first 2 shown]
	v_mov_b32_e32 v116, v20
	v_mov_b32_e32 v117, v21
	;; [unrolled: 1-line block ×8, first 2 shown]
	ds_write2_b64 v122, v[116:117], v[125:126] offset0:46 offset1:47
	v_mov_b32_e32 v125, 37
	v_mov_b32_e32 v131, v12
	v_mov_b32_e32 v132, v13
	v_mov_b32_e32 v133, v8
	v_mov_b32_e32 v134, v9
	v_mov_b32_e32 v135, v10
	v_mov_b32_e32 v136, v11
	v_mov_b32_e32 v137, v6
	v_mov_b32_e32 v138, v7
	ds_write2_b64 v122, v[127:128], v[129:130] offset0:48 offset1:49
	ds_write2_b64 v122, v[131:132], v[133:134] offset0:50 offset1:51
	;; [unrolled: 1-line block ×3, first 2 shown]
	ds_write_b64 v122, v[114:115] offset:432
.LBB108_639:
	s_or_b32 exec_lo, exec_lo, s0
	s_mov_b32 s0, exec_lo
	s_waitcnt lgkmcnt(0)
	s_waitcnt_vscnt null, 0x0
	s_barrier
	buffer_gl0_inv
	v_cmpx_lt_i32_e32 37, v125
	s_cbranch_execz .LBB108_641
; %bb.640:
	v_mul_f64 v[38:39], v[0:1], v[38:39]
	ds_read2_b64 v[126:129], v122 offset0:38 offset1:39
	ds_read2_b64 v[130:133], v122 offset0:40 offset1:41
	;; [unrolled: 1-line block ×8, first 2 shown]
	ds_read_b64 v[0:1], v122 offset:432
	s_waitcnt lgkmcnt(8)
	v_fma_f64 v[36:37], -v[38:39], v[126:127], v[36:37]
	v_fma_f64 v[34:35], -v[38:39], v[128:129], v[34:35]
	s_waitcnt lgkmcnt(7)
	v_fma_f64 v[32:33], -v[38:39], v[130:131], v[32:33]
	v_fma_f64 v[28:29], -v[38:39], v[132:133], v[28:29]
	;; [unrolled: 3-line block ×8, first 2 shown]
	s_waitcnt lgkmcnt(0)
	v_fma_f64 v[114:115], -v[38:39], v[0:1], v[114:115]
.LBB108_641:
	s_or_b32 exec_lo, exec_lo, s0
	v_lshl_add_u32 v0, v125, 3, v122
	s_barrier
	buffer_gl0_inv
	v_mov_b32_e32 v116, 38
	ds_write_b64 v0, v[36:37]
	s_waitcnt lgkmcnt(0)
	s_barrier
	buffer_gl0_inv
	ds_read_b64 v[0:1], v122 offset:304
	s_cmp_lt_i32 s7, 40
	s_cbranch_scc1 .LBB108_644
; %bb.642:
	v_add3_u32 v117, v123, 0, 0x138
	v_mov_b32_e32 v116, 38
	s_mov_b32 s0, 39
.LBB108_643:                            ; =>This Inner Loop Header: Depth=1
	ds_read_b64 v[126:127], v117
	v_add_nc_u32_e32 v117, 8, v117
	s_waitcnt lgkmcnt(0)
	v_cmp_lt_f64_e64 vcc_lo, |v[0:1]|, |v[126:127]|
	v_cndmask_b32_e32 v1, v1, v127, vcc_lo
	v_cndmask_b32_e32 v0, v0, v126, vcc_lo
	v_cndmask_b32_e64 v116, v116, s0, vcc_lo
	s_add_i32 s0, s0, 1
	s_cmp_lg_u32 s7, s0
	s_cbranch_scc1 .LBB108_643
.LBB108_644:
	s_mov_b32 s0, exec_lo
	s_waitcnt lgkmcnt(0)
	v_cmpx_eq_f64_e32 0, v[0:1]
	s_xor_b32 s0, exec_lo, s0
; %bb.645:
	v_cmp_ne_u32_e32 vcc_lo, 0, v119
	v_cndmask_b32_e32 v119, 39, v119, vcc_lo
; %bb.646:
	s_andn2_saveexec_b32 s0, s0
	s_cbranch_execz .LBB108_648
; %bb.647:
	v_div_scale_f64 v[117:118], null, v[0:1], v[0:1], 1.0
	v_rcp_f64_e32 v[126:127], v[117:118]
	v_fma_f64 v[128:129], -v[117:118], v[126:127], 1.0
	v_fma_f64 v[126:127], v[126:127], v[128:129], v[126:127]
	v_fma_f64 v[128:129], -v[117:118], v[126:127], 1.0
	v_fma_f64 v[126:127], v[126:127], v[128:129], v[126:127]
	v_div_scale_f64 v[128:129], vcc_lo, 1.0, v[0:1], 1.0
	v_mul_f64 v[130:131], v[128:129], v[126:127]
	v_fma_f64 v[117:118], -v[117:118], v[130:131], v[128:129]
	v_div_fmas_f64 v[117:118], v[117:118], v[126:127], v[130:131]
	v_div_fixup_f64 v[0:1], v[117:118], v[0:1], 1.0
.LBB108_648:
	s_or_b32 exec_lo, exec_lo, s0
	s_mov_b32 s0, exec_lo
	v_cmpx_ne_u32_e64 v125, v116
	s_xor_b32 s0, exec_lo, s0
	s_cbranch_execz .LBB108_654
; %bb.649:
	s_mov_b32 s1, exec_lo
	v_cmpx_eq_u32_e32 38, v125
	s_cbranch_execz .LBB108_653
; %bb.650:
	v_cmp_ne_u32_e32 vcc_lo, 38, v116
	s_xor_b32 s2, s6, -1
	s_and_b32 s3, s2, vcc_lo
	s_and_saveexec_b32 s2, s3
	s_cbranch_execz .LBB108_652
; %bb.651:
	v_ashrrev_i32_e32 v117, 31, v116
	v_lshlrev_b64 v[117:118], 2, v[116:117]
	v_add_co_u32 v117, vcc_lo, v4, v117
	v_add_co_ci_u32_e64 v118, null, v5, v118, vcc_lo
	s_clause 0x1
	global_load_dword v124, v[117:118], off
	global_load_dword v125, v[4:5], off offset:152
	s_waitcnt vmcnt(1)
	global_store_dword v[4:5], v124, off offset:152
	s_waitcnt vmcnt(0)
	global_store_dword v[117:118], v125, off
.LBB108_652:
	s_or_b32 exec_lo, exec_lo, s2
	v_mov_b32_e32 v124, v116
	v_mov_b32_e32 v125, v116
.LBB108_653:
	s_or_b32 exec_lo, exec_lo, s1
.LBB108_654:
	s_andn2_saveexec_b32 s0, s0
	s_cbranch_execz .LBB108_656
; %bb.655:
	v_mov_b32_e32 v125, 38
	ds_write2_b64 v122, v[34:35], v[32:33] offset0:39 offset1:40
	ds_write2_b64 v122, v[28:29], v[30:31] offset0:41 offset1:42
	;; [unrolled: 1-line block ×8, first 2 shown]
.LBB108_656:
	s_or_b32 exec_lo, exec_lo, s0
	s_mov_b32 s0, exec_lo
	s_waitcnt lgkmcnt(0)
	s_waitcnt_vscnt null, 0x0
	s_barrier
	buffer_gl0_inv
	v_cmpx_lt_i32_e32 38, v125
	s_cbranch_execz .LBB108_658
; %bb.657:
	v_mul_f64 v[36:37], v[0:1], v[36:37]
	ds_read2_b64 v[126:129], v122 offset0:39 offset1:40
	ds_read2_b64 v[130:133], v122 offset0:41 offset1:42
	;; [unrolled: 1-line block ×8, first 2 shown]
	s_waitcnt lgkmcnt(7)
	v_fma_f64 v[34:35], -v[36:37], v[126:127], v[34:35]
	v_fma_f64 v[32:33], -v[36:37], v[128:129], v[32:33]
	s_waitcnt lgkmcnt(6)
	v_fma_f64 v[28:29], -v[36:37], v[130:131], v[28:29]
	v_fma_f64 v[30:31], -v[36:37], v[132:133], v[30:31]
	;; [unrolled: 3-line block ×8, first 2 shown]
.LBB108_658:
	s_or_b32 exec_lo, exec_lo, s0
	v_lshl_add_u32 v0, v125, 3, v122
	s_barrier
	buffer_gl0_inv
	v_mov_b32_e32 v116, 39
	ds_write_b64 v0, v[34:35]
	s_waitcnt lgkmcnt(0)
	s_barrier
	buffer_gl0_inv
	ds_read_b64 v[0:1], v122 offset:312
	s_cmp_lt_i32 s7, 41
	s_cbranch_scc1 .LBB108_661
; %bb.659:
	v_add3_u32 v117, v123, 0, 0x140
	v_mov_b32_e32 v116, 39
	s_mov_b32 s0, 40
.LBB108_660:                            ; =>This Inner Loop Header: Depth=1
	ds_read_b64 v[126:127], v117
	v_add_nc_u32_e32 v117, 8, v117
	s_waitcnt lgkmcnt(0)
	v_cmp_lt_f64_e64 vcc_lo, |v[0:1]|, |v[126:127]|
	v_cndmask_b32_e32 v1, v1, v127, vcc_lo
	v_cndmask_b32_e32 v0, v0, v126, vcc_lo
	v_cndmask_b32_e64 v116, v116, s0, vcc_lo
	s_add_i32 s0, s0, 1
	s_cmp_lg_u32 s7, s0
	s_cbranch_scc1 .LBB108_660
.LBB108_661:
	s_mov_b32 s0, exec_lo
	s_waitcnt lgkmcnt(0)
	v_cmpx_eq_f64_e32 0, v[0:1]
	s_xor_b32 s0, exec_lo, s0
; %bb.662:
	v_cmp_ne_u32_e32 vcc_lo, 0, v119
	v_cndmask_b32_e32 v119, 40, v119, vcc_lo
; %bb.663:
	s_andn2_saveexec_b32 s0, s0
	s_cbranch_execz .LBB108_665
; %bb.664:
	v_div_scale_f64 v[117:118], null, v[0:1], v[0:1], 1.0
	v_rcp_f64_e32 v[126:127], v[117:118]
	v_fma_f64 v[128:129], -v[117:118], v[126:127], 1.0
	v_fma_f64 v[126:127], v[126:127], v[128:129], v[126:127]
	v_fma_f64 v[128:129], -v[117:118], v[126:127], 1.0
	v_fma_f64 v[126:127], v[126:127], v[128:129], v[126:127]
	v_div_scale_f64 v[128:129], vcc_lo, 1.0, v[0:1], 1.0
	v_mul_f64 v[130:131], v[128:129], v[126:127]
	v_fma_f64 v[117:118], -v[117:118], v[130:131], v[128:129]
	v_div_fmas_f64 v[117:118], v[117:118], v[126:127], v[130:131]
	v_div_fixup_f64 v[0:1], v[117:118], v[0:1], 1.0
.LBB108_665:
	s_or_b32 exec_lo, exec_lo, s0
	s_mov_b32 s0, exec_lo
	v_cmpx_ne_u32_e64 v125, v116
	s_xor_b32 s0, exec_lo, s0
	s_cbranch_execz .LBB108_671
; %bb.666:
	s_mov_b32 s1, exec_lo
	v_cmpx_eq_u32_e32 39, v125
	s_cbranch_execz .LBB108_670
; %bb.667:
	v_cmp_ne_u32_e32 vcc_lo, 39, v116
	s_xor_b32 s2, s6, -1
	s_and_b32 s3, s2, vcc_lo
	s_and_saveexec_b32 s2, s3
	s_cbranch_execz .LBB108_669
; %bb.668:
	v_ashrrev_i32_e32 v117, 31, v116
	v_lshlrev_b64 v[117:118], 2, v[116:117]
	v_add_co_u32 v117, vcc_lo, v4, v117
	v_add_co_ci_u32_e64 v118, null, v5, v118, vcc_lo
	s_clause 0x1
	global_load_dword v124, v[117:118], off
	global_load_dword v125, v[4:5], off offset:156
	s_waitcnt vmcnt(1)
	global_store_dword v[4:5], v124, off offset:156
	s_waitcnt vmcnt(0)
	global_store_dword v[117:118], v125, off
.LBB108_669:
	s_or_b32 exec_lo, exec_lo, s2
	v_mov_b32_e32 v124, v116
	v_mov_b32_e32 v125, v116
.LBB108_670:
	s_or_b32 exec_lo, exec_lo, s1
.LBB108_671:
	s_andn2_saveexec_b32 s0, s0
	s_cbranch_execz .LBB108_673
; %bb.672:
	v_mov_b32_e32 v116, v32
	v_mov_b32_e32 v117, v33
	;; [unrolled: 1-line block ×12, first 2 shown]
	ds_write2_b64 v122, v[116:117], v[125:126] offset0:40 offset1:41
	ds_write2_b64 v122, v[127:128], v[129:130] offset0:42 offset1:43
	;; [unrolled: 1-line block ×3, first 2 shown]
	v_mov_b32_e32 v116, v20
	v_mov_b32_e32 v117, v21
	;; [unrolled: 1-line block ×8, first 2 shown]
	ds_write2_b64 v122, v[116:117], v[125:126] offset0:46 offset1:47
	v_mov_b32_e32 v125, 39
	v_mov_b32_e32 v131, v12
	;; [unrolled: 1-line block ×9, first 2 shown]
	ds_write2_b64 v122, v[127:128], v[129:130] offset0:48 offset1:49
	ds_write2_b64 v122, v[131:132], v[133:134] offset0:50 offset1:51
	;; [unrolled: 1-line block ×3, first 2 shown]
	ds_write_b64 v122, v[114:115] offset:432
.LBB108_673:
	s_or_b32 exec_lo, exec_lo, s0
	s_mov_b32 s0, exec_lo
	s_waitcnt lgkmcnt(0)
	s_waitcnt_vscnt null, 0x0
	s_barrier
	buffer_gl0_inv
	v_cmpx_lt_i32_e32 39, v125
	s_cbranch_execz .LBB108_675
; %bb.674:
	v_mul_f64 v[34:35], v[0:1], v[34:35]
	ds_read2_b64 v[126:129], v122 offset0:40 offset1:41
	ds_read2_b64 v[130:133], v122 offset0:42 offset1:43
	;; [unrolled: 1-line block ×7, first 2 shown]
	ds_read_b64 v[0:1], v122 offset:432
	s_waitcnt lgkmcnt(7)
	v_fma_f64 v[32:33], -v[34:35], v[126:127], v[32:33]
	v_fma_f64 v[28:29], -v[34:35], v[128:129], v[28:29]
	s_waitcnt lgkmcnt(6)
	v_fma_f64 v[30:31], -v[34:35], v[130:131], v[30:31]
	v_fma_f64 v[24:25], -v[34:35], v[132:133], v[24:25]
	;; [unrolled: 3-line block ×7, first 2 shown]
	s_waitcnt lgkmcnt(0)
	v_fma_f64 v[114:115], -v[34:35], v[0:1], v[114:115]
.LBB108_675:
	s_or_b32 exec_lo, exec_lo, s0
	v_lshl_add_u32 v0, v125, 3, v122
	s_barrier
	buffer_gl0_inv
	v_mov_b32_e32 v116, 40
	ds_write_b64 v0, v[32:33]
	s_waitcnt lgkmcnt(0)
	s_barrier
	buffer_gl0_inv
	ds_read_b64 v[0:1], v122 offset:320
	s_cmp_lt_i32 s7, 42
	s_cbranch_scc1 .LBB108_678
; %bb.676:
	v_add3_u32 v117, v123, 0, 0x148
	v_mov_b32_e32 v116, 40
	s_mov_b32 s0, 41
.LBB108_677:                            ; =>This Inner Loop Header: Depth=1
	ds_read_b64 v[126:127], v117
	v_add_nc_u32_e32 v117, 8, v117
	s_waitcnt lgkmcnt(0)
	v_cmp_lt_f64_e64 vcc_lo, |v[0:1]|, |v[126:127]|
	v_cndmask_b32_e32 v1, v1, v127, vcc_lo
	v_cndmask_b32_e32 v0, v0, v126, vcc_lo
	v_cndmask_b32_e64 v116, v116, s0, vcc_lo
	s_add_i32 s0, s0, 1
	s_cmp_lg_u32 s7, s0
	s_cbranch_scc1 .LBB108_677
.LBB108_678:
	s_mov_b32 s0, exec_lo
	s_waitcnt lgkmcnt(0)
	v_cmpx_eq_f64_e32 0, v[0:1]
	s_xor_b32 s0, exec_lo, s0
; %bb.679:
	v_cmp_ne_u32_e32 vcc_lo, 0, v119
	v_cndmask_b32_e32 v119, 41, v119, vcc_lo
; %bb.680:
	s_andn2_saveexec_b32 s0, s0
	s_cbranch_execz .LBB108_682
; %bb.681:
	v_div_scale_f64 v[117:118], null, v[0:1], v[0:1], 1.0
	v_rcp_f64_e32 v[126:127], v[117:118]
	v_fma_f64 v[128:129], -v[117:118], v[126:127], 1.0
	v_fma_f64 v[126:127], v[126:127], v[128:129], v[126:127]
	v_fma_f64 v[128:129], -v[117:118], v[126:127], 1.0
	v_fma_f64 v[126:127], v[126:127], v[128:129], v[126:127]
	v_div_scale_f64 v[128:129], vcc_lo, 1.0, v[0:1], 1.0
	v_mul_f64 v[130:131], v[128:129], v[126:127]
	v_fma_f64 v[117:118], -v[117:118], v[130:131], v[128:129]
	v_div_fmas_f64 v[117:118], v[117:118], v[126:127], v[130:131]
	v_div_fixup_f64 v[0:1], v[117:118], v[0:1], 1.0
.LBB108_682:
	s_or_b32 exec_lo, exec_lo, s0
	s_mov_b32 s0, exec_lo
	v_cmpx_ne_u32_e64 v125, v116
	s_xor_b32 s0, exec_lo, s0
	s_cbranch_execz .LBB108_688
; %bb.683:
	s_mov_b32 s1, exec_lo
	v_cmpx_eq_u32_e32 40, v125
	s_cbranch_execz .LBB108_687
; %bb.684:
	v_cmp_ne_u32_e32 vcc_lo, 40, v116
	s_xor_b32 s2, s6, -1
	s_and_b32 s3, s2, vcc_lo
	s_and_saveexec_b32 s2, s3
	s_cbranch_execz .LBB108_686
; %bb.685:
	v_ashrrev_i32_e32 v117, 31, v116
	v_lshlrev_b64 v[117:118], 2, v[116:117]
	v_add_co_u32 v117, vcc_lo, v4, v117
	v_add_co_ci_u32_e64 v118, null, v5, v118, vcc_lo
	s_clause 0x1
	global_load_dword v124, v[117:118], off
	global_load_dword v125, v[4:5], off offset:160
	s_waitcnt vmcnt(1)
	global_store_dword v[4:5], v124, off offset:160
	s_waitcnt vmcnt(0)
	global_store_dword v[117:118], v125, off
.LBB108_686:
	s_or_b32 exec_lo, exec_lo, s2
	v_mov_b32_e32 v124, v116
	v_mov_b32_e32 v125, v116
.LBB108_687:
	s_or_b32 exec_lo, exec_lo, s1
.LBB108_688:
	s_andn2_saveexec_b32 s0, s0
	s_cbranch_execz .LBB108_690
; %bb.689:
	v_mov_b32_e32 v125, 40
	ds_write2_b64 v122, v[28:29], v[30:31] offset0:41 offset1:42
	ds_write2_b64 v122, v[24:25], v[26:27] offset0:43 offset1:44
	;; [unrolled: 1-line block ×7, first 2 shown]
.LBB108_690:
	s_or_b32 exec_lo, exec_lo, s0
	s_mov_b32 s0, exec_lo
	s_waitcnt lgkmcnt(0)
	s_waitcnt_vscnt null, 0x0
	s_barrier
	buffer_gl0_inv
	v_cmpx_lt_i32_e32 40, v125
	s_cbranch_execz .LBB108_692
; %bb.691:
	v_mul_f64 v[32:33], v[0:1], v[32:33]
	ds_read2_b64 v[126:129], v122 offset0:41 offset1:42
	ds_read2_b64 v[130:133], v122 offset0:43 offset1:44
	;; [unrolled: 1-line block ×7, first 2 shown]
	s_waitcnt lgkmcnt(6)
	v_fma_f64 v[28:29], -v[32:33], v[126:127], v[28:29]
	v_fma_f64 v[30:31], -v[32:33], v[128:129], v[30:31]
	s_waitcnt lgkmcnt(5)
	v_fma_f64 v[24:25], -v[32:33], v[130:131], v[24:25]
	v_fma_f64 v[26:27], -v[32:33], v[132:133], v[26:27]
	;; [unrolled: 3-line block ×7, first 2 shown]
.LBB108_692:
	s_or_b32 exec_lo, exec_lo, s0
	v_lshl_add_u32 v0, v125, 3, v122
	s_barrier
	buffer_gl0_inv
	v_mov_b32_e32 v116, 41
	ds_write_b64 v0, v[28:29]
	s_waitcnt lgkmcnt(0)
	s_barrier
	buffer_gl0_inv
	ds_read_b64 v[0:1], v122 offset:328
	s_cmp_lt_i32 s7, 43
	s_cbranch_scc1 .LBB108_695
; %bb.693:
	v_add3_u32 v117, v123, 0, 0x150
	v_mov_b32_e32 v116, 41
	s_mov_b32 s0, 42
.LBB108_694:                            ; =>This Inner Loop Header: Depth=1
	ds_read_b64 v[126:127], v117
	v_add_nc_u32_e32 v117, 8, v117
	s_waitcnt lgkmcnt(0)
	v_cmp_lt_f64_e64 vcc_lo, |v[0:1]|, |v[126:127]|
	v_cndmask_b32_e32 v1, v1, v127, vcc_lo
	v_cndmask_b32_e32 v0, v0, v126, vcc_lo
	v_cndmask_b32_e64 v116, v116, s0, vcc_lo
	s_add_i32 s0, s0, 1
	s_cmp_lg_u32 s7, s0
	s_cbranch_scc1 .LBB108_694
.LBB108_695:
	s_mov_b32 s0, exec_lo
	s_waitcnt lgkmcnt(0)
	v_cmpx_eq_f64_e32 0, v[0:1]
	s_xor_b32 s0, exec_lo, s0
; %bb.696:
	v_cmp_ne_u32_e32 vcc_lo, 0, v119
	v_cndmask_b32_e32 v119, 42, v119, vcc_lo
; %bb.697:
	s_andn2_saveexec_b32 s0, s0
	s_cbranch_execz .LBB108_699
; %bb.698:
	v_div_scale_f64 v[117:118], null, v[0:1], v[0:1], 1.0
	v_rcp_f64_e32 v[126:127], v[117:118]
	v_fma_f64 v[128:129], -v[117:118], v[126:127], 1.0
	v_fma_f64 v[126:127], v[126:127], v[128:129], v[126:127]
	v_fma_f64 v[128:129], -v[117:118], v[126:127], 1.0
	v_fma_f64 v[126:127], v[126:127], v[128:129], v[126:127]
	v_div_scale_f64 v[128:129], vcc_lo, 1.0, v[0:1], 1.0
	v_mul_f64 v[130:131], v[128:129], v[126:127]
	v_fma_f64 v[117:118], -v[117:118], v[130:131], v[128:129]
	v_div_fmas_f64 v[117:118], v[117:118], v[126:127], v[130:131]
	v_div_fixup_f64 v[0:1], v[117:118], v[0:1], 1.0
.LBB108_699:
	s_or_b32 exec_lo, exec_lo, s0
	s_mov_b32 s0, exec_lo
	v_cmpx_ne_u32_e64 v125, v116
	s_xor_b32 s0, exec_lo, s0
	s_cbranch_execz .LBB108_705
; %bb.700:
	s_mov_b32 s1, exec_lo
	v_cmpx_eq_u32_e32 41, v125
	s_cbranch_execz .LBB108_704
; %bb.701:
	v_cmp_ne_u32_e32 vcc_lo, 41, v116
	s_xor_b32 s2, s6, -1
	s_and_b32 s3, s2, vcc_lo
	s_and_saveexec_b32 s2, s3
	s_cbranch_execz .LBB108_703
; %bb.702:
	v_ashrrev_i32_e32 v117, 31, v116
	v_lshlrev_b64 v[117:118], 2, v[116:117]
	v_add_co_u32 v117, vcc_lo, v4, v117
	v_add_co_ci_u32_e64 v118, null, v5, v118, vcc_lo
	s_clause 0x1
	global_load_dword v124, v[117:118], off
	global_load_dword v125, v[4:5], off offset:164
	s_waitcnt vmcnt(1)
	global_store_dword v[4:5], v124, off offset:164
	s_waitcnt vmcnt(0)
	global_store_dword v[117:118], v125, off
.LBB108_703:
	s_or_b32 exec_lo, exec_lo, s2
	v_mov_b32_e32 v124, v116
	v_mov_b32_e32 v125, v116
.LBB108_704:
	s_or_b32 exec_lo, exec_lo, s1
.LBB108_705:
	s_andn2_saveexec_b32 s0, s0
	s_cbranch_execz .LBB108_707
; %bb.706:
	v_mov_b32_e32 v116, v30
	v_mov_b32_e32 v117, v31
	;; [unrolled: 1-line block ×8, first 2 shown]
	ds_write2_b64 v122, v[116:117], v[125:126] offset0:42 offset1:43
	ds_write2_b64 v122, v[127:128], v[129:130] offset0:44 offset1:45
	v_mov_b32_e32 v116, v20
	v_mov_b32_e32 v117, v21
	;; [unrolled: 1-line block ×8, first 2 shown]
	ds_write2_b64 v122, v[116:117], v[125:126] offset0:46 offset1:47
	v_mov_b32_e32 v125, 41
	v_mov_b32_e32 v131, v12
	;; [unrolled: 1-line block ×9, first 2 shown]
	ds_write2_b64 v122, v[127:128], v[129:130] offset0:48 offset1:49
	ds_write2_b64 v122, v[131:132], v[133:134] offset0:50 offset1:51
	;; [unrolled: 1-line block ×3, first 2 shown]
	ds_write_b64 v122, v[114:115] offset:432
.LBB108_707:
	s_or_b32 exec_lo, exec_lo, s0
	s_mov_b32 s0, exec_lo
	s_waitcnt lgkmcnt(0)
	s_waitcnt_vscnt null, 0x0
	s_barrier
	buffer_gl0_inv
	v_cmpx_lt_i32_e32 41, v125
	s_cbranch_execz .LBB108_709
; %bb.708:
	v_mul_f64 v[28:29], v[0:1], v[28:29]
	ds_read2_b64 v[126:129], v122 offset0:42 offset1:43
	ds_read2_b64 v[130:133], v122 offset0:44 offset1:45
	;; [unrolled: 1-line block ×6, first 2 shown]
	ds_read_b64 v[0:1], v122 offset:432
	s_waitcnt lgkmcnt(6)
	v_fma_f64 v[30:31], -v[28:29], v[126:127], v[30:31]
	v_fma_f64 v[24:25], -v[28:29], v[128:129], v[24:25]
	s_waitcnt lgkmcnt(5)
	v_fma_f64 v[26:27], -v[28:29], v[130:131], v[26:27]
	v_fma_f64 v[22:23], -v[28:29], v[132:133], v[22:23]
	;; [unrolled: 3-line block ×6, first 2 shown]
	s_waitcnt lgkmcnt(0)
	v_fma_f64 v[114:115], -v[28:29], v[0:1], v[114:115]
.LBB108_709:
	s_or_b32 exec_lo, exec_lo, s0
	v_lshl_add_u32 v0, v125, 3, v122
	s_barrier
	buffer_gl0_inv
	v_mov_b32_e32 v116, 42
	ds_write_b64 v0, v[30:31]
	s_waitcnt lgkmcnt(0)
	s_barrier
	buffer_gl0_inv
	ds_read_b64 v[0:1], v122 offset:336
	s_cmp_lt_i32 s7, 44
	s_cbranch_scc1 .LBB108_712
; %bb.710:
	v_add3_u32 v117, v123, 0, 0x158
	v_mov_b32_e32 v116, 42
	s_mov_b32 s0, 43
.LBB108_711:                            ; =>This Inner Loop Header: Depth=1
	ds_read_b64 v[126:127], v117
	v_add_nc_u32_e32 v117, 8, v117
	s_waitcnt lgkmcnt(0)
	v_cmp_lt_f64_e64 vcc_lo, |v[0:1]|, |v[126:127]|
	v_cndmask_b32_e32 v1, v1, v127, vcc_lo
	v_cndmask_b32_e32 v0, v0, v126, vcc_lo
	v_cndmask_b32_e64 v116, v116, s0, vcc_lo
	s_add_i32 s0, s0, 1
	s_cmp_lg_u32 s7, s0
	s_cbranch_scc1 .LBB108_711
.LBB108_712:
	s_mov_b32 s0, exec_lo
	s_waitcnt lgkmcnt(0)
	v_cmpx_eq_f64_e32 0, v[0:1]
	s_xor_b32 s0, exec_lo, s0
; %bb.713:
	v_cmp_ne_u32_e32 vcc_lo, 0, v119
	v_cndmask_b32_e32 v119, 43, v119, vcc_lo
; %bb.714:
	s_andn2_saveexec_b32 s0, s0
	s_cbranch_execz .LBB108_716
; %bb.715:
	v_div_scale_f64 v[117:118], null, v[0:1], v[0:1], 1.0
	v_rcp_f64_e32 v[126:127], v[117:118]
	v_fma_f64 v[128:129], -v[117:118], v[126:127], 1.0
	v_fma_f64 v[126:127], v[126:127], v[128:129], v[126:127]
	v_fma_f64 v[128:129], -v[117:118], v[126:127], 1.0
	v_fma_f64 v[126:127], v[126:127], v[128:129], v[126:127]
	v_div_scale_f64 v[128:129], vcc_lo, 1.0, v[0:1], 1.0
	v_mul_f64 v[130:131], v[128:129], v[126:127]
	v_fma_f64 v[117:118], -v[117:118], v[130:131], v[128:129]
	v_div_fmas_f64 v[117:118], v[117:118], v[126:127], v[130:131]
	v_div_fixup_f64 v[0:1], v[117:118], v[0:1], 1.0
.LBB108_716:
	s_or_b32 exec_lo, exec_lo, s0
	s_mov_b32 s0, exec_lo
	v_cmpx_ne_u32_e64 v125, v116
	s_xor_b32 s0, exec_lo, s0
	s_cbranch_execz .LBB108_722
; %bb.717:
	s_mov_b32 s1, exec_lo
	v_cmpx_eq_u32_e32 42, v125
	s_cbranch_execz .LBB108_721
; %bb.718:
	v_cmp_ne_u32_e32 vcc_lo, 42, v116
	s_xor_b32 s2, s6, -1
	s_and_b32 s3, s2, vcc_lo
	s_and_saveexec_b32 s2, s3
	s_cbranch_execz .LBB108_720
; %bb.719:
	v_ashrrev_i32_e32 v117, 31, v116
	v_lshlrev_b64 v[117:118], 2, v[116:117]
	v_add_co_u32 v117, vcc_lo, v4, v117
	v_add_co_ci_u32_e64 v118, null, v5, v118, vcc_lo
	s_clause 0x1
	global_load_dword v124, v[117:118], off
	global_load_dword v125, v[4:5], off offset:168
	s_waitcnt vmcnt(1)
	global_store_dword v[4:5], v124, off offset:168
	s_waitcnt vmcnt(0)
	global_store_dword v[117:118], v125, off
.LBB108_720:
	s_or_b32 exec_lo, exec_lo, s2
	v_mov_b32_e32 v124, v116
	v_mov_b32_e32 v125, v116
.LBB108_721:
	s_or_b32 exec_lo, exec_lo, s1
.LBB108_722:
	s_andn2_saveexec_b32 s0, s0
	s_cbranch_execz .LBB108_724
; %bb.723:
	v_mov_b32_e32 v125, 42
	ds_write2_b64 v122, v[24:25], v[26:27] offset0:43 offset1:44
	ds_write2_b64 v122, v[22:23], v[20:21] offset0:45 offset1:46
	;; [unrolled: 1-line block ×6, first 2 shown]
.LBB108_724:
	s_or_b32 exec_lo, exec_lo, s0
	s_mov_b32 s0, exec_lo
	s_waitcnt lgkmcnt(0)
	s_waitcnt_vscnt null, 0x0
	s_barrier
	buffer_gl0_inv
	v_cmpx_lt_i32_e32 42, v125
	s_cbranch_execz .LBB108_726
; %bb.725:
	v_mul_f64 v[30:31], v[0:1], v[30:31]
	ds_read2_b64 v[126:129], v122 offset0:43 offset1:44
	ds_read2_b64 v[130:133], v122 offset0:45 offset1:46
	;; [unrolled: 1-line block ×6, first 2 shown]
	s_waitcnt lgkmcnt(5)
	v_fma_f64 v[24:25], -v[30:31], v[126:127], v[24:25]
	v_fma_f64 v[26:27], -v[30:31], v[128:129], v[26:27]
	s_waitcnt lgkmcnt(4)
	v_fma_f64 v[22:23], -v[30:31], v[130:131], v[22:23]
	v_fma_f64 v[20:21], -v[30:31], v[132:133], v[20:21]
	;; [unrolled: 3-line block ×6, first 2 shown]
.LBB108_726:
	s_or_b32 exec_lo, exec_lo, s0
	v_lshl_add_u32 v0, v125, 3, v122
	s_barrier
	buffer_gl0_inv
	v_mov_b32_e32 v116, 43
	ds_write_b64 v0, v[24:25]
	s_waitcnt lgkmcnt(0)
	s_barrier
	buffer_gl0_inv
	ds_read_b64 v[0:1], v122 offset:344
	s_cmp_lt_i32 s7, 45
	s_cbranch_scc1 .LBB108_729
; %bb.727:
	v_add3_u32 v117, v123, 0, 0x160
	v_mov_b32_e32 v116, 43
	s_mov_b32 s0, 44
.LBB108_728:                            ; =>This Inner Loop Header: Depth=1
	ds_read_b64 v[126:127], v117
	v_add_nc_u32_e32 v117, 8, v117
	s_waitcnt lgkmcnt(0)
	v_cmp_lt_f64_e64 vcc_lo, |v[0:1]|, |v[126:127]|
	v_cndmask_b32_e32 v1, v1, v127, vcc_lo
	v_cndmask_b32_e32 v0, v0, v126, vcc_lo
	v_cndmask_b32_e64 v116, v116, s0, vcc_lo
	s_add_i32 s0, s0, 1
	s_cmp_lg_u32 s7, s0
	s_cbranch_scc1 .LBB108_728
.LBB108_729:
	s_mov_b32 s0, exec_lo
	s_waitcnt lgkmcnt(0)
	v_cmpx_eq_f64_e32 0, v[0:1]
	s_xor_b32 s0, exec_lo, s0
; %bb.730:
	v_cmp_ne_u32_e32 vcc_lo, 0, v119
	v_cndmask_b32_e32 v119, 44, v119, vcc_lo
; %bb.731:
	s_andn2_saveexec_b32 s0, s0
	s_cbranch_execz .LBB108_733
; %bb.732:
	v_div_scale_f64 v[117:118], null, v[0:1], v[0:1], 1.0
	v_rcp_f64_e32 v[126:127], v[117:118]
	v_fma_f64 v[128:129], -v[117:118], v[126:127], 1.0
	v_fma_f64 v[126:127], v[126:127], v[128:129], v[126:127]
	v_fma_f64 v[128:129], -v[117:118], v[126:127], 1.0
	v_fma_f64 v[126:127], v[126:127], v[128:129], v[126:127]
	v_div_scale_f64 v[128:129], vcc_lo, 1.0, v[0:1], 1.0
	v_mul_f64 v[130:131], v[128:129], v[126:127]
	v_fma_f64 v[117:118], -v[117:118], v[130:131], v[128:129]
	v_div_fmas_f64 v[117:118], v[117:118], v[126:127], v[130:131]
	v_div_fixup_f64 v[0:1], v[117:118], v[0:1], 1.0
.LBB108_733:
	s_or_b32 exec_lo, exec_lo, s0
	s_mov_b32 s0, exec_lo
	v_cmpx_ne_u32_e64 v125, v116
	s_xor_b32 s0, exec_lo, s0
	s_cbranch_execz .LBB108_739
; %bb.734:
	s_mov_b32 s1, exec_lo
	v_cmpx_eq_u32_e32 43, v125
	s_cbranch_execz .LBB108_738
; %bb.735:
	v_cmp_ne_u32_e32 vcc_lo, 43, v116
	s_xor_b32 s2, s6, -1
	s_and_b32 s3, s2, vcc_lo
	s_and_saveexec_b32 s2, s3
	s_cbranch_execz .LBB108_737
; %bb.736:
	v_ashrrev_i32_e32 v117, 31, v116
	v_lshlrev_b64 v[117:118], 2, v[116:117]
	v_add_co_u32 v117, vcc_lo, v4, v117
	v_add_co_ci_u32_e64 v118, null, v5, v118, vcc_lo
	s_clause 0x1
	global_load_dword v124, v[117:118], off
	global_load_dword v125, v[4:5], off offset:172
	s_waitcnt vmcnt(1)
	global_store_dword v[4:5], v124, off offset:172
	s_waitcnt vmcnt(0)
	global_store_dword v[117:118], v125, off
.LBB108_737:
	s_or_b32 exec_lo, exec_lo, s2
	v_mov_b32_e32 v124, v116
	v_mov_b32_e32 v125, v116
.LBB108_738:
	s_or_b32 exec_lo, exec_lo, s1
.LBB108_739:
	s_andn2_saveexec_b32 s0, s0
	s_cbranch_execz .LBB108_741
; %bb.740:
	v_mov_b32_e32 v116, v26
	v_mov_b32_e32 v117, v27
	;; [unrolled: 1-line block ×8, first 2 shown]
	ds_write2_b64 v122, v[116:117], v[125:126] offset0:44 offset1:45
	v_mov_b32_e32 v116, v18
	v_mov_b32_e32 v117, v19
	;; [unrolled: 1-line block ×13, first 2 shown]
	ds_write2_b64 v122, v[127:128], v[116:117] offset0:46 offset1:47
	ds_write2_b64 v122, v[129:130], v[131:132] offset0:48 offset1:49
	;; [unrolled: 1-line block ×4, first 2 shown]
	ds_write_b64 v122, v[114:115] offset:432
.LBB108_741:
	s_or_b32 exec_lo, exec_lo, s0
	s_mov_b32 s0, exec_lo
	s_waitcnt lgkmcnt(0)
	s_waitcnt_vscnt null, 0x0
	s_barrier
	buffer_gl0_inv
	v_cmpx_lt_i32_e32 43, v125
	s_cbranch_execz .LBB108_743
; %bb.742:
	v_mul_f64 v[24:25], v[0:1], v[24:25]
	ds_read2_b64 v[126:129], v122 offset0:44 offset1:45
	ds_read2_b64 v[130:133], v122 offset0:46 offset1:47
	;; [unrolled: 1-line block ×5, first 2 shown]
	ds_read_b64 v[0:1], v122 offset:432
	s_waitcnt lgkmcnt(5)
	v_fma_f64 v[26:27], -v[24:25], v[126:127], v[26:27]
	v_fma_f64 v[22:23], -v[24:25], v[128:129], v[22:23]
	s_waitcnt lgkmcnt(4)
	v_fma_f64 v[20:21], -v[24:25], v[130:131], v[20:21]
	v_fma_f64 v[18:19], -v[24:25], v[132:133], v[18:19]
	;; [unrolled: 3-line block ×5, first 2 shown]
	s_waitcnt lgkmcnt(0)
	v_fma_f64 v[114:115], -v[24:25], v[0:1], v[114:115]
.LBB108_743:
	s_or_b32 exec_lo, exec_lo, s0
	v_lshl_add_u32 v0, v125, 3, v122
	s_barrier
	buffer_gl0_inv
	v_mov_b32_e32 v116, 44
	ds_write_b64 v0, v[26:27]
	s_waitcnt lgkmcnt(0)
	s_barrier
	buffer_gl0_inv
	ds_read_b64 v[0:1], v122 offset:352
	s_cmp_lt_i32 s7, 46
	s_cbranch_scc1 .LBB108_746
; %bb.744:
	v_add3_u32 v117, v123, 0, 0x168
	v_mov_b32_e32 v116, 44
	s_mov_b32 s0, 45
.LBB108_745:                            ; =>This Inner Loop Header: Depth=1
	ds_read_b64 v[126:127], v117
	v_add_nc_u32_e32 v117, 8, v117
	s_waitcnt lgkmcnt(0)
	v_cmp_lt_f64_e64 vcc_lo, |v[0:1]|, |v[126:127]|
	v_cndmask_b32_e32 v1, v1, v127, vcc_lo
	v_cndmask_b32_e32 v0, v0, v126, vcc_lo
	v_cndmask_b32_e64 v116, v116, s0, vcc_lo
	s_add_i32 s0, s0, 1
	s_cmp_lg_u32 s7, s0
	s_cbranch_scc1 .LBB108_745
.LBB108_746:
	s_mov_b32 s0, exec_lo
	s_waitcnt lgkmcnt(0)
	v_cmpx_eq_f64_e32 0, v[0:1]
	s_xor_b32 s0, exec_lo, s0
; %bb.747:
	v_cmp_ne_u32_e32 vcc_lo, 0, v119
	v_cndmask_b32_e32 v119, 45, v119, vcc_lo
; %bb.748:
	s_andn2_saveexec_b32 s0, s0
	s_cbranch_execz .LBB108_750
; %bb.749:
	v_div_scale_f64 v[117:118], null, v[0:1], v[0:1], 1.0
	v_rcp_f64_e32 v[126:127], v[117:118]
	v_fma_f64 v[128:129], -v[117:118], v[126:127], 1.0
	v_fma_f64 v[126:127], v[126:127], v[128:129], v[126:127]
	v_fma_f64 v[128:129], -v[117:118], v[126:127], 1.0
	v_fma_f64 v[126:127], v[126:127], v[128:129], v[126:127]
	v_div_scale_f64 v[128:129], vcc_lo, 1.0, v[0:1], 1.0
	v_mul_f64 v[130:131], v[128:129], v[126:127]
	v_fma_f64 v[117:118], -v[117:118], v[130:131], v[128:129]
	v_div_fmas_f64 v[117:118], v[117:118], v[126:127], v[130:131]
	v_div_fixup_f64 v[0:1], v[117:118], v[0:1], 1.0
.LBB108_750:
	s_or_b32 exec_lo, exec_lo, s0
	s_mov_b32 s0, exec_lo
	v_cmpx_ne_u32_e64 v125, v116
	s_xor_b32 s0, exec_lo, s0
	s_cbranch_execz .LBB108_756
; %bb.751:
	s_mov_b32 s1, exec_lo
	v_cmpx_eq_u32_e32 44, v125
	s_cbranch_execz .LBB108_755
; %bb.752:
	v_cmp_ne_u32_e32 vcc_lo, 44, v116
	s_xor_b32 s2, s6, -1
	s_and_b32 s3, s2, vcc_lo
	s_and_saveexec_b32 s2, s3
	s_cbranch_execz .LBB108_754
; %bb.753:
	v_ashrrev_i32_e32 v117, 31, v116
	v_lshlrev_b64 v[117:118], 2, v[116:117]
	v_add_co_u32 v117, vcc_lo, v4, v117
	v_add_co_ci_u32_e64 v118, null, v5, v118, vcc_lo
	s_clause 0x1
	global_load_dword v124, v[117:118], off
	global_load_dword v125, v[4:5], off offset:176
	s_waitcnt vmcnt(1)
	global_store_dword v[4:5], v124, off offset:176
	s_waitcnt vmcnt(0)
	global_store_dword v[117:118], v125, off
.LBB108_754:
	s_or_b32 exec_lo, exec_lo, s2
	v_mov_b32_e32 v124, v116
	v_mov_b32_e32 v125, v116
.LBB108_755:
	s_or_b32 exec_lo, exec_lo, s1
.LBB108_756:
	s_andn2_saveexec_b32 s0, s0
	s_cbranch_execz .LBB108_758
; %bb.757:
	v_mov_b32_e32 v125, 44
	ds_write2_b64 v122, v[22:23], v[20:21] offset0:45 offset1:46
	ds_write2_b64 v122, v[18:19], v[16:17] offset0:47 offset1:48
	;; [unrolled: 1-line block ×5, first 2 shown]
.LBB108_758:
	s_or_b32 exec_lo, exec_lo, s0
	s_mov_b32 s0, exec_lo
	s_waitcnt lgkmcnt(0)
	s_waitcnt_vscnt null, 0x0
	s_barrier
	buffer_gl0_inv
	v_cmpx_lt_i32_e32 44, v125
	s_cbranch_execz .LBB108_760
; %bb.759:
	v_mul_f64 v[26:27], v[0:1], v[26:27]
	ds_read2_b64 v[126:129], v122 offset0:45 offset1:46
	ds_read2_b64 v[130:133], v122 offset0:47 offset1:48
	;; [unrolled: 1-line block ×5, first 2 shown]
	s_waitcnt lgkmcnt(4)
	v_fma_f64 v[22:23], -v[26:27], v[126:127], v[22:23]
	v_fma_f64 v[20:21], -v[26:27], v[128:129], v[20:21]
	s_waitcnt lgkmcnt(3)
	v_fma_f64 v[18:19], -v[26:27], v[130:131], v[18:19]
	v_fma_f64 v[16:17], -v[26:27], v[132:133], v[16:17]
	;; [unrolled: 3-line block ×5, first 2 shown]
.LBB108_760:
	s_or_b32 exec_lo, exec_lo, s0
	v_lshl_add_u32 v0, v125, 3, v122
	s_barrier
	buffer_gl0_inv
	v_mov_b32_e32 v116, 45
	ds_write_b64 v0, v[22:23]
	s_waitcnt lgkmcnt(0)
	s_barrier
	buffer_gl0_inv
	ds_read_b64 v[0:1], v122 offset:360
	s_cmp_lt_i32 s7, 47
	s_cbranch_scc1 .LBB108_763
; %bb.761:
	v_add3_u32 v117, v123, 0, 0x170
	v_mov_b32_e32 v116, 45
	s_mov_b32 s0, 46
.LBB108_762:                            ; =>This Inner Loop Header: Depth=1
	ds_read_b64 v[126:127], v117
	v_add_nc_u32_e32 v117, 8, v117
	s_waitcnt lgkmcnt(0)
	v_cmp_lt_f64_e64 vcc_lo, |v[0:1]|, |v[126:127]|
	v_cndmask_b32_e32 v1, v1, v127, vcc_lo
	v_cndmask_b32_e32 v0, v0, v126, vcc_lo
	v_cndmask_b32_e64 v116, v116, s0, vcc_lo
	s_add_i32 s0, s0, 1
	s_cmp_lg_u32 s7, s0
	s_cbranch_scc1 .LBB108_762
.LBB108_763:
	s_mov_b32 s0, exec_lo
	s_waitcnt lgkmcnt(0)
	v_cmpx_eq_f64_e32 0, v[0:1]
	s_xor_b32 s0, exec_lo, s0
; %bb.764:
	v_cmp_ne_u32_e32 vcc_lo, 0, v119
	v_cndmask_b32_e32 v119, 46, v119, vcc_lo
; %bb.765:
	s_andn2_saveexec_b32 s0, s0
	s_cbranch_execz .LBB108_767
; %bb.766:
	v_div_scale_f64 v[117:118], null, v[0:1], v[0:1], 1.0
	v_rcp_f64_e32 v[126:127], v[117:118]
	v_fma_f64 v[128:129], -v[117:118], v[126:127], 1.0
	v_fma_f64 v[126:127], v[126:127], v[128:129], v[126:127]
	v_fma_f64 v[128:129], -v[117:118], v[126:127], 1.0
	v_fma_f64 v[126:127], v[126:127], v[128:129], v[126:127]
	v_div_scale_f64 v[128:129], vcc_lo, 1.0, v[0:1], 1.0
	v_mul_f64 v[130:131], v[128:129], v[126:127]
	v_fma_f64 v[117:118], -v[117:118], v[130:131], v[128:129]
	v_div_fmas_f64 v[117:118], v[117:118], v[126:127], v[130:131]
	v_div_fixup_f64 v[0:1], v[117:118], v[0:1], 1.0
.LBB108_767:
	s_or_b32 exec_lo, exec_lo, s0
	s_mov_b32 s0, exec_lo
	v_cmpx_ne_u32_e64 v125, v116
	s_xor_b32 s0, exec_lo, s0
	s_cbranch_execz .LBB108_773
; %bb.768:
	s_mov_b32 s1, exec_lo
	v_cmpx_eq_u32_e32 45, v125
	s_cbranch_execz .LBB108_772
; %bb.769:
	v_cmp_ne_u32_e32 vcc_lo, 45, v116
	s_xor_b32 s2, s6, -1
	s_and_b32 s3, s2, vcc_lo
	s_and_saveexec_b32 s2, s3
	s_cbranch_execz .LBB108_771
; %bb.770:
	v_ashrrev_i32_e32 v117, 31, v116
	v_lshlrev_b64 v[117:118], 2, v[116:117]
	v_add_co_u32 v117, vcc_lo, v4, v117
	v_add_co_ci_u32_e64 v118, null, v5, v118, vcc_lo
	s_clause 0x1
	global_load_dword v124, v[117:118], off
	global_load_dword v125, v[4:5], off offset:180
	s_waitcnt vmcnt(1)
	global_store_dword v[4:5], v124, off offset:180
	s_waitcnt vmcnt(0)
	global_store_dword v[117:118], v125, off
.LBB108_771:
	s_or_b32 exec_lo, exec_lo, s2
	v_mov_b32_e32 v124, v116
	v_mov_b32_e32 v125, v116
.LBB108_772:
	s_or_b32 exec_lo, exec_lo, s1
.LBB108_773:
	s_andn2_saveexec_b32 s0, s0
	s_cbranch_execz .LBB108_775
; %bb.774:
	v_mov_b32_e32 v116, v20
	v_mov_b32_e32 v117, v21
	;; [unrolled: 1-line block ×8, first 2 shown]
	ds_write2_b64 v122, v[116:117], v[125:126] offset0:46 offset1:47
	v_mov_b32_e32 v125, 45
	v_mov_b32_e32 v131, v12
	v_mov_b32_e32 v132, v13
	v_mov_b32_e32 v133, v8
	v_mov_b32_e32 v134, v9
	v_mov_b32_e32 v135, v10
	v_mov_b32_e32 v136, v11
	v_mov_b32_e32 v137, v6
	v_mov_b32_e32 v138, v7
	ds_write2_b64 v122, v[127:128], v[129:130] offset0:48 offset1:49
	ds_write2_b64 v122, v[131:132], v[133:134] offset0:50 offset1:51
	ds_write2_b64 v122, v[135:136], v[137:138] offset0:52 offset1:53
	ds_write_b64 v122, v[114:115] offset:432
.LBB108_775:
	s_or_b32 exec_lo, exec_lo, s0
	s_mov_b32 s0, exec_lo
	s_waitcnt lgkmcnt(0)
	s_waitcnt_vscnt null, 0x0
	s_barrier
	buffer_gl0_inv
	v_cmpx_lt_i32_e32 45, v125
	s_cbranch_execz .LBB108_777
; %bb.776:
	v_mul_f64 v[22:23], v[0:1], v[22:23]
	ds_read2_b64 v[126:129], v122 offset0:46 offset1:47
	ds_read2_b64 v[130:133], v122 offset0:48 offset1:49
	;; [unrolled: 1-line block ×4, first 2 shown]
	ds_read_b64 v[0:1], v122 offset:432
	s_waitcnt lgkmcnt(4)
	v_fma_f64 v[20:21], -v[22:23], v[126:127], v[20:21]
	v_fma_f64 v[18:19], -v[22:23], v[128:129], v[18:19]
	s_waitcnt lgkmcnt(3)
	v_fma_f64 v[16:17], -v[22:23], v[130:131], v[16:17]
	v_fma_f64 v[14:15], -v[22:23], v[132:133], v[14:15]
	;; [unrolled: 3-line block ×4, first 2 shown]
	s_waitcnt lgkmcnt(0)
	v_fma_f64 v[114:115], -v[22:23], v[0:1], v[114:115]
.LBB108_777:
	s_or_b32 exec_lo, exec_lo, s0
	v_lshl_add_u32 v0, v125, 3, v122
	s_barrier
	buffer_gl0_inv
	v_mov_b32_e32 v116, 46
	ds_write_b64 v0, v[20:21]
	s_waitcnt lgkmcnt(0)
	s_barrier
	buffer_gl0_inv
	ds_read_b64 v[0:1], v122 offset:368
	s_cmp_lt_i32 s7, 48
	s_cbranch_scc1 .LBB108_780
; %bb.778:
	v_add3_u32 v117, v123, 0, 0x178
	v_mov_b32_e32 v116, 46
	s_mov_b32 s0, 47
.LBB108_779:                            ; =>This Inner Loop Header: Depth=1
	ds_read_b64 v[126:127], v117
	v_add_nc_u32_e32 v117, 8, v117
	s_waitcnt lgkmcnt(0)
	v_cmp_lt_f64_e64 vcc_lo, |v[0:1]|, |v[126:127]|
	v_cndmask_b32_e32 v1, v1, v127, vcc_lo
	v_cndmask_b32_e32 v0, v0, v126, vcc_lo
	v_cndmask_b32_e64 v116, v116, s0, vcc_lo
	s_add_i32 s0, s0, 1
	s_cmp_lg_u32 s7, s0
	s_cbranch_scc1 .LBB108_779
.LBB108_780:
	s_mov_b32 s0, exec_lo
	s_waitcnt lgkmcnt(0)
	v_cmpx_eq_f64_e32 0, v[0:1]
	s_xor_b32 s0, exec_lo, s0
; %bb.781:
	v_cmp_ne_u32_e32 vcc_lo, 0, v119
	v_cndmask_b32_e32 v119, 47, v119, vcc_lo
; %bb.782:
	s_andn2_saveexec_b32 s0, s0
	s_cbranch_execz .LBB108_784
; %bb.783:
	v_div_scale_f64 v[117:118], null, v[0:1], v[0:1], 1.0
	v_rcp_f64_e32 v[126:127], v[117:118]
	v_fma_f64 v[128:129], -v[117:118], v[126:127], 1.0
	v_fma_f64 v[126:127], v[126:127], v[128:129], v[126:127]
	v_fma_f64 v[128:129], -v[117:118], v[126:127], 1.0
	v_fma_f64 v[126:127], v[126:127], v[128:129], v[126:127]
	v_div_scale_f64 v[128:129], vcc_lo, 1.0, v[0:1], 1.0
	v_mul_f64 v[130:131], v[128:129], v[126:127]
	v_fma_f64 v[117:118], -v[117:118], v[130:131], v[128:129]
	v_div_fmas_f64 v[117:118], v[117:118], v[126:127], v[130:131]
	v_div_fixup_f64 v[0:1], v[117:118], v[0:1], 1.0
.LBB108_784:
	s_or_b32 exec_lo, exec_lo, s0
	s_mov_b32 s0, exec_lo
	v_cmpx_ne_u32_e64 v125, v116
	s_xor_b32 s0, exec_lo, s0
	s_cbranch_execz .LBB108_790
; %bb.785:
	s_mov_b32 s1, exec_lo
	v_cmpx_eq_u32_e32 46, v125
	s_cbranch_execz .LBB108_789
; %bb.786:
	v_cmp_ne_u32_e32 vcc_lo, 46, v116
	s_xor_b32 s2, s6, -1
	s_and_b32 s3, s2, vcc_lo
	s_and_saveexec_b32 s2, s3
	s_cbranch_execz .LBB108_788
; %bb.787:
	v_ashrrev_i32_e32 v117, 31, v116
	v_lshlrev_b64 v[117:118], 2, v[116:117]
	v_add_co_u32 v117, vcc_lo, v4, v117
	v_add_co_ci_u32_e64 v118, null, v5, v118, vcc_lo
	s_clause 0x1
	global_load_dword v124, v[117:118], off
	global_load_dword v125, v[4:5], off offset:184
	s_waitcnt vmcnt(1)
	global_store_dword v[4:5], v124, off offset:184
	s_waitcnt vmcnt(0)
	global_store_dword v[117:118], v125, off
.LBB108_788:
	s_or_b32 exec_lo, exec_lo, s2
	v_mov_b32_e32 v124, v116
	v_mov_b32_e32 v125, v116
.LBB108_789:
	s_or_b32 exec_lo, exec_lo, s1
.LBB108_790:
	s_andn2_saveexec_b32 s0, s0
	s_cbranch_execz .LBB108_792
; %bb.791:
	v_mov_b32_e32 v125, 46
	ds_write2_b64 v122, v[18:19], v[16:17] offset0:47 offset1:48
	ds_write2_b64 v122, v[14:15], v[12:13] offset0:49 offset1:50
	;; [unrolled: 1-line block ×4, first 2 shown]
.LBB108_792:
	s_or_b32 exec_lo, exec_lo, s0
	s_mov_b32 s0, exec_lo
	s_waitcnt lgkmcnt(0)
	s_waitcnt_vscnt null, 0x0
	s_barrier
	buffer_gl0_inv
	v_cmpx_lt_i32_e32 46, v125
	s_cbranch_execz .LBB108_794
; %bb.793:
	v_mul_f64 v[20:21], v[0:1], v[20:21]
	ds_read2_b64 v[126:129], v122 offset0:47 offset1:48
	ds_read2_b64 v[130:133], v122 offset0:49 offset1:50
	;; [unrolled: 1-line block ×4, first 2 shown]
	s_waitcnt lgkmcnt(3)
	v_fma_f64 v[18:19], -v[20:21], v[126:127], v[18:19]
	v_fma_f64 v[16:17], -v[20:21], v[128:129], v[16:17]
	s_waitcnt lgkmcnt(2)
	v_fma_f64 v[14:15], -v[20:21], v[130:131], v[14:15]
	v_fma_f64 v[12:13], -v[20:21], v[132:133], v[12:13]
	;; [unrolled: 3-line block ×4, first 2 shown]
.LBB108_794:
	s_or_b32 exec_lo, exec_lo, s0
	v_lshl_add_u32 v0, v125, 3, v122
	s_barrier
	buffer_gl0_inv
	v_mov_b32_e32 v116, 47
	ds_write_b64 v0, v[18:19]
	s_waitcnt lgkmcnt(0)
	s_barrier
	buffer_gl0_inv
	ds_read_b64 v[0:1], v122 offset:376
	s_cmp_lt_i32 s7, 49
	s_cbranch_scc1 .LBB108_797
; %bb.795:
	v_add3_u32 v117, v123, 0, 0x180
	v_mov_b32_e32 v116, 47
	s_mov_b32 s0, 48
.LBB108_796:                            ; =>This Inner Loop Header: Depth=1
	ds_read_b64 v[126:127], v117
	v_add_nc_u32_e32 v117, 8, v117
	s_waitcnt lgkmcnt(0)
	v_cmp_lt_f64_e64 vcc_lo, |v[0:1]|, |v[126:127]|
	v_cndmask_b32_e32 v1, v1, v127, vcc_lo
	v_cndmask_b32_e32 v0, v0, v126, vcc_lo
	v_cndmask_b32_e64 v116, v116, s0, vcc_lo
	s_add_i32 s0, s0, 1
	s_cmp_lg_u32 s7, s0
	s_cbranch_scc1 .LBB108_796
.LBB108_797:
	s_mov_b32 s0, exec_lo
	s_waitcnt lgkmcnt(0)
	v_cmpx_eq_f64_e32 0, v[0:1]
	s_xor_b32 s0, exec_lo, s0
; %bb.798:
	v_cmp_ne_u32_e32 vcc_lo, 0, v119
	v_cndmask_b32_e32 v119, 48, v119, vcc_lo
; %bb.799:
	s_andn2_saveexec_b32 s0, s0
	s_cbranch_execz .LBB108_801
; %bb.800:
	v_div_scale_f64 v[117:118], null, v[0:1], v[0:1], 1.0
	v_rcp_f64_e32 v[126:127], v[117:118]
	v_fma_f64 v[128:129], -v[117:118], v[126:127], 1.0
	v_fma_f64 v[126:127], v[126:127], v[128:129], v[126:127]
	v_fma_f64 v[128:129], -v[117:118], v[126:127], 1.0
	v_fma_f64 v[126:127], v[126:127], v[128:129], v[126:127]
	v_div_scale_f64 v[128:129], vcc_lo, 1.0, v[0:1], 1.0
	v_mul_f64 v[130:131], v[128:129], v[126:127]
	v_fma_f64 v[117:118], -v[117:118], v[130:131], v[128:129]
	v_div_fmas_f64 v[117:118], v[117:118], v[126:127], v[130:131]
	v_div_fixup_f64 v[0:1], v[117:118], v[0:1], 1.0
.LBB108_801:
	s_or_b32 exec_lo, exec_lo, s0
	s_mov_b32 s0, exec_lo
	v_cmpx_ne_u32_e64 v125, v116
	s_xor_b32 s0, exec_lo, s0
	s_cbranch_execz .LBB108_807
; %bb.802:
	s_mov_b32 s1, exec_lo
	v_cmpx_eq_u32_e32 47, v125
	s_cbranch_execz .LBB108_806
; %bb.803:
	v_cmp_ne_u32_e32 vcc_lo, 47, v116
	s_xor_b32 s2, s6, -1
	s_and_b32 s3, s2, vcc_lo
	s_and_saveexec_b32 s2, s3
	s_cbranch_execz .LBB108_805
; %bb.804:
	v_ashrrev_i32_e32 v117, 31, v116
	v_lshlrev_b64 v[117:118], 2, v[116:117]
	v_add_co_u32 v117, vcc_lo, v4, v117
	v_add_co_ci_u32_e64 v118, null, v5, v118, vcc_lo
	s_clause 0x1
	global_load_dword v124, v[117:118], off
	global_load_dword v125, v[4:5], off offset:188
	s_waitcnt vmcnt(1)
	global_store_dword v[4:5], v124, off offset:188
	s_waitcnt vmcnt(0)
	global_store_dword v[117:118], v125, off
.LBB108_805:
	s_or_b32 exec_lo, exec_lo, s2
	v_mov_b32_e32 v124, v116
	v_mov_b32_e32 v125, v116
.LBB108_806:
	s_or_b32 exec_lo, exec_lo, s1
.LBB108_807:
	s_andn2_saveexec_b32 s0, s0
	s_cbranch_execz .LBB108_809
; %bb.808:
	v_mov_b32_e32 v116, v16
	v_mov_b32_e32 v117, v17
	;; [unrolled: 1-line block ×13, first 2 shown]
	ds_write2_b64 v122, v[116:117], v[126:127] offset0:48 offset1:49
	ds_write2_b64 v122, v[128:129], v[130:131] offset0:50 offset1:51
	;; [unrolled: 1-line block ×3, first 2 shown]
	ds_write_b64 v122, v[114:115] offset:432
.LBB108_809:
	s_or_b32 exec_lo, exec_lo, s0
	s_mov_b32 s0, exec_lo
	s_waitcnt lgkmcnt(0)
	s_waitcnt_vscnt null, 0x0
	s_barrier
	buffer_gl0_inv
	v_cmpx_lt_i32_e32 47, v125
	s_cbranch_execz .LBB108_811
; %bb.810:
	v_mul_f64 v[18:19], v[0:1], v[18:19]
	ds_read2_b64 v[126:129], v122 offset0:48 offset1:49
	ds_read2_b64 v[130:133], v122 offset0:50 offset1:51
	;; [unrolled: 1-line block ×3, first 2 shown]
	ds_read_b64 v[0:1], v122 offset:432
	s_waitcnt lgkmcnt(3)
	v_fma_f64 v[16:17], -v[18:19], v[126:127], v[16:17]
	v_fma_f64 v[14:15], -v[18:19], v[128:129], v[14:15]
	s_waitcnt lgkmcnt(2)
	v_fma_f64 v[12:13], -v[18:19], v[130:131], v[12:13]
	v_fma_f64 v[8:9], -v[18:19], v[132:133], v[8:9]
	;; [unrolled: 3-line block ×3, first 2 shown]
	s_waitcnt lgkmcnt(0)
	v_fma_f64 v[114:115], -v[18:19], v[0:1], v[114:115]
.LBB108_811:
	s_or_b32 exec_lo, exec_lo, s0
	v_lshl_add_u32 v0, v125, 3, v122
	s_barrier
	buffer_gl0_inv
	v_mov_b32_e32 v116, 48
	ds_write_b64 v0, v[16:17]
	s_waitcnt lgkmcnt(0)
	s_barrier
	buffer_gl0_inv
	ds_read_b64 v[0:1], v122 offset:384
	s_cmp_lt_i32 s7, 50
	s_cbranch_scc1 .LBB108_814
; %bb.812:
	v_add3_u32 v117, v123, 0, 0x188
	v_mov_b32_e32 v116, 48
	s_mov_b32 s0, 49
.LBB108_813:                            ; =>This Inner Loop Header: Depth=1
	ds_read_b64 v[126:127], v117
	v_add_nc_u32_e32 v117, 8, v117
	s_waitcnt lgkmcnt(0)
	v_cmp_lt_f64_e64 vcc_lo, |v[0:1]|, |v[126:127]|
	v_cndmask_b32_e32 v1, v1, v127, vcc_lo
	v_cndmask_b32_e32 v0, v0, v126, vcc_lo
	v_cndmask_b32_e64 v116, v116, s0, vcc_lo
	s_add_i32 s0, s0, 1
	s_cmp_lg_u32 s7, s0
	s_cbranch_scc1 .LBB108_813
.LBB108_814:
	s_mov_b32 s0, exec_lo
	s_waitcnt lgkmcnt(0)
	v_cmpx_eq_f64_e32 0, v[0:1]
	s_xor_b32 s0, exec_lo, s0
; %bb.815:
	v_cmp_ne_u32_e32 vcc_lo, 0, v119
	v_cndmask_b32_e32 v119, 49, v119, vcc_lo
; %bb.816:
	s_andn2_saveexec_b32 s0, s0
	s_cbranch_execz .LBB108_818
; %bb.817:
	v_div_scale_f64 v[117:118], null, v[0:1], v[0:1], 1.0
	v_rcp_f64_e32 v[126:127], v[117:118]
	v_fma_f64 v[128:129], -v[117:118], v[126:127], 1.0
	v_fma_f64 v[126:127], v[126:127], v[128:129], v[126:127]
	v_fma_f64 v[128:129], -v[117:118], v[126:127], 1.0
	v_fma_f64 v[126:127], v[126:127], v[128:129], v[126:127]
	v_div_scale_f64 v[128:129], vcc_lo, 1.0, v[0:1], 1.0
	v_mul_f64 v[130:131], v[128:129], v[126:127]
	v_fma_f64 v[117:118], -v[117:118], v[130:131], v[128:129]
	v_div_fmas_f64 v[117:118], v[117:118], v[126:127], v[130:131]
	v_div_fixup_f64 v[0:1], v[117:118], v[0:1], 1.0
.LBB108_818:
	s_or_b32 exec_lo, exec_lo, s0
	s_mov_b32 s0, exec_lo
	v_cmpx_ne_u32_e64 v125, v116
	s_xor_b32 s0, exec_lo, s0
	s_cbranch_execz .LBB108_824
; %bb.819:
	s_mov_b32 s1, exec_lo
	v_cmpx_eq_u32_e32 48, v125
	s_cbranch_execz .LBB108_823
; %bb.820:
	v_cmp_ne_u32_e32 vcc_lo, 48, v116
	s_xor_b32 s2, s6, -1
	s_and_b32 s3, s2, vcc_lo
	s_and_saveexec_b32 s2, s3
	s_cbranch_execz .LBB108_822
; %bb.821:
	v_ashrrev_i32_e32 v117, 31, v116
	v_lshlrev_b64 v[117:118], 2, v[116:117]
	v_add_co_u32 v117, vcc_lo, v4, v117
	v_add_co_ci_u32_e64 v118, null, v5, v118, vcc_lo
	s_clause 0x1
	global_load_dword v124, v[117:118], off
	global_load_dword v125, v[4:5], off offset:192
	s_waitcnt vmcnt(1)
	global_store_dword v[4:5], v124, off offset:192
	s_waitcnt vmcnt(0)
	global_store_dword v[117:118], v125, off
.LBB108_822:
	s_or_b32 exec_lo, exec_lo, s2
	v_mov_b32_e32 v124, v116
	v_mov_b32_e32 v125, v116
.LBB108_823:
	s_or_b32 exec_lo, exec_lo, s1
.LBB108_824:
	s_andn2_saveexec_b32 s0, s0
	s_cbranch_execz .LBB108_826
; %bb.825:
	v_mov_b32_e32 v125, 48
	ds_write2_b64 v122, v[14:15], v[12:13] offset0:49 offset1:50
	ds_write2_b64 v122, v[8:9], v[10:11] offset0:51 offset1:52
	;; [unrolled: 1-line block ×3, first 2 shown]
.LBB108_826:
	s_or_b32 exec_lo, exec_lo, s0
	s_mov_b32 s0, exec_lo
	s_waitcnt lgkmcnt(0)
	s_waitcnt_vscnt null, 0x0
	s_barrier
	buffer_gl0_inv
	v_cmpx_lt_i32_e32 48, v125
	s_cbranch_execz .LBB108_828
; %bb.827:
	v_mul_f64 v[16:17], v[0:1], v[16:17]
	ds_read2_b64 v[126:129], v122 offset0:49 offset1:50
	ds_read2_b64 v[130:133], v122 offset0:51 offset1:52
	;; [unrolled: 1-line block ×3, first 2 shown]
	s_waitcnt lgkmcnt(2)
	v_fma_f64 v[14:15], -v[16:17], v[126:127], v[14:15]
	v_fma_f64 v[12:13], -v[16:17], v[128:129], v[12:13]
	s_waitcnt lgkmcnt(1)
	v_fma_f64 v[8:9], -v[16:17], v[130:131], v[8:9]
	v_fma_f64 v[10:11], -v[16:17], v[132:133], v[10:11]
	;; [unrolled: 3-line block ×3, first 2 shown]
.LBB108_828:
	s_or_b32 exec_lo, exec_lo, s0
	v_lshl_add_u32 v0, v125, 3, v122
	s_barrier
	buffer_gl0_inv
	v_mov_b32_e32 v116, 49
	ds_write_b64 v0, v[14:15]
	s_waitcnt lgkmcnt(0)
	s_barrier
	buffer_gl0_inv
	ds_read_b64 v[0:1], v122 offset:392
	s_cmp_lt_i32 s7, 51
	s_cbranch_scc1 .LBB108_831
; %bb.829:
	v_add3_u32 v117, v123, 0, 0x190
	v_mov_b32_e32 v116, 49
	s_mov_b32 s0, 50
.LBB108_830:                            ; =>This Inner Loop Header: Depth=1
	ds_read_b64 v[126:127], v117
	v_add_nc_u32_e32 v117, 8, v117
	s_waitcnt lgkmcnt(0)
	v_cmp_lt_f64_e64 vcc_lo, |v[0:1]|, |v[126:127]|
	v_cndmask_b32_e32 v1, v1, v127, vcc_lo
	v_cndmask_b32_e32 v0, v0, v126, vcc_lo
	v_cndmask_b32_e64 v116, v116, s0, vcc_lo
	s_add_i32 s0, s0, 1
	s_cmp_lg_u32 s7, s0
	s_cbranch_scc1 .LBB108_830
.LBB108_831:
	s_mov_b32 s0, exec_lo
	s_waitcnt lgkmcnt(0)
	v_cmpx_eq_f64_e32 0, v[0:1]
	s_xor_b32 s0, exec_lo, s0
; %bb.832:
	v_cmp_ne_u32_e32 vcc_lo, 0, v119
	v_cndmask_b32_e32 v119, 50, v119, vcc_lo
; %bb.833:
	s_andn2_saveexec_b32 s0, s0
	s_cbranch_execz .LBB108_835
; %bb.834:
	v_div_scale_f64 v[117:118], null, v[0:1], v[0:1], 1.0
	v_rcp_f64_e32 v[126:127], v[117:118]
	v_fma_f64 v[128:129], -v[117:118], v[126:127], 1.0
	v_fma_f64 v[126:127], v[126:127], v[128:129], v[126:127]
	v_fma_f64 v[128:129], -v[117:118], v[126:127], 1.0
	v_fma_f64 v[126:127], v[126:127], v[128:129], v[126:127]
	v_div_scale_f64 v[128:129], vcc_lo, 1.0, v[0:1], 1.0
	v_mul_f64 v[130:131], v[128:129], v[126:127]
	v_fma_f64 v[117:118], -v[117:118], v[130:131], v[128:129]
	v_div_fmas_f64 v[117:118], v[117:118], v[126:127], v[130:131]
	v_div_fixup_f64 v[0:1], v[117:118], v[0:1], 1.0
.LBB108_835:
	s_or_b32 exec_lo, exec_lo, s0
	s_mov_b32 s0, exec_lo
	v_cmpx_ne_u32_e64 v125, v116
	s_xor_b32 s0, exec_lo, s0
	s_cbranch_execz .LBB108_841
; %bb.836:
	s_mov_b32 s1, exec_lo
	v_cmpx_eq_u32_e32 49, v125
	s_cbranch_execz .LBB108_840
; %bb.837:
	v_cmp_ne_u32_e32 vcc_lo, 49, v116
	s_xor_b32 s2, s6, -1
	s_and_b32 s3, s2, vcc_lo
	s_and_saveexec_b32 s2, s3
	s_cbranch_execz .LBB108_839
; %bb.838:
	v_ashrrev_i32_e32 v117, 31, v116
	v_lshlrev_b64 v[117:118], 2, v[116:117]
	v_add_co_u32 v117, vcc_lo, v4, v117
	v_add_co_ci_u32_e64 v118, null, v5, v118, vcc_lo
	s_clause 0x1
	global_load_dword v124, v[117:118], off
	global_load_dword v125, v[4:5], off offset:196
	s_waitcnt vmcnt(1)
	global_store_dword v[4:5], v124, off offset:196
	s_waitcnt vmcnt(0)
	global_store_dword v[117:118], v125, off
.LBB108_839:
	s_or_b32 exec_lo, exec_lo, s2
	v_mov_b32_e32 v124, v116
	v_mov_b32_e32 v125, v116
.LBB108_840:
	s_or_b32 exec_lo, exec_lo, s1
.LBB108_841:
	s_andn2_saveexec_b32 s0, s0
	s_cbranch_execz .LBB108_843
; %bb.842:
	v_mov_b32_e32 v116, v12
	v_mov_b32_e32 v117, v13
	;; [unrolled: 1-line block ×9, first 2 shown]
	ds_write2_b64 v122, v[116:117], v[126:127] offset0:50 offset1:51
	ds_write2_b64 v122, v[128:129], v[130:131] offset0:52 offset1:53
	ds_write_b64 v122, v[114:115] offset:432
.LBB108_843:
	s_or_b32 exec_lo, exec_lo, s0
	s_mov_b32 s0, exec_lo
	s_waitcnt lgkmcnt(0)
	s_waitcnt_vscnt null, 0x0
	s_barrier
	buffer_gl0_inv
	v_cmpx_lt_i32_e32 49, v125
	s_cbranch_execz .LBB108_845
; %bb.844:
	v_mul_f64 v[14:15], v[0:1], v[14:15]
	ds_read2_b64 v[126:129], v122 offset0:50 offset1:51
	ds_read2_b64 v[130:133], v122 offset0:52 offset1:53
	ds_read_b64 v[0:1], v122 offset:432
	s_waitcnt lgkmcnt(2)
	v_fma_f64 v[12:13], -v[14:15], v[126:127], v[12:13]
	v_fma_f64 v[8:9], -v[14:15], v[128:129], v[8:9]
	s_waitcnt lgkmcnt(1)
	v_fma_f64 v[10:11], -v[14:15], v[130:131], v[10:11]
	v_fma_f64 v[6:7], -v[14:15], v[132:133], v[6:7]
	s_waitcnt lgkmcnt(0)
	v_fma_f64 v[114:115], -v[14:15], v[0:1], v[114:115]
.LBB108_845:
	s_or_b32 exec_lo, exec_lo, s0
	v_lshl_add_u32 v0, v125, 3, v122
	s_barrier
	buffer_gl0_inv
	v_mov_b32_e32 v116, 50
	ds_write_b64 v0, v[12:13]
	s_waitcnt lgkmcnt(0)
	s_barrier
	buffer_gl0_inv
	ds_read_b64 v[0:1], v122 offset:400
	s_cmp_lt_i32 s7, 52
	s_cbranch_scc1 .LBB108_848
; %bb.846:
	v_add3_u32 v117, v123, 0, 0x198
	v_mov_b32_e32 v116, 50
	s_mov_b32 s0, 51
.LBB108_847:                            ; =>This Inner Loop Header: Depth=1
	ds_read_b64 v[126:127], v117
	v_add_nc_u32_e32 v117, 8, v117
	s_waitcnt lgkmcnt(0)
	v_cmp_lt_f64_e64 vcc_lo, |v[0:1]|, |v[126:127]|
	v_cndmask_b32_e32 v1, v1, v127, vcc_lo
	v_cndmask_b32_e32 v0, v0, v126, vcc_lo
	v_cndmask_b32_e64 v116, v116, s0, vcc_lo
	s_add_i32 s0, s0, 1
	s_cmp_lg_u32 s7, s0
	s_cbranch_scc1 .LBB108_847
.LBB108_848:
	s_mov_b32 s0, exec_lo
	s_waitcnt lgkmcnt(0)
	v_cmpx_eq_f64_e32 0, v[0:1]
	s_xor_b32 s0, exec_lo, s0
; %bb.849:
	v_cmp_ne_u32_e32 vcc_lo, 0, v119
	v_cndmask_b32_e32 v119, 51, v119, vcc_lo
; %bb.850:
	s_andn2_saveexec_b32 s0, s0
	s_cbranch_execz .LBB108_852
; %bb.851:
	v_div_scale_f64 v[117:118], null, v[0:1], v[0:1], 1.0
	v_rcp_f64_e32 v[126:127], v[117:118]
	v_fma_f64 v[128:129], -v[117:118], v[126:127], 1.0
	v_fma_f64 v[126:127], v[126:127], v[128:129], v[126:127]
	v_fma_f64 v[128:129], -v[117:118], v[126:127], 1.0
	v_fma_f64 v[126:127], v[126:127], v[128:129], v[126:127]
	v_div_scale_f64 v[128:129], vcc_lo, 1.0, v[0:1], 1.0
	v_mul_f64 v[130:131], v[128:129], v[126:127]
	v_fma_f64 v[117:118], -v[117:118], v[130:131], v[128:129]
	v_div_fmas_f64 v[117:118], v[117:118], v[126:127], v[130:131]
	v_div_fixup_f64 v[0:1], v[117:118], v[0:1], 1.0
.LBB108_852:
	s_or_b32 exec_lo, exec_lo, s0
	s_mov_b32 s0, exec_lo
	v_cmpx_ne_u32_e64 v125, v116
	s_xor_b32 s0, exec_lo, s0
	s_cbranch_execz .LBB108_858
; %bb.853:
	s_mov_b32 s1, exec_lo
	v_cmpx_eq_u32_e32 50, v125
	s_cbranch_execz .LBB108_857
; %bb.854:
	v_cmp_ne_u32_e32 vcc_lo, 50, v116
	s_xor_b32 s2, s6, -1
	s_and_b32 s3, s2, vcc_lo
	s_and_saveexec_b32 s2, s3
	s_cbranch_execz .LBB108_856
; %bb.855:
	v_ashrrev_i32_e32 v117, 31, v116
	v_lshlrev_b64 v[117:118], 2, v[116:117]
	v_add_co_u32 v117, vcc_lo, v4, v117
	v_add_co_ci_u32_e64 v118, null, v5, v118, vcc_lo
	s_clause 0x1
	global_load_dword v124, v[117:118], off
	global_load_dword v125, v[4:5], off offset:200
	s_waitcnt vmcnt(1)
	global_store_dword v[4:5], v124, off offset:200
	s_waitcnt vmcnt(0)
	global_store_dword v[117:118], v125, off
.LBB108_856:
	s_or_b32 exec_lo, exec_lo, s2
	v_mov_b32_e32 v124, v116
	v_mov_b32_e32 v125, v116
.LBB108_857:
	s_or_b32 exec_lo, exec_lo, s1
.LBB108_858:
	s_andn2_saveexec_b32 s0, s0
	s_cbranch_execz .LBB108_860
; %bb.859:
	v_mov_b32_e32 v125, 50
	ds_write2_b64 v122, v[8:9], v[10:11] offset0:51 offset1:52
	ds_write2_b64 v122, v[6:7], v[114:115] offset0:53 offset1:54
.LBB108_860:
	s_or_b32 exec_lo, exec_lo, s0
	s_mov_b32 s0, exec_lo
	s_waitcnt lgkmcnt(0)
	s_waitcnt_vscnt null, 0x0
	s_barrier
	buffer_gl0_inv
	v_cmpx_lt_i32_e32 50, v125
	s_cbranch_execz .LBB108_862
; %bb.861:
	v_mul_f64 v[12:13], v[0:1], v[12:13]
	ds_read2_b64 v[126:129], v122 offset0:51 offset1:52
	ds_read2_b64 v[130:133], v122 offset0:53 offset1:54
	s_waitcnt lgkmcnt(1)
	v_fma_f64 v[8:9], -v[12:13], v[126:127], v[8:9]
	v_fma_f64 v[10:11], -v[12:13], v[128:129], v[10:11]
	s_waitcnt lgkmcnt(0)
	v_fma_f64 v[6:7], -v[12:13], v[130:131], v[6:7]
	v_fma_f64 v[114:115], -v[12:13], v[132:133], v[114:115]
.LBB108_862:
	s_or_b32 exec_lo, exec_lo, s0
	v_lshl_add_u32 v0, v125, 3, v122
	s_barrier
	buffer_gl0_inv
	v_mov_b32_e32 v116, 51
	ds_write_b64 v0, v[8:9]
	s_waitcnt lgkmcnt(0)
	s_barrier
	buffer_gl0_inv
	ds_read_b64 v[0:1], v122 offset:408
	s_cmp_lt_i32 s7, 53
	s_cbranch_scc1 .LBB108_865
; %bb.863:
	v_add3_u32 v117, v123, 0, 0x1a0
	v_mov_b32_e32 v116, 51
	s_mov_b32 s0, 52
.LBB108_864:                            ; =>This Inner Loop Header: Depth=1
	ds_read_b64 v[126:127], v117
	v_add_nc_u32_e32 v117, 8, v117
	s_waitcnt lgkmcnt(0)
	v_cmp_lt_f64_e64 vcc_lo, |v[0:1]|, |v[126:127]|
	v_cndmask_b32_e32 v1, v1, v127, vcc_lo
	v_cndmask_b32_e32 v0, v0, v126, vcc_lo
	v_cndmask_b32_e64 v116, v116, s0, vcc_lo
	s_add_i32 s0, s0, 1
	s_cmp_lg_u32 s7, s0
	s_cbranch_scc1 .LBB108_864
.LBB108_865:
	s_mov_b32 s0, exec_lo
	s_waitcnt lgkmcnt(0)
	v_cmpx_eq_f64_e32 0, v[0:1]
	s_xor_b32 s0, exec_lo, s0
; %bb.866:
	v_cmp_ne_u32_e32 vcc_lo, 0, v119
	v_cndmask_b32_e32 v119, 52, v119, vcc_lo
; %bb.867:
	s_andn2_saveexec_b32 s0, s0
	s_cbranch_execz .LBB108_869
; %bb.868:
	v_div_scale_f64 v[117:118], null, v[0:1], v[0:1], 1.0
	v_rcp_f64_e32 v[126:127], v[117:118]
	v_fma_f64 v[128:129], -v[117:118], v[126:127], 1.0
	v_fma_f64 v[126:127], v[126:127], v[128:129], v[126:127]
	v_fma_f64 v[128:129], -v[117:118], v[126:127], 1.0
	v_fma_f64 v[126:127], v[126:127], v[128:129], v[126:127]
	v_div_scale_f64 v[128:129], vcc_lo, 1.0, v[0:1], 1.0
	v_mul_f64 v[130:131], v[128:129], v[126:127]
	v_fma_f64 v[117:118], -v[117:118], v[130:131], v[128:129]
	v_div_fmas_f64 v[117:118], v[117:118], v[126:127], v[130:131]
	v_div_fixup_f64 v[0:1], v[117:118], v[0:1], 1.0
.LBB108_869:
	s_or_b32 exec_lo, exec_lo, s0
	s_mov_b32 s0, exec_lo
	v_cmpx_ne_u32_e64 v125, v116
	s_xor_b32 s0, exec_lo, s0
	s_cbranch_execz .LBB108_875
; %bb.870:
	s_mov_b32 s1, exec_lo
	v_cmpx_eq_u32_e32 51, v125
	s_cbranch_execz .LBB108_874
; %bb.871:
	v_cmp_ne_u32_e32 vcc_lo, 51, v116
	s_xor_b32 s2, s6, -1
	s_and_b32 s3, s2, vcc_lo
	s_and_saveexec_b32 s2, s3
	s_cbranch_execz .LBB108_873
; %bb.872:
	v_ashrrev_i32_e32 v117, 31, v116
	v_lshlrev_b64 v[117:118], 2, v[116:117]
	v_add_co_u32 v117, vcc_lo, v4, v117
	v_add_co_ci_u32_e64 v118, null, v5, v118, vcc_lo
	s_clause 0x1
	global_load_dword v124, v[117:118], off
	global_load_dword v125, v[4:5], off offset:204
	s_waitcnt vmcnt(1)
	global_store_dword v[4:5], v124, off offset:204
	s_waitcnt vmcnt(0)
	global_store_dword v[117:118], v125, off
.LBB108_873:
	s_or_b32 exec_lo, exec_lo, s2
	v_mov_b32_e32 v124, v116
	v_mov_b32_e32 v125, v116
.LBB108_874:
	s_or_b32 exec_lo, exec_lo, s1
.LBB108_875:
	s_andn2_saveexec_b32 s0, s0
	s_cbranch_execz .LBB108_877
; %bb.876:
	v_mov_b32_e32 v116, v10
	v_mov_b32_e32 v117, v11
	;; [unrolled: 1-line block ×5, first 2 shown]
	ds_write2_b64 v122, v[116:117], v[126:127] offset0:52 offset1:53
	ds_write_b64 v122, v[114:115] offset:432
.LBB108_877:
	s_or_b32 exec_lo, exec_lo, s0
	s_mov_b32 s0, exec_lo
	s_waitcnt lgkmcnt(0)
	s_waitcnt_vscnt null, 0x0
	s_barrier
	buffer_gl0_inv
	v_cmpx_lt_i32_e32 51, v125
	s_cbranch_execz .LBB108_879
; %bb.878:
	v_mul_f64 v[8:9], v[0:1], v[8:9]
	ds_read2_b64 v[126:129], v122 offset0:52 offset1:53
	ds_read_b64 v[0:1], v122 offset:432
	s_waitcnt lgkmcnt(1)
	v_fma_f64 v[10:11], -v[8:9], v[126:127], v[10:11]
	v_fma_f64 v[6:7], -v[8:9], v[128:129], v[6:7]
	s_waitcnt lgkmcnt(0)
	v_fma_f64 v[114:115], -v[8:9], v[0:1], v[114:115]
.LBB108_879:
	s_or_b32 exec_lo, exec_lo, s0
	v_lshl_add_u32 v0, v125, 3, v122
	s_barrier
	buffer_gl0_inv
	v_mov_b32_e32 v116, 52
	ds_write_b64 v0, v[10:11]
	s_waitcnt lgkmcnt(0)
	s_barrier
	buffer_gl0_inv
	ds_read_b64 v[0:1], v122 offset:416
	s_cmp_lt_i32 s7, 54
	s_cbranch_scc1 .LBB108_882
; %bb.880:
	v_add3_u32 v117, v123, 0, 0x1a8
	v_mov_b32_e32 v116, 52
	s_mov_b32 s0, 53
.LBB108_881:                            ; =>This Inner Loop Header: Depth=1
	ds_read_b64 v[126:127], v117
	v_add_nc_u32_e32 v117, 8, v117
	s_waitcnt lgkmcnt(0)
	v_cmp_lt_f64_e64 vcc_lo, |v[0:1]|, |v[126:127]|
	v_cndmask_b32_e32 v1, v1, v127, vcc_lo
	v_cndmask_b32_e32 v0, v0, v126, vcc_lo
	v_cndmask_b32_e64 v116, v116, s0, vcc_lo
	s_add_i32 s0, s0, 1
	s_cmp_lg_u32 s7, s0
	s_cbranch_scc1 .LBB108_881
.LBB108_882:
	s_mov_b32 s0, exec_lo
	s_waitcnt lgkmcnt(0)
	v_cmpx_eq_f64_e32 0, v[0:1]
	s_xor_b32 s0, exec_lo, s0
; %bb.883:
	v_cmp_ne_u32_e32 vcc_lo, 0, v119
	v_cndmask_b32_e32 v119, 53, v119, vcc_lo
; %bb.884:
	s_andn2_saveexec_b32 s0, s0
	s_cbranch_execz .LBB108_886
; %bb.885:
	v_div_scale_f64 v[117:118], null, v[0:1], v[0:1], 1.0
	v_rcp_f64_e32 v[126:127], v[117:118]
	v_fma_f64 v[128:129], -v[117:118], v[126:127], 1.0
	v_fma_f64 v[126:127], v[126:127], v[128:129], v[126:127]
	v_fma_f64 v[128:129], -v[117:118], v[126:127], 1.0
	v_fma_f64 v[126:127], v[126:127], v[128:129], v[126:127]
	v_div_scale_f64 v[128:129], vcc_lo, 1.0, v[0:1], 1.0
	v_mul_f64 v[130:131], v[128:129], v[126:127]
	v_fma_f64 v[117:118], -v[117:118], v[130:131], v[128:129]
	v_div_fmas_f64 v[117:118], v[117:118], v[126:127], v[130:131]
	v_div_fixup_f64 v[0:1], v[117:118], v[0:1], 1.0
.LBB108_886:
	s_or_b32 exec_lo, exec_lo, s0
	s_mov_b32 s0, exec_lo
	v_cmpx_ne_u32_e64 v125, v116
	s_xor_b32 s0, exec_lo, s0
	s_cbranch_execz .LBB108_892
; %bb.887:
	s_mov_b32 s1, exec_lo
	v_cmpx_eq_u32_e32 52, v125
	s_cbranch_execz .LBB108_891
; %bb.888:
	v_cmp_ne_u32_e32 vcc_lo, 52, v116
	s_xor_b32 s2, s6, -1
	s_and_b32 s3, s2, vcc_lo
	s_and_saveexec_b32 s2, s3
	s_cbranch_execz .LBB108_890
; %bb.889:
	v_ashrrev_i32_e32 v117, 31, v116
	v_lshlrev_b64 v[117:118], 2, v[116:117]
	v_add_co_u32 v117, vcc_lo, v4, v117
	v_add_co_ci_u32_e64 v118, null, v5, v118, vcc_lo
	s_clause 0x1
	global_load_dword v124, v[117:118], off
	global_load_dword v125, v[4:5], off offset:208
	s_waitcnt vmcnt(1)
	global_store_dword v[4:5], v124, off offset:208
	s_waitcnt vmcnt(0)
	global_store_dword v[117:118], v125, off
.LBB108_890:
	s_or_b32 exec_lo, exec_lo, s2
	v_mov_b32_e32 v124, v116
	v_mov_b32_e32 v125, v116
.LBB108_891:
	s_or_b32 exec_lo, exec_lo, s1
.LBB108_892:
	s_andn2_saveexec_b32 s0, s0
; %bb.893:
	v_mov_b32_e32 v125, 52
	ds_write2_b64 v122, v[6:7], v[114:115] offset0:53 offset1:54
; %bb.894:
	s_or_b32 exec_lo, exec_lo, s0
	s_mov_b32 s0, exec_lo
	s_waitcnt lgkmcnt(0)
	s_waitcnt_vscnt null, 0x0
	s_barrier
	buffer_gl0_inv
	v_cmpx_lt_i32_e32 52, v125
	s_cbranch_execz .LBB108_896
; %bb.895:
	v_mul_f64 v[10:11], v[0:1], v[10:11]
	ds_read2_b64 v[126:129], v122 offset0:53 offset1:54
	s_waitcnt lgkmcnt(0)
	v_fma_f64 v[6:7], -v[10:11], v[126:127], v[6:7]
	v_fma_f64 v[114:115], -v[10:11], v[128:129], v[114:115]
.LBB108_896:
	s_or_b32 exec_lo, exec_lo, s0
	v_lshl_add_u32 v0, v125, 3, v122
	s_barrier
	buffer_gl0_inv
	v_mov_b32_e32 v116, 53
	ds_write_b64 v0, v[6:7]
	s_waitcnt lgkmcnt(0)
	s_barrier
	buffer_gl0_inv
	ds_read_b64 v[0:1], v122 offset:424
	s_cmp_lt_i32 s7, 55
	s_cbranch_scc1 .LBB108_899
; %bb.897:
	v_add3_u32 v117, v123, 0, 0x1b0
	v_mov_b32_e32 v116, 53
	s_mov_b32 s0, 54
.LBB108_898:                            ; =>This Inner Loop Header: Depth=1
	ds_read_b64 v[126:127], v117
	v_add_nc_u32_e32 v117, 8, v117
	s_waitcnt lgkmcnt(0)
	v_cmp_lt_f64_e64 vcc_lo, |v[0:1]|, |v[126:127]|
	v_cndmask_b32_e32 v1, v1, v127, vcc_lo
	v_cndmask_b32_e32 v0, v0, v126, vcc_lo
	v_cndmask_b32_e64 v116, v116, s0, vcc_lo
	s_add_i32 s0, s0, 1
	s_cmp_lg_u32 s7, s0
	s_cbranch_scc1 .LBB108_898
.LBB108_899:
	s_mov_b32 s0, exec_lo
	s_waitcnt lgkmcnt(0)
	v_cmpx_eq_f64_e32 0, v[0:1]
	s_xor_b32 s0, exec_lo, s0
; %bb.900:
	v_cmp_ne_u32_e32 vcc_lo, 0, v119
	v_cndmask_b32_e32 v119, 54, v119, vcc_lo
; %bb.901:
	s_andn2_saveexec_b32 s0, s0
	s_cbranch_execz .LBB108_903
; %bb.902:
	v_div_scale_f64 v[117:118], null, v[0:1], v[0:1], 1.0
	v_rcp_f64_e32 v[126:127], v[117:118]
	v_fma_f64 v[128:129], -v[117:118], v[126:127], 1.0
	v_fma_f64 v[126:127], v[126:127], v[128:129], v[126:127]
	v_fma_f64 v[128:129], -v[117:118], v[126:127], 1.0
	v_fma_f64 v[126:127], v[126:127], v[128:129], v[126:127]
	v_div_scale_f64 v[128:129], vcc_lo, 1.0, v[0:1], 1.0
	v_mul_f64 v[130:131], v[128:129], v[126:127]
	v_fma_f64 v[117:118], -v[117:118], v[130:131], v[128:129]
	v_div_fmas_f64 v[117:118], v[117:118], v[126:127], v[130:131]
	v_div_fixup_f64 v[0:1], v[117:118], v[0:1], 1.0
.LBB108_903:
	s_or_b32 exec_lo, exec_lo, s0
	s_mov_b32 s0, exec_lo
	v_cmpx_ne_u32_e64 v125, v116
	s_xor_b32 s0, exec_lo, s0
	s_cbranch_execz .LBB108_909
; %bb.904:
	s_mov_b32 s1, exec_lo
	v_cmpx_eq_u32_e32 53, v125
	s_cbranch_execz .LBB108_908
; %bb.905:
	v_cmp_ne_u32_e32 vcc_lo, 53, v116
	s_xor_b32 s2, s6, -1
	s_and_b32 s3, s2, vcc_lo
	s_and_saveexec_b32 s2, s3
	s_cbranch_execz .LBB108_907
; %bb.906:
	v_ashrrev_i32_e32 v117, 31, v116
	v_lshlrev_b64 v[117:118], 2, v[116:117]
	v_add_co_u32 v117, vcc_lo, v4, v117
	v_add_co_ci_u32_e64 v118, null, v5, v118, vcc_lo
	s_clause 0x1
	global_load_dword v124, v[117:118], off
	global_load_dword v125, v[4:5], off offset:212
	s_waitcnt vmcnt(1)
	global_store_dword v[4:5], v124, off offset:212
	s_waitcnt vmcnt(0)
	global_store_dword v[117:118], v125, off
.LBB108_907:
	s_or_b32 exec_lo, exec_lo, s2
	v_mov_b32_e32 v124, v116
	v_mov_b32_e32 v125, v116
.LBB108_908:
	s_or_b32 exec_lo, exec_lo, s1
.LBB108_909:
	s_andn2_saveexec_b32 s0, s0
; %bb.910:
	v_mov_b32_e32 v125, 53
	ds_write_b64 v122, v[114:115] offset:432
; %bb.911:
	s_or_b32 exec_lo, exec_lo, s0
	s_mov_b32 s0, exec_lo
	s_waitcnt lgkmcnt(0)
	s_waitcnt_vscnt null, 0x0
	s_barrier
	buffer_gl0_inv
	v_cmpx_lt_i32_e32 53, v125
	s_cbranch_execz .LBB108_913
; %bb.912:
	v_mul_f64 v[6:7], v[0:1], v[6:7]
	ds_read_b64 v[0:1], v122 offset:432
	s_waitcnt lgkmcnt(0)
	v_fma_f64 v[114:115], -v[6:7], v[0:1], v[114:115]
.LBB108_913:
	s_or_b32 exec_lo, exec_lo, s0
	v_lshl_add_u32 v0, v125, 3, v122
	s_barrier
	buffer_gl0_inv
	v_mov_b32_e32 v116, 54
	ds_write_b64 v0, v[114:115]
	s_waitcnt lgkmcnt(0)
	s_barrier
	buffer_gl0_inv
	ds_read_b64 v[0:1], v122 offset:432
	s_cmp_lt_i32 s7, 56
	s_cbranch_scc1 .LBB108_916
; %bb.914:
	v_add3_u32 v117, v123, 0, 0x1b8
	v_mov_b32_e32 v116, 54
	s_mov_b32 s0, 55
.LBB108_915:                            ; =>This Inner Loop Header: Depth=1
	ds_read_b64 v[122:123], v117
	v_add_nc_u32_e32 v117, 8, v117
	s_waitcnt lgkmcnt(0)
	v_cmp_lt_f64_e64 vcc_lo, |v[0:1]|, |v[122:123]|
	v_cndmask_b32_e32 v1, v1, v123, vcc_lo
	v_cndmask_b32_e32 v0, v0, v122, vcc_lo
	v_cndmask_b32_e64 v116, v116, s0, vcc_lo
	s_add_i32 s0, s0, 1
	s_cmp_lg_u32 s7, s0
	s_cbranch_scc1 .LBB108_915
.LBB108_916:
	s_mov_b32 s0, exec_lo
	s_waitcnt lgkmcnt(0)
	v_cmpx_eq_f64_e32 0, v[0:1]
	s_xor_b32 s0, exec_lo, s0
; %bb.917:
	v_cmp_ne_u32_e32 vcc_lo, 0, v119
	v_cndmask_b32_e32 v119, 55, v119, vcc_lo
; %bb.918:
	s_andn2_saveexec_b32 s0, s0
	s_cbranch_execz .LBB108_920
; %bb.919:
	v_div_scale_f64 v[117:118], null, v[0:1], v[0:1], 1.0
	v_rcp_f64_e32 v[122:123], v[117:118]
	v_fma_f64 v[126:127], -v[117:118], v[122:123], 1.0
	v_fma_f64 v[122:123], v[122:123], v[126:127], v[122:123]
	v_fma_f64 v[126:127], -v[117:118], v[122:123], 1.0
	v_fma_f64 v[122:123], v[122:123], v[126:127], v[122:123]
	v_div_scale_f64 v[126:127], vcc_lo, 1.0, v[0:1], 1.0
	v_mul_f64 v[128:129], v[126:127], v[122:123]
	v_fma_f64 v[117:118], -v[117:118], v[128:129], v[126:127]
	v_div_fmas_f64 v[117:118], v[117:118], v[122:123], v[128:129]
	v_div_fixup_f64 v[0:1], v[117:118], v[0:1], 1.0
.LBB108_920:
	s_or_b32 exec_lo, exec_lo, s0
	v_mov_b32_e32 v117, 54
	s_mov_b32 s0, exec_lo
	v_cmpx_ne_u32_e64 v125, v116
	s_cbranch_execz .LBB108_926
; %bb.921:
	s_mov_b32 s1, exec_lo
	v_cmpx_eq_u32_e32 54, v125
	s_cbranch_execz .LBB108_925
; %bb.922:
	v_cmp_ne_u32_e32 vcc_lo, 54, v116
	s_xor_b32 s2, s6, -1
	s_and_b32 s3, s2, vcc_lo
	s_and_saveexec_b32 s2, s3
	s_cbranch_execz .LBB108_924
; %bb.923:
	v_ashrrev_i32_e32 v117, 31, v116
	v_lshlrev_b64 v[117:118], 2, v[116:117]
	v_add_co_u32 v117, vcc_lo, v4, v117
	v_add_co_ci_u32_e64 v118, null, v5, v118, vcc_lo
	s_clause 0x1
	global_load_dword v122, v[117:118], off
	global_load_dword v123, v[4:5], off offset:216
	s_waitcnt vmcnt(1)
	global_store_dword v[4:5], v122, off offset:216
	s_waitcnt vmcnt(0)
	global_store_dword v[117:118], v123, off
.LBB108_924:
	s_or_b32 exec_lo, exec_lo, s2
	v_mov_b32_e32 v124, v116
	v_mov_b32_e32 v125, v116
.LBB108_925:
	s_or_b32 exec_lo, exec_lo, s1
	v_mov_b32_e32 v117, v125
.LBB108_926:
	s_or_b32 exec_lo, exec_lo, s0
	s_load_dwordx8 s[0:7], s[4:5], 0x28
	v_ashrrev_i32_e32 v118, 31, v117
	s_mov_b32 s9, exec_lo
	s_waitcnt lgkmcnt(0)
	s_waitcnt_vscnt null, 0x0
	s_barrier
	buffer_gl0_inv
	s_barrier
	buffer_gl0_inv
	v_cmpx_gt_i32_e32 55, v117
	s_cbranch_execz .LBB108_928
; %bb.927:
	v_mul_lo_u32 v116, s5, v2
	v_mul_lo_u32 v122, s4, v3
	v_mad_u64_u32 v[4:5], null, s4, v2, 0
	s_lshl_b64 s[2:3], s[2:3], 2
	v_add3_u32 v5, v5, v122, v116
	v_lshlrev_b64 v[4:5], 2, v[4:5]
	v_add_co_u32 v116, vcc_lo, s0, v4
	v_add_co_ci_u32_e64 v122, null, s1, v5, vcc_lo
	v_lshlrev_b64 v[4:5], 2, v[117:118]
	v_add_co_u32 v116, vcc_lo, v116, s2
	v_add_co_ci_u32_e64 v122, null, s3, v122, vcc_lo
	v_add_co_u32 v4, vcc_lo, v116, v4
	v_add_co_ci_u32_e64 v5, null, v122, v5, vcc_lo
	v_add3_u32 v116, v124, s13, 1
	global_store_dword v[4:5], v116, off
.LBB108_928:
	s_or_b32 exec_lo, exec_lo, s9
	s_mov_b32 s1, exec_lo
	v_cmpx_eq_u32_e32 0, v117
	s_cbranch_execz .LBB108_931
; %bb.929:
	v_lshlrev_b64 v[2:3], 2, v[2:3]
	v_cmp_ne_u32_e64 s0, 0, v119
	v_add_co_u32 v2, vcc_lo, s6, v2
	v_add_co_ci_u32_e64 v3, null, s7, v3, vcc_lo
	global_load_dword v4, v[2:3], off
	s_waitcnt vmcnt(0)
	v_cmp_eq_u32_e32 vcc_lo, 0, v4
	s_and_b32 s0, vcc_lo, s0
	s_and_b32 exec_lo, exec_lo, s0
	s_cbranch_execz .LBB108_931
; %bb.930:
	v_add_nc_u32_e32 v4, s13, v119
	global_store_dword v[2:3], v4, off
.LBB108_931:
	s_or_b32 exec_lo, exec_lo, s1
	v_add3_u32 v2, s8, s8, v117
	v_lshlrev_b64 v[4:5], 3, v[117:118]
	v_mul_f64 v[0:1], v[0:1], v[114:115]
	v_cmp_lt_i32_e32 vcc_lo, 54, v117
	v_ashrrev_i32_e32 v3, 31, v2
	v_add_nc_u32_e32 v116, s8, v2
	v_add_co_u32 v4, s0, v120, v4
	v_add_co_ci_u32_e64 v5, null, v121, v5, s0
	v_lshlrev_b64 v[2:3], 3, v[2:3]
	v_add_co_u32 v122, s0, v4, s10
	v_add_co_ci_u32_e64 v123, null, s11, v5, s0
	v_add_nc_u32_e32 v118, s8, v116
	v_add_co_u32 v2, s0, v120, v2
	v_add_co_ci_u32_e64 v3, null, v121, v3, s0
	v_ashrrev_i32_e32 v117, 31, v116
	flat_store_dwordx2 v[4:5], v[112:113]
	flat_store_dwordx2 v[122:123], v[108:109]
	flat_store_dwordx2 v[2:3], v[110:111]
	v_add_nc_u32_e32 v108, s8, v118
	v_ashrrev_i32_e32 v119, 31, v118
	v_lshlrev_b64 v[4:5], 3, v[116:117]
	v_cndmask_b32_e32 v1, v115, v1, vcc_lo
	v_cndmask_b32_e32 v0, v114, v0, vcc_lo
	v_add_nc_u32_e32 v110, s8, v108
	v_lshlrev_b64 v[2:3], 3, v[118:119]
	v_ashrrev_i32_e32 v109, 31, v108
	v_add_co_u32 v4, vcc_lo, v120, v4
	v_add_nc_u32_e32 v112, s8, v110
	v_add_co_ci_u32_e64 v5, null, v121, v5, vcc_lo
	v_add_co_u32 v2, vcc_lo, v120, v2
	v_ashrrev_i32_e32 v111, 31, v110
	v_add_co_ci_u32_e64 v3, null, v121, v3, vcc_lo
	v_ashrrev_i32_e32 v113, 31, v112
	v_lshlrev_b64 v[108:109], 3, v[108:109]
	flat_store_dwordx2 v[4:5], v[104:105]
	flat_store_dwordx2 v[2:3], v[106:107]
	v_lshlrev_b64 v[2:3], 3, v[110:111]
	v_add_nc_u32_e32 v106, s8, v112
	v_lshlrev_b64 v[104:105], 3, v[112:113]
	v_add_co_u32 v4, vcc_lo, v120, v108
	v_add_co_ci_u32_e64 v5, null, v121, v109, vcc_lo
	v_add_co_u32 v2, vcc_lo, v120, v2
	v_add_co_ci_u32_e64 v3, null, v121, v3, vcc_lo
	v_add_co_u32 v104, vcc_lo, v120, v104
	v_add_nc_u32_e32 v108, s8, v106
	v_add_co_ci_u32_e64 v105, null, v121, v105, vcc_lo
	v_ashrrev_i32_e32 v107, 31, v106
	flat_store_dwordx2 v[4:5], v[102:103]
	flat_store_dwordx2 v[2:3], v[100:101]
	flat_store_dwordx2 v[104:105], v[98:99]
	v_add_nc_u32_e32 v98, s8, v108
	v_ashrrev_i32_e32 v109, 31, v108
	v_lshlrev_b64 v[4:5], 3, v[106:107]
	v_add_nc_u32_e32 v100, s8, v98
	v_lshlrev_b64 v[2:3], 3, v[108:109]
	v_ashrrev_i32_e32 v99, 31, v98
	v_add_co_u32 v4, vcc_lo, v120, v4
	v_add_nc_u32_e32 v102, s8, v100
	v_add_co_ci_u32_e64 v5, null, v121, v5, vcc_lo
	v_add_co_u32 v2, vcc_lo, v120, v2
	v_ashrrev_i32_e32 v101, 31, v100
	v_add_co_ci_u32_e64 v3, null, v121, v3, vcc_lo
	v_ashrrev_i32_e32 v103, 31, v102
	v_lshlrev_b64 v[98:99], 3, v[98:99]
	flat_store_dwordx2 v[4:5], v[96:97]
	flat_store_dwordx2 v[2:3], v[94:95]
	v_lshlrev_b64 v[2:3], 3, v[100:101]
	v_add_nc_u32_e32 v96, s8, v102
	v_lshlrev_b64 v[94:95], 3, v[102:103]
	v_add_co_u32 v4, vcc_lo, v120, v98
	v_add_co_ci_u32_e64 v5, null, v121, v99, vcc_lo
	v_add_co_u32 v2, vcc_lo, v120, v2
	v_add_co_ci_u32_e64 v3, null, v121, v3, vcc_lo
	v_add_co_u32 v94, vcc_lo, v120, v94
	v_add_nc_u32_e32 v98, s8, v96
	v_add_co_ci_u32_e64 v95, null, v121, v95, vcc_lo
	v_ashrrev_i32_e32 v97, 31, v96
	flat_store_dwordx2 v[4:5], v[92:93]
	flat_store_dwordx2 v[2:3], v[88:89]
	flat_store_dwordx2 v[94:95], v[90:91]
	v_add_nc_u32_e32 v88, s8, v98
	v_ashrrev_i32_e32 v99, 31, v98
	v_lshlrev_b64 v[4:5], 3, v[96:97]
	;; [unrolled: 30-line block ×8, first 2 shown]
	v_add_nc_u32_e32 v30, s8, v28
	v_lshlrev_b64 v[2:3], 3, v[38:39]
	v_ashrrev_i32_e32 v29, 31, v28
	v_add_co_u32 v4, vcc_lo, v120, v4
	v_add_nc_u32_e32 v32, s8, v30
	v_add_co_ci_u32_e64 v5, null, v121, v5, vcc_lo
	v_add_co_u32 v2, vcc_lo, v120, v2
	v_ashrrev_i32_e32 v31, 31, v30
	v_add_co_ci_u32_e64 v3, null, v121, v3, vcc_lo
	v_ashrrev_i32_e32 v33, 31, v32
	v_lshlrev_b64 v[28:29], 3, v[28:29]
	flat_store_dwordx2 v[4:5], v[24:25]
	flat_store_dwordx2 v[2:3], v[26:27]
	v_lshlrev_b64 v[2:3], 3, v[30:31]
	v_add_nc_u32_e32 v26, s8, v32
	v_lshlrev_b64 v[24:25], 3, v[32:33]
	v_add_co_u32 v4, vcc_lo, v120, v28
	v_add_co_ci_u32_e64 v5, null, v121, v29, vcc_lo
	v_add_co_u32 v2, vcc_lo, v120, v2
	v_add_nc_u32_e32 v28, s8, v26
	v_add_co_ci_u32_e64 v3, null, v121, v3, vcc_lo
	v_add_co_u32 v24, vcc_lo, v120, v24
	v_ashrrev_i32_e32 v27, 31, v26
	v_add_co_ci_u32_e64 v25, null, v121, v25, vcc_lo
	v_ashrrev_i32_e32 v29, 31, v28
	flat_store_dwordx2 v[4:5], v[22:23]
	v_lshlrev_b64 v[4:5], 3, v[26:27]
	flat_store_dwordx2 v[2:3], v[20:21]
	flat_store_dwordx2 v[24:25], v[18:19]
	v_add_nc_u32_e32 v18, s8, v28
	v_lshlrev_b64 v[2:3], 3, v[28:29]
	v_add_co_u32 v4, vcc_lo, v120, v4
	v_add_nc_u32_e32 v20, s8, v18
	v_add_co_ci_u32_e64 v5, null, v121, v5, vcc_lo
	v_add_co_u32 v2, vcc_lo, v120, v2
	v_add_co_ci_u32_e64 v3, null, v121, v3, vcc_lo
	v_add_nc_u32_e32 v22, s8, v20
	v_ashrrev_i32_e32 v19, 31, v18
	flat_store_dwordx2 v[4:5], v[16:17]
	flat_store_dwordx2 v[2:3], v[14:15]
	v_ashrrev_i32_e32 v21, 31, v20
	v_add_nc_u32_e32 v14, s8, v22
	v_lshlrev_b64 v[4:5], 3, v[18:19]
	v_ashrrev_i32_e32 v23, 31, v22
	v_lshlrev_b64 v[2:3], 3, v[20:21]
	v_add_nc_u32_e32 v18, s8, v14
	v_ashrrev_i32_e32 v15, 31, v14
	v_lshlrev_b64 v[16:17], 3, v[22:23]
	v_add_co_u32 v4, vcc_lo, v120, v4
	v_ashrrev_i32_e32 v19, 31, v18
	v_lshlrev_b64 v[14:15], 3, v[14:15]
	v_add_co_ci_u32_e64 v5, null, v121, v5, vcc_lo
	v_add_co_u32 v2, vcc_lo, v120, v2
	v_lshlrev_b64 v[18:19], 3, v[18:19]
	v_add_co_ci_u32_e64 v3, null, v121, v3, vcc_lo
	v_add_co_u32 v16, vcc_lo, v120, v16
	v_add_co_ci_u32_e64 v17, null, v121, v17, vcc_lo
	v_add_co_u32 v14, vcc_lo, v120, v14
	v_add_co_ci_u32_e64 v15, null, v121, v15, vcc_lo
	v_add_co_u32 v18, vcc_lo, v120, v18
	v_add_co_ci_u32_e64 v19, null, v121, v19, vcc_lo
	flat_store_dwordx2 v[4:5], v[12:13]
	flat_store_dwordx2 v[2:3], v[8:9]
	flat_store_dwordx2 v[16:17], v[10:11]
	flat_store_dwordx2 v[14:15], v[6:7]
	flat_store_dwordx2 v[18:19], v[0:1]
.LBB108_932:
	s_endpgm
	.section	.rodata,"a",@progbits
	.p2align	6, 0x0
	.amdhsa_kernel _ZN9rocsolver6v33100L18getf2_small_kernelILi55EdiiPKPdEEvT1_T3_lS5_lPS5_llPT2_S5_S5_S7_l
		.amdhsa_group_segment_fixed_size 0
		.amdhsa_private_segment_fixed_size 0
		.amdhsa_kernarg_size 352
		.amdhsa_user_sgpr_count 6
		.amdhsa_user_sgpr_private_segment_buffer 1
		.amdhsa_user_sgpr_dispatch_ptr 0
		.amdhsa_user_sgpr_queue_ptr 0
		.amdhsa_user_sgpr_kernarg_segment_ptr 1
		.amdhsa_user_sgpr_dispatch_id 0
		.amdhsa_user_sgpr_flat_scratch_init 0
		.amdhsa_user_sgpr_private_segment_size 0
		.amdhsa_wavefront_size32 1
		.amdhsa_uses_dynamic_stack 0
		.amdhsa_system_sgpr_private_segment_wavefront_offset 0
		.amdhsa_system_sgpr_workgroup_id_x 1
		.amdhsa_system_sgpr_workgroup_id_y 1
		.amdhsa_system_sgpr_workgroup_id_z 0
		.amdhsa_system_sgpr_workgroup_info 0
		.amdhsa_system_vgpr_workitem_id 1
		.amdhsa_next_free_vgpr 226
		.amdhsa_next_free_sgpr 14
		.amdhsa_reserve_vcc 1
		.amdhsa_reserve_flat_scratch 1
		.amdhsa_float_round_mode_32 0
		.amdhsa_float_round_mode_16_64 0
		.amdhsa_float_denorm_mode_32 3
		.amdhsa_float_denorm_mode_16_64 3
		.amdhsa_dx10_clamp 1
		.amdhsa_ieee_mode 1
		.amdhsa_fp16_overflow 0
		.amdhsa_workgroup_processor_mode 1
		.amdhsa_memory_ordered 1
		.amdhsa_forward_progress 1
		.amdhsa_shared_vgpr_count 0
		.amdhsa_exception_fp_ieee_invalid_op 0
		.amdhsa_exception_fp_denorm_src 0
		.amdhsa_exception_fp_ieee_div_zero 0
		.amdhsa_exception_fp_ieee_overflow 0
		.amdhsa_exception_fp_ieee_underflow 0
		.amdhsa_exception_fp_ieee_inexact 0
		.amdhsa_exception_int_div_zero 0
	.end_amdhsa_kernel
	.section	.text._ZN9rocsolver6v33100L18getf2_small_kernelILi55EdiiPKPdEEvT1_T3_lS5_lPS5_llPT2_S5_S5_S7_l,"axG",@progbits,_ZN9rocsolver6v33100L18getf2_small_kernelILi55EdiiPKPdEEvT1_T3_lS5_lPS5_llPT2_S5_S5_S7_l,comdat
.Lfunc_end108:
	.size	_ZN9rocsolver6v33100L18getf2_small_kernelILi55EdiiPKPdEEvT1_T3_lS5_lPS5_llPT2_S5_S5_S7_l, .Lfunc_end108-_ZN9rocsolver6v33100L18getf2_small_kernelILi55EdiiPKPdEEvT1_T3_lS5_lPS5_llPT2_S5_S5_S7_l
                                        ; -- End function
	.set _ZN9rocsolver6v33100L18getf2_small_kernelILi55EdiiPKPdEEvT1_T3_lS5_lPS5_llPT2_S5_S5_S7_l.num_vgpr, 226
	.set _ZN9rocsolver6v33100L18getf2_small_kernelILi55EdiiPKPdEEvT1_T3_lS5_lPS5_llPT2_S5_S5_S7_l.num_agpr, 0
	.set _ZN9rocsolver6v33100L18getf2_small_kernelILi55EdiiPKPdEEvT1_T3_lS5_lPS5_llPT2_S5_S5_S7_l.numbered_sgpr, 14
	.set _ZN9rocsolver6v33100L18getf2_small_kernelILi55EdiiPKPdEEvT1_T3_lS5_lPS5_llPT2_S5_S5_S7_l.num_named_barrier, 0
	.set _ZN9rocsolver6v33100L18getf2_small_kernelILi55EdiiPKPdEEvT1_T3_lS5_lPS5_llPT2_S5_S5_S7_l.private_seg_size, 0
	.set _ZN9rocsolver6v33100L18getf2_small_kernelILi55EdiiPKPdEEvT1_T3_lS5_lPS5_llPT2_S5_S5_S7_l.uses_vcc, 1
	.set _ZN9rocsolver6v33100L18getf2_small_kernelILi55EdiiPKPdEEvT1_T3_lS5_lPS5_llPT2_S5_S5_S7_l.uses_flat_scratch, 1
	.set _ZN9rocsolver6v33100L18getf2_small_kernelILi55EdiiPKPdEEvT1_T3_lS5_lPS5_llPT2_S5_S5_S7_l.has_dyn_sized_stack, 0
	.set _ZN9rocsolver6v33100L18getf2_small_kernelILi55EdiiPKPdEEvT1_T3_lS5_lPS5_llPT2_S5_S5_S7_l.has_recursion, 0
	.set _ZN9rocsolver6v33100L18getf2_small_kernelILi55EdiiPKPdEEvT1_T3_lS5_lPS5_llPT2_S5_S5_S7_l.has_indirect_call, 0
	.section	.AMDGPU.csdata,"",@progbits
; Kernel info:
; codeLenInByte = 62456
; TotalNumSgprs: 16
; NumVgprs: 226
; ScratchSize: 0
; MemoryBound: 0
; FloatMode: 240
; IeeeMode: 1
; LDSByteSize: 0 bytes/workgroup (compile time only)
; SGPRBlocks: 0
; VGPRBlocks: 28
; NumSGPRsForWavesPerEU: 16
; NumVGPRsForWavesPerEU: 226
; Occupancy: 4
; WaveLimiterHint : 1
; COMPUTE_PGM_RSRC2:SCRATCH_EN: 0
; COMPUTE_PGM_RSRC2:USER_SGPR: 6
; COMPUTE_PGM_RSRC2:TRAP_HANDLER: 0
; COMPUTE_PGM_RSRC2:TGID_X_EN: 1
; COMPUTE_PGM_RSRC2:TGID_Y_EN: 1
; COMPUTE_PGM_RSRC2:TGID_Z_EN: 0
; COMPUTE_PGM_RSRC2:TIDIG_COMP_CNT: 1
	.section	.text._ZN9rocsolver6v33100L23getf2_npvt_small_kernelILi55EdiiPKPdEEvT1_T3_lS5_lPT2_S5_S5_,"axG",@progbits,_ZN9rocsolver6v33100L23getf2_npvt_small_kernelILi55EdiiPKPdEEvT1_T3_lS5_lPT2_S5_S5_,comdat
	.globl	_ZN9rocsolver6v33100L23getf2_npvt_small_kernelILi55EdiiPKPdEEvT1_T3_lS5_lPT2_S5_S5_ ; -- Begin function _ZN9rocsolver6v33100L23getf2_npvt_small_kernelILi55EdiiPKPdEEvT1_T3_lS5_lPT2_S5_S5_
	.p2align	8
	.type	_ZN9rocsolver6v33100L23getf2_npvt_small_kernelILi55EdiiPKPdEEvT1_T3_lS5_lPT2_S5_S5_,@function
_ZN9rocsolver6v33100L23getf2_npvt_small_kernelILi55EdiiPKPdEEvT1_T3_lS5_lPT2_S5_S5_: ; @_ZN9rocsolver6v33100L23getf2_npvt_small_kernelILi55EdiiPKPdEEvT1_T3_lS5_lPT2_S5_S5_
; %bb.0:
	s_mov_b64 s[14:15], s[2:3]
	s_mov_b64 s[12:13], s[0:1]
	s_add_u32 s12, s12, s8
	s_clause 0x1
	s_load_dword s0, s[4:5], 0x44
	s_load_dwordx2 s[8:9], s[4:5], 0x30
	s_addc_u32 s13, s13, 0
	s_waitcnt lgkmcnt(0)
	s_lshr_b32 s10, s0, 16
	s_mov_b32 s0, exec_lo
	v_mad_u64_u32 v[2:3], null, s7, s10, v[1:2]
	v_cmpx_gt_i32_e64 s8, v2
	s_cbranch_execz .LBB109_278
; %bb.1:
	s_clause 0x1
	s_load_dwordx4 s[0:3], s[4:5], 0x8
	s_load_dword s6, s[4:5], 0x18
	v_ashrrev_i32_e32 v3, 31, v2
	s_mulk_i32 s10, 0x1b8
	v_lshlrev_b64 v[4:5], 3, v[2:3]
	s_waitcnt lgkmcnt(0)
	v_add_co_u32 v4, vcc_lo, s0, v4
	v_add_co_ci_u32_e64 v5, null, s1, v5, vcc_lo
	v_add3_u32 v6, s6, s6, v0
	s_lshl_b64 s[0:1], s[2:3], 3
	s_ashr_i32 s7, s6, 31
	global_load_dwordx2 v[4:5], v[4:5], off
	v_add_nc_u32_e32 v8, s6, v6
	v_ashrrev_i32_e32 v7, 31, v6
	v_add_nc_u32_e32 v10, s6, v8
	v_ashrrev_i32_e32 v9, 31, v8
	v_lshlrev_b64 v[6:7], 3, v[6:7]
	v_add_nc_u32_e32 v12, s6, v10
	v_ashrrev_i32_e32 v11, 31, v10
	v_lshlrev_b64 v[8:9], 3, v[8:9]
	v_add_nc_u32_e32 v14, s6, v12
	v_ashrrev_i32_e32 v13, 31, v12
	v_lshlrev_b64 v[10:11], 3, v[10:11]
	v_add_nc_u32_e32 v16, s6, v14
	v_ashrrev_i32_e32 v15, 31, v14
	v_lshlrev_b64 v[12:13], 3, v[12:13]
	v_add_nc_u32_e32 v18, s6, v16
	v_ashrrev_i32_e32 v17, 31, v16
	v_lshlrev_b64 v[14:15], 3, v[14:15]
	v_add_nc_u32_e32 v20, s6, v18
	v_ashrrev_i32_e32 v19, 31, v18
	v_lshlrev_b64 v[16:17], 3, v[16:17]
	v_add_nc_u32_e32 v22, s6, v20
	v_ashrrev_i32_e32 v21, 31, v20
	v_lshlrev_b64 v[18:19], 3, v[18:19]
	v_add_nc_u32_e32 v24, s6, v22
	v_ashrrev_i32_e32 v23, 31, v22
	v_lshlrev_b64 v[20:21], 3, v[20:21]
	v_add_nc_u32_e32 v26, s6, v24
	v_ashrrev_i32_e32 v25, 31, v24
	v_lshlrev_b64 v[22:23], 3, v[22:23]
	v_add_nc_u32_e32 v28, s6, v26
	v_ashrrev_i32_e32 v27, 31, v26
	v_lshlrev_b64 v[24:25], 3, v[24:25]
	v_add_nc_u32_e32 v30, s6, v28
	v_ashrrev_i32_e32 v29, 31, v28
	v_lshlrev_b64 v[26:27], 3, v[26:27]
	v_add_nc_u32_e32 v32, s6, v30
	v_ashrrev_i32_e32 v31, 31, v30
	v_lshlrev_b64 v[28:29], 3, v[28:29]
	v_add_nc_u32_e32 v34, s6, v32
	v_ashrrev_i32_e32 v33, 31, v32
	v_lshlrev_b64 v[30:31], 3, v[30:31]
	v_add_nc_u32_e32 v36, s6, v34
	v_ashrrev_i32_e32 v35, 31, v34
	v_lshlrev_b64 v[32:33], 3, v[32:33]
	v_add_nc_u32_e32 v38, s6, v36
	v_ashrrev_i32_e32 v37, 31, v36
	v_lshlrev_b64 v[34:35], 3, v[34:35]
	v_add_nc_u32_e32 v40, s6, v38
	v_ashrrev_i32_e32 v39, 31, v38
	v_lshlrev_b64 v[36:37], 3, v[36:37]
	v_add_nc_u32_e32 v42, s6, v40
	v_ashrrev_i32_e32 v41, 31, v40
	v_lshlrev_b64 v[38:39], 3, v[38:39]
	v_add_nc_u32_e32 v44, s6, v42
	v_ashrrev_i32_e32 v43, 31, v42
	v_lshlrev_b64 v[40:41], 3, v[40:41]
	v_add_nc_u32_e32 v46, s6, v44
	v_ashrrev_i32_e32 v45, 31, v44
	v_lshlrev_b64 v[42:43], 3, v[42:43]
	v_add_nc_u32_e32 v48, s6, v46
	v_ashrrev_i32_e32 v47, 31, v46
	v_lshlrev_b64 v[44:45], 3, v[44:45]
	v_add_nc_u32_e32 v50, s6, v48
	v_ashrrev_i32_e32 v49, 31, v48
	v_lshlrev_b64 v[46:47], 3, v[46:47]
	v_add_nc_u32_e32 v52, s6, v50
	v_ashrrev_i32_e32 v51, 31, v50
	v_lshlrev_b64 v[48:49], 3, v[48:49]
	v_add_nc_u32_e32 v54, s6, v52
	v_ashrrev_i32_e32 v53, 31, v52
	v_lshlrev_b64 v[50:51], 3, v[50:51]
	v_add_nc_u32_e32 v56, s6, v54
	v_ashrrev_i32_e32 v55, 31, v54
	v_lshlrev_b64 v[52:53], 3, v[52:53]
	v_add_nc_u32_e32 v58, s6, v56
	v_ashrrev_i32_e32 v57, 31, v56
	v_lshlrev_b64 v[54:55], 3, v[54:55]
	v_add_nc_u32_e32 v60, s6, v58
	v_ashrrev_i32_e32 v59, 31, v58
	v_lshlrev_b64 v[56:57], 3, v[56:57]
	v_add_nc_u32_e32 v62, s6, v60
	v_ashrrev_i32_e32 v61, 31, v60
	v_lshlrev_b64 v[58:59], 3, v[58:59]
	v_add_nc_u32_e32 v64, s6, v62
	v_ashrrev_i32_e32 v63, 31, v62
	v_lshlrev_b64 v[60:61], 3, v[60:61]
	v_add_nc_u32_e32 v66, s6, v64
	v_ashrrev_i32_e32 v65, 31, v64
	v_lshlrev_b64 v[62:63], 3, v[62:63]
	v_add_nc_u32_e32 v68, s6, v66
	v_ashrrev_i32_e32 v67, 31, v66
	v_lshlrev_b64 v[64:65], 3, v[64:65]
	v_add_nc_u32_e32 v70, s6, v68
	v_ashrrev_i32_e32 v69, 31, v68
	v_lshlrev_b64 v[66:67], 3, v[66:67]
	v_add_nc_u32_e32 v72, s6, v70
	v_ashrrev_i32_e32 v71, 31, v70
	v_lshlrev_b64 v[68:69], 3, v[68:69]
	v_add_nc_u32_e32 v74, s6, v72
	v_ashrrev_i32_e32 v73, 31, v72
	v_lshlrev_b64 v[70:71], 3, v[70:71]
	v_add_nc_u32_e32 v76, s6, v74
	v_ashrrev_i32_e32 v75, 31, v74
	v_lshlrev_b64 v[72:73], 3, v[72:73]
	v_add_nc_u32_e32 v78, s6, v76
	v_ashrrev_i32_e32 v77, 31, v76
	v_lshlrev_b64 v[74:75], 3, v[74:75]
	v_add_nc_u32_e32 v80, s6, v78
	v_ashrrev_i32_e32 v79, 31, v78
	v_lshlrev_b64 v[76:77], 3, v[76:77]
	v_add_nc_u32_e32 v82, s6, v80
	v_ashrrev_i32_e32 v81, 31, v80
	v_lshlrev_b64 v[78:79], 3, v[78:79]
	v_add_nc_u32_e32 v84, s6, v82
	v_ashrrev_i32_e32 v83, 31, v82
	v_lshlrev_b64 v[80:81], 3, v[80:81]
	v_add_nc_u32_e32 v86, s6, v84
	v_ashrrev_i32_e32 v85, 31, v84
	v_lshlrev_b64 v[82:83], 3, v[82:83]
	v_add_nc_u32_e32 v88, s6, v86
	v_ashrrev_i32_e32 v87, 31, v86
	v_lshlrev_b64 v[84:85], 3, v[84:85]
	v_add_nc_u32_e32 v90, s6, v88
	v_ashrrev_i32_e32 v89, 31, v88
	v_lshlrev_b64 v[86:87], 3, v[86:87]
	v_add_nc_u32_e32 v92, s6, v90
	v_ashrrev_i32_e32 v91, 31, v90
	v_lshlrev_b64 v[88:89], 3, v[88:89]
	v_add_nc_u32_e32 v94, s6, v92
	v_ashrrev_i32_e32 v93, 31, v92
	v_lshlrev_b64 v[90:91], 3, v[90:91]
	v_add_nc_u32_e32 v96, s6, v94
	v_ashrrev_i32_e32 v95, 31, v94
	v_lshlrev_b64 v[92:93], 3, v[92:93]
	v_add_nc_u32_e32 v98, s6, v96
	v_ashrrev_i32_e32 v97, 31, v96
	v_lshlrev_b64 v[94:95], 3, v[94:95]
	v_add_nc_u32_e32 v100, s6, v98
	v_ashrrev_i32_e32 v99, 31, v98
	v_lshlrev_b64 v[96:97], 3, v[96:97]
	v_add_nc_u32_e32 v102, s6, v100
	v_ashrrev_i32_e32 v101, 31, v100
	v_lshlrev_b64 v[98:99], 3, v[98:99]
	v_add_nc_u32_e32 v104, s6, v102
	v_ashrrev_i32_e32 v103, 31, v102
	v_lshlrev_b64 v[100:101], 3, v[100:101]
	v_ashrrev_i32_e32 v105, 31, v104
	v_lshlrev_b64 v[102:103], 3, v[102:103]
	s_waitcnt vmcnt(0)
	v_add_co_u32 v108, vcc_lo, v4, s0
	v_add_co_ci_u32_e64 v109, null, s1, v5, vcc_lo
	s_lshl_b64 s[0:1], s[6:7], 3
	v_add_co_u32 v4, vcc_lo, v108, v6
	v_add_co_ci_u32_e64 v5, null, v109, v7, vcc_lo
	v_add_co_u32 v6, vcc_lo, v108, v8
	v_add_co_ci_u32_e64 v7, null, v109, v9, vcc_lo
	;; [unrolled: 2-line block ×19, first 2 shown]
	v_add_co_u32 v42, vcc_lo, v108, v44
	v_mov_b32_e32 v111, v5
	v_add_co_ci_u32_e64 v43, null, v109, v45, vcc_lo
	v_mov_b32_e32 v110, v4
	v_add_co_u32 v4, vcc_lo, v108, v46
	v_mov_b32_e32 v45, v7
	v_add_co_ci_u32_e64 v5, null, v109, v47, vcc_lo
	v_mov_b32_e32 v44, v6
	;; [unrolled: 4-line block ×11, first 2 shown]
	v_add_co_u32 v24, vcc_lo, v108, v66
	v_add_co_ci_u32_e64 v25, null, v109, v67, vcc_lo
	v_add_co_u32 v106, vcc_lo, v108, v68
	v_mov_b32_e32 v66, v27
	v_mov_b32_e32 v65, v26
	v_add_co_ci_u32_e64 v107, null, v109, v69, vcc_lo
	v_add_co_u32 v26, vcc_lo, v108, v70
	v_add_co_ci_u32_e64 v27, null, v109, v71, vcc_lo
	v_add_co_u32 v112, vcc_lo, v108, v72
	;; [unrolled: 2-line block ×9, first 2 shown]
	v_mov_b32_e32 v68, v29
	v_mov_b32_e32 v67, v28
	v_add_co_ci_u32_e64 v151, null, v109, v87, vcc_lo
	v_add_co_u32 v28, vcc_lo, v108, v88
	v_mov_b32_e32 v70, v31
	v_mov_b32_e32 v69, v30
	;; [unrolled: 1-line block ×3, first 2 shown]
	v_add_co_ci_u32_e64 v29, null, v109, v89, vcc_lo
	v_add_co_u32 v30, vcc_lo, v108, v90
	v_mov_b32_e32 v72, v33
	v_mov_b32_e32 v75, v4
	v_add_nc_u32_e32 v4, s6, v104
	v_mov_b32_e32 v71, v32
	v_add_co_ci_u32_e64 v31, null, v109, v91, vcc_lo
	v_add_co_u32 v32, vcc_lo, v108, v92
	v_mov_b32_e32 v82, v11
	v_mov_b32_e32 v81, v10
	v_add_co_ci_u32_e64 v33, null, v109, v93, vcc_lo
	v_add_co_u32 v11, vcc_lo, v108, v94
	v_mov_b32_e32 v80, v9
	v_mov_b32_e32 v84, v13
	;; [unrolled: 1-line block ×4, first 2 shown]
	v_add_co_ci_u32_e64 v12, null, v109, v95, vcc_lo
	v_add_co_u32 v13, vcc_lo, v108, v96
	v_add_nc_u32_e32 v8, s6, v4
	v_mov_b32_e32 v78, v7
	v_mov_b32_e32 v86, v15
	;; [unrolled: 1-line block ×4, first 2 shown]
	v_add_co_ci_u32_e64 v14, null, v109, v97, vcc_lo
	v_add_co_u32 v15, vcc_lo, v108, v98
	v_lshlrev_b64 v[6:7], 3, v[104:105]
	v_mov_b32_e32 v88, v17
	v_mov_b32_e32 v87, v16
	v_add_co_ci_u32_e64 v16, null, v109, v99, vcc_lo
	v_add_co_u32 v17, vcc_lo, v108, v100
	v_mov_b32_e32 v90, v19
	v_ashrrev_i32_e32 v5, 31, v4
	v_ashrrev_i32_e32 v9, 31, v8
	v_mov_b32_e32 v89, v18
	v_add_co_ci_u32_e64 v18, null, v109, v101, vcc_lo
	v_add_co_u32 v19, vcc_lo, v108, v102
	v_mov_b32_e32 v92, v21
	v_mov_b32_e32 v91, v20
	v_add_co_ci_u32_e64 v20, null, v109, v103, vcc_lo
	v_add_co_u32 v21, vcc_lo, v108, v6
	v_mov_b32_e32 v47, v23
	v_mov_b32_e32 v46, v22
	v_lshlrev_b64 v[4:5], 3, v[4:5]
	v_add_co_ci_u32_e64 v22, null, v109, v7, vcc_lo
	v_lshlrev_b64 v[6:7], 3, v[8:9]
	v_add_nc_u32_e32 v8, s6, v8
	v_lshlrev_b32_e32 v10, 3, v0
	v_add_co_u32 v23, vcc_lo, v108, v4
	v_mov_b32_e32 v94, v25
	v_ashrrev_i32_e32 v9, 31, v8
	v_mov_b32_e32 v93, v24
	v_add_co_ci_u32_e64 v24, null, v109, v5, vcc_lo
	v_add_co_u32 v6, vcc_lo, v108, v6
	v_add_co_ci_u32_e64 v7, null, v109, v7, vcc_lo
	v_lshlrev_b64 v[4:5], 3, v[8:9]
	v_add_co_u32 v8, vcc_lo, v108, v10
	v_add_co_ci_u32_e64 v9, null, 0, v109, vcc_lo
	v_mov_b32_e32 v74, v35
	v_mov_b32_e32 v73, v34
	v_add_co_u32 v34, vcc_lo, v8, s0
	v_add_co_ci_u32_e64 v35, null, s1, v9, vcc_lo
	buffer_store_dword v8, off, s[12:15], 0 offset:112 ; 4-byte Folded Spill
	buffer_store_dword v9, off, s[12:15], 0 offset:116 ; 4-byte Folded Spill
	v_add_co_u32 v4, vcc_lo, v108, v4
	v_add_co_ci_u32_e64 v5, null, v109, v5, vcc_lo
	v_cmp_ne_u32_e64 s1, 0, v0
	v_cmp_eq_u32_e64 s0, 0, v0
	flat_load_dwordx2 v[184:185], v[8:9]
	buffer_store_dword v34, off, s[12:15], 0 offset:120 ; 4-byte Folded Spill
	buffer_store_dword v35, off, s[12:15], 0 offset:124 ; 4-byte Folded Spill
	flat_load_dwordx2 v[202:203], v[34:35]
	buffer_store_dword v110, off, s[12:15], 0 ; 4-byte Folded Spill
	buffer_store_dword v111, off, s[12:15], 0 offset:4 ; 4-byte Folded Spill
	flat_load_dwordx2 v[220:221], v[110:111]
	buffer_store_dword v44, off, s[12:15], 0 offset:8 ; 4-byte Folded Spill
	buffer_store_dword v45, off, s[12:15], 0 offset:12 ; 4-byte Folded Spill
	flat_load_dwordx2 v[200:201], v[44:45]
	buffer_store_dword v114, off, s[12:15], 0 offset:16 ; 4-byte Folded Spill
	buffer_store_dword v115, off, s[12:15], 0 offset:20 ; 4-byte Folded Spill
	v_mov_b32_e32 v45, v31
	v_mov_b32_e32 v44, v30
	flat_load_dwordx2 v[218:219], v[114:115]
	buffer_store_dword v49, off, s[12:15], 0 offset:24 ; 4-byte Folded Spill
	buffer_store_dword v50, off, s[12:15], 0 offset:28 ; 4-byte Folded Spill
	flat_load_dwordx2 v[198:199], v[49:50]
	buffer_store_dword v51, off, s[12:15], 0 offset:32 ; 4-byte Folded Spill
	buffer_store_dword v52, off, s[12:15], 0 offset:36 ; 4-byte Folded Spill
	v_mov_b32_e32 v50, v33
	v_mov_b32_e32 v49, v32
	flat_load_dwordx2 v[216:217], v[51:52]
	buffer_store_dword v53, off, s[12:15], 0 offset:40 ; 4-byte Folded Spill
	buffer_store_dword v54, off, s[12:15], 0 offset:44 ; 4-byte Folded Spill
	v_mov_b32_e32 v52, v12
	v_mov_b32_e32 v51, v11
	;; [unrolled: 5-line block ×10, first 2 shown]
	flat_load_dwordx2 v[188:189], v[69:70]
	buffer_store_dword v71, off, s[12:15], 0 offset:128 ; 4-byte Folded Spill
	buffer_store_dword v72, off, s[12:15], 0 offset:132 ; 4-byte Folded Spill
	flat_load_dwordx2 v[206:207], v[71:72]
	buffer_store_dword v73, off, s[12:15], 0 offset:136 ; 4-byte Folded Spill
	buffer_store_dword v74, off, s[12:15], 0 offset:140 ; 4-byte Folded Spill
	;; [unrolled: 3-line block ×4, first 2 shown]
	v_mad_u32_u24 v38, 0x1b8, v1, 0
	flat_load_dwordx2 v[148:149], v[36:37]
	buffer_store_dword v40, off, s[12:15], 0 offset:160 ; 4-byte Folded Spill
	buffer_store_dword v41, off, s[12:15], 0 offset:164 ; 4-byte Folded Spill
	flat_load_dwordx2 v[182:183], v[40:41]
	buffer_store_dword v42, off, s[12:15], 0 offset:168 ; 4-byte Folded Spill
	buffer_store_dword v43, off, s[12:15], 0 offset:172 ; 4-byte Folded Spill
	;; [unrolled: 3-line block ×24, first 2 shown]
	s_clause 0xb
	flat_load_dwordx2 v[124:125], v[28:29]
	flat_load_dwordx2 v[158:159], v[30:31]
	;; [unrolled: 1-line block ×12, first 2 shown]
	v_lshlrev_b32_e32 v4, 3, v1
	v_add3_u32 v1, 0, s10, v4
	s_and_saveexec_b32 s2, s0
	s_cbranch_execz .LBB109_4
; %bb.2:
	s_waitcnt vmcnt(54) lgkmcnt(54)
	ds_write_b64 v1, v[184:185]
	s_waitcnt vmcnt(52) lgkmcnt(53)
	ds_write2_b64 v38, v[202:203], v[220:221] offset0:1 offset1:2
	s_waitcnt vmcnt(50) lgkmcnt(52)
	ds_write2_b64 v38, v[200:201], v[218:219] offset0:3 offset1:4
	;; [unrolled: 2-line block ×27, first 2 shown]
	ds_read_b64 v[4:5], v1
	s_waitcnt lgkmcnt(0)
	v_cmp_neq_f64_e32 vcc_lo, 0, v[4:5]
	s_and_b32 exec_lo, exec_lo, vcc_lo
	s_cbranch_execz .LBB109_4
; %bb.3:
	v_div_scale_f64 v[6:7], null, v[4:5], v[4:5], 1.0
	v_rcp_f64_e32 v[8:9], v[6:7]
	v_fma_f64 v[10:11], -v[6:7], v[8:9], 1.0
	v_fma_f64 v[8:9], v[8:9], v[10:11], v[8:9]
	v_fma_f64 v[10:11], -v[6:7], v[8:9], 1.0
	v_fma_f64 v[8:9], v[8:9], v[10:11], v[8:9]
	v_div_scale_f64 v[10:11], vcc_lo, 1.0, v[4:5], 1.0
	v_mul_f64 v[12:13], v[10:11], v[8:9]
	v_fma_f64 v[6:7], -v[6:7], v[12:13], v[10:11]
	v_div_fmas_f64 v[6:7], v[6:7], v[8:9], v[12:13]
	v_div_fixup_f64 v[4:5], v[6:7], v[4:5], 1.0
	ds_write_b64 v1, v[4:5]
.LBB109_4:
	s_or_b32 exec_lo, exec_lo, s2
	s_waitcnt vmcnt(0) lgkmcnt(0)
	s_waitcnt_vscnt null, 0x0
	s_barrier
	buffer_gl0_inv
	ds_read_b64 v[69:70], v1
	s_and_saveexec_b32 s2, s1
	s_cbranch_execz .LBB109_6
; %bb.5:
	s_waitcnt lgkmcnt(0)
	v_mul_f64 v[184:185], v[69:70], v[184:185]
	ds_read2_b64 v[4:7], v38 offset0:1 offset1:2
	s_waitcnt lgkmcnt(0)
	v_fma_f64 v[202:203], -v[184:185], v[4:5], v[202:203]
	v_fma_f64 v[220:221], -v[184:185], v[6:7], v[220:221]
	ds_read2_b64 v[4:7], v38 offset0:3 offset1:4
	s_waitcnt lgkmcnt(0)
	v_fma_f64 v[200:201], -v[184:185], v[4:5], v[200:201]
	v_fma_f64 v[218:219], -v[184:185], v[6:7], v[218:219]
	;; [unrolled: 4-line block ×27, first 2 shown]
.LBB109_6:
	s_or_b32 exec_lo, exec_lo, s2
	s_mov_b32 s1, exec_lo
	s_waitcnt lgkmcnt(0)
	s_barrier
	buffer_gl0_inv
	v_cmpx_eq_u32_e32 1, v0
	s_cbranch_execz .LBB109_9
; %bb.7:
	v_mov_b32_e32 v4, v220
	v_mov_b32_e32 v5, v221
	;; [unrolled: 1-line block ×4, first 2 shown]
	ds_write_b64 v1, v[202:203]
	ds_write2_b64 v38, v[4:5], v[6:7] offset0:2 offset1:3
	v_mov_b32_e32 v4, v218
	v_mov_b32_e32 v5, v219
	v_mov_b32_e32 v6, v198
	v_mov_b32_e32 v7, v199
	v_mov_b32_e32 v8, v216
	v_mov_b32_e32 v9, v217
	v_mov_b32_e32 v10, v196
	v_mov_b32_e32 v11, v197
	v_mov_b32_e32 v12, v214
	v_mov_b32_e32 v13, v215
	v_mov_b32_e32 v14, v194
	v_mov_b32_e32 v15, v195
	v_mov_b32_e32 v16, v212
	v_mov_b32_e32 v17, v213
	v_mov_b32_e32 v18, v192
	v_mov_b32_e32 v19, v193
	v_mov_b32_e32 v20, v210
	v_mov_b32_e32 v21, v211
	v_mov_b32_e32 v22, v190
	v_mov_b32_e32 v23, v191
	ds_write2_b64 v38, v[4:5], v[6:7] offset0:4 offset1:5
	ds_write2_b64 v38, v[8:9], v[10:11] offset0:6 offset1:7
	ds_write2_b64 v38, v[12:13], v[14:15] offset0:8 offset1:9
	ds_write2_b64 v38, v[16:17], v[18:19] offset0:10 offset1:11
	ds_write2_b64 v38, v[20:21], v[22:23] offset0:12 offset1:13
	v_mov_b32_e32 v4, v208
	v_mov_b32_e32 v5, v209
	v_mov_b32_e32 v6, v188
	v_mov_b32_e32 v7, v189
	v_mov_b32_e32 v8, v206
	v_mov_b32_e32 v9, v207
	v_mov_b32_e32 v10, v186
	v_mov_b32_e32 v11, v187
	v_mov_b32_e32 v12, v204
	v_mov_b32_e32 v13, v205
	v_mov_b32_e32 v14, v148
	v_mov_b32_e32 v15, v149
	v_mov_b32_e32 v16, v182
	v_mov_b32_e32 v17, v183
	v_mov_b32_e32 v18, v146
	v_mov_b32_e32 v19, v147
	v_mov_b32_e32 v20, v180
	v_mov_b32_e32 v21, v181
	v_mov_b32_e32 v22, v144
	v_mov_b32_e32 v23, v145
	ds_write2_b64 v38, v[4:5], v[6:7] offset0:14 offset1:15
	ds_write2_b64 v38, v[8:9], v[10:11] offset0:16 offset1:17
	ds_write2_b64 v38, v[12:13], v[14:15] offset0:18 offset1:19
	ds_write2_b64 v38, v[16:17], v[18:19] offset0:20 offset1:21
	;; [unrolled: 25-line block ×5, first 2 shown]
	ds_write2_b64 v38, v[20:21], v[22:23] offset0:52 offset1:53
	ds_write_b64 v38, v[222:223] offset:432
	ds_read_b64 v[4:5], v1
	s_waitcnt lgkmcnt(0)
	v_cmp_neq_f64_e32 vcc_lo, 0, v[4:5]
	s_and_b32 exec_lo, exec_lo, vcc_lo
	s_cbranch_execz .LBB109_9
; %bb.8:
	v_div_scale_f64 v[6:7], null, v[4:5], v[4:5], 1.0
	v_rcp_f64_e32 v[8:9], v[6:7]
	v_fma_f64 v[10:11], -v[6:7], v[8:9], 1.0
	v_fma_f64 v[8:9], v[8:9], v[10:11], v[8:9]
	v_fma_f64 v[10:11], -v[6:7], v[8:9], 1.0
	v_fma_f64 v[8:9], v[8:9], v[10:11], v[8:9]
	v_div_scale_f64 v[10:11], vcc_lo, 1.0, v[4:5], 1.0
	v_mul_f64 v[12:13], v[10:11], v[8:9]
	v_fma_f64 v[6:7], -v[6:7], v[12:13], v[10:11]
	v_div_fmas_f64 v[6:7], v[6:7], v[8:9], v[12:13]
	v_div_fixup_f64 v[4:5], v[6:7], v[4:5], 1.0
	ds_write_b64 v1, v[4:5]
.LBB109_9:
	s_or_b32 exec_lo, exec_lo, s1
	s_waitcnt lgkmcnt(0)
	s_barrier
	buffer_gl0_inv
	ds_read_b64 v[71:72], v1
	s_mov_b32 s1, exec_lo
	v_cmpx_lt_u32_e32 1, v0
	s_cbranch_execz .LBB109_11
; %bb.10:
	s_waitcnt lgkmcnt(0)
	v_mul_f64 v[202:203], v[71:72], v[202:203]
	ds_read2_b64 v[4:7], v38 offset0:2 offset1:3
	s_waitcnt lgkmcnt(0)
	v_fma_f64 v[220:221], -v[202:203], v[4:5], v[220:221]
	v_fma_f64 v[200:201], -v[202:203], v[6:7], v[200:201]
	ds_read2_b64 v[4:7], v38 offset0:4 offset1:5
	s_waitcnt lgkmcnt(0)
	v_fma_f64 v[218:219], -v[202:203], v[4:5], v[218:219]
	v_fma_f64 v[198:199], -v[202:203], v[6:7], v[198:199]
	ds_read2_b64 v[4:7], v38 offset0:6 offset1:7
	s_waitcnt lgkmcnt(0)
	v_fma_f64 v[216:217], -v[202:203], v[4:5], v[216:217]
	v_fma_f64 v[196:197], -v[202:203], v[6:7], v[196:197]
	ds_read2_b64 v[4:7], v38 offset0:8 offset1:9
	s_waitcnt lgkmcnt(0)
	v_fma_f64 v[214:215], -v[202:203], v[4:5], v[214:215]
	v_fma_f64 v[194:195], -v[202:203], v[6:7], v[194:195]
	ds_read2_b64 v[4:7], v38 offset0:10 offset1:11
	s_waitcnt lgkmcnt(0)
	v_fma_f64 v[212:213], -v[202:203], v[4:5], v[212:213]
	v_fma_f64 v[192:193], -v[202:203], v[6:7], v[192:193]
	ds_read2_b64 v[4:7], v38 offset0:12 offset1:13
	s_waitcnt lgkmcnt(0)
	v_fma_f64 v[210:211], -v[202:203], v[4:5], v[210:211]
	v_fma_f64 v[190:191], -v[202:203], v[6:7], v[190:191]
	ds_read2_b64 v[4:7], v38 offset0:14 offset1:15
	s_waitcnt lgkmcnt(0)
	v_fma_f64 v[208:209], -v[202:203], v[4:5], v[208:209]
	v_fma_f64 v[188:189], -v[202:203], v[6:7], v[188:189]
	ds_read2_b64 v[4:7], v38 offset0:16 offset1:17
	s_waitcnt lgkmcnt(0)
	v_fma_f64 v[206:207], -v[202:203], v[4:5], v[206:207]
	v_fma_f64 v[186:187], -v[202:203], v[6:7], v[186:187]
	ds_read2_b64 v[4:7], v38 offset0:18 offset1:19
	s_waitcnt lgkmcnt(0)
	v_fma_f64 v[204:205], -v[202:203], v[4:5], v[204:205]
	v_fma_f64 v[148:149], -v[202:203], v[6:7], v[148:149]
	ds_read2_b64 v[4:7], v38 offset0:20 offset1:21
	s_waitcnt lgkmcnt(0)
	v_fma_f64 v[182:183], -v[202:203], v[4:5], v[182:183]
	v_fma_f64 v[146:147], -v[202:203], v[6:7], v[146:147]
	ds_read2_b64 v[4:7], v38 offset0:22 offset1:23
	s_waitcnt lgkmcnt(0)
	v_fma_f64 v[180:181], -v[202:203], v[4:5], v[180:181]
	v_fma_f64 v[144:145], -v[202:203], v[6:7], v[144:145]
	ds_read2_b64 v[4:7], v38 offset0:24 offset1:25
	s_waitcnt lgkmcnt(0)
	v_fma_f64 v[178:179], -v[202:203], v[4:5], v[178:179]
	v_fma_f64 v[142:143], -v[202:203], v[6:7], v[142:143]
	ds_read2_b64 v[4:7], v38 offset0:26 offset1:27
	s_waitcnt lgkmcnt(0)
	v_fma_f64 v[176:177], -v[202:203], v[4:5], v[176:177]
	v_fma_f64 v[140:141], -v[202:203], v[6:7], v[140:141]
	ds_read2_b64 v[4:7], v38 offset0:28 offset1:29
	s_waitcnt lgkmcnt(0)
	v_fma_f64 v[174:175], -v[202:203], v[4:5], v[174:175]
	v_fma_f64 v[138:139], -v[202:203], v[6:7], v[138:139]
	ds_read2_b64 v[4:7], v38 offset0:30 offset1:31
	s_waitcnt lgkmcnt(0)
	v_fma_f64 v[172:173], -v[202:203], v[4:5], v[172:173]
	v_fma_f64 v[136:137], -v[202:203], v[6:7], v[136:137]
	ds_read2_b64 v[4:7], v38 offset0:32 offset1:33
	s_waitcnt lgkmcnt(0)
	v_fma_f64 v[170:171], -v[202:203], v[4:5], v[170:171]
	v_fma_f64 v[134:135], -v[202:203], v[6:7], v[134:135]
	ds_read2_b64 v[4:7], v38 offset0:34 offset1:35
	s_waitcnt lgkmcnt(0)
	v_fma_f64 v[168:169], -v[202:203], v[4:5], v[168:169]
	v_fma_f64 v[132:133], -v[202:203], v[6:7], v[132:133]
	ds_read2_b64 v[4:7], v38 offset0:36 offset1:37
	s_waitcnt lgkmcnt(0)
	v_fma_f64 v[166:167], -v[202:203], v[4:5], v[166:167]
	v_fma_f64 v[130:131], -v[202:203], v[6:7], v[130:131]
	ds_read2_b64 v[4:7], v38 offset0:38 offset1:39
	s_waitcnt lgkmcnt(0)
	v_fma_f64 v[164:165], -v[202:203], v[4:5], v[164:165]
	v_fma_f64 v[128:129], -v[202:203], v[6:7], v[128:129]
	ds_read2_b64 v[4:7], v38 offset0:40 offset1:41
	s_waitcnt lgkmcnt(0)
	v_fma_f64 v[162:163], -v[202:203], v[4:5], v[162:163]
	v_fma_f64 v[126:127], -v[202:203], v[6:7], v[126:127]
	ds_read2_b64 v[4:7], v38 offset0:42 offset1:43
	s_waitcnt lgkmcnt(0)
	v_fma_f64 v[160:161], -v[202:203], v[4:5], v[160:161]
	v_fma_f64 v[124:125], -v[202:203], v[6:7], v[124:125]
	ds_read2_b64 v[4:7], v38 offset0:44 offset1:45
	s_waitcnt lgkmcnt(0)
	v_fma_f64 v[158:159], -v[202:203], v[4:5], v[158:159]
	v_fma_f64 v[122:123], -v[202:203], v[6:7], v[122:123]
	ds_read2_b64 v[4:7], v38 offset0:46 offset1:47
	s_waitcnt lgkmcnt(0)
	v_fma_f64 v[156:157], -v[202:203], v[4:5], v[156:157]
	v_fma_f64 v[120:121], -v[202:203], v[6:7], v[120:121]
	ds_read2_b64 v[4:7], v38 offset0:48 offset1:49
	s_waitcnt lgkmcnt(0)
	v_fma_f64 v[154:155], -v[202:203], v[4:5], v[154:155]
	v_fma_f64 v[118:119], -v[202:203], v[6:7], v[118:119]
	ds_read2_b64 v[4:7], v38 offset0:50 offset1:51
	s_waitcnt lgkmcnt(0)
	v_fma_f64 v[152:153], -v[202:203], v[4:5], v[152:153]
	v_fma_f64 v[116:117], -v[202:203], v[6:7], v[116:117]
	ds_read2_b64 v[4:7], v38 offset0:52 offset1:53
	s_waitcnt lgkmcnt(0)
	v_fma_f64 v[150:151], -v[202:203], v[4:5], v[150:151]
	ds_read_b64 v[4:5], v38 offset:432
	v_fma_f64 v[114:115], -v[202:203], v[6:7], v[114:115]
	s_waitcnt lgkmcnt(0)
	v_fma_f64 v[222:223], -v[202:203], v[4:5], v[222:223]
.LBB109_11:
	s_or_b32 exec_lo, exec_lo, s1
	s_mov_b32 s1, exec_lo
	s_waitcnt lgkmcnt(0)
	s_barrier
	buffer_gl0_inv
	v_cmpx_eq_u32_e32 2, v0
	s_cbranch_execz .LBB109_14
; %bb.12:
	ds_write_b64 v1, v[220:221]
	ds_write2_b64 v38, v[200:201], v[218:219] offset0:3 offset1:4
	ds_write2_b64 v38, v[198:199], v[216:217] offset0:5 offset1:6
	;; [unrolled: 1-line block ×26, first 2 shown]
	ds_read_b64 v[4:5], v1
	s_waitcnt lgkmcnt(0)
	v_cmp_neq_f64_e32 vcc_lo, 0, v[4:5]
	s_and_b32 exec_lo, exec_lo, vcc_lo
	s_cbranch_execz .LBB109_14
; %bb.13:
	v_div_scale_f64 v[6:7], null, v[4:5], v[4:5], 1.0
	v_rcp_f64_e32 v[8:9], v[6:7]
	v_fma_f64 v[10:11], -v[6:7], v[8:9], 1.0
	v_fma_f64 v[8:9], v[8:9], v[10:11], v[8:9]
	v_fma_f64 v[10:11], -v[6:7], v[8:9], 1.0
	v_fma_f64 v[8:9], v[8:9], v[10:11], v[8:9]
	v_div_scale_f64 v[10:11], vcc_lo, 1.0, v[4:5], 1.0
	v_mul_f64 v[12:13], v[10:11], v[8:9]
	v_fma_f64 v[6:7], -v[6:7], v[12:13], v[10:11]
	v_div_fmas_f64 v[6:7], v[6:7], v[8:9], v[12:13]
	v_div_fixup_f64 v[4:5], v[6:7], v[4:5], 1.0
	ds_write_b64 v1, v[4:5]
.LBB109_14:
	s_or_b32 exec_lo, exec_lo, s1
	s_waitcnt lgkmcnt(0)
	s_barrier
	buffer_gl0_inv
	ds_read_b64 v[73:74], v1
	s_mov_b32 s1, exec_lo
	v_cmpx_lt_u32_e32 2, v0
	s_cbranch_execz .LBB109_16
; %bb.15:
	s_waitcnt lgkmcnt(0)
	v_mul_f64 v[220:221], v[73:74], v[220:221]
	ds_read2_b64 v[4:7], v38 offset0:3 offset1:4
	s_waitcnt lgkmcnt(0)
	v_fma_f64 v[200:201], -v[220:221], v[4:5], v[200:201]
	v_fma_f64 v[218:219], -v[220:221], v[6:7], v[218:219]
	ds_read2_b64 v[4:7], v38 offset0:5 offset1:6
	s_waitcnt lgkmcnt(0)
	v_fma_f64 v[198:199], -v[220:221], v[4:5], v[198:199]
	v_fma_f64 v[216:217], -v[220:221], v[6:7], v[216:217]
	;; [unrolled: 4-line block ×26, first 2 shown]
.LBB109_16:
	s_or_b32 exec_lo, exec_lo, s1
	s_mov_b32 s1, exec_lo
	s_waitcnt lgkmcnt(0)
	s_barrier
	buffer_gl0_inv
	v_cmpx_eq_u32_e32 3, v0
	s_cbranch_execz .LBB109_19
; %bb.17:
	v_mov_b32_e32 v4, v218
	v_mov_b32_e32 v5, v219
	;; [unrolled: 1-line block ×20, first 2 shown]
	ds_write_b64 v1, v[200:201]
	ds_write2_b64 v38, v[4:5], v[6:7] offset0:4 offset1:5
	ds_write2_b64 v38, v[8:9], v[10:11] offset0:6 offset1:7
	ds_write2_b64 v38, v[12:13], v[14:15] offset0:8 offset1:9
	ds_write2_b64 v38, v[16:17], v[18:19] offset0:10 offset1:11
	ds_write2_b64 v38, v[20:21], v[22:23] offset0:12 offset1:13
	v_mov_b32_e32 v4, v208
	v_mov_b32_e32 v5, v209
	v_mov_b32_e32 v6, v188
	v_mov_b32_e32 v7, v189
	v_mov_b32_e32 v8, v206
	v_mov_b32_e32 v9, v207
	v_mov_b32_e32 v10, v186
	v_mov_b32_e32 v11, v187
	v_mov_b32_e32 v12, v204
	v_mov_b32_e32 v13, v205
	v_mov_b32_e32 v14, v148
	v_mov_b32_e32 v15, v149
	v_mov_b32_e32 v16, v182
	v_mov_b32_e32 v17, v183
	v_mov_b32_e32 v18, v146
	v_mov_b32_e32 v19, v147
	v_mov_b32_e32 v20, v180
	v_mov_b32_e32 v21, v181
	v_mov_b32_e32 v22, v144
	v_mov_b32_e32 v23, v145
	ds_write2_b64 v38, v[4:5], v[6:7] offset0:14 offset1:15
	ds_write2_b64 v38, v[8:9], v[10:11] offset0:16 offset1:17
	ds_write2_b64 v38, v[12:13], v[14:15] offset0:18 offset1:19
	ds_write2_b64 v38, v[16:17], v[18:19] offset0:20 offset1:21
	ds_write2_b64 v38, v[20:21], v[22:23] offset0:22 offset1:23
	v_mov_b32_e32 v4, v178
	v_mov_b32_e32 v5, v179
	v_mov_b32_e32 v6, v142
	v_mov_b32_e32 v7, v143
	v_mov_b32_e32 v8, v176
	v_mov_b32_e32 v9, v177
	v_mov_b32_e32 v10, v140
	v_mov_b32_e32 v11, v141
	v_mov_b32_e32 v12, v174
	v_mov_b32_e32 v13, v175
	v_mov_b32_e32 v14, v138
	v_mov_b32_e32 v15, v139
	v_mov_b32_e32 v16, v172
	v_mov_b32_e32 v17, v173
	v_mov_b32_e32 v18, v136
	v_mov_b32_e32 v19, v137
	v_mov_b32_e32 v20, v170
	v_mov_b32_e32 v21, v171
	v_mov_b32_e32 v22, v134
	v_mov_b32_e32 v23, v135
	;; [unrolled: 25-line block ×4, first 2 shown]
	ds_write2_b64 v38, v[4:5], v[6:7] offset0:44 offset1:45
	ds_write2_b64 v38, v[8:9], v[10:11] offset0:46 offset1:47
	;; [unrolled: 1-line block ×5, first 2 shown]
	ds_write_b64 v38, v[222:223] offset:432
	ds_read_b64 v[4:5], v1
	s_waitcnt lgkmcnt(0)
	v_cmp_neq_f64_e32 vcc_lo, 0, v[4:5]
	s_and_b32 exec_lo, exec_lo, vcc_lo
	s_cbranch_execz .LBB109_19
; %bb.18:
	v_div_scale_f64 v[6:7], null, v[4:5], v[4:5], 1.0
	v_rcp_f64_e32 v[8:9], v[6:7]
	v_fma_f64 v[10:11], -v[6:7], v[8:9], 1.0
	v_fma_f64 v[8:9], v[8:9], v[10:11], v[8:9]
	v_fma_f64 v[10:11], -v[6:7], v[8:9], 1.0
	v_fma_f64 v[8:9], v[8:9], v[10:11], v[8:9]
	v_div_scale_f64 v[10:11], vcc_lo, 1.0, v[4:5], 1.0
	v_mul_f64 v[12:13], v[10:11], v[8:9]
	v_fma_f64 v[6:7], -v[6:7], v[12:13], v[10:11]
	v_div_fmas_f64 v[6:7], v[6:7], v[8:9], v[12:13]
	v_div_fixup_f64 v[4:5], v[6:7], v[4:5], 1.0
	ds_write_b64 v1, v[4:5]
.LBB109_19:
	s_or_b32 exec_lo, exec_lo, s1
	s_waitcnt lgkmcnt(0)
	s_barrier
	buffer_gl0_inv
	ds_read_b64 v[75:76], v1
	s_mov_b32 s1, exec_lo
	v_cmpx_lt_u32_e32 3, v0
	s_cbranch_execz .LBB109_21
; %bb.20:
	s_waitcnt lgkmcnt(0)
	v_mul_f64 v[200:201], v[75:76], v[200:201]
	ds_read2_b64 v[4:7], v38 offset0:4 offset1:5
	s_waitcnt lgkmcnt(0)
	v_fma_f64 v[218:219], -v[200:201], v[4:5], v[218:219]
	v_fma_f64 v[198:199], -v[200:201], v[6:7], v[198:199]
	ds_read2_b64 v[4:7], v38 offset0:6 offset1:7
	s_waitcnt lgkmcnt(0)
	v_fma_f64 v[216:217], -v[200:201], v[4:5], v[216:217]
	v_fma_f64 v[196:197], -v[200:201], v[6:7], v[196:197]
	;; [unrolled: 4-line block ×24, first 2 shown]
	ds_read2_b64 v[4:7], v38 offset0:52 offset1:53
	s_waitcnt lgkmcnt(0)
	v_fma_f64 v[150:151], -v[200:201], v[4:5], v[150:151]
	ds_read_b64 v[4:5], v38 offset:432
	v_fma_f64 v[114:115], -v[200:201], v[6:7], v[114:115]
	s_waitcnt lgkmcnt(0)
	v_fma_f64 v[222:223], -v[200:201], v[4:5], v[222:223]
.LBB109_21:
	s_or_b32 exec_lo, exec_lo, s1
	s_mov_b32 s1, exec_lo
	s_waitcnt lgkmcnt(0)
	s_barrier
	buffer_gl0_inv
	v_cmpx_eq_u32_e32 4, v0
	s_cbranch_execz .LBB109_24
; %bb.22:
	ds_write_b64 v1, v[218:219]
	ds_write2_b64 v38, v[198:199], v[216:217] offset0:5 offset1:6
	ds_write2_b64 v38, v[196:197], v[214:215] offset0:7 offset1:8
	;; [unrolled: 1-line block ×25, first 2 shown]
	ds_read_b64 v[4:5], v1
	s_waitcnt lgkmcnt(0)
	v_cmp_neq_f64_e32 vcc_lo, 0, v[4:5]
	s_and_b32 exec_lo, exec_lo, vcc_lo
	s_cbranch_execz .LBB109_24
; %bb.23:
	v_div_scale_f64 v[6:7], null, v[4:5], v[4:5], 1.0
	v_rcp_f64_e32 v[8:9], v[6:7]
	v_fma_f64 v[10:11], -v[6:7], v[8:9], 1.0
	v_fma_f64 v[8:9], v[8:9], v[10:11], v[8:9]
	v_fma_f64 v[10:11], -v[6:7], v[8:9], 1.0
	v_fma_f64 v[8:9], v[8:9], v[10:11], v[8:9]
	v_div_scale_f64 v[10:11], vcc_lo, 1.0, v[4:5], 1.0
	v_mul_f64 v[12:13], v[10:11], v[8:9]
	v_fma_f64 v[6:7], -v[6:7], v[12:13], v[10:11]
	v_div_fmas_f64 v[6:7], v[6:7], v[8:9], v[12:13]
	v_div_fixup_f64 v[4:5], v[6:7], v[4:5], 1.0
	ds_write_b64 v1, v[4:5]
.LBB109_24:
	s_or_b32 exec_lo, exec_lo, s1
	s_waitcnt lgkmcnt(0)
	s_barrier
	buffer_gl0_inv
	ds_read_b64 v[77:78], v1
	s_mov_b32 s1, exec_lo
	v_cmpx_lt_u32_e32 4, v0
	s_cbranch_execz .LBB109_26
; %bb.25:
	s_waitcnt lgkmcnt(0)
	v_mul_f64 v[218:219], v[77:78], v[218:219]
	ds_read2_b64 v[4:7], v38 offset0:5 offset1:6
	s_waitcnt lgkmcnt(0)
	v_fma_f64 v[198:199], -v[218:219], v[4:5], v[198:199]
	v_fma_f64 v[216:217], -v[218:219], v[6:7], v[216:217]
	ds_read2_b64 v[4:7], v38 offset0:7 offset1:8
	s_waitcnt lgkmcnt(0)
	v_fma_f64 v[196:197], -v[218:219], v[4:5], v[196:197]
	v_fma_f64 v[214:215], -v[218:219], v[6:7], v[214:215]
	;; [unrolled: 4-line block ×25, first 2 shown]
.LBB109_26:
	s_or_b32 exec_lo, exec_lo, s1
	s_mov_b32 s1, exec_lo
	s_waitcnt lgkmcnt(0)
	s_barrier
	buffer_gl0_inv
	v_cmpx_eq_u32_e32 5, v0
	s_cbranch_execz .LBB109_29
; %bb.27:
	v_mov_b32_e32 v4, v216
	v_mov_b32_e32 v5, v217
	;; [unrolled: 1-line block ×16, first 2 shown]
	ds_write_b64 v1, v[198:199]
	ds_write2_b64 v38, v[4:5], v[6:7] offset0:6 offset1:7
	ds_write2_b64 v38, v[8:9], v[10:11] offset0:8 offset1:9
	ds_write2_b64 v38, v[12:13], v[14:15] offset0:10 offset1:11
	ds_write2_b64 v38, v[16:17], v[18:19] offset0:12 offset1:13
	v_mov_b32_e32 v4, v208
	v_mov_b32_e32 v5, v209
	v_mov_b32_e32 v6, v188
	v_mov_b32_e32 v7, v189
	v_mov_b32_e32 v8, v206
	v_mov_b32_e32 v9, v207
	v_mov_b32_e32 v10, v186
	v_mov_b32_e32 v11, v187
	v_mov_b32_e32 v12, v204
	v_mov_b32_e32 v13, v205
	v_mov_b32_e32 v14, v148
	v_mov_b32_e32 v15, v149
	v_mov_b32_e32 v16, v182
	v_mov_b32_e32 v17, v183
	v_mov_b32_e32 v18, v146
	v_mov_b32_e32 v19, v147
	v_mov_b32_e32 v20, v180
	v_mov_b32_e32 v21, v181
	v_mov_b32_e32 v22, v144
	v_mov_b32_e32 v23, v145
	ds_write2_b64 v38, v[4:5], v[6:7] offset0:14 offset1:15
	ds_write2_b64 v38, v[8:9], v[10:11] offset0:16 offset1:17
	ds_write2_b64 v38, v[12:13], v[14:15] offset0:18 offset1:19
	ds_write2_b64 v38, v[16:17], v[18:19] offset0:20 offset1:21
	ds_write2_b64 v38, v[20:21], v[22:23] offset0:22 offset1:23
	v_mov_b32_e32 v4, v178
	v_mov_b32_e32 v5, v179
	v_mov_b32_e32 v6, v142
	v_mov_b32_e32 v7, v143
	v_mov_b32_e32 v8, v176
	v_mov_b32_e32 v9, v177
	v_mov_b32_e32 v10, v140
	v_mov_b32_e32 v11, v141
	v_mov_b32_e32 v12, v174
	v_mov_b32_e32 v13, v175
	v_mov_b32_e32 v14, v138
	v_mov_b32_e32 v15, v139
	v_mov_b32_e32 v16, v172
	v_mov_b32_e32 v17, v173
	v_mov_b32_e32 v18, v136
	v_mov_b32_e32 v19, v137
	v_mov_b32_e32 v20, v170
	v_mov_b32_e32 v21, v171
	v_mov_b32_e32 v22, v134
	v_mov_b32_e32 v23, v135
	ds_write2_b64 v38, v[4:5], v[6:7] offset0:24 offset1:25
	;; [unrolled: 25-line block ×4, first 2 shown]
	ds_write2_b64 v38, v[8:9], v[10:11] offset0:46 offset1:47
	ds_write2_b64 v38, v[12:13], v[14:15] offset0:48 offset1:49
	;; [unrolled: 1-line block ×4, first 2 shown]
	ds_write_b64 v38, v[222:223] offset:432
	ds_read_b64 v[4:5], v1
	s_waitcnt lgkmcnt(0)
	v_cmp_neq_f64_e32 vcc_lo, 0, v[4:5]
	s_and_b32 exec_lo, exec_lo, vcc_lo
	s_cbranch_execz .LBB109_29
; %bb.28:
	v_div_scale_f64 v[6:7], null, v[4:5], v[4:5], 1.0
	v_rcp_f64_e32 v[8:9], v[6:7]
	v_fma_f64 v[10:11], -v[6:7], v[8:9], 1.0
	v_fma_f64 v[8:9], v[8:9], v[10:11], v[8:9]
	v_fma_f64 v[10:11], -v[6:7], v[8:9], 1.0
	v_fma_f64 v[8:9], v[8:9], v[10:11], v[8:9]
	v_div_scale_f64 v[10:11], vcc_lo, 1.0, v[4:5], 1.0
	v_mul_f64 v[12:13], v[10:11], v[8:9]
	v_fma_f64 v[6:7], -v[6:7], v[12:13], v[10:11]
	v_div_fmas_f64 v[6:7], v[6:7], v[8:9], v[12:13]
	v_div_fixup_f64 v[4:5], v[6:7], v[4:5], 1.0
	ds_write_b64 v1, v[4:5]
.LBB109_29:
	s_or_b32 exec_lo, exec_lo, s1
	s_waitcnt lgkmcnt(0)
	s_barrier
	buffer_gl0_inv
	ds_read_b64 v[79:80], v1
	s_mov_b32 s1, exec_lo
	v_cmpx_lt_u32_e32 5, v0
	s_cbranch_execz .LBB109_31
; %bb.30:
	s_waitcnt lgkmcnt(0)
	v_mul_f64 v[198:199], v[79:80], v[198:199]
	ds_read2_b64 v[4:7], v38 offset0:6 offset1:7
	s_waitcnt lgkmcnt(0)
	v_fma_f64 v[216:217], -v[198:199], v[4:5], v[216:217]
	v_fma_f64 v[196:197], -v[198:199], v[6:7], v[196:197]
	ds_read2_b64 v[4:7], v38 offset0:8 offset1:9
	s_waitcnt lgkmcnt(0)
	v_fma_f64 v[214:215], -v[198:199], v[4:5], v[214:215]
	v_fma_f64 v[194:195], -v[198:199], v[6:7], v[194:195]
	;; [unrolled: 4-line block ×23, first 2 shown]
	ds_read2_b64 v[4:7], v38 offset0:52 offset1:53
	s_waitcnt lgkmcnt(0)
	v_fma_f64 v[150:151], -v[198:199], v[4:5], v[150:151]
	ds_read_b64 v[4:5], v38 offset:432
	v_fma_f64 v[114:115], -v[198:199], v[6:7], v[114:115]
	s_waitcnt lgkmcnt(0)
	v_fma_f64 v[222:223], -v[198:199], v[4:5], v[222:223]
.LBB109_31:
	s_or_b32 exec_lo, exec_lo, s1
	s_mov_b32 s1, exec_lo
	s_waitcnt lgkmcnt(0)
	s_barrier
	buffer_gl0_inv
	v_cmpx_eq_u32_e32 6, v0
	s_cbranch_execz .LBB109_34
; %bb.32:
	ds_write_b64 v1, v[216:217]
	ds_write2_b64 v38, v[196:197], v[214:215] offset0:7 offset1:8
	ds_write2_b64 v38, v[194:195], v[212:213] offset0:9 offset1:10
	ds_write2_b64 v38, v[192:193], v[210:211] offset0:11 offset1:12
	ds_write2_b64 v38, v[190:191], v[208:209] offset0:13 offset1:14
	ds_write2_b64 v38, v[188:189], v[206:207] offset0:15 offset1:16
	ds_write2_b64 v38, v[186:187], v[204:205] offset0:17 offset1:18
	ds_write2_b64 v38, v[148:149], v[182:183] offset0:19 offset1:20
	ds_write2_b64 v38, v[146:147], v[180:181] offset0:21 offset1:22
	ds_write2_b64 v38, v[144:145], v[178:179] offset0:23 offset1:24
	ds_write2_b64 v38, v[142:143], v[176:177] offset0:25 offset1:26
	ds_write2_b64 v38, v[140:141], v[174:175] offset0:27 offset1:28
	ds_write2_b64 v38, v[138:139], v[172:173] offset0:29 offset1:30
	ds_write2_b64 v38, v[136:137], v[170:171] offset0:31 offset1:32
	ds_write2_b64 v38, v[134:135], v[168:169] offset0:33 offset1:34
	ds_write2_b64 v38, v[132:133], v[166:167] offset0:35 offset1:36
	ds_write2_b64 v38, v[130:131], v[164:165] offset0:37 offset1:38
	ds_write2_b64 v38, v[128:129], v[162:163] offset0:39 offset1:40
	ds_write2_b64 v38, v[126:127], v[160:161] offset0:41 offset1:42
	ds_write2_b64 v38, v[124:125], v[158:159] offset0:43 offset1:44
	ds_write2_b64 v38, v[122:123], v[156:157] offset0:45 offset1:46
	ds_write2_b64 v38, v[120:121], v[154:155] offset0:47 offset1:48
	ds_write2_b64 v38, v[118:119], v[152:153] offset0:49 offset1:50
	ds_write2_b64 v38, v[116:117], v[150:151] offset0:51 offset1:52
	ds_write2_b64 v38, v[114:115], v[222:223] offset0:53 offset1:54
	ds_read_b64 v[4:5], v1
	s_waitcnt lgkmcnt(0)
	v_cmp_neq_f64_e32 vcc_lo, 0, v[4:5]
	s_and_b32 exec_lo, exec_lo, vcc_lo
	s_cbranch_execz .LBB109_34
; %bb.33:
	v_div_scale_f64 v[6:7], null, v[4:5], v[4:5], 1.0
	v_rcp_f64_e32 v[8:9], v[6:7]
	v_fma_f64 v[10:11], -v[6:7], v[8:9], 1.0
	v_fma_f64 v[8:9], v[8:9], v[10:11], v[8:9]
	v_fma_f64 v[10:11], -v[6:7], v[8:9], 1.0
	v_fma_f64 v[8:9], v[8:9], v[10:11], v[8:9]
	v_div_scale_f64 v[10:11], vcc_lo, 1.0, v[4:5], 1.0
	v_mul_f64 v[12:13], v[10:11], v[8:9]
	v_fma_f64 v[6:7], -v[6:7], v[12:13], v[10:11]
	v_div_fmas_f64 v[6:7], v[6:7], v[8:9], v[12:13]
	v_div_fixup_f64 v[4:5], v[6:7], v[4:5], 1.0
	ds_write_b64 v1, v[4:5]
.LBB109_34:
	s_or_b32 exec_lo, exec_lo, s1
	s_waitcnt lgkmcnt(0)
	s_barrier
	buffer_gl0_inv
	ds_read_b64 v[81:82], v1
	s_mov_b32 s1, exec_lo
	v_cmpx_lt_u32_e32 6, v0
	s_cbranch_execz .LBB109_36
; %bb.35:
	s_waitcnt lgkmcnt(0)
	v_mul_f64 v[216:217], v[81:82], v[216:217]
	ds_read2_b64 v[4:7], v38 offset0:7 offset1:8
	s_waitcnt lgkmcnt(0)
	v_fma_f64 v[196:197], -v[216:217], v[4:5], v[196:197]
	v_fma_f64 v[214:215], -v[216:217], v[6:7], v[214:215]
	ds_read2_b64 v[4:7], v38 offset0:9 offset1:10
	s_waitcnt lgkmcnt(0)
	v_fma_f64 v[194:195], -v[216:217], v[4:5], v[194:195]
	v_fma_f64 v[212:213], -v[216:217], v[6:7], v[212:213]
	;; [unrolled: 4-line block ×24, first 2 shown]
.LBB109_36:
	s_or_b32 exec_lo, exec_lo, s1
	s_mov_b32 s1, exec_lo
	s_waitcnt lgkmcnt(0)
	s_barrier
	buffer_gl0_inv
	v_cmpx_eq_u32_e32 7, v0
	s_cbranch_execz .LBB109_39
; %bb.37:
	v_mov_b32_e32 v4, v214
	v_mov_b32_e32 v5, v215
	;; [unrolled: 1-line block ×4, first 2 shown]
	ds_write_b64 v1, v[196:197]
	ds_write2_b64 v38, v[4:5], v[6:7] offset0:8 offset1:9
	v_mov_b32_e32 v4, v212
	v_mov_b32_e32 v5, v213
	v_mov_b32_e32 v6, v192
	v_mov_b32_e32 v7, v193
	ds_write2_b64 v38, v[4:5], v[6:7] offset0:10 offset1:11
	v_mov_b32_e32 v4, v210
	v_mov_b32_e32 v5, v211
	v_mov_b32_e32 v6, v190
	v_mov_b32_e32 v7, v191
	;; [unrolled: 5-line block ×22, first 2 shown]
	ds_write2_b64 v38, v[4:5], v[6:7] offset0:52 offset1:53
	ds_write_b64 v38, v[222:223] offset:432
	ds_read_b64 v[4:5], v1
	s_waitcnt lgkmcnt(0)
	v_cmp_neq_f64_e32 vcc_lo, 0, v[4:5]
	s_and_b32 exec_lo, exec_lo, vcc_lo
	s_cbranch_execz .LBB109_39
; %bb.38:
	v_div_scale_f64 v[6:7], null, v[4:5], v[4:5], 1.0
	v_rcp_f64_e32 v[8:9], v[6:7]
	v_fma_f64 v[10:11], -v[6:7], v[8:9], 1.0
	v_fma_f64 v[8:9], v[8:9], v[10:11], v[8:9]
	v_fma_f64 v[10:11], -v[6:7], v[8:9], 1.0
	v_fma_f64 v[8:9], v[8:9], v[10:11], v[8:9]
	v_div_scale_f64 v[10:11], vcc_lo, 1.0, v[4:5], 1.0
	v_mul_f64 v[12:13], v[10:11], v[8:9]
	v_fma_f64 v[6:7], -v[6:7], v[12:13], v[10:11]
	v_div_fmas_f64 v[6:7], v[6:7], v[8:9], v[12:13]
	v_div_fixup_f64 v[4:5], v[6:7], v[4:5], 1.0
	ds_write_b64 v1, v[4:5]
.LBB109_39:
	s_or_b32 exec_lo, exec_lo, s1
	s_waitcnt lgkmcnt(0)
	s_barrier
	buffer_gl0_inv
	ds_read_b64 v[83:84], v1
	s_mov_b32 s1, exec_lo
	v_cmpx_lt_u32_e32 7, v0
	s_cbranch_execz .LBB109_41
; %bb.40:
	s_waitcnt lgkmcnt(0)
	v_mul_f64 v[196:197], v[83:84], v[196:197]
	ds_read2_b64 v[4:7], v38 offset0:8 offset1:9
	s_waitcnt lgkmcnt(0)
	v_fma_f64 v[214:215], -v[196:197], v[4:5], v[214:215]
	v_fma_f64 v[194:195], -v[196:197], v[6:7], v[194:195]
	ds_read2_b64 v[4:7], v38 offset0:10 offset1:11
	s_waitcnt lgkmcnt(0)
	v_fma_f64 v[212:213], -v[196:197], v[4:5], v[212:213]
	v_fma_f64 v[192:193], -v[196:197], v[6:7], v[192:193]
	;; [unrolled: 4-line block ×22, first 2 shown]
	ds_read2_b64 v[4:7], v38 offset0:52 offset1:53
	s_waitcnt lgkmcnt(0)
	v_fma_f64 v[150:151], -v[196:197], v[4:5], v[150:151]
	ds_read_b64 v[4:5], v38 offset:432
	v_fma_f64 v[114:115], -v[196:197], v[6:7], v[114:115]
	s_waitcnt lgkmcnt(0)
	v_fma_f64 v[222:223], -v[196:197], v[4:5], v[222:223]
.LBB109_41:
	s_or_b32 exec_lo, exec_lo, s1
	s_mov_b32 s1, exec_lo
	s_waitcnt lgkmcnt(0)
	s_barrier
	buffer_gl0_inv
	v_cmpx_eq_u32_e32 8, v0
	s_cbranch_execz .LBB109_44
; %bb.42:
	ds_write_b64 v1, v[214:215]
	ds_write2_b64 v38, v[194:195], v[212:213] offset0:9 offset1:10
	ds_write2_b64 v38, v[192:193], v[210:211] offset0:11 offset1:12
	ds_write2_b64 v38, v[190:191], v[208:209] offset0:13 offset1:14
	ds_write2_b64 v38, v[188:189], v[206:207] offset0:15 offset1:16
	ds_write2_b64 v38, v[186:187], v[204:205] offset0:17 offset1:18
	ds_write2_b64 v38, v[148:149], v[182:183] offset0:19 offset1:20
	ds_write2_b64 v38, v[146:147], v[180:181] offset0:21 offset1:22
	ds_write2_b64 v38, v[144:145], v[178:179] offset0:23 offset1:24
	ds_write2_b64 v38, v[142:143], v[176:177] offset0:25 offset1:26
	ds_write2_b64 v38, v[140:141], v[174:175] offset0:27 offset1:28
	ds_write2_b64 v38, v[138:139], v[172:173] offset0:29 offset1:30
	ds_write2_b64 v38, v[136:137], v[170:171] offset0:31 offset1:32
	ds_write2_b64 v38, v[134:135], v[168:169] offset0:33 offset1:34
	ds_write2_b64 v38, v[132:133], v[166:167] offset0:35 offset1:36
	ds_write2_b64 v38, v[130:131], v[164:165] offset0:37 offset1:38
	ds_write2_b64 v38, v[128:129], v[162:163] offset0:39 offset1:40
	ds_write2_b64 v38, v[126:127], v[160:161] offset0:41 offset1:42
	ds_write2_b64 v38, v[124:125], v[158:159] offset0:43 offset1:44
	ds_write2_b64 v38, v[122:123], v[156:157] offset0:45 offset1:46
	ds_write2_b64 v38, v[120:121], v[154:155] offset0:47 offset1:48
	ds_write2_b64 v38, v[118:119], v[152:153] offset0:49 offset1:50
	ds_write2_b64 v38, v[116:117], v[150:151] offset0:51 offset1:52
	ds_write2_b64 v38, v[114:115], v[222:223] offset0:53 offset1:54
	ds_read_b64 v[4:5], v1
	s_waitcnt lgkmcnt(0)
	v_cmp_neq_f64_e32 vcc_lo, 0, v[4:5]
	s_and_b32 exec_lo, exec_lo, vcc_lo
	s_cbranch_execz .LBB109_44
; %bb.43:
	v_div_scale_f64 v[6:7], null, v[4:5], v[4:5], 1.0
	v_rcp_f64_e32 v[8:9], v[6:7]
	v_fma_f64 v[10:11], -v[6:7], v[8:9], 1.0
	v_fma_f64 v[8:9], v[8:9], v[10:11], v[8:9]
	v_fma_f64 v[10:11], -v[6:7], v[8:9], 1.0
	v_fma_f64 v[8:9], v[8:9], v[10:11], v[8:9]
	v_div_scale_f64 v[10:11], vcc_lo, 1.0, v[4:5], 1.0
	v_mul_f64 v[12:13], v[10:11], v[8:9]
	v_fma_f64 v[6:7], -v[6:7], v[12:13], v[10:11]
	v_div_fmas_f64 v[6:7], v[6:7], v[8:9], v[12:13]
	v_div_fixup_f64 v[4:5], v[6:7], v[4:5], 1.0
	ds_write_b64 v1, v[4:5]
.LBB109_44:
	s_or_b32 exec_lo, exec_lo, s1
	s_waitcnt lgkmcnt(0)
	s_barrier
	buffer_gl0_inv
	ds_read_b64 v[85:86], v1
	s_mov_b32 s1, exec_lo
	v_cmpx_lt_u32_e32 8, v0
	s_cbranch_execz .LBB109_46
; %bb.45:
	s_waitcnt lgkmcnt(0)
	v_mul_f64 v[214:215], v[85:86], v[214:215]
	ds_read2_b64 v[4:7], v38 offset0:9 offset1:10
	s_waitcnt lgkmcnt(0)
	v_fma_f64 v[194:195], -v[214:215], v[4:5], v[194:195]
	v_fma_f64 v[212:213], -v[214:215], v[6:7], v[212:213]
	ds_read2_b64 v[4:7], v38 offset0:11 offset1:12
	s_waitcnt lgkmcnt(0)
	v_fma_f64 v[192:193], -v[214:215], v[4:5], v[192:193]
	v_fma_f64 v[210:211], -v[214:215], v[6:7], v[210:211]
	ds_read2_b64 v[4:7], v38 offset0:13 offset1:14
	s_waitcnt lgkmcnt(0)
	v_fma_f64 v[190:191], -v[214:215], v[4:5], v[190:191]
	v_fma_f64 v[208:209], -v[214:215], v[6:7], v[208:209]
	ds_read2_b64 v[4:7], v38 offset0:15 offset1:16
	s_waitcnt lgkmcnt(0)
	v_fma_f64 v[188:189], -v[214:215], v[4:5], v[188:189]
	v_fma_f64 v[206:207], -v[214:215], v[6:7], v[206:207]
	ds_read2_b64 v[4:7], v38 offset0:17 offset1:18
	s_waitcnt lgkmcnt(0)
	v_fma_f64 v[186:187], -v[214:215], v[4:5], v[186:187]
	v_fma_f64 v[204:205], -v[214:215], v[6:7], v[204:205]
	ds_read2_b64 v[4:7], v38 offset0:19 offset1:20
	s_waitcnt lgkmcnt(0)
	v_fma_f64 v[148:149], -v[214:215], v[4:5], v[148:149]
	v_fma_f64 v[182:183], -v[214:215], v[6:7], v[182:183]
	ds_read2_b64 v[4:7], v38 offset0:21 offset1:22
	s_waitcnt lgkmcnt(0)
	v_fma_f64 v[146:147], -v[214:215], v[4:5], v[146:147]
	v_fma_f64 v[180:181], -v[214:215], v[6:7], v[180:181]
	ds_read2_b64 v[4:7], v38 offset0:23 offset1:24
	s_waitcnt lgkmcnt(0)
	v_fma_f64 v[144:145], -v[214:215], v[4:5], v[144:145]
	v_fma_f64 v[178:179], -v[214:215], v[6:7], v[178:179]
	ds_read2_b64 v[4:7], v38 offset0:25 offset1:26
	s_waitcnt lgkmcnt(0)
	v_fma_f64 v[142:143], -v[214:215], v[4:5], v[142:143]
	v_fma_f64 v[176:177], -v[214:215], v[6:7], v[176:177]
	ds_read2_b64 v[4:7], v38 offset0:27 offset1:28
	s_waitcnt lgkmcnt(0)
	v_fma_f64 v[140:141], -v[214:215], v[4:5], v[140:141]
	v_fma_f64 v[174:175], -v[214:215], v[6:7], v[174:175]
	ds_read2_b64 v[4:7], v38 offset0:29 offset1:30
	s_waitcnt lgkmcnt(0)
	v_fma_f64 v[138:139], -v[214:215], v[4:5], v[138:139]
	v_fma_f64 v[172:173], -v[214:215], v[6:7], v[172:173]
	ds_read2_b64 v[4:7], v38 offset0:31 offset1:32
	s_waitcnt lgkmcnt(0)
	v_fma_f64 v[136:137], -v[214:215], v[4:5], v[136:137]
	v_fma_f64 v[170:171], -v[214:215], v[6:7], v[170:171]
	ds_read2_b64 v[4:7], v38 offset0:33 offset1:34
	s_waitcnt lgkmcnt(0)
	v_fma_f64 v[134:135], -v[214:215], v[4:5], v[134:135]
	v_fma_f64 v[168:169], -v[214:215], v[6:7], v[168:169]
	ds_read2_b64 v[4:7], v38 offset0:35 offset1:36
	s_waitcnt lgkmcnt(0)
	v_fma_f64 v[132:133], -v[214:215], v[4:5], v[132:133]
	v_fma_f64 v[166:167], -v[214:215], v[6:7], v[166:167]
	ds_read2_b64 v[4:7], v38 offset0:37 offset1:38
	s_waitcnt lgkmcnt(0)
	v_fma_f64 v[130:131], -v[214:215], v[4:5], v[130:131]
	v_fma_f64 v[164:165], -v[214:215], v[6:7], v[164:165]
	ds_read2_b64 v[4:7], v38 offset0:39 offset1:40
	s_waitcnt lgkmcnt(0)
	v_fma_f64 v[128:129], -v[214:215], v[4:5], v[128:129]
	v_fma_f64 v[162:163], -v[214:215], v[6:7], v[162:163]
	ds_read2_b64 v[4:7], v38 offset0:41 offset1:42
	s_waitcnt lgkmcnt(0)
	v_fma_f64 v[126:127], -v[214:215], v[4:5], v[126:127]
	v_fma_f64 v[160:161], -v[214:215], v[6:7], v[160:161]
	ds_read2_b64 v[4:7], v38 offset0:43 offset1:44
	s_waitcnt lgkmcnt(0)
	v_fma_f64 v[124:125], -v[214:215], v[4:5], v[124:125]
	v_fma_f64 v[158:159], -v[214:215], v[6:7], v[158:159]
	ds_read2_b64 v[4:7], v38 offset0:45 offset1:46
	s_waitcnt lgkmcnt(0)
	v_fma_f64 v[122:123], -v[214:215], v[4:5], v[122:123]
	v_fma_f64 v[156:157], -v[214:215], v[6:7], v[156:157]
	ds_read2_b64 v[4:7], v38 offset0:47 offset1:48
	s_waitcnt lgkmcnt(0)
	v_fma_f64 v[120:121], -v[214:215], v[4:5], v[120:121]
	v_fma_f64 v[154:155], -v[214:215], v[6:7], v[154:155]
	ds_read2_b64 v[4:7], v38 offset0:49 offset1:50
	s_waitcnt lgkmcnt(0)
	v_fma_f64 v[118:119], -v[214:215], v[4:5], v[118:119]
	v_fma_f64 v[152:153], -v[214:215], v[6:7], v[152:153]
	ds_read2_b64 v[4:7], v38 offset0:51 offset1:52
	s_waitcnt lgkmcnt(0)
	v_fma_f64 v[116:117], -v[214:215], v[4:5], v[116:117]
	v_fma_f64 v[150:151], -v[214:215], v[6:7], v[150:151]
	ds_read2_b64 v[4:7], v38 offset0:53 offset1:54
	s_waitcnt lgkmcnt(0)
	v_fma_f64 v[114:115], -v[214:215], v[4:5], v[114:115]
	v_fma_f64 v[222:223], -v[214:215], v[6:7], v[222:223]
.LBB109_46:
	s_or_b32 exec_lo, exec_lo, s1
	s_mov_b32 s1, exec_lo
	s_waitcnt lgkmcnt(0)
	s_barrier
	buffer_gl0_inv
	v_cmpx_eq_u32_e32 9, v0
	s_cbranch_execz .LBB109_49
; %bb.47:
	v_mov_b32_e32 v4, v212
	v_mov_b32_e32 v5, v213
	;; [unrolled: 1-line block ×4, first 2 shown]
	ds_write_b64 v1, v[194:195]
	ds_write2_b64 v38, v[4:5], v[6:7] offset0:10 offset1:11
	v_mov_b32_e32 v4, v210
	v_mov_b32_e32 v5, v211
	v_mov_b32_e32 v6, v190
	v_mov_b32_e32 v7, v191
	ds_write2_b64 v38, v[4:5], v[6:7] offset0:12 offset1:13
	v_mov_b32_e32 v4, v208
	v_mov_b32_e32 v5, v209
	v_mov_b32_e32 v6, v188
	v_mov_b32_e32 v7, v189
	;; [unrolled: 5-line block ×21, first 2 shown]
	ds_write2_b64 v38, v[4:5], v[6:7] offset0:52 offset1:53
	ds_write_b64 v38, v[222:223] offset:432
	ds_read_b64 v[4:5], v1
	s_waitcnt lgkmcnt(0)
	v_cmp_neq_f64_e32 vcc_lo, 0, v[4:5]
	s_and_b32 exec_lo, exec_lo, vcc_lo
	s_cbranch_execz .LBB109_49
; %bb.48:
	v_div_scale_f64 v[6:7], null, v[4:5], v[4:5], 1.0
	v_rcp_f64_e32 v[8:9], v[6:7]
	v_fma_f64 v[10:11], -v[6:7], v[8:9], 1.0
	v_fma_f64 v[8:9], v[8:9], v[10:11], v[8:9]
	v_fma_f64 v[10:11], -v[6:7], v[8:9], 1.0
	v_fma_f64 v[8:9], v[8:9], v[10:11], v[8:9]
	v_div_scale_f64 v[10:11], vcc_lo, 1.0, v[4:5], 1.0
	v_mul_f64 v[12:13], v[10:11], v[8:9]
	v_fma_f64 v[6:7], -v[6:7], v[12:13], v[10:11]
	v_div_fmas_f64 v[6:7], v[6:7], v[8:9], v[12:13]
	v_div_fixup_f64 v[4:5], v[6:7], v[4:5], 1.0
	ds_write_b64 v1, v[4:5]
.LBB109_49:
	s_or_b32 exec_lo, exec_lo, s1
	s_waitcnt lgkmcnt(0)
	s_barrier
	buffer_gl0_inv
	ds_read_b64 v[87:88], v1
	s_mov_b32 s1, exec_lo
	v_cmpx_lt_u32_e32 9, v0
	s_cbranch_execz .LBB109_51
; %bb.50:
	s_waitcnt lgkmcnt(0)
	v_mul_f64 v[194:195], v[87:88], v[194:195]
	ds_read2_b64 v[4:7], v38 offset0:10 offset1:11
	s_waitcnt lgkmcnt(0)
	v_fma_f64 v[212:213], -v[194:195], v[4:5], v[212:213]
	v_fma_f64 v[192:193], -v[194:195], v[6:7], v[192:193]
	ds_read2_b64 v[4:7], v38 offset0:12 offset1:13
	s_waitcnt lgkmcnt(0)
	v_fma_f64 v[210:211], -v[194:195], v[4:5], v[210:211]
	v_fma_f64 v[190:191], -v[194:195], v[6:7], v[190:191]
	;; [unrolled: 4-line block ×21, first 2 shown]
	ds_read2_b64 v[4:7], v38 offset0:52 offset1:53
	s_waitcnt lgkmcnt(0)
	v_fma_f64 v[150:151], -v[194:195], v[4:5], v[150:151]
	ds_read_b64 v[4:5], v38 offset:432
	v_fma_f64 v[114:115], -v[194:195], v[6:7], v[114:115]
	s_waitcnt lgkmcnt(0)
	v_fma_f64 v[222:223], -v[194:195], v[4:5], v[222:223]
.LBB109_51:
	s_or_b32 exec_lo, exec_lo, s1
	s_mov_b32 s1, exec_lo
	s_waitcnt lgkmcnt(0)
	s_barrier
	buffer_gl0_inv
	v_cmpx_eq_u32_e32 10, v0
	s_cbranch_execz .LBB109_54
; %bb.52:
	ds_write_b64 v1, v[212:213]
	ds_write2_b64 v38, v[192:193], v[210:211] offset0:11 offset1:12
	ds_write2_b64 v38, v[190:191], v[208:209] offset0:13 offset1:14
	;; [unrolled: 1-line block ×22, first 2 shown]
	ds_read_b64 v[4:5], v1
	s_waitcnt lgkmcnt(0)
	v_cmp_neq_f64_e32 vcc_lo, 0, v[4:5]
	s_and_b32 exec_lo, exec_lo, vcc_lo
	s_cbranch_execz .LBB109_54
; %bb.53:
	v_div_scale_f64 v[6:7], null, v[4:5], v[4:5], 1.0
	v_rcp_f64_e32 v[8:9], v[6:7]
	v_fma_f64 v[10:11], -v[6:7], v[8:9], 1.0
	v_fma_f64 v[8:9], v[8:9], v[10:11], v[8:9]
	v_fma_f64 v[10:11], -v[6:7], v[8:9], 1.0
	v_fma_f64 v[8:9], v[8:9], v[10:11], v[8:9]
	v_div_scale_f64 v[10:11], vcc_lo, 1.0, v[4:5], 1.0
	v_mul_f64 v[12:13], v[10:11], v[8:9]
	v_fma_f64 v[6:7], -v[6:7], v[12:13], v[10:11]
	v_div_fmas_f64 v[6:7], v[6:7], v[8:9], v[12:13]
	v_div_fixup_f64 v[4:5], v[6:7], v[4:5], 1.0
	ds_write_b64 v1, v[4:5]
.LBB109_54:
	s_or_b32 exec_lo, exec_lo, s1
	s_waitcnt lgkmcnt(0)
	s_barrier
	buffer_gl0_inv
	ds_read_b64 v[89:90], v1
	s_mov_b32 s1, exec_lo
	v_cmpx_lt_u32_e32 10, v0
	s_cbranch_execz .LBB109_56
; %bb.55:
	s_waitcnt lgkmcnt(0)
	v_mul_f64 v[212:213], v[89:90], v[212:213]
	ds_read2_b64 v[4:7], v38 offset0:11 offset1:12
	s_waitcnt lgkmcnt(0)
	v_fma_f64 v[192:193], -v[212:213], v[4:5], v[192:193]
	v_fma_f64 v[210:211], -v[212:213], v[6:7], v[210:211]
	ds_read2_b64 v[4:7], v38 offset0:13 offset1:14
	s_waitcnt lgkmcnt(0)
	v_fma_f64 v[190:191], -v[212:213], v[4:5], v[190:191]
	v_fma_f64 v[208:209], -v[212:213], v[6:7], v[208:209]
	;; [unrolled: 4-line block ×22, first 2 shown]
.LBB109_56:
	s_or_b32 exec_lo, exec_lo, s1
	s_mov_b32 s1, exec_lo
	s_waitcnt lgkmcnt(0)
	s_barrier
	buffer_gl0_inv
	v_cmpx_eq_u32_e32 11, v0
	s_cbranch_execz .LBB109_59
; %bb.57:
	v_mov_b32_e32 v4, v210
	v_mov_b32_e32 v5, v211
	;; [unrolled: 1-line block ×4, first 2 shown]
	ds_write_b64 v1, v[192:193]
	ds_write2_b64 v38, v[4:5], v[6:7] offset0:12 offset1:13
	v_mov_b32_e32 v4, v208
	v_mov_b32_e32 v5, v209
	v_mov_b32_e32 v6, v188
	v_mov_b32_e32 v7, v189
	ds_write2_b64 v38, v[4:5], v[6:7] offset0:14 offset1:15
	v_mov_b32_e32 v4, v206
	v_mov_b32_e32 v5, v207
	v_mov_b32_e32 v6, v186
	v_mov_b32_e32 v7, v187
	;; [unrolled: 5-line block ×20, first 2 shown]
	ds_write2_b64 v38, v[4:5], v[6:7] offset0:52 offset1:53
	ds_write_b64 v38, v[222:223] offset:432
	ds_read_b64 v[4:5], v1
	s_waitcnt lgkmcnt(0)
	v_cmp_neq_f64_e32 vcc_lo, 0, v[4:5]
	s_and_b32 exec_lo, exec_lo, vcc_lo
	s_cbranch_execz .LBB109_59
; %bb.58:
	v_div_scale_f64 v[6:7], null, v[4:5], v[4:5], 1.0
	v_rcp_f64_e32 v[8:9], v[6:7]
	v_fma_f64 v[10:11], -v[6:7], v[8:9], 1.0
	v_fma_f64 v[8:9], v[8:9], v[10:11], v[8:9]
	v_fma_f64 v[10:11], -v[6:7], v[8:9], 1.0
	v_fma_f64 v[8:9], v[8:9], v[10:11], v[8:9]
	v_div_scale_f64 v[10:11], vcc_lo, 1.0, v[4:5], 1.0
	v_mul_f64 v[12:13], v[10:11], v[8:9]
	v_fma_f64 v[6:7], -v[6:7], v[12:13], v[10:11]
	v_div_fmas_f64 v[6:7], v[6:7], v[8:9], v[12:13]
	v_div_fixup_f64 v[4:5], v[6:7], v[4:5], 1.0
	ds_write_b64 v1, v[4:5]
.LBB109_59:
	s_or_b32 exec_lo, exec_lo, s1
	s_waitcnt lgkmcnt(0)
	s_barrier
	buffer_gl0_inv
	ds_read_b64 v[91:92], v1
	s_mov_b32 s1, exec_lo
	v_cmpx_lt_u32_e32 11, v0
	s_cbranch_execz .LBB109_61
; %bb.60:
	s_waitcnt lgkmcnt(0)
	v_mul_f64 v[192:193], v[91:92], v[192:193]
	ds_read2_b64 v[4:7], v38 offset0:12 offset1:13
	s_waitcnt lgkmcnt(0)
	v_fma_f64 v[210:211], -v[192:193], v[4:5], v[210:211]
	v_fma_f64 v[190:191], -v[192:193], v[6:7], v[190:191]
	ds_read2_b64 v[4:7], v38 offset0:14 offset1:15
	s_waitcnt lgkmcnt(0)
	v_fma_f64 v[208:209], -v[192:193], v[4:5], v[208:209]
	v_fma_f64 v[188:189], -v[192:193], v[6:7], v[188:189]
	;; [unrolled: 4-line block ×20, first 2 shown]
	ds_read2_b64 v[4:7], v38 offset0:52 offset1:53
	s_waitcnt lgkmcnt(0)
	v_fma_f64 v[150:151], -v[192:193], v[4:5], v[150:151]
	ds_read_b64 v[4:5], v38 offset:432
	v_fma_f64 v[114:115], -v[192:193], v[6:7], v[114:115]
	s_waitcnt lgkmcnt(0)
	v_fma_f64 v[222:223], -v[192:193], v[4:5], v[222:223]
.LBB109_61:
	s_or_b32 exec_lo, exec_lo, s1
	s_mov_b32 s1, exec_lo
	s_waitcnt lgkmcnt(0)
	s_barrier
	buffer_gl0_inv
	v_cmpx_eq_u32_e32 12, v0
	s_cbranch_execz .LBB109_64
; %bb.62:
	ds_write_b64 v1, v[210:211]
	ds_write2_b64 v38, v[190:191], v[208:209] offset0:13 offset1:14
	ds_write2_b64 v38, v[188:189], v[206:207] offset0:15 offset1:16
	;; [unrolled: 1-line block ×21, first 2 shown]
	ds_read_b64 v[4:5], v1
	s_waitcnt lgkmcnt(0)
	v_cmp_neq_f64_e32 vcc_lo, 0, v[4:5]
	s_and_b32 exec_lo, exec_lo, vcc_lo
	s_cbranch_execz .LBB109_64
; %bb.63:
	v_div_scale_f64 v[6:7], null, v[4:5], v[4:5], 1.0
	v_rcp_f64_e32 v[8:9], v[6:7]
	v_fma_f64 v[10:11], -v[6:7], v[8:9], 1.0
	v_fma_f64 v[8:9], v[8:9], v[10:11], v[8:9]
	v_fma_f64 v[10:11], -v[6:7], v[8:9], 1.0
	v_fma_f64 v[8:9], v[8:9], v[10:11], v[8:9]
	v_div_scale_f64 v[10:11], vcc_lo, 1.0, v[4:5], 1.0
	v_mul_f64 v[12:13], v[10:11], v[8:9]
	v_fma_f64 v[6:7], -v[6:7], v[12:13], v[10:11]
	v_div_fmas_f64 v[6:7], v[6:7], v[8:9], v[12:13]
	v_div_fixup_f64 v[4:5], v[6:7], v[4:5], 1.0
	ds_write_b64 v1, v[4:5]
.LBB109_64:
	s_or_b32 exec_lo, exec_lo, s1
	s_waitcnt lgkmcnt(0)
	s_barrier
	buffer_gl0_inv
	ds_read_b64 v[93:94], v1
	s_mov_b32 s1, exec_lo
	v_cmpx_lt_u32_e32 12, v0
	s_cbranch_execz .LBB109_66
; %bb.65:
	s_waitcnt lgkmcnt(0)
	v_mul_f64 v[210:211], v[93:94], v[210:211]
	ds_read2_b64 v[4:7], v38 offset0:13 offset1:14
	s_waitcnt lgkmcnt(0)
	v_fma_f64 v[190:191], -v[210:211], v[4:5], v[190:191]
	v_fma_f64 v[208:209], -v[210:211], v[6:7], v[208:209]
	ds_read2_b64 v[4:7], v38 offset0:15 offset1:16
	s_waitcnt lgkmcnt(0)
	v_fma_f64 v[188:189], -v[210:211], v[4:5], v[188:189]
	v_fma_f64 v[206:207], -v[210:211], v[6:7], v[206:207]
	;; [unrolled: 4-line block ×21, first 2 shown]
.LBB109_66:
	s_or_b32 exec_lo, exec_lo, s1
	s_mov_b32 s1, exec_lo
	s_waitcnt lgkmcnt(0)
	s_barrier
	buffer_gl0_inv
	v_cmpx_eq_u32_e32 13, v0
	s_cbranch_execz .LBB109_69
; %bb.67:
	v_mov_b32_e32 v4, v208
	v_mov_b32_e32 v5, v209
	;; [unrolled: 1-line block ×4, first 2 shown]
	ds_write_b64 v1, v[190:191]
	ds_write2_b64 v38, v[4:5], v[6:7] offset0:14 offset1:15
	v_mov_b32_e32 v4, v206
	v_mov_b32_e32 v5, v207
	v_mov_b32_e32 v6, v186
	v_mov_b32_e32 v7, v187
	ds_write2_b64 v38, v[4:5], v[6:7] offset0:16 offset1:17
	v_mov_b32_e32 v4, v204
	v_mov_b32_e32 v5, v205
	v_mov_b32_e32 v6, v148
	v_mov_b32_e32 v7, v149
	;; [unrolled: 5-line block ×19, first 2 shown]
	ds_write2_b64 v38, v[4:5], v[6:7] offset0:52 offset1:53
	ds_write_b64 v38, v[222:223] offset:432
	ds_read_b64 v[4:5], v1
	s_waitcnt lgkmcnt(0)
	v_cmp_neq_f64_e32 vcc_lo, 0, v[4:5]
	s_and_b32 exec_lo, exec_lo, vcc_lo
	s_cbranch_execz .LBB109_69
; %bb.68:
	v_div_scale_f64 v[6:7], null, v[4:5], v[4:5], 1.0
	v_rcp_f64_e32 v[8:9], v[6:7]
	v_fma_f64 v[10:11], -v[6:7], v[8:9], 1.0
	v_fma_f64 v[8:9], v[8:9], v[10:11], v[8:9]
	v_fma_f64 v[10:11], -v[6:7], v[8:9], 1.0
	v_fma_f64 v[8:9], v[8:9], v[10:11], v[8:9]
	v_div_scale_f64 v[10:11], vcc_lo, 1.0, v[4:5], 1.0
	v_mul_f64 v[12:13], v[10:11], v[8:9]
	v_fma_f64 v[6:7], -v[6:7], v[12:13], v[10:11]
	v_div_fmas_f64 v[6:7], v[6:7], v[8:9], v[12:13]
	v_div_fixup_f64 v[4:5], v[6:7], v[4:5], 1.0
	ds_write_b64 v1, v[4:5]
.LBB109_69:
	s_or_b32 exec_lo, exec_lo, s1
	s_waitcnt lgkmcnt(0)
	s_barrier
	buffer_gl0_inv
	ds_read_b64 v[95:96], v1
	s_mov_b32 s1, exec_lo
	v_cmpx_lt_u32_e32 13, v0
	s_cbranch_execz .LBB109_71
; %bb.70:
	s_waitcnt lgkmcnt(0)
	v_mul_f64 v[190:191], v[95:96], v[190:191]
	ds_read2_b64 v[4:7], v38 offset0:14 offset1:15
	s_waitcnt lgkmcnt(0)
	v_fma_f64 v[208:209], -v[190:191], v[4:5], v[208:209]
	v_fma_f64 v[188:189], -v[190:191], v[6:7], v[188:189]
	ds_read2_b64 v[4:7], v38 offset0:16 offset1:17
	s_waitcnt lgkmcnt(0)
	v_fma_f64 v[206:207], -v[190:191], v[4:5], v[206:207]
	v_fma_f64 v[186:187], -v[190:191], v[6:7], v[186:187]
	;; [unrolled: 4-line block ×19, first 2 shown]
	ds_read2_b64 v[4:7], v38 offset0:52 offset1:53
	s_waitcnt lgkmcnt(0)
	v_fma_f64 v[150:151], -v[190:191], v[4:5], v[150:151]
	ds_read_b64 v[4:5], v38 offset:432
	v_fma_f64 v[114:115], -v[190:191], v[6:7], v[114:115]
	s_waitcnt lgkmcnt(0)
	v_fma_f64 v[222:223], -v[190:191], v[4:5], v[222:223]
.LBB109_71:
	s_or_b32 exec_lo, exec_lo, s1
	s_mov_b32 s1, exec_lo
	s_waitcnt lgkmcnt(0)
	s_barrier
	buffer_gl0_inv
	v_cmpx_eq_u32_e32 14, v0
	s_cbranch_execz .LBB109_74
; %bb.72:
	ds_write_b64 v1, v[208:209]
	ds_write2_b64 v38, v[188:189], v[206:207] offset0:15 offset1:16
	ds_write2_b64 v38, v[186:187], v[204:205] offset0:17 offset1:18
	;; [unrolled: 1-line block ×20, first 2 shown]
	ds_read_b64 v[4:5], v1
	s_waitcnt lgkmcnt(0)
	v_cmp_neq_f64_e32 vcc_lo, 0, v[4:5]
	s_and_b32 exec_lo, exec_lo, vcc_lo
	s_cbranch_execz .LBB109_74
; %bb.73:
	v_div_scale_f64 v[6:7], null, v[4:5], v[4:5], 1.0
	v_rcp_f64_e32 v[8:9], v[6:7]
	v_fma_f64 v[10:11], -v[6:7], v[8:9], 1.0
	v_fma_f64 v[8:9], v[8:9], v[10:11], v[8:9]
	v_fma_f64 v[10:11], -v[6:7], v[8:9], 1.0
	v_fma_f64 v[8:9], v[8:9], v[10:11], v[8:9]
	v_div_scale_f64 v[10:11], vcc_lo, 1.0, v[4:5], 1.0
	v_mul_f64 v[12:13], v[10:11], v[8:9]
	v_fma_f64 v[6:7], -v[6:7], v[12:13], v[10:11]
	v_div_fmas_f64 v[6:7], v[6:7], v[8:9], v[12:13]
	v_div_fixup_f64 v[4:5], v[6:7], v[4:5], 1.0
	ds_write_b64 v1, v[4:5]
.LBB109_74:
	s_or_b32 exec_lo, exec_lo, s1
	s_waitcnt lgkmcnt(0)
	s_barrier
	buffer_gl0_inv
	ds_read_b64 v[97:98], v1
	s_mov_b32 s1, exec_lo
	v_cmpx_lt_u32_e32 14, v0
	s_cbranch_execz .LBB109_76
; %bb.75:
	s_waitcnt lgkmcnt(0)
	v_mul_f64 v[208:209], v[97:98], v[208:209]
	ds_read2_b64 v[4:7], v38 offset0:15 offset1:16
	s_waitcnt lgkmcnt(0)
	v_fma_f64 v[188:189], -v[208:209], v[4:5], v[188:189]
	v_fma_f64 v[206:207], -v[208:209], v[6:7], v[206:207]
	ds_read2_b64 v[4:7], v38 offset0:17 offset1:18
	s_waitcnt lgkmcnt(0)
	v_fma_f64 v[186:187], -v[208:209], v[4:5], v[186:187]
	v_fma_f64 v[204:205], -v[208:209], v[6:7], v[204:205]
	;; [unrolled: 4-line block ×20, first 2 shown]
.LBB109_76:
	s_or_b32 exec_lo, exec_lo, s1
	s_mov_b32 s1, exec_lo
	s_waitcnt lgkmcnt(0)
	s_barrier
	buffer_gl0_inv
	v_cmpx_eq_u32_e32 15, v0
	s_cbranch_execz .LBB109_79
; %bb.77:
	v_mov_b32_e32 v4, v206
	v_mov_b32_e32 v5, v207
	;; [unrolled: 1-line block ×4, first 2 shown]
	ds_write_b64 v1, v[188:189]
	ds_write2_b64 v38, v[4:5], v[6:7] offset0:16 offset1:17
	v_mov_b32_e32 v4, v204
	v_mov_b32_e32 v5, v205
	v_mov_b32_e32 v6, v148
	v_mov_b32_e32 v7, v149
	ds_write2_b64 v38, v[4:5], v[6:7] offset0:18 offset1:19
	v_mov_b32_e32 v4, v182
	v_mov_b32_e32 v5, v183
	v_mov_b32_e32 v6, v146
	v_mov_b32_e32 v7, v147
	;; [unrolled: 5-line block ×18, first 2 shown]
	ds_write2_b64 v38, v[4:5], v[6:7] offset0:52 offset1:53
	ds_write_b64 v38, v[222:223] offset:432
	ds_read_b64 v[4:5], v1
	s_waitcnt lgkmcnt(0)
	v_cmp_neq_f64_e32 vcc_lo, 0, v[4:5]
	s_and_b32 exec_lo, exec_lo, vcc_lo
	s_cbranch_execz .LBB109_79
; %bb.78:
	v_div_scale_f64 v[6:7], null, v[4:5], v[4:5], 1.0
	v_rcp_f64_e32 v[8:9], v[6:7]
	v_fma_f64 v[10:11], -v[6:7], v[8:9], 1.0
	v_fma_f64 v[8:9], v[8:9], v[10:11], v[8:9]
	v_fma_f64 v[10:11], -v[6:7], v[8:9], 1.0
	v_fma_f64 v[8:9], v[8:9], v[10:11], v[8:9]
	v_div_scale_f64 v[10:11], vcc_lo, 1.0, v[4:5], 1.0
	v_mul_f64 v[12:13], v[10:11], v[8:9]
	v_fma_f64 v[6:7], -v[6:7], v[12:13], v[10:11]
	v_div_fmas_f64 v[6:7], v[6:7], v[8:9], v[12:13]
	v_div_fixup_f64 v[4:5], v[6:7], v[4:5], 1.0
	ds_write_b64 v1, v[4:5]
.LBB109_79:
	s_or_b32 exec_lo, exec_lo, s1
	s_waitcnt lgkmcnt(0)
	s_barrier
	buffer_gl0_inv
	ds_read_b64 v[99:100], v1
	s_mov_b32 s1, exec_lo
	v_cmpx_lt_u32_e32 15, v0
	s_cbranch_execz .LBB109_81
; %bb.80:
	s_waitcnt lgkmcnt(0)
	v_mul_f64 v[188:189], v[99:100], v[188:189]
	ds_read2_b64 v[4:7], v38 offset0:16 offset1:17
	s_waitcnt lgkmcnt(0)
	v_fma_f64 v[206:207], -v[188:189], v[4:5], v[206:207]
	v_fma_f64 v[186:187], -v[188:189], v[6:7], v[186:187]
	ds_read2_b64 v[4:7], v38 offset0:18 offset1:19
	s_waitcnt lgkmcnt(0)
	v_fma_f64 v[204:205], -v[188:189], v[4:5], v[204:205]
	v_fma_f64 v[148:149], -v[188:189], v[6:7], v[148:149]
	;; [unrolled: 4-line block ×18, first 2 shown]
	ds_read2_b64 v[4:7], v38 offset0:52 offset1:53
	s_waitcnt lgkmcnt(0)
	v_fma_f64 v[150:151], -v[188:189], v[4:5], v[150:151]
	ds_read_b64 v[4:5], v38 offset:432
	v_fma_f64 v[114:115], -v[188:189], v[6:7], v[114:115]
	s_waitcnt lgkmcnt(0)
	v_fma_f64 v[222:223], -v[188:189], v[4:5], v[222:223]
.LBB109_81:
	s_or_b32 exec_lo, exec_lo, s1
	s_mov_b32 s1, exec_lo
	s_waitcnt lgkmcnt(0)
	s_barrier
	buffer_gl0_inv
	v_cmpx_eq_u32_e32 16, v0
	s_cbranch_execz .LBB109_84
; %bb.82:
	ds_write_b64 v1, v[206:207]
	ds_write2_b64 v38, v[186:187], v[204:205] offset0:17 offset1:18
	ds_write2_b64 v38, v[148:149], v[182:183] offset0:19 offset1:20
	;; [unrolled: 1-line block ×19, first 2 shown]
	ds_read_b64 v[4:5], v1
	s_waitcnt lgkmcnt(0)
	v_cmp_neq_f64_e32 vcc_lo, 0, v[4:5]
	s_and_b32 exec_lo, exec_lo, vcc_lo
	s_cbranch_execz .LBB109_84
; %bb.83:
	v_div_scale_f64 v[6:7], null, v[4:5], v[4:5], 1.0
	v_rcp_f64_e32 v[8:9], v[6:7]
	v_fma_f64 v[10:11], -v[6:7], v[8:9], 1.0
	v_fma_f64 v[8:9], v[8:9], v[10:11], v[8:9]
	v_fma_f64 v[10:11], -v[6:7], v[8:9], 1.0
	v_fma_f64 v[8:9], v[8:9], v[10:11], v[8:9]
	v_div_scale_f64 v[10:11], vcc_lo, 1.0, v[4:5], 1.0
	v_mul_f64 v[12:13], v[10:11], v[8:9]
	v_fma_f64 v[6:7], -v[6:7], v[12:13], v[10:11]
	v_div_fmas_f64 v[6:7], v[6:7], v[8:9], v[12:13]
	v_div_fixup_f64 v[4:5], v[6:7], v[4:5], 1.0
	ds_write_b64 v1, v[4:5]
.LBB109_84:
	s_or_b32 exec_lo, exec_lo, s1
	s_waitcnt lgkmcnt(0)
	s_barrier
	buffer_gl0_inv
	ds_read_b64 v[101:102], v1
	s_mov_b32 s1, exec_lo
	v_cmpx_lt_u32_e32 16, v0
	s_cbranch_execz .LBB109_86
; %bb.85:
	s_waitcnt lgkmcnt(0)
	v_mul_f64 v[206:207], v[101:102], v[206:207]
	ds_read2_b64 v[4:7], v38 offset0:17 offset1:18
	s_waitcnt lgkmcnt(0)
	v_fma_f64 v[186:187], -v[206:207], v[4:5], v[186:187]
	v_fma_f64 v[204:205], -v[206:207], v[6:7], v[204:205]
	ds_read2_b64 v[4:7], v38 offset0:19 offset1:20
	s_waitcnt lgkmcnt(0)
	v_fma_f64 v[148:149], -v[206:207], v[4:5], v[148:149]
	v_fma_f64 v[182:183], -v[206:207], v[6:7], v[182:183]
	;; [unrolled: 4-line block ×19, first 2 shown]
.LBB109_86:
	s_or_b32 exec_lo, exec_lo, s1
	s_mov_b32 s1, exec_lo
	s_waitcnt lgkmcnt(0)
	s_barrier
	buffer_gl0_inv
	v_cmpx_eq_u32_e32 17, v0
	s_cbranch_execz .LBB109_89
; %bb.87:
	v_mov_b32_e32 v4, v204
	v_mov_b32_e32 v5, v205
	;; [unrolled: 1-line block ×4, first 2 shown]
	ds_write_b64 v1, v[186:187]
	ds_write2_b64 v38, v[4:5], v[6:7] offset0:18 offset1:19
	v_mov_b32_e32 v4, v182
	v_mov_b32_e32 v5, v183
	v_mov_b32_e32 v6, v146
	v_mov_b32_e32 v7, v147
	ds_write2_b64 v38, v[4:5], v[6:7] offset0:20 offset1:21
	v_mov_b32_e32 v4, v180
	v_mov_b32_e32 v5, v181
	v_mov_b32_e32 v6, v144
	v_mov_b32_e32 v7, v145
	;; [unrolled: 5-line block ×17, first 2 shown]
	ds_write2_b64 v38, v[4:5], v[6:7] offset0:52 offset1:53
	ds_write_b64 v38, v[222:223] offset:432
	ds_read_b64 v[4:5], v1
	s_waitcnt lgkmcnt(0)
	v_cmp_neq_f64_e32 vcc_lo, 0, v[4:5]
	s_and_b32 exec_lo, exec_lo, vcc_lo
	s_cbranch_execz .LBB109_89
; %bb.88:
	v_div_scale_f64 v[6:7], null, v[4:5], v[4:5], 1.0
	v_rcp_f64_e32 v[8:9], v[6:7]
	v_fma_f64 v[10:11], -v[6:7], v[8:9], 1.0
	v_fma_f64 v[8:9], v[8:9], v[10:11], v[8:9]
	v_fma_f64 v[10:11], -v[6:7], v[8:9], 1.0
	v_fma_f64 v[8:9], v[8:9], v[10:11], v[8:9]
	v_div_scale_f64 v[10:11], vcc_lo, 1.0, v[4:5], 1.0
	v_mul_f64 v[12:13], v[10:11], v[8:9]
	v_fma_f64 v[6:7], -v[6:7], v[12:13], v[10:11]
	v_div_fmas_f64 v[6:7], v[6:7], v[8:9], v[12:13]
	v_div_fixup_f64 v[4:5], v[6:7], v[4:5], 1.0
	ds_write_b64 v1, v[4:5]
.LBB109_89:
	s_or_b32 exec_lo, exec_lo, s1
	s_waitcnt lgkmcnt(0)
	s_barrier
	buffer_gl0_inv
	ds_read_b64 v[46:47], v1
	s_mov_b32 s1, exec_lo
	v_cmpx_lt_u32_e32 17, v0
	s_cbranch_execz .LBB109_91
; %bb.90:
	s_waitcnt lgkmcnt(0)
	v_mul_f64 v[186:187], v[46:47], v[186:187]
	ds_read2_b64 v[4:7], v38 offset0:18 offset1:19
	s_waitcnt lgkmcnt(0)
	v_fma_f64 v[204:205], -v[186:187], v[4:5], v[204:205]
	v_fma_f64 v[148:149], -v[186:187], v[6:7], v[148:149]
	ds_read2_b64 v[4:7], v38 offset0:20 offset1:21
	s_waitcnt lgkmcnt(0)
	v_fma_f64 v[182:183], -v[186:187], v[4:5], v[182:183]
	v_fma_f64 v[146:147], -v[186:187], v[6:7], v[146:147]
	ds_read2_b64 v[4:7], v38 offset0:22 offset1:23
	s_waitcnt lgkmcnt(0)
	v_fma_f64 v[180:181], -v[186:187], v[4:5], v[180:181]
	v_fma_f64 v[144:145], -v[186:187], v[6:7], v[144:145]
	ds_read2_b64 v[4:7], v38 offset0:24 offset1:25
	s_waitcnt lgkmcnt(0)
	v_fma_f64 v[178:179], -v[186:187], v[4:5], v[178:179]
	v_fma_f64 v[142:143], -v[186:187], v[6:7], v[142:143]
	ds_read2_b64 v[4:7], v38 offset0:26 offset1:27
	s_waitcnt lgkmcnt(0)
	v_fma_f64 v[176:177], -v[186:187], v[4:5], v[176:177]
	v_fma_f64 v[140:141], -v[186:187], v[6:7], v[140:141]
	ds_read2_b64 v[4:7], v38 offset0:28 offset1:29
	s_waitcnt lgkmcnt(0)
	v_fma_f64 v[174:175], -v[186:187], v[4:5], v[174:175]
	v_fma_f64 v[138:139], -v[186:187], v[6:7], v[138:139]
	ds_read2_b64 v[4:7], v38 offset0:30 offset1:31
	s_waitcnt lgkmcnt(0)
	v_fma_f64 v[172:173], -v[186:187], v[4:5], v[172:173]
	v_fma_f64 v[136:137], -v[186:187], v[6:7], v[136:137]
	ds_read2_b64 v[4:7], v38 offset0:32 offset1:33
	s_waitcnt lgkmcnt(0)
	v_fma_f64 v[170:171], -v[186:187], v[4:5], v[170:171]
	v_fma_f64 v[134:135], -v[186:187], v[6:7], v[134:135]
	ds_read2_b64 v[4:7], v38 offset0:34 offset1:35
	s_waitcnt lgkmcnt(0)
	v_fma_f64 v[168:169], -v[186:187], v[4:5], v[168:169]
	v_fma_f64 v[132:133], -v[186:187], v[6:7], v[132:133]
	ds_read2_b64 v[4:7], v38 offset0:36 offset1:37
	s_waitcnt lgkmcnt(0)
	v_fma_f64 v[166:167], -v[186:187], v[4:5], v[166:167]
	v_fma_f64 v[130:131], -v[186:187], v[6:7], v[130:131]
	ds_read2_b64 v[4:7], v38 offset0:38 offset1:39
	s_waitcnt lgkmcnt(0)
	v_fma_f64 v[164:165], -v[186:187], v[4:5], v[164:165]
	v_fma_f64 v[128:129], -v[186:187], v[6:7], v[128:129]
	ds_read2_b64 v[4:7], v38 offset0:40 offset1:41
	s_waitcnt lgkmcnt(0)
	v_fma_f64 v[162:163], -v[186:187], v[4:5], v[162:163]
	v_fma_f64 v[126:127], -v[186:187], v[6:7], v[126:127]
	ds_read2_b64 v[4:7], v38 offset0:42 offset1:43
	s_waitcnt lgkmcnt(0)
	v_fma_f64 v[160:161], -v[186:187], v[4:5], v[160:161]
	v_fma_f64 v[124:125], -v[186:187], v[6:7], v[124:125]
	ds_read2_b64 v[4:7], v38 offset0:44 offset1:45
	s_waitcnt lgkmcnt(0)
	v_fma_f64 v[158:159], -v[186:187], v[4:5], v[158:159]
	v_fma_f64 v[122:123], -v[186:187], v[6:7], v[122:123]
	ds_read2_b64 v[4:7], v38 offset0:46 offset1:47
	s_waitcnt lgkmcnt(0)
	v_fma_f64 v[156:157], -v[186:187], v[4:5], v[156:157]
	v_fma_f64 v[120:121], -v[186:187], v[6:7], v[120:121]
	ds_read2_b64 v[4:7], v38 offset0:48 offset1:49
	s_waitcnt lgkmcnt(0)
	v_fma_f64 v[154:155], -v[186:187], v[4:5], v[154:155]
	v_fma_f64 v[118:119], -v[186:187], v[6:7], v[118:119]
	ds_read2_b64 v[4:7], v38 offset0:50 offset1:51
	s_waitcnt lgkmcnt(0)
	v_fma_f64 v[152:153], -v[186:187], v[4:5], v[152:153]
	v_fma_f64 v[116:117], -v[186:187], v[6:7], v[116:117]
	ds_read2_b64 v[4:7], v38 offset0:52 offset1:53
	s_waitcnt lgkmcnt(0)
	v_fma_f64 v[150:151], -v[186:187], v[4:5], v[150:151]
	ds_read_b64 v[4:5], v38 offset:432
	v_fma_f64 v[114:115], -v[186:187], v[6:7], v[114:115]
	s_waitcnt lgkmcnt(0)
	v_fma_f64 v[222:223], -v[186:187], v[4:5], v[222:223]
.LBB109_91:
	s_or_b32 exec_lo, exec_lo, s1
	s_mov_b32 s1, exec_lo
	s_waitcnt lgkmcnt(0)
	s_barrier
	buffer_gl0_inv
	v_cmpx_eq_u32_e32 18, v0
	s_cbranch_execz .LBB109_94
; %bb.92:
	ds_write_b64 v1, v[204:205]
	ds_write2_b64 v38, v[148:149], v[182:183] offset0:19 offset1:20
	ds_write2_b64 v38, v[146:147], v[180:181] offset0:21 offset1:22
	;; [unrolled: 1-line block ×18, first 2 shown]
	ds_read_b64 v[4:5], v1
	s_waitcnt lgkmcnt(0)
	v_cmp_neq_f64_e32 vcc_lo, 0, v[4:5]
	s_and_b32 exec_lo, exec_lo, vcc_lo
	s_cbranch_execz .LBB109_94
; %bb.93:
	v_div_scale_f64 v[6:7], null, v[4:5], v[4:5], 1.0
	v_rcp_f64_e32 v[8:9], v[6:7]
	v_fma_f64 v[10:11], -v[6:7], v[8:9], 1.0
	v_fma_f64 v[8:9], v[8:9], v[10:11], v[8:9]
	v_fma_f64 v[10:11], -v[6:7], v[8:9], 1.0
	v_fma_f64 v[8:9], v[8:9], v[10:11], v[8:9]
	v_div_scale_f64 v[10:11], vcc_lo, 1.0, v[4:5], 1.0
	v_mul_f64 v[12:13], v[10:11], v[8:9]
	v_fma_f64 v[6:7], -v[6:7], v[12:13], v[10:11]
	v_div_fmas_f64 v[6:7], v[6:7], v[8:9], v[12:13]
	v_div_fixup_f64 v[4:5], v[6:7], v[4:5], 1.0
	ds_write_b64 v1, v[4:5]
.LBB109_94:
	s_or_b32 exec_lo, exec_lo, s1
	s_waitcnt lgkmcnt(0)
	s_barrier
	buffer_gl0_inv
	ds_read_b64 v[103:104], v1
	s_mov_b32 s1, exec_lo
	v_cmpx_lt_u32_e32 18, v0
	s_cbranch_execz .LBB109_96
; %bb.95:
	s_waitcnt lgkmcnt(0)
	v_mul_f64 v[204:205], v[103:104], v[204:205]
	ds_read2_b64 v[4:7], v38 offset0:19 offset1:20
	s_waitcnt lgkmcnt(0)
	v_fma_f64 v[148:149], -v[204:205], v[4:5], v[148:149]
	v_fma_f64 v[182:183], -v[204:205], v[6:7], v[182:183]
	ds_read2_b64 v[4:7], v38 offset0:21 offset1:22
	s_waitcnt lgkmcnt(0)
	v_fma_f64 v[146:147], -v[204:205], v[4:5], v[146:147]
	v_fma_f64 v[180:181], -v[204:205], v[6:7], v[180:181]
	;; [unrolled: 4-line block ×18, first 2 shown]
.LBB109_96:
	s_or_b32 exec_lo, exec_lo, s1
	s_mov_b32 s1, exec_lo
	s_waitcnt lgkmcnt(0)
	s_barrier
	buffer_gl0_inv
	v_cmpx_eq_u32_e32 19, v0
	s_cbranch_execz .LBB109_99
; %bb.97:
	v_mov_b32_e32 v4, v182
	v_mov_b32_e32 v5, v183
	v_mov_b32_e32 v6, v146
	v_mov_b32_e32 v7, v147
	ds_write_b64 v1, v[148:149]
	ds_write2_b64 v38, v[4:5], v[6:7] offset0:20 offset1:21
	v_mov_b32_e32 v4, v180
	v_mov_b32_e32 v5, v181
	v_mov_b32_e32 v6, v144
	v_mov_b32_e32 v7, v145
	ds_write2_b64 v38, v[4:5], v[6:7] offset0:22 offset1:23
	v_mov_b32_e32 v4, v178
	v_mov_b32_e32 v5, v179
	v_mov_b32_e32 v6, v142
	v_mov_b32_e32 v7, v143
	;; [unrolled: 5-line block ×16, first 2 shown]
	ds_write2_b64 v38, v[4:5], v[6:7] offset0:52 offset1:53
	ds_write_b64 v38, v[222:223] offset:432
	ds_read_b64 v[4:5], v1
	s_waitcnt lgkmcnt(0)
	v_cmp_neq_f64_e32 vcc_lo, 0, v[4:5]
	s_and_b32 exec_lo, exec_lo, vcc_lo
	s_cbranch_execz .LBB109_99
; %bb.98:
	v_div_scale_f64 v[6:7], null, v[4:5], v[4:5], 1.0
	v_rcp_f64_e32 v[8:9], v[6:7]
	v_fma_f64 v[10:11], -v[6:7], v[8:9], 1.0
	v_fma_f64 v[8:9], v[8:9], v[10:11], v[8:9]
	v_fma_f64 v[10:11], -v[6:7], v[8:9], 1.0
	v_fma_f64 v[8:9], v[8:9], v[10:11], v[8:9]
	v_div_scale_f64 v[10:11], vcc_lo, 1.0, v[4:5], 1.0
	v_mul_f64 v[12:13], v[10:11], v[8:9]
	v_fma_f64 v[6:7], -v[6:7], v[12:13], v[10:11]
	v_div_fmas_f64 v[6:7], v[6:7], v[8:9], v[12:13]
	v_div_fixup_f64 v[4:5], v[6:7], v[4:5], 1.0
	ds_write_b64 v1, v[4:5]
.LBB109_99:
	s_or_b32 exec_lo, exec_lo, s1
	s_waitcnt lgkmcnt(0)
	s_barrier
	buffer_gl0_inv
	ds_read_b64 v[105:106], v1
	s_mov_b32 s1, exec_lo
	v_cmpx_lt_u32_e32 19, v0
	s_cbranch_execz .LBB109_101
; %bb.100:
	s_waitcnt lgkmcnt(0)
	v_mul_f64 v[148:149], v[105:106], v[148:149]
	ds_read2_b64 v[4:7], v38 offset0:20 offset1:21
	s_waitcnt lgkmcnt(0)
	v_fma_f64 v[182:183], -v[148:149], v[4:5], v[182:183]
	v_fma_f64 v[146:147], -v[148:149], v[6:7], v[146:147]
	ds_read2_b64 v[4:7], v38 offset0:22 offset1:23
	s_waitcnt lgkmcnt(0)
	v_fma_f64 v[180:181], -v[148:149], v[4:5], v[180:181]
	v_fma_f64 v[144:145], -v[148:149], v[6:7], v[144:145]
	;; [unrolled: 4-line block ×16, first 2 shown]
	ds_read2_b64 v[4:7], v38 offset0:52 offset1:53
	s_waitcnt lgkmcnt(0)
	v_fma_f64 v[150:151], -v[148:149], v[4:5], v[150:151]
	ds_read_b64 v[4:5], v38 offset:432
	v_fma_f64 v[114:115], -v[148:149], v[6:7], v[114:115]
	s_waitcnt lgkmcnt(0)
	v_fma_f64 v[222:223], -v[148:149], v[4:5], v[222:223]
.LBB109_101:
	s_or_b32 exec_lo, exec_lo, s1
	s_mov_b32 s1, exec_lo
	s_waitcnt lgkmcnt(0)
	s_barrier
	buffer_gl0_inv
	v_cmpx_eq_u32_e32 20, v0
	s_cbranch_execz .LBB109_104
; %bb.102:
	ds_write_b64 v1, v[182:183]
	ds_write2_b64 v38, v[146:147], v[180:181] offset0:21 offset1:22
	ds_write2_b64 v38, v[144:145], v[178:179] offset0:23 offset1:24
	;; [unrolled: 1-line block ×17, first 2 shown]
	ds_read_b64 v[4:5], v1
	s_waitcnt lgkmcnt(0)
	v_cmp_neq_f64_e32 vcc_lo, 0, v[4:5]
	s_and_b32 exec_lo, exec_lo, vcc_lo
	s_cbranch_execz .LBB109_104
; %bb.103:
	v_div_scale_f64 v[6:7], null, v[4:5], v[4:5], 1.0
	v_rcp_f64_e32 v[8:9], v[6:7]
	v_fma_f64 v[10:11], -v[6:7], v[8:9], 1.0
	v_fma_f64 v[8:9], v[8:9], v[10:11], v[8:9]
	v_fma_f64 v[10:11], -v[6:7], v[8:9], 1.0
	v_fma_f64 v[8:9], v[8:9], v[10:11], v[8:9]
	v_div_scale_f64 v[10:11], vcc_lo, 1.0, v[4:5], 1.0
	v_mul_f64 v[12:13], v[10:11], v[8:9]
	v_fma_f64 v[6:7], -v[6:7], v[12:13], v[10:11]
	v_div_fmas_f64 v[6:7], v[6:7], v[8:9], v[12:13]
	v_div_fixup_f64 v[4:5], v[6:7], v[4:5], 1.0
	ds_write_b64 v1, v[4:5]
.LBB109_104:
	s_or_b32 exec_lo, exec_lo, s1
	s_waitcnt lgkmcnt(0)
	s_barrier
	buffer_gl0_inv
	ds_read_b64 v[107:108], v1
	s_mov_b32 s1, exec_lo
	v_cmpx_lt_u32_e32 20, v0
	s_cbranch_execz .LBB109_106
; %bb.105:
	s_waitcnt lgkmcnt(0)
	v_mul_f64 v[182:183], v[107:108], v[182:183]
	ds_read2_b64 v[4:7], v38 offset0:21 offset1:22
	s_waitcnt lgkmcnt(0)
	v_fma_f64 v[146:147], -v[182:183], v[4:5], v[146:147]
	v_fma_f64 v[180:181], -v[182:183], v[6:7], v[180:181]
	ds_read2_b64 v[4:7], v38 offset0:23 offset1:24
	s_waitcnt lgkmcnt(0)
	v_fma_f64 v[144:145], -v[182:183], v[4:5], v[144:145]
	v_fma_f64 v[178:179], -v[182:183], v[6:7], v[178:179]
	;; [unrolled: 4-line block ×17, first 2 shown]
.LBB109_106:
	s_or_b32 exec_lo, exec_lo, s1
	s_mov_b32 s1, exec_lo
	s_waitcnt lgkmcnt(0)
	s_barrier
	buffer_gl0_inv
	v_cmpx_eq_u32_e32 21, v0
	s_cbranch_execz .LBB109_109
; %bb.107:
	v_mov_b32_e32 v4, v180
	v_mov_b32_e32 v5, v181
	;; [unrolled: 1-line block ×4, first 2 shown]
	ds_write_b64 v1, v[146:147]
	ds_write2_b64 v38, v[4:5], v[6:7] offset0:22 offset1:23
	v_mov_b32_e32 v4, v178
	v_mov_b32_e32 v5, v179
	v_mov_b32_e32 v6, v142
	v_mov_b32_e32 v7, v143
	ds_write2_b64 v38, v[4:5], v[6:7] offset0:24 offset1:25
	v_mov_b32_e32 v4, v176
	v_mov_b32_e32 v5, v177
	v_mov_b32_e32 v6, v140
	v_mov_b32_e32 v7, v141
	ds_write2_b64 v38, v[4:5], v[6:7] offset0:26 offset1:27
	v_mov_b32_e32 v4, v174
	v_mov_b32_e32 v5, v175
	v_mov_b32_e32 v6, v138
	v_mov_b32_e32 v7, v139
	ds_write2_b64 v38, v[4:5], v[6:7] offset0:28 offset1:29
	v_mov_b32_e32 v4, v172
	v_mov_b32_e32 v5, v173
	v_mov_b32_e32 v6, v136
	v_mov_b32_e32 v7, v137
	ds_write2_b64 v38, v[4:5], v[6:7] offset0:30 offset1:31
	v_mov_b32_e32 v4, v170
	v_mov_b32_e32 v5, v171
	v_mov_b32_e32 v6, v134
	v_mov_b32_e32 v7, v135
	ds_write2_b64 v38, v[4:5], v[6:7] offset0:32 offset1:33
	v_mov_b32_e32 v4, v168
	v_mov_b32_e32 v5, v169
	v_mov_b32_e32 v6, v132
	v_mov_b32_e32 v7, v133
	ds_write2_b64 v38, v[4:5], v[6:7] offset0:34 offset1:35
	v_mov_b32_e32 v4, v166
	v_mov_b32_e32 v5, v167
	v_mov_b32_e32 v6, v130
	v_mov_b32_e32 v7, v131
	ds_write2_b64 v38, v[4:5], v[6:7] offset0:36 offset1:37
	v_mov_b32_e32 v4, v164
	v_mov_b32_e32 v5, v165
	v_mov_b32_e32 v6, v128
	v_mov_b32_e32 v7, v129
	ds_write2_b64 v38, v[4:5], v[6:7] offset0:38 offset1:39
	v_mov_b32_e32 v4, v162
	v_mov_b32_e32 v5, v163
	v_mov_b32_e32 v6, v126
	v_mov_b32_e32 v7, v127
	ds_write2_b64 v38, v[4:5], v[6:7] offset0:40 offset1:41
	v_mov_b32_e32 v4, v160
	v_mov_b32_e32 v5, v161
	v_mov_b32_e32 v6, v124
	v_mov_b32_e32 v7, v125
	ds_write2_b64 v38, v[4:5], v[6:7] offset0:42 offset1:43
	v_mov_b32_e32 v4, v158
	v_mov_b32_e32 v5, v159
	v_mov_b32_e32 v6, v122
	v_mov_b32_e32 v7, v123
	ds_write2_b64 v38, v[4:5], v[6:7] offset0:44 offset1:45
	v_mov_b32_e32 v4, v156
	v_mov_b32_e32 v5, v157
	v_mov_b32_e32 v6, v120
	v_mov_b32_e32 v7, v121
	ds_write2_b64 v38, v[4:5], v[6:7] offset0:46 offset1:47
	v_mov_b32_e32 v4, v154
	v_mov_b32_e32 v5, v155
	v_mov_b32_e32 v6, v118
	v_mov_b32_e32 v7, v119
	ds_write2_b64 v38, v[4:5], v[6:7] offset0:48 offset1:49
	v_mov_b32_e32 v4, v152
	v_mov_b32_e32 v5, v153
	v_mov_b32_e32 v6, v116
	v_mov_b32_e32 v7, v117
	ds_write2_b64 v38, v[4:5], v[6:7] offset0:50 offset1:51
	v_mov_b32_e32 v4, v150
	v_mov_b32_e32 v5, v151
	v_mov_b32_e32 v6, v114
	v_mov_b32_e32 v7, v115
	ds_write2_b64 v38, v[4:5], v[6:7] offset0:52 offset1:53
	ds_write_b64 v38, v[222:223] offset:432
	ds_read_b64 v[4:5], v1
	s_waitcnt lgkmcnt(0)
	v_cmp_neq_f64_e32 vcc_lo, 0, v[4:5]
	s_and_b32 exec_lo, exec_lo, vcc_lo
	s_cbranch_execz .LBB109_109
; %bb.108:
	v_div_scale_f64 v[6:7], null, v[4:5], v[4:5], 1.0
	v_rcp_f64_e32 v[8:9], v[6:7]
	v_fma_f64 v[10:11], -v[6:7], v[8:9], 1.0
	v_fma_f64 v[8:9], v[8:9], v[10:11], v[8:9]
	v_fma_f64 v[10:11], -v[6:7], v[8:9], 1.0
	v_fma_f64 v[8:9], v[8:9], v[10:11], v[8:9]
	v_div_scale_f64 v[10:11], vcc_lo, 1.0, v[4:5], 1.0
	v_mul_f64 v[12:13], v[10:11], v[8:9]
	v_fma_f64 v[6:7], -v[6:7], v[12:13], v[10:11]
	v_div_fmas_f64 v[6:7], v[6:7], v[8:9], v[12:13]
	v_div_fixup_f64 v[4:5], v[6:7], v[4:5], 1.0
	ds_write_b64 v1, v[4:5]
.LBB109_109:
	s_or_b32 exec_lo, exec_lo, s1
	s_waitcnt lgkmcnt(0)
	s_barrier
	buffer_gl0_inv
	ds_read_b64 v[111:112], v1
	s_mov_b32 s1, exec_lo
	v_cmpx_lt_u32_e32 21, v0
	s_cbranch_execz .LBB109_111
; %bb.110:
	s_waitcnt lgkmcnt(0)
	v_mul_f64 v[146:147], v[111:112], v[146:147]
	ds_read2_b64 v[4:7], v38 offset0:22 offset1:23
	s_waitcnt lgkmcnt(0)
	v_fma_f64 v[180:181], -v[146:147], v[4:5], v[180:181]
	v_fma_f64 v[144:145], -v[146:147], v[6:7], v[144:145]
	ds_read2_b64 v[4:7], v38 offset0:24 offset1:25
	s_waitcnt lgkmcnt(0)
	v_fma_f64 v[178:179], -v[146:147], v[4:5], v[178:179]
	v_fma_f64 v[142:143], -v[146:147], v[6:7], v[142:143]
	;; [unrolled: 4-line block ×15, first 2 shown]
	ds_read2_b64 v[4:7], v38 offset0:52 offset1:53
	s_waitcnt lgkmcnt(0)
	v_fma_f64 v[150:151], -v[146:147], v[4:5], v[150:151]
	ds_read_b64 v[4:5], v38 offset:432
	v_fma_f64 v[114:115], -v[146:147], v[6:7], v[114:115]
	s_waitcnt lgkmcnt(0)
	v_fma_f64 v[222:223], -v[146:147], v[4:5], v[222:223]
.LBB109_111:
	s_or_b32 exec_lo, exec_lo, s1
	s_mov_b32 s1, exec_lo
	s_waitcnt lgkmcnt(0)
	s_barrier
	buffer_gl0_inv
	v_cmpx_eq_u32_e32 22, v0
	s_cbranch_execz .LBB109_114
; %bb.112:
	ds_write_b64 v1, v[180:181]
	ds_write2_b64 v38, v[144:145], v[178:179] offset0:23 offset1:24
	ds_write2_b64 v38, v[142:143], v[176:177] offset0:25 offset1:26
	;; [unrolled: 1-line block ×16, first 2 shown]
	ds_read_b64 v[4:5], v1
	s_waitcnt lgkmcnt(0)
	v_cmp_neq_f64_e32 vcc_lo, 0, v[4:5]
	s_and_b32 exec_lo, exec_lo, vcc_lo
	s_cbranch_execz .LBB109_114
; %bb.113:
	v_div_scale_f64 v[6:7], null, v[4:5], v[4:5], 1.0
	v_rcp_f64_e32 v[8:9], v[6:7]
	v_fma_f64 v[10:11], -v[6:7], v[8:9], 1.0
	v_fma_f64 v[8:9], v[8:9], v[10:11], v[8:9]
	v_fma_f64 v[10:11], -v[6:7], v[8:9], 1.0
	v_fma_f64 v[8:9], v[8:9], v[10:11], v[8:9]
	v_div_scale_f64 v[10:11], vcc_lo, 1.0, v[4:5], 1.0
	v_mul_f64 v[12:13], v[10:11], v[8:9]
	v_fma_f64 v[6:7], -v[6:7], v[12:13], v[10:11]
	v_div_fmas_f64 v[6:7], v[6:7], v[8:9], v[12:13]
	v_div_fixup_f64 v[4:5], v[6:7], v[4:5], 1.0
	ds_write_b64 v1, v[4:5]
.LBB109_114:
	s_or_b32 exec_lo, exec_lo, s1
	s_waitcnt lgkmcnt(0)
	s_barrier
	buffer_gl0_inv
	ds_read_b64 v[236:237], v1
	s_mov_b32 s1, exec_lo
	v_cmpx_lt_u32_e32 22, v0
	s_cbranch_execz .LBB109_116
; %bb.115:
	s_waitcnt lgkmcnt(0)
	v_mul_f64 v[180:181], v[236:237], v[180:181]
	ds_read2_b64 v[4:7], v38 offset0:23 offset1:24
	s_waitcnt lgkmcnt(0)
	v_fma_f64 v[144:145], -v[180:181], v[4:5], v[144:145]
	v_fma_f64 v[178:179], -v[180:181], v[6:7], v[178:179]
	ds_read2_b64 v[4:7], v38 offset0:25 offset1:26
	s_waitcnt lgkmcnt(0)
	v_fma_f64 v[142:143], -v[180:181], v[4:5], v[142:143]
	v_fma_f64 v[176:177], -v[180:181], v[6:7], v[176:177]
	;; [unrolled: 4-line block ×16, first 2 shown]
.LBB109_116:
	s_or_b32 exec_lo, exec_lo, s1
	s_mov_b32 s1, exec_lo
	s_waitcnt lgkmcnt(0)
	s_barrier
	buffer_gl0_inv
	v_cmpx_eq_u32_e32 23, v0
	s_cbranch_execz .LBB109_119
; %bb.117:
	v_mov_b32_e32 v4, v178
	v_mov_b32_e32 v5, v179
	;; [unrolled: 1-line block ×4, first 2 shown]
	ds_write_b64 v1, v[144:145]
	ds_write2_b64 v38, v[4:5], v[6:7] offset0:24 offset1:25
	v_mov_b32_e32 v4, v176
	v_mov_b32_e32 v5, v177
	v_mov_b32_e32 v6, v140
	v_mov_b32_e32 v7, v141
	ds_write2_b64 v38, v[4:5], v[6:7] offset0:26 offset1:27
	v_mov_b32_e32 v4, v174
	v_mov_b32_e32 v5, v175
	v_mov_b32_e32 v6, v138
	v_mov_b32_e32 v7, v139
	;; [unrolled: 5-line block ×14, first 2 shown]
	ds_write2_b64 v38, v[4:5], v[6:7] offset0:52 offset1:53
	ds_write_b64 v38, v[222:223] offset:432
	ds_read_b64 v[4:5], v1
	s_waitcnt lgkmcnt(0)
	v_cmp_neq_f64_e32 vcc_lo, 0, v[4:5]
	s_and_b32 exec_lo, exec_lo, vcc_lo
	s_cbranch_execz .LBB109_119
; %bb.118:
	v_div_scale_f64 v[6:7], null, v[4:5], v[4:5], 1.0
	v_rcp_f64_e32 v[8:9], v[6:7]
	v_fma_f64 v[10:11], -v[6:7], v[8:9], 1.0
	v_fma_f64 v[8:9], v[8:9], v[10:11], v[8:9]
	v_fma_f64 v[10:11], -v[6:7], v[8:9], 1.0
	v_fma_f64 v[8:9], v[8:9], v[10:11], v[8:9]
	v_div_scale_f64 v[10:11], vcc_lo, 1.0, v[4:5], 1.0
	v_mul_f64 v[12:13], v[10:11], v[8:9]
	v_fma_f64 v[6:7], -v[6:7], v[12:13], v[10:11]
	v_div_fmas_f64 v[6:7], v[6:7], v[8:9], v[12:13]
	v_div_fixup_f64 v[4:5], v[6:7], v[4:5], 1.0
	ds_write_b64 v1, v[4:5]
.LBB109_119:
	s_or_b32 exec_lo, exec_lo, s1
	s_waitcnt lgkmcnt(0)
	s_barrier
	buffer_gl0_inv
	ds_read_b64 v[238:239], v1
	s_mov_b32 s1, exec_lo
	v_cmpx_lt_u32_e32 23, v0
	s_cbranch_execz .LBB109_121
; %bb.120:
	s_waitcnt lgkmcnt(0)
	v_mul_f64 v[144:145], v[238:239], v[144:145]
	ds_read2_b64 v[4:7], v38 offset0:24 offset1:25
	s_waitcnt lgkmcnt(0)
	v_fma_f64 v[178:179], -v[144:145], v[4:5], v[178:179]
	v_fma_f64 v[142:143], -v[144:145], v[6:7], v[142:143]
	ds_read2_b64 v[4:7], v38 offset0:26 offset1:27
	s_waitcnt lgkmcnt(0)
	v_fma_f64 v[176:177], -v[144:145], v[4:5], v[176:177]
	v_fma_f64 v[140:141], -v[144:145], v[6:7], v[140:141]
	;; [unrolled: 4-line block ×14, first 2 shown]
	ds_read2_b64 v[4:7], v38 offset0:52 offset1:53
	s_waitcnt lgkmcnt(0)
	v_fma_f64 v[150:151], -v[144:145], v[4:5], v[150:151]
	ds_read_b64 v[4:5], v38 offset:432
	v_fma_f64 v[114:115], -v[144:145], v[6:7], v[114:115]
	s_waitcnt lgkmcnt(0)
	v_fma_f64 v[222:223], -v[144:145], v[4:5], v[222:223]
.LBB109_121:
	s_or_b32 exec_lo, exec_lo, s1
	s_mov_b32 s1, exec_lo
	s_waitcnt lgkmcnt(0)
	s_barrier
	buffer_gl0_inv
	v_cmpx_eq_u32_e32 24, v0
	s_cbranch_execz .LBB109_124
; %bb.122:
	ds_write_b64 v1, v[178:179]
	ds_write2_b64 v38, v[142:143], v[176:177] offset0:25 offset1:26
	ds_write2_b64 v38, v[140:141], v[174:175] offset0:27 offset1:28
	;; [unrolled: 1-line block ×15, first 2 shown]
	ds_read_b64 v[4:5], v1
	s_waitcnt lgkmcnt(0)
	v_cmp_neq_f64_e32 vcc_lo, 0, v[4:5]
	s_and_b32 exec_lo, exec_lo, vcc_lo
	s_cbranch_execz .LBB109_124
; %bb.123:
	v_div_scale_f64 v[6:7], null, v[4:5], v[4:5], 1.0
	v_rcp_f64_e32 v[8:9], v[6:7]
	v_fma_f64 v[10:11], -v[6:7], v[8:9], 1.0
	v_fma_f64 v[8:9], v[8:9], v[10:11], v[8:9]
	v_fma_f64 v[10:11], -v[6:7], v[8:9], 1.0
	v_fma_f64 v[8:9], v[8:9], v[10:11], v[8:9]
	v_div_scale_f64 v[10:11], vcc_lo, 1.0, v[4:5], 1.0
	v_mul_f64 v[12:13], v[10:11], v[8:9]
	v_fma_f64 v[6:7], -v[6:7], v[12:13], v[10:11]
	v_div_fmas_f64 v[6:7], v[6:7], v[8:9], v[12:13]
	v_div_fixup_f64 v[4:5], v[6:7], v[4:5], 1.0
	ds_write_b64 v1, v[4:5]
.LBB109_124:
	s_or_b32 exec_lo, exec_lo, s1
	s_waitcnt lgkmcnt(0)
	s_barrier
	buffer_gl0_inv
	ds_read_b64 v[240:241], v1
	s_mov_b32 s1, exec_lo
	v_cmpx_lt_u32_e32 24, v0
	s_cbranch_execz .LBB109_126
; %bb.125:
	s_waitcnt lgkmcnt(0)
	v_mul_f64 v[178:179], v[240:241], v[178:179]
	ds_read2_b64 v[4:7], v38 offset0:25 offset1:26
	s_waitcnt lgkmcnt(0)
	v_fma_f64 v[142:143], -v[178:179], v[4:5], v[142:143]
	v_fma_f64 v[176:177], -v[178:179], v[6:7], v[176:177]
	ds_read2_b64 v[4:7], v38 offset0:27 offset1:28
	s_waitcnt lgkmcnt(0)
	v_fma_f64 v[140:141], -v[178:179], v[4:5], v[140:141]
	v_fma_f64 v[174:175], -v[178:179], v[6:7], v[174:175]
	;; [unrolled: 4-line block ×15, first 2 shown]
.LBB109_126:
	s_or_b32 exec_lo, exec_lo, s1
	s_mov_b32 s1, exec_lo
	s_waitcnt lgkmcnt(0)
	s_barrier
	buffer_gl0_inv
	v_cmpx_eq_u32_e32 25, v0
	s_cbranch_execz .LBB109_129
; %bb.127:
	v_mov_b32_e32 v4, v176
	v_mov_b32_e32 v5, v177
	;; [unrolled: 1-line block ×4, first 2 shown]
	ds_write_b64 v1, v[142:143]
	ds_write2_b64 v38, v[4:5], v[6:7] offset0:26 offset1:27
	v_mov_b32_e32 v4, v174
	v_mov_b32_e32 v5, v175
	v_mov_b32_e32 v6, v138
	v_mov_b32_e32 v7, v139
	ds_write2_b64 v38, v[4:5], v[6:7] offset0:28 offset1:29
	v_mov_b32_e32 v4, v172
	v_mov_b32_e32 v5, v173
	v_mov_b32_e32 v6, v136
	v_mov_b32_e32 v7, v137
	;; [unrolled: 5-line block ×13, first 2 shown]
	ds_write2_b64 v38, v[4:5], v[6:7] offset0:52 offset1:53
	ds_write_b64 v38, v[222:223] offset:432
	ds_read_b64 v[4:5], v1
	s_waitcnt lgkmcnt(0)
	v_cmp_neq_f64_e32 vcc_lo, 0, v[4:5]
	s_and_b32 exec_lo, exec_lo, vcc_lo
	s_cbranch_execz .LBB109_129
; %bb.128:
	v_div_scale_f64 v[6:7], null, v[4:5], v[4:5], 1.0
	v_rcp_f64_e32 v[8:9], v[6:7]
	v_fma_f64 v[10:11], -v[6:7], v[8:9], 1.0
	v_fma_f64 v[8:9], v[8:9], v[10:11], v[8:9]
	v_fma_f64 v[10:11], -v[6:7], v[8:9], 1.0
	v_fma_f64 v[8:9], v[8:9], v[10:11], v[8:9]
	v_div_scale_f64 v[10:11], vcc_lo, 1.0, v[4:5], 1.0
	v_mul_f64 v[12:13], v[10:11], v[8:9]
	v_fma_f64 v[6:7], -v[6:7], v[12:13], v[10:11]
	v_div_fmas_f64 v[6:7], v[6:7], v[8:9], v[12:13]
	v_div_fixup_f64 v[4:5], v[6:7], v[4:5], 1.0
	ds_write_b64 v1, v[4:5]
.LBB109_129:
	s_or_b32 exec_lo, exec_lo, s1
	s_waitcnt lgkmcnt(0)
	s_barrier
	buffer_gl0_inv
	ds_read_b64 v[242:243], v1
	s_mov_b32 s1, exec_lo
	v_cmpx_lt_u32_e32 25, v0
	s_cbranch_execz .LBB109_131
; %bb.130:
	s_waitcnt lgkmcnt(0)
	v_mul_f64 v[142:143], v[242:243], v[142:143]
	ds_read2_b64 v[4:7], v38 offset0:26 offset1:27
	s_waitcnt lgkmcnt(0)
	v_fma_f64 v[176:177], -v[142:143], v[4:5], v[176:177]
	v_fma_f64 v[140:141], -v[142:143], v[6:7], v[140:141]
	ds_read2_b64 v[4:7], v38 offset0:28 offset1:29
	s_waitcnt lgkmcnt(0)
	v_fma_f64 v[174:175], -v[142:143], v[4:5], v[174:175]
	v_fma_f64 v[138:139], -v[142:143], v[6:7], v[138:139]
	;; [unrolled: 4-line block ×13, first 2 shown]
	ds_read2_b64 v[4:7], v38 offset0:52 offset1:53
	s_waitcnt lgkmcnt(0)
	v_fma_f64 v[150:151], -v[142:143], v[4:5], v[150:151]
	ds_read_b64 v[4:5], v38 offset:432
	v_fma_f64 v[114:115], -v[142:143], v[6:7], v[114:115]
	s_waitcnt lgkmcnt(0)
	v_fma_f64 v[222:223], -v[142:143], v[4:5], v[222:223]
.LBB109_131:
	s_or_b32 exec_lo, exec_lo, s1
	s_mov_b32 s1, exec_lo
	s_waitcnt lgkmcnt(0)
	s_barrier
	buffer_gl0_inv
	v_cmpx_eq_u32_e32 26, v0
	s_cbranch_execz .LBB109_134
; %bb.132:
	ds_write_b64 v1, v[176:177]
	ds_write2_b64 v38, v[140:141], v[174:175] offset0:27 offset1:28
	ds_write2_b64 v38, v[138:139], v[172:173] offset0:29 offset1:30
	;; [unrolled: 1-line block ×14, first 2 shown]
	ds_read_b64 v[4:5], v1
	s_waitcnt lgkmcnt(0)
	v_cmp_neq_f64_e32 vcc_lo, 0, v[4:5]
	s_and_b32 exec_lo, exec_lo, vcc_lo
	s_cbranch_execz .LBB109_134
; %bb.133:
	v_div_scale_f64 v[6:7], null, v[4:5], v[4:5], 1.0
	v_rcp_f64_e32 v[8:9], v[6:7]
	v_fma_f64 v[10:11], -v[6:7], v[8:9], 1.0
	v_fma_f64 v[8:9], v[8:9], v[10:11], v[8:9]
	v_fma_f64 v[10:11], -v[6:7], v[8:9], 1.0
	v_fma_f64 v[8:9], v[8:9], v[10:11], v[8:9]
	v_div_scale_f64 v[10:11], vcc_lo, 1.0, v[4:5], 1.0
	v_mul_f64 v[12:13], v[10:11], v[8:9]
	v_fma_f64 v[6:7], -v[6:7], v[12:13], v[10:11]
	v_div_fmas_f64 v[6:7], v[6:7], v[8:9], v[12:13]
	v_div_fixup_f64 v[4:5], v[6:7], v[4:5], 1.0
	ds_write_b64 v1, v[4:5]
.LBB109_134:
	s_or_b32 exec_lo, exec_lo, s1
	s_waitcnt lgkmcnt(0)
	s_barrier
	buffer_gl0_inv
	ds_read_b64 v[244:245], v1
	s_mov_b32 s1, exec_lo
	v_cmpx_lt_u32_e32 26, v0
	s_cbranch_execz .LBB109_136
; %bb.135:
	s_waitcnt lgkmcnt(0)
	v_mul_f64 v[176:177], v[244:245], v[176:177]
	ds_read2_b64 v[4:7], v38 offset0:27 offset1:28
	s_waitcnt lgkmcnt(0)
	v_fma_f64 v[140:141], -v[176:177], v[4:5], v[140:141]
	v_fma_f64 v[174:175], -v[176:177], v[6:7], v[174:175]
	ds_read2_b64 v[4:7], v38 offset0:29 offset1:30
	s_waitcnt lgkmcnt(0)
	v_fma_f64 v[138:139], -v[176:177], v[4:5], v[138:139]
	v_fma_f64 v[172:173], -v[176:177], v[6:7], v[172:173]
	;; [unrolled: 4-line block ×14, first 2 shown]
.LBB109_136:
	s_or_b32 exec_lo, exec_lo, s1
	s_mov_b32 s1, exec_lo
	s_waitcnt lgkmcnt(0)
	s_barrier
	buffer_gl0_inv
	v_cmpx_eq_u32_e32 27, v0
	s_cbranch_execz .LBB109_139
; %bb.137:
	v_mov_b32_e32 v4, v174
	v_mov_b32_e32 v5, v175
	;; [unrolled: 1-line block ×4, first 2 shown]
	ds_write_b64 v1, v[140:141]
	ds_write2_b64 v38, v[4:5], v[6:7] offset0:28 offset1:29
	v_mov_b32_e32 v4, v172
	v_mov_b32_e32 v5, v173
	v_mov_b32_e32 v6, v136
	v_mov_b32_e32 v7, v137
	ds_write2_b64 v38, v[4:5], v[6:7] offset0:30 offset1:31
	v_mov_b32_e32 v4, v170
	v_mov_b32_e32 v5, v171
	v_mov_b32_e32 v6, v134
	v_mov_b32_e32 v7, v135
	;; [unrolled: 5-line block ×12, first 2 shown]
	ds_write2_b64 v38, v[4:5], v[6:7] offset0:52 offset1:53
	ds_write_b64 v38, v[222:223] offset:432
	ds_read_b64 v[4:5], v1
	s_waitcnt lgkmcnt(0)
	v_cmp_neq_f64_e32 vcc_lo, 0, v[4:5]
	s_and_b32 exec_lo, exec_lo, vcc_lo
	s_cbranch_execz .LBB109_139
; %bb.138:
	v_div_scale_f64 v[6:7], null, v[4:5], v[4:5], 1.0
	v_rcp_f64_e32 v[8:9], v[6:7]
	v_fma_f64 v[10:11], -v[6:7], v[8:9], 1.0
	v_fma_f64 v[8:9], v[8:9], v[10:11], v[8:9]
	v_fma_f64 v[10:11], -v[6:7], v[8:9], 1.0
	v_fma_f64 v[8:9], v[8:9], v[10:11], v[8:9]
	v_div_scale_f64 v[10:11], vcc_lo, 1.0, v[4:5], 1.0
	v_mul_f64 v[12:13], v[10:11], v[8:9]
	v_fma_f64 v[6:7], -v[6:7], v[12:13], v[10:11]
	v_div_fmas_f64 v[6:7], v[6:7], v[8:9], v[12:13]
	v_div_fixup_f64 v[4:5], v[6:7], v[4:5], 1.0
	ds_write_b64 v1, v[4:5]
.LBB109_139:
	s_or_b32 exec_lo, exec_lo, s1
	s_waitcnt lgkmcnt(0)
	s_barrier
	buffer_gl0_inv
	ds_read_b64 v[246:247], v1
	s_mov_b32 s1, exec_lo
	v_cmpx_lt_u32_e32 27, v0
	s_cbranch_execz .LBB109_141
; %bb.140:
	s_waitcnt lgkmcnt(0)
	v_mul_f64 v[140:141], v[246:247], v[140:141]
	ds_read2_b64 v[4:7], v38 offset0:28 offset1:29
	s_waitcnt lgkmcnt(0)
	v_fma_f64 v[174:175], -v[140:141], v[4:5], v[174:175]
	v_fma_f64 v[138:139], -v[140:141], v[6:7], v[138:139]
	ds_read2_b64 v[4:7], v38 offset0:30 offset1:31
	s_waitcnt lgkmcnt(0)
	v_fma_f64 v[172:173], -v[140:141], v[4:5], v[172:173]
	v_fma_f64 v[136:137], -v[140:141], v[6:7], v[136:137]
	;; [unrolled: 4-line block ×12, first 2 shown]
	ds_read2_b64 v[4:7], v38 offset0:52 offset1:53
	s_waitcnt lgkmcnt(0)
	v_fma_f64 v[150:151], -v[140:141], v[4:5], v[150:151]
	ds_read_b64 v[4:5], v38 offset:432
	v_fma_f64 v[114:115], -v[140:141], v[6:7], v[114:115]
	s_waitcnt lgkmcnt(0)
	v_fma_f64 v[222:223], -v[140:141], v[4:5], v[222:223]
.LBB109_141:
	s_or_b32 exec_lo, exec_lo, s1
	s_mov_b32 s1, exec_lo
	s_waitcnt lgkmcnt(0)
	s_barrier
	buffer_gl0_inv
	v_cmpx_eq_u32_e32 28, v0
	s_cbranch_execz .LBB109_144
; %bb.142:
	ds_write_b64 v1, v[174:175]
	ds_write2_b64 v38, v[138:139], v[172:173] offset0:29 offset1:30
	ds_write2_b64 v38, v[136:137], v[170:171] offset0:31 offset1:32
	ds_write2_b64 v38, v[134:135], v[168:169] offset0:33 offset1:34
	ds_write2_b64 v38, v[132:133], v[166:167] offset0:35 offset1:36
	ds_write2_b64 v38, v[130:131], v[164:165] offset0:37 offset1:38
	ds_write2_b64 v38, v[128:129], v[162:163] offset0:39 offset1:40
	ds_write2_b64 v38, v[126:127], v[160:161] offset0:41 offset1:42
	ds_write2_b64 v38, v[124:125], v[158:159] offset0:43 offset1:44
	ds_write2_b64 v38, v[122:123], v[156:157] offset0:45 offset1:46
	ds_write2_b64 v38, v[120:121], v[154:155] offset0:47 offset1:48
	ds_write2_b64 v38, v[118:119], v[152:153] offset0:49 offset1:50
	ds_write2_b64 v38, v[116:117], v[150:151] offset0:51 offset1:52
	ds_write2_b64 v38, v[114:115], v[222:223] offset0:53 offset1:54
	ds_read_b64 v[4:5], v1
	s_waitcnt lgkmcnt(0)
	v_cmp_neq_f64_e32 vcc_lo, 0, v[4:5]
	s_and_b32 exec_lo, exec_lo, vcc_lo
	s_cbranch_execz .LBB109_144
; %bb.143:
	v_div_scale_f64 v[6:7], null, v[4:5], v[4:5], 1.0
	v_rcp_f64_e32 v[8:9], v[6:7]
	v_fma_f64 v[10:11], -v[6:7], v[8:9], 1.0
	v_fma_f64 v[8:9], v[8:9], v[10:11], v[8:9]
	v_fma_f64 v[10:11], -v[6:7], v[8:9], 1.0
	v_fma_f64 v[8:9], v[8:9], v[10:11], v[8:9]
	v_div_scale_f64 v[10:11], vcc_lo, 1.0, v[4:5], 1.0
	v_mul_f64 v[12:13], v[10:11], v[8:9]
	v_fma_f64 v[6:7], -v[6:7], v[12:13], v[10:11]
	v_div_fmas_f64 v[6:7], v[6:7], v[8:9], v[12:13]
	v_div_fixup_f64 v[4:5], v[6:7], v[4:5], 1.0
	ds_write_b64 v1, v[4:5]
.LBB109_144:
	s_or_b32 exec_lo, exec_lo, s1
	s_waitcnt lgkmcnt(0)
	s_barrier
	buffer_gl0_inv
	ds_read_b64 v[109:110], v1
	s_mov_b32 s1, exec_lo
	v_cmpx_lt_u32_e32 28, v0
	s_cbranch_execz .LBB109_146
; %bb.145:
	s_waitcnt lgkmcnt(0)
	v_mul_f64 v[174:175], v[109:110], v[174:175]
	ds_read2_b64 v[4:7], v38 offset0:29 offset1:30
	s_waitcnt lgkmcnt(0)
	v_fma_f64 v[138:139], -v[174:175], v[4:5], v[138:139]
	v_fma_f64 v[172:173], -v[174:175], v[6:7], v[172:173]
	ds_read2_b64 v[4:7], v38 offset0:31 offset1:32
	s_waitcnt lgkmcnt(0)
	v_fma_f64 v[136:137], -v[174:175], v[4:5], v[136:137]
	v_fma_f64 v[170:171], -v[174:175], v[6:7], v[170:171]
	;; [unrolled: 4-line block ×13, first 2 shown]
.LBB109_146:
	s_or_b32 exec_lo, exec_lo, s1
	s_mov_b32 s1, exec_lo
	s_waitcnt lgkmcnt(0)
	s_barrier
	buffer_gl0_inv
	v_cmpx_eq_u32_e32 29, v0
	s_cbranch_execz .LBB109_149
; %bb.147:
	v_mov_b32_e32 v4, v172
	v_mov_b32_e32 v5, v173
	;; [unrolled: 1-line block ×4, first 2 shown]
	ds_write_b64 v1, v[138:139]
	ds_write2_b64 v38, v[4:5], v[6:7] offset0:30 offset1:31
	v_mov_b32_e32 v4, v170
	v_mov_b32_e32 v5, v171
	v_mov_b32_e32 v6, v134
	v_mov_b32_e32 v7, v135
	ds_write2_b64 v38, v[4:5], v[6:7] offset0:32 offset1:33
	v_mov_b32_e32 v4, v168
	v_mov_b32_e32 v5, v169
	v_mov_b32_e32 v6, v132
	v_mov_b32_e32 v7, v133
	;; [unrolled: 5-line block ×11, first 2 shown]
	ds_write2_b64 v38, v[4:5], v[6:7] offset0:52 offset1:53
	ds_write_b64 v38, v[222:223] offset:432
	ds_read_b64 v[4:5], v1
	s_waitcnt lgkmcnt(0)
	v_cmp_neq_f64_e32 vcc_lo, 0, v[4:5]
	s_and_b32 exec_lo, exec_lo, vcc_lo
	s_cbranch_execz .LBB109_149
; %bb.148:
	v_div_scale_f64 v[6:7], null, v[4:5], v[4:5], 1.0
	v_rcp_f64_e32 v[8:9], v[6:7]
	v_fma_f64 v[10:11], -v[6:7], v[8:9], 1.0
	v_fma_f64 v[8:9], v[8:9], v[10:11], v[8:9]
	v_fma_f64 v[10:11], -v[6:7], v[8:9], 1.0
	v_fma_f64 v[8:9], v[8:9], v[10:11], v[8:9]
	v_div_scale_f64 v[10:11], vcc_lo, 1.0, v[4:5], 1.0
	v_mul_f64 v[12:13], v[10:11], v[8:9]
	v_fma_f64 v[6:7], -v[6:7], v[12:13], v[10:11]
	v_div_fmas_f64 v[6:7], v[6:7], v[8:9], v[12:13]
	v_div_fixup_f64 v[4:5], v[6:7], v[4:5], 1.0
	ds_write_b64 v1, v[4:5]
.LBB109_149:
	s_or_b32 exec_lo, exec_lo, s1
	s_waitcnt lgkmcnt(0)
	s_barrier
	buffer_gl0_inv
	ds_read_b64 v[250:251], v1
	s_mov_b32 s1, exec_lo
	v_cmpx_lt_u32_e32 29, v0
	s_cbranch_execz .LBB109_151
; %bb.150:
	s_waitcnt lgkmcnt(0)
	v_mul_f64 v[138:139], v[250:251], v[138:139]
	ds_read2_b64 v[4:7], v38 offset0:30 offset1:31
	s_waitcnt lgkmcnt(0)
	v_fma_f64 v[172:173], -v[138:139], v[4:5], v[172:173]
	v_fma_f64 v[136:137], -v[138:139], v[6:7], v[136:137]
	ds_read2_b64 v[4:7], v38 offset0:32 offset1:33
	s_waitcnt lgkmcnt(0)
	v_fma_f64 v[170:171], -v[138:139], v[4:5], v[170:171]
	v_fma_f64 v[134:135], -v[138:139], v[6:7], v[134:135]
	;; [unrolled: 4-line block ×11, first 2 shown]
	ds_read2_b64 v[4:7], v38 offset0:52 offset1:53
	s_waitcnt lgkmcnt(0)
	v_fma_f64 v[150:151], -v[138:139], v[4:5], v[150:151]
	ds_read_b64 v[4:5], v38 offset:432
	v_fma_f64 v[114:115], -v[138:139], v[6:7], v[114:115]
	s_waitcnt lgkmcnt(0)
	v_fma_f64 v[222:223], -v[138:139], v[4:5], v[222:223]
.LBB109_151:
	s_or_b32 exec_lo, exec_lo, s1
	s_mov_b32 s1, exec_lo
	s_waitcnt lgkmcnt(0)
	s_barrier
	buffer_gl0_inv
	v_cmpx_eq_u32_e32 30, v0
	s_cbranch_execz .LBB109_154
; %bb.152:
	ds_write_b64 v1, v[172:173]
	ds_write2_b64 v38, v[136:137], v[170:171] offset0:31 offset1:32
	ds_write2_b64 v38, v[134:135], v[168:169] offset0:33 offset1:34
	;; [unrolled: 1-line block ×12, first 2 shown]
	ds_read_b64 v[4:5], v1
	s_waitcnt lgkmcnt(0)
	v_cmp_neq_f64_e32 vcc_lo, 0, v[4:5]
	s_and_b32 exec_lo, exec_lo, vcc_lo
	s_cbranch_execz .LBB109_154
; %bb.153:
	v_div_scale_f64 v[6:7], null, v[4:5], v[4:5], 1.0
	v_rcp_f64_e32 v[8:9], v[6:7]
	v_fma_f64 v[10:11], -v[6:7], v[8:9], 1.0
	v_fma_f64 v[8:9], v[8:9], v[10:11], v[8:9]
	v_fma_f64 v[10:11], -v[6:7], v[8:9], 1.0
	v_fma_f64 v[8:9], v[8:9], v[10:11], v[8:9]
	v_div_scale_f64 v[10:11], vcc_lo, 1.0, v[4:5], 1.0
	v_mul_f64 v[12:13], v[10:11], v[8:9]
	v_fma_f64 v[6:7], -v[6:7], v[12:13], v[10:11]
	v_div_fmas_f64 v[6:7], v[6:7], v[8:9], v[12:13]
	v_div_fixup_f64 v[4:5], v[6:7], v[4:5], 1.0
	ds_write_b64 v1, v[4:5]
.LBB109_154:
	s_or_b32 exec_lo, exec_lo, s1
	s_waitcnt lgkmcnt(0)
	s_barrier
	buffer_gl0_inv
	ds_read_b64 v[252:253], v1
	s_mov_b32 s1, exec_lo
	v_cmpx_lt_u32_e32 30, v0
	s_cbranch_execz .LBB109_156
; %bb.155:
	s_waitcnt lgkmcnt(0)
	v_mul_f64 v[172:173], v[252:253], v[172:173]
	ds_read2_b64 v[4:7], v38 offset0:31 offset1:32
	s_waitcnt lgkmcnt(0)
	v_fma_f64 v[136:137], -v[172:173], v[4:5], v[136:137]
	v_fma_f64 v[170:171], -v[172:173], v[6:7], v[170:171]
	ds_read2_b64 v[4:7], v38 offset0:33 offset1:34
	s_waitcnt lgkmcnt(0)
	v_fma_f64 v[134:135], -v[172:173], v[4:5], v[134:135]
	v_fma_f64 v[168:169], -v[172:173], v[6:7], v[168:169]
	;; [unrolled: 4-line block ×12, first 2 shown]
.LBB109_156:
	s_or_b32 exec_lo, exec_lo, s1
	s_mov_b32 s1, exec_lo
	s_waitcnt lgkmcnt(0)
	s_barrier
	buffer_gl0_inv
	v_cmpx_eq_u32_e32 31, v0
	s_cbranch_execz .LBB109_159
; %bb.157:
	v_mov_b32_e32 v4, v170
	v_mov_b32_e32 v5, v171
	v_mov_b32_e32 v6, v134
	v_mov_b32_e32 v7, v135
	ds_write_b64 v1, v[136:137]
	ds_write2_b64 v38, v[4:5], v[6:7] offset0:32 offset1:33
	v_mov_b32_e32 v4, v168
	v_mov_b32_e32 v5, v169
	v_mov_b32_e32 v6, v132
	v_mov_b32_e32 v7, v133
	ds_write2_b64 v38, v[4:5], v[6:7] offset0:34 offset1:35
	v_mov_b32_e32 v4, v166
	v_mov_b32_e32 v5, v167
	v_mov_b32_e32 v6, v130
	v_mov_b32_e32 v7, v131
	;; [unrolled: 5-line block ×10, first 2 shown]
	ds_write2_b64 v38, v[4:5], v[6:7] offset0:52 offset1:53
	ds_write_b64 v38, v[222:223] offset:432
	ds_read_b64 v[4:5], v1
	s_waitcnt lgkmcnt(0)
	v_cmp_neq_f64_e32 vcc_lo, 0, v[4:5]
	s_and_b32 exec_lo, exec_lo, vcc_lo
	s_cbranch_execz .LBB109_159
; %bb.158:
	v_div_scale_f64 v[6:7], null, v[4:5], v[4:5], 1.0
	v_rcp_f64_e32 v[8:9], v[6:7]
	v_fma_f64 v[10:11], -v[6:7], v[8:9], 1.0
	v_fma_f64 v[8:9], v[8:9], v[10:11], v[8:9]
	v_fma_f64 v[10:11], -v[6:7], v[8:9], 1.0
	v_fma_f64 v[8:9], v[8:9], v[10:11], v[8:9]
	v_div_scale_f64 v[10:11], vcc_lo, 1.0, v[4:5], 1.0
	v_mul_f64 v[12:13], v[10:11], v[8:9]
	v_fma_f64 v[6:7], -v[6:7], v[12:13], v[10:11]
	v_div_fmas_f64 v[6:7], v[6:7], v[8:9], v[12:13]
	v_div_fixup_f64 v[4:5], v[6:7], v[4:5], 1.0
	ds_write_b64 v1, v[4:5]
.LBB109_159:
	s_or_b32 exec_lo, exec_lo, s1
	s_waitcnt lgkmcnt(0)
	s_barrier
	buffer_gl0_inv
	ds_read_b64 v[254:255], v1
	s_mov_b32 s1, exec_lo
	v_cmpx_lt_u32_e32 31, v0
	s_cbranch_execz .LBB109_161
; %bb.160:
	s_waitcnt lgkmcnt(0)
	v_mul_f64 v[136:137], v[254:255], v[136:137]
	ds_read2_b64 v[4:7], v38 offset0:32 offset1:33
	s_waitcnt lgkmcnt(0)
	v_fma_f64 v[170:171], -v[136:137], v[4:5], v[170:171]
	v_fma_f64 v[134:135], -v[136:137], v[6:7], v[134:135]
	ds_read2_b64 v[4:7], v38 offset0:34 offset1:35
	s_waitcnt lgkmcnt(0)
	v_fma_f64 v[168:169], -v[136:137], v[4:5], v[168:169]
	v_fma_f64 v[132:133], -v[136:137], v[6:7], v[132:133]
	;; [unrolled: 4-line block ×10, first 2 shown]
	ds_read2_b64 v[4:7], v38 offset0:52 offset1:53
	s_waitcnt lgkmcnt(0)
	v_fma_f64 v[150:151], -v[136:137], v[4:5], v[150:151]
	ds_read_b64 v[4:5], v38 offset:432
	v_fma_f64 v[114:115], -v[136:137], v[6:7], v[114:115]
	s_waitcnt lgkmcnt(0)
	v_fma_f64 v[222:223], -v[136:137], v[4:5], v[222:223]
.LBB109_161:
	s_or_b32 exec_lo, exec_lo, s1
	s_mov_b32 s1, exec_lo
	s_waitcnt lgkmcnt(0)
	s_barrier
	buffer_gl0_inv
	v_cmpx_eq_u32_e32 32, v0
	s_cbranch_execz .LBB109_164
; %bb.162:
	ds_write_b64 v1, v[170:171]
	ds_write2_b64 v38, v[134:135], v[168:169] offset0:33 offset1:34
	ds_write2_b64 v38, v[132:133], v[166:167] offset0:35 offset1:36
	;; [unrolled: 1-line block ×11, first 2 shown]
	ds_read_b64 v[4:5], v1
	s_waitcnt lgkmcnt(0)
	v_cmp_neq_f64_e32 vcc_lo, 0, v[4:5]
	s_and_b32 exec_lo, exec_lo, vcc_lo
	s_cbranch_execz .LBB109_164
; %bb.163:
	v_div_scale_f64 v[6:7], null, v[4:5], v[4:5], 1.0
	v_rcp_f64_e32 v[8:9], v[6:7]
	v_fma_f64 v[10:11], -v[6:7], v[8:9], 1.0
	v_fma_f64 v[8:9], v[8:9], v[10:11], v[8:9]
	v_fma_f64 v[10:11], -v[6:7], v[8:9], 1.0
	v_fma_f64 v[8:9], v[8:9], v[10:11], v[8:9]
	v_div_scale_f64 v[10:11], vcc_lo, 1.0, v[4:5], 1.0
	v_mul_f64 v[12:13], v[10:11], v[8:9]
	v_fma_f64 v[6:7], -v[6:7], v[12:13], v[10:11]
	v_div_fmas_f64 v[6:7], v[6:7], v[8:9], v[12:13]
	v_div_fixup_f64 v[4:5], v[6:7], v[4:5], 1.0
	ds_write_b64 v1, v[4:5]
.LBB109_164:
	s_or_b32 exec_lo, exec_lo, s1
	s_waitcnt lgkmcnt(0)
	s_barrier
	buffer_gl0_inv
	ds_read_b64 v[224:225], v1
	s_mov_b32 s1, exec_lo
	v_cmpx_lt_u32_e32 32, v0
	s_cbranch_execz .LBB109_166
; %bb.165:
	s_waitcnt lgkmcnt(0)
	v_mul_f64 v[170:171], v[224:225], v[170:171]
	ds_read2_b64 v[4:7], v38 offset0:33 offset1:34
	s_waitcnt lgkmcnt(0)
	v_fma_f64 v[134:135], -v[170:171], v[4:5], v[134:135]
	v_fma_f64 v[168:169], -v[170:171], v[6:7], v[168:169]
	ds_read2_b64 v[4:7], v38 offset0:35 offset1:36
	s_waitcnt lgkmcnt(0)
	v_fma_f64 v[132:133], -v[170:171], v[4:5], v[132:133]
	v_fma_f64 v[166:167], -v[170:171], v[6:7], v[166:167]
	;; [unrolled: 4-line block ×11, first 2 shown]
.LBB109_166:
	s_or_b32 exec_lo, exec_lo, s1
	s_mov_b32 s1, exec_lo
	s_waitcnt lgkmcnt(0)
	s_barrier
	buffer_gl0_inv
	v_cmpx_eq_u32_e32 33, v0
	s_cbranch_execz .LBB109_169
; %bb.167:
	v_mov_b32_e32 v4, v168
	v_mov_b32_e32 v5, v169
	;; [unrolled: 1-line block ×4, first 2 shown]
	ds_write_b64 v1, v[134:135]
	ds_write2_b64 v38, v[4:5], v[6:7] offset0:34 offset1:35
	v_mov_b32_e32 v4, v166
	v_mov_b32_e32 v5, v167
	v_mov_b32_e32 v6, v130
	v_mov_b32_e32 v7, v131
	ds_write2_b64 v38, v[4:5], v[6:7] offset0:36 offset1:37
	v_mov_b32_e32 v4, v164
	v_mov_b32_e32 v5, v165
	v_mov_b32_e32 v6, v128
	v_mov_b32_e32 v7, v129
	ds_write2_b64 v38, v[4:5], v[6:7] offset0:38 offset1:39
	v_mov_b32_e32 v4, v162
	v_mov_b32_e32 v5, v163
	v_mov_b32_e32 v6, v126
	v_mov_b32_e32 v7, v127
	ds_write2_b64 v38, v[4:5], v[6:7] offset0:40 offset1:41
	v_mov_b32_e32 v4, v160
	v_mov_b32_e32 v5, v161
	v_mov_b32_e32 v6, v124
	v_mov_b32_e32 v7, v125
	ds_write2_b64 v38, v[4:5], v[6:7] offset0:42 offset1:43
	v_mov_b32_e32 v4, v158
	v_mov_b32_e32 v5, v159
	v_mov_b32_e32 v6, v122
	v_mov_b32_e32 v7, v123
	ds_write2_b64 v38, v[4:5], v[6:7] offset0:44 offset1:45
	v_mov_b32_e32 v4, v156
	v_mov_b32_e32 v5, v157
	v_mov_b32_e32 v6, v120
	v_mov_b32_e32 v7, v121
	ds_write2_b64 v38, v[4:5], v[6:7] offset0:46 offset1:47
	v_mov_b32_e32 v4, v154
	v_mov_b32_e32 v5, v155
	v_mov_b32_e32 v6, v118
	v_mov_b32_e32 v7, v119
	ds_write2_b64 v38, v[4:5], v[6:7] offset0:48 offset1:49
	v_mov_b32_e32 v4, v152
	v_mov_b32_e32 v5, v153
	v_mov_b32_e32 v6, v116
	v_mov_b32_e32 v7, v117
	ds_write2_b64 v38, v[4:5], v[6:7] offset0:50 offset1:51
	v_mov_b32_e32 v4, v150
	v_mov_b32_e32 v5, v151
	v_mov_b32_e32 v6, v114
	v_mov_b32_e32 v7, v115
	ds_write2_b64 v38, v[4:5], v[6:7] offset0:52 offset1:53
	ds_write_b64 v38, v[222:223] offset:432
	ds_read_b64 v[4:5], v1
	s_waitcnt lgkmcnt(0)
	v_cmp_neq_f64_e32 vcc_lo, 0, v[4:5]
	s_and_b32 exec_lo, exec_lo, vcc_lo
	s_cbranch_execz .LBB109_169
; %bb.168:
	v_div_scale_f64 v[6:7], null, v[4:5], v[4:5], 1.0
	v_rcp_f64_e32 v[8:9], v[6:7]
	v_fma_f64 v[10:11], -v[6:7], v[8:9], 1.0
	v_fma_f64 v[8:9], v[8:9], v[10:11], v[8:9]
	v_fma_f64 v[10:11], -v[6:7], v[8:9], 1.0
	v_fma_f64 v[8:9], v[8:9], v[10:11], v[8:9]
	v_div_scale_f64 v[10:11], vcc_lo, 1.0, v[4:5], 1.0
	v_mul_f64 v[12:13], v[10:11], v[8:9]
	v_fma_f64 v[6:7], -v[6:7], v[12:13], v[10:11]
	v_div_fmas_f64 v[6:7], v[6:7], v[8:9], v[12:13]
	v_div_fixup_f64 v[4:5], v[6:7], v[4:5], 1.0
	ds_write_b64 v1, v[4:5]
.LBB109_169:
	s_or_b32 exec_lo, exec_lo, s1
	s_waitcnt lgkmcnt(0)
	s_barrier
	buffer_gl0_inv
	ds_read_b64 v[226:227], v1
	s_mov_b32 s1, exec_lo
	v_cmpx_lt_u32_e32 33, v0
	s_cbranch_execz .LBB109_171
; %bb.170:
	s_waitcnt lgkmcnt(0)
	v_mul_f64 v[134:135], v[226:227], v[134:135]
	ds_read2_b64 v[4:7], v38 offset0:34 offset1:35
	s_waitcnt lgkmcnt(0)
	v_fma_f64 v[168:169], -v[134:135], v[4:5], v[168:169]
	v_fma_f64 v[132:133], -v[134:135], v[6:7], v[132:133]
	ds_read2_b64 v[4:7], v38 offset0:36 offset1:37
	s_waitcnt lgkmcnt(0)
	v_fma_f64 v[166:167], -v[134:135], v[4:5], v[166:167]
	v_fma_f64 v[130:131], -v[134:135], v[6:7], v[130:131]
	;; [unrolled: 4-line block ×9, first 2 shown]
	ds_read2_b64 v[4:7], v38 offset0:52 offset1:53
	s_waitcnt lgkmcnt(0)
	v_fma_f64 v[150:151], -v[134:135], v[4:5], v[150:151]
	ds_read_b64 v[4:5], v38 offset:432
	v_fma_f64 v[114:115], -v[134:135], v[6:7], v[114:115]
	s_waitcnt lgkmcnt(0)
	v_fma_f64 v[222:223], -v[134:135], v[4:5], v[222:223]
.LBB109_171:
	s_or_b32 exec_lo, exec_lo, s1
	s_mov_b32 s1, exec_lo
	s_waitcnt lgkmcnt(0)
	s_barrier
	buffer_gl0_inv
	v_cmpx_eq_u32_e32 34, v0
	s_cbranch_execz .LBB109_174
; %bb.172:
	ds_write_b64 v1, v[168:169]
	ds_write2_b64 v38, v[132:133], v[166:167] offset0:35 offset1:36
	ds_write2_b64 v38, v[130:131], v[164:165] offset0:37 offset1:38
	;; [unrolled: 1-line block ×10, first 2 shown]
	ds_read_b64 v[4:5], v1
	s_waitcnt lgkmcnt(0)
	v_cmp_neq_f64_e32 vcc_lo, 0, v[4:5]
	s_and_b32 exec_lo, exec_lo, vcc_lo
	s_cbranch_execz .LBB109_174
; %bb.173:
	v_div_scale_f64 v[6:7], null, v[4:5], v[4:5], 1.0
	v_rcp_f64_e32 v[8:9], v[6:7]
	v_fma_f64 v[10:11], -v[6:7], v[8:9], 1.0
	v_fma_f64 v[8:9], v[8:9], v[10:11], v[8:9]
	v_fma_f64 v[10:11], -v[6:7], v[8:9], 1.0
	v_fma_f64 v[8:9], v[8:9], v[10:11], v[8:9]
	v_div_scale_f64 v[10:11], vcc_lo, 1.0, v[4:5], 1.0
	v_mul_f64 v[12:13], v[10:11], v[8:9]
	v_fma_f64 v[6:7], -v[6:7], v[12:13], v[10:11]
	v_div_fmas_f64 v[6:7], v[6:7], v[8:9], v[12:13]
	v_div_fixup_f64 v[4:5], v[6:7], v[4:5], 1.0
	ds_write_b64 v1, v[4:5]
.LBB109_174:
	s_or_b32 exec_lo, exec_lo, s1
	s_waitcnt lgkmcnt(0)
	s_barrier
	buffer_gl0_inv
	ds_read_b64 v[228:229], v1
	s_mov_b32 s1, exec_lo
	v_cmpx_lt_u32_e32 34, v0
	s_cbranch_execz .LBB109_176
; %bb.175:
	s_waitcnt lgkmcnt(0)
	v_mul_f64 v[168:169], v[228:229], v[168:169]
	ds_read2_b64 v[4:7], v38 offset0:35 offset1:36
	s_waitcnt lgkmcnt(0)
	v_fma_f64 v[132:133], -v[168:169], v[4:5], v[132:133]
	v_fma_f64 v[166:167], -v[168:169], v[6:7], v[166:167]
	ds_read2_b64 v[4:7], v38 offset0:37 offset1:38
	s_waitcnt lgkmcnt(0)
	v_fma_f64 v[130:131], -v[168:169], v[4:5], v[130:131]
	v_fma_f64 v[164:165], -v[168:169], v[6:7], v[164:165]
	ds_read2_b64 v[4:7], v38 offset0:39 offset1:40
	s_waitcnt lgkmcnt(0)
	v_fma_f64 v[128:129], -v[168:169], v[4:5], v[128:129]
	v_fma_f64 v[162:163], -v[168:169], v[6:7], v[162:163]
	ds_read2_b64 v[4:7], v38 offset0:41 offset1:42
	s_waitcnt lgkmcnt(0)
	v_fma_f64 v[126:127], -v[168:169], v[4:5], v[126:127]
	v_fma_f64 v[160:161], -v[168:169], v[6:7], v[160:161]
	ds_read2_b64 v[4:7], v38 offset0:43 offset1:44
	s_waitcnt lgkmcnt(0)
	v_fma_f64 v[124:125], -v[168:169], v[4:5], v[124:125]
	v_fma_f64 v[158:159], -v[168:169], v[6:7], v[158:159]
	ds_read2_b64 v[4:7], v38 offset0:45 offset1:46
	s_waitcnt lgkmcnt(0)
	v_fma_f64 v[122:123], -v[168:169], v[4:5], v[122:123]
	v_fma_f64 v[156:157], -v[168:169], v[6:7], v[156:157]
	ds_read2_b64 v[4:7], v38 offset0:47 offset1:48
	s_waitcnt lgkmcnt(0)
	v_fma_f64 v[120:121], -v[168:169], v[4:5], v[120:121]
	v_fma_f64 v[154:155], -v[168:169], v[6:7], v[154:155]
	ds_read2_b64 v[4:7], v38 offset0:49 offset1:50
	s_waitcnt lgkmcnt(0)
	v_fma_f64 v[118:119], -v[168:169], v[4:5], v[118:119]
	v_fma_f64 v[152:153], -v[168:169], v[6:7], v[152:153]
	ds_read2_b64 v[4:7], v38 offset0:51 offset1:52
	s_waitcnt lgkmcnt(0)
	v_fma_f64 v[116:117], -v[168:169], v[4:5], v[116:117]
	v_fma_f64 v[150:151], -v[168:169], v[6:7], v[150:151]
	ds_read2_b64 v[4:7], v38 offset0:53 offset1:54
	s_waitcnt lgkmcnt(0)
	v_fma_f64 v[114:115], -v[168:169], v[4:5], v[114:115]
	v_fma_f64 v[222:223], -v[168:169], v[6:7], v[222:223]
.LBB109_176:
	s_or_b32 exec_lo, exec_lo, s1
	s_mov_b32 s1, exec_lo
	s_waitcnt lgkmcnt(0)
	s_barrier
	buffer_gl0_inv
	v_cmpx_eq_u32_e32 35, v0
	s_cbranch_execz .LBB109_179
; %bb.177:
	v_mov_b32_e32 v4, v166
	v_mov_b32_e32 v5, v167
	;; [unrolled: 1-line block ×4, first 2 shown]
	ds_write_b64 v1, v[132:133]
	ds_write2_b64 v38, v[4:5], v[6:7] offset0:36 offset1:37
	v_mov_b32_e32 v4, v164
	v_mov_b32_e32 v5, v165
	v_mov_b32_e32 v6, v128
	v_mov_b32_e32 v7, v129
	ds_write2_b64 v38, v[4:5], v[6:7] offset0:38 offset1:39
	v_mov_b32_e32 v4, v162
	v_mov_b32_e32 v5, v163
	v_mov_b32_e32 v6, v126
	v_mov_b32_e32 v7, v127
	;; [unrolled: 5-line block ×8, first 2 shown]
	ds_write2_b64 v38, v[4:5], v[6:7] offset0:52 offset1:53
	ds_write_b64 v38, v[222:223] offset:432
	ds_read_b64 v[4:5], v1
	s_waitcnt lgkmcnt(0)
	v_cmp_neq_f64_e32 vcc_lo, 0, v[4:5]
	s_and_b32 exec_lo, exec_lo, vcc_lo
	s_cbranch_execz .LBB109_179
; %bb.178:
	v_div_scale_f64 v[6:7], null, v[4:5], v[4:5], 1.0
	v_rcp_f64_e32 v[8:9], v[6:7]
	v_fma_f64 v[10:11], -v[6:7], v[8:9], 1.0
	v_fma_f64 v[8:9], v[8:9], v[10:11], v[8:9]
	v_fma_f64 v[10:11], -v[6:7], v[8:9], 1.0
	v_fma_f64 v[8:9], v[8:9], v[10:11], v[8:9]
	v_div_scale_f64 v[10:11], vcc_lo, 1.0, v[4:5], 1.0
	v_mul_f64 v[12:13], v[10:11], v[8:9]
	v_fma_f64 v[6:7], -v[6:7], v[12:13], v[10:11]
	v_div_fmas_f64 v[6:7], v[6:7], v[8:9], v[12:13]
	v_div_fixup_f64 v[4:5], v[6:7], v[4:5], 1.0
	ds_write_b64 v1, v[4:5]
.LBB109_179:
	s_or_b32 exec_lo, exec_lo, s1
	s_waitcnt lgkmcnt(0)
	s_barrier
	buffer_gl0_inv
	ds_read_b64 v[230:231], v1
	s_mov_b32 s1, exec_lo
	v_cmpx_lt_u32_e32 35, v0
	s_cbranch_execz .LBB109_181
; %bb.180:
	s_waitcnt lgkmcnt(0)
	v_mul_f64 v[132:133], v[230:231], v[132:133]
	ds_read2_b64 v[4:7], v38 offset0:36 offset1:37
	s_waitcnt lgkmcnt(0)
	v_fma_f64 v[166:167], -v[132:133], v[4:5], v[166:167]
	v_fma_f64 v[130:131], -v[132:133], v[6:7], v[130:131]
	ds_read2_b64 v[4:7], v38 offset0:38 offset1:39
	s_waitcnt lgkmcnt(0)
	v_fma_f64 v[164:165], -v[132:133], v[4:5], v[164:165]
	v_fma_f64 v[128:129], -v[132:133], v[6:7], v[128:129]
	ds_read2_b64 v[4:7], v38 offset0:40 offset1:41
	s_waitcnt lgkmcnt(0)
	v_fma_f64 v[162:163], -v[132:133], v[4:5], v[162:163]
	v_fma_f64 v[126:127], -v[132:133], v[6:7], v[126:127]
	ds_read2_b64 v[4:7], v38 offset0:42 offset1:43
	s_waitcnt lgkmcnt(0)
	v_fma_f64 v[160:161], -v[132:133], v[4:5], v[160:161]
	v_fma_f64 v[124:125], -v[132:133], v[6:7], v[124:125]
	ds_read2_b64 v[4:7], v38 offset0:44 offset1:45
	s_waitcnt lgkmcnt(0)
	v_fma_f64 v[158:159], -v[132:133], v[4:5], v[158:159]
	v_fma_f64 v[122:123], -v[132:133], v[6:7], v[122:123]
	ds_read2_b64 v[4:7], v38 offset0:46 offset1:47
	s_waitcnt lgkmcnt(0)
	v_fma_f64 v[156:157], -v[132:133], v[4:5], v[156:157]
	v_fma_f64 v[120:121], -v[132:133], v[6:7], v[120:121]
	ds_read2_b64 v[4:7], v38 offset0:48 offset1:49
	s_waitcnt lgkmcnt(0)
	v_fma_f64 v[154:155], -v[132:133], v[4:5], v[154:155]
	v_fma_f64 v[118:119], -v[132:133], v[6:7], v[118:119]
	ds_read2_b64 v[4:7], v38 offset0:50 offset1:51
	s_waitcnt lgkmcnt(0)
	v_fma_f64 v[152:153], -v[132:133], v[4:5], v[152:153]
	v_fma_f64 v[116:117], -v[132:133], v[6:7], v[116:117]
	ds_read2_b64 v[4:7], v38 offset0:52 offset1:53
	s_waitcnt lgkmcnt(0)
	v_fma_f64 v[150:151], -v[132:133], v[4:5], v[150:151]
	ds_read_b64 v[4:5], v38 offset:432
	v_fma_f64 v[114:115], -v[132:133], v[6:7], v[114:115]
	s_waitcnt lgkmcnt(0)
	v_fma_f64 v[222:223], -v[132:133], v[4:5], v[222:223]
.LBB109_181:
	s_or_b32 exec_lo, exec_lo, s1
	s_mov_b32 s1, exec_lo
	s_waitcnt lgkmcnt(0)
	s_barrier
	buffer_gl0_inv
	v_cmpx_eq_u32_e32 36, v0
	s_cbranch_execz .LBB109_184
; %bb.182:
	ds_write_b64 v1, v[166:167]
	ds_write2_b64 v38, v[130:131], v[164:165] offset0:37 offset1:38
	ds_write2_b64 v38, v[128:129], v[162:163] offset0:39 offset1:40
	;; [unrolled: 1-line block ×9, first 2 shown]
	ds_read_b64 v[4:5], v1
	s_waitcnt lgkmcnt(0)
	v_cmp_neq_f64_e32 vcc_lo, 0, v[4:5]
	s_and_b32 exec_lo, exec_lo, vcc_lo
	s_cbranch_execz .LBB109_184
; %bb.183:
	v_div_scale_f64 v[6:7], null, v[4:5], v[4:5], 1.0
	v_rcp_f64_e32 v[8:9], v[6:7]
	v_fma_f64 v[10:11], -v[6:7], v[8:9], 1.0
	v_fma_f64 v[8:9], v[8:9], v[10:11], v[8:9]
	v_fma_f64 v[10:11], -v[6:7], v[8:9], 1.0
	v_fma_f64 v[8:9], v[8:9], v[10:11], v[8:9]
	v_div_scale_f64 v[10:11], vcc_lo, 1.0, v[4:5], 1.0
	v_mul_f64 v[12:13], v[10:11], v[8:9]
	v_fma_f64 v[6:7], -v[6:7], v[12:13], v[10:11]
	v_div_fmas_f64 v[6:7], v[6:7], v[8:9], v[12:13]
	v_div_fixup_f64 v[4:5], v[6:7], v[4:5], 1.0
	ds_write_b64 v1, v[4:5]
.LBB109_184:
	s_or_b32 exec_lo, exec_lo, s1
	s_waitcnt lgkmcnt(0)
	s_barrier
	buffer_gl0_inv
	ds_read_b64 v[232:233], v1
	s_mov_b32 s1, exec_lo
	v_cmpx_lt_u32_e32 36, v0
	s_cbranch_execz .LBB109_186
; %bb.185:
	s_waitcnt lgkmcnt(0)
	v_mul_f64 v[166:167], v[232:233], v[166:167]
	ds_read2_b64 v[4:7], v38 offset0:37 offset1:38
	s_waitcnt lgkmcnt(0)
	v_fma_f64 v[130:131], -v[166:167], v[4:5], v[130:131]
	v_fma_f64 v[164:165], -v[166:167], v[6:7], v[164:165]
	ds_read2_b64 v[4:7], v38 offset0:39 offset1:40
	s_waitcnt lgkmcnt(0)
	v_fma_f64 v[128:129], -v[166:167], v[4:5], v[128:129]
	v_fma_f64 v[162:163], -v[166:167], v[6:7], v[162:163]
	;; [unrolled: 4-line block ×9, first 2 shown]
.LBB109_186:
	s_or_b32 exec_lo, exec_lo, s1
	s_mov_b32 s1, exec_lo
	s_waitcnt lgkmcnt(0)
	s_barrier
	buffer_gl0_inv
	v_cmpx_eq_u32_e32 37, v0
	s_cbranch_execz .LBB109_189
; %bb.187:
	v_mov_b32_e32 v4, v164
	v_mov_b32_e32 v5, v165
	;; [unrolled: 1-line block ×4, first 2 shown]
	ds_write_b64 v1, v[130:131]
	ds_write2_b64 v38, v[4:5], v[6:7] offset0:38 offset1:39
	v_mov_b32_e32 v4, v162
	v_mov_b32_e32 v5, v163
	v_mov_b32_e32 v6, v126
	v_mov_b32_e32 v7, v127
	ds_write2_b64 v38, v[4:5], v[6:7] offset0:40 offset1:41
	v_mov_b32_e32 v4, v160
	v_mov_b32_e32 v5, v161
	v_mov_b32_e32 v6, v124
	v_mov_b32_e32 v7, v125
	;; [unrolled: 5-line block ×7, first 2 shown]
	ds_write2_b64 v38, v[4:5], v[6:7] offset0:52 offset1:53
	ds_write_b64 v38, v[222:223] offset:432
	ds_read_b64 v[4:5], v1
	s_waitcnt lgkmcnt(0)
	v_cmp_neq_f64_e32 vcc_lo, 0, v[4:5]
	s_and_b32 exec_lo, exec_lo, vcc_lo
	s_cbranch_execz .LBB109_189
; %bb.188:
	v_div_scale_f64 v[6:7], null, v[4:5], v[4:5], 1.0
	v_rcp_f64_e32 v[8:9], v[6:7]
	v_fma_f64 v[10:11], -v[6:7], v[8:9], 1.0
	v_fma_f64 v[8:9], v[8:9], v[10:11], v[8:9]
	v_fma_f64 v[10:11], -v[6:7], v[8:9], 1.0
	v_fma_f64 v[8:9], v[8:9], v[10:11], v[8:9]
	v_div_scale_f64 v[10:11], vcc_lo, 1.0, v[4:5], 1.0
	v_mul_f64 v[12:13], v[10:11], v[8:9]
	v_fma_f64 v[6:7], -v[6:7], v[12:13], v[10:11]
	v_div_fmas_f64 v[6:7], v[6:7], v[8:9], v[12:13]
	v_div_fixup_f64 v[4:5], v[6:7], v[4:5], 1.0
	ds_write_b64 v1, v[4:5]
.LBB109_189:
	s_or_b32 exec_lo, exec_lo, s1
	s_waitcnt lgkmcnt(0)
	s_barrier
	buffer_gl0_inv
	ds_read_b64 v[234:235], v1
	s_mov_b32 s1, exec_lo
	v_cmpx_lt_u32_e32 37, v0
	s_cbranch_execz .LBB109_191
; %bb.190:
	s_waitcnt lgkmcnt(0)
	v_mul_f64 v[130:131], v[234:235], v[130:131]
	ds_read2_b64 v[4:7], v38 offset0:38 offset1:39
	s_waitcnt lgkmcnt(0)
	v_fma_f64 v[164:165], -v[130:131], v[4:5], v[164:165]
	v_fma_f64 v[128:129], -v[130:131], v[6:7], v[128:129]
	ds_read2_b64 v[4:7], v38 offset0:40 offset1:41
	s_waitcnt lgkmcnt(0)
	v_fma_f64 v[162:163], -v[130:131], v[4:5], v[162:163]
	v_fma_f64 v[126:127], -v[130:131], v[6:7], v[126:127]
	;; [unrolled: 4-line block ×7, first 2 shown]
	ds_read2_b64 v[4:7], v38 offset0:52 offset1:53
	s_waitcnt lgkmcnt(0)
	v_fma_f64 v[150:151], -v[130:131], v[4:5], v[150:151]
	ds_read_b64 v[4:5], v38 offset:432
	v_fma_f64 v[114:115], -v[130:131], v[6:7], v[114:115]
	s_waitcnt lgkmcnt(0)
	v_fma_f64 v[222:223], -v[130:131], v[4:5], v[222:223]
.LBB109_191:
	s_or_b32 exec_lo, exec_lo, s1
	s_mov_b32 s1, exec_lo
	s_waitcnt lgkmcnt(0)
	s_barrier
	buffer_gl0_inv
	v_cmpx_eq_u32_e32 38, v0
	s_cbranch_execz .LBB109_194
; %bb.192:
	ds_write_b64 v1, v[164:165]
	ds_write2_b64 v38, v[128:129], v[162:163] offset0:39 offset1:40
	ds_write2_b64 v38, v[126:127], v[160:161] offset0:41 offset1:42
	;; [unrolled: 1-line block ×8, first 2 shown]
	ds_read_b64 v[4:5], v1
	s_waitcnt lgkmcnt(0)
	v_cmp_neq_f64_e32 vcc_lo, 0, v[4:5]
	s_and_b32 exec_lo, exec_lo, vcc_lo
	s_cbranch_execz .LBB109_194
; %bb.193:
	v_div_scale_f64 v[6:7], null, v[4:5], v[4:5], 1.0
	v_rcp_f64_e32 v[8:9], v[6:7]
	v_fma_f64 v[10:11], -v[6:7], v[8:9], 1.0
	v_fma_f64 v[8:9], v[8:9], v[10:11], v[8:9]
	v_fma_f64 v[10:11], -v[6:7], v[8:9], 1.0
	v_fma_f64 v[8:9], v[8:9], v[10:11], v[8:9]
	v_div_scale_f64 v[10:11], vcc_lo, 1.0, v[4:5], 1.0
	v_mul_f64 v[12:13], v[10:11], v[8:9]
	v_fma_f64 v[6:7], -v[6:7], v[12:13], v[10:11]
	v_div_fmas_f64 v[6:7], v[6:7], v[8:9], v[12:13]
	v_div_fixup_f64 v[4:5], v[6:7], v[4:5], 1.0
	ds_write_b64 v1, v[4:5]
.LBB109_194:
	s_or_b32 exec_lo, exec_lo, s1
	s_waitcnt lgkmcnt(0)
	s_barrier
	buffer_gl0_inv
	ds_read_b64 v[4:5], v1
	s_mov_b32 s1, exec_lo
	v_cmpx_lt_u32_e32 38, v0
	s_cbranch_execz .LBB109_196
; %bb.195:
	s_waitcnt lgkmcnt(0)
	v_mul_f64 v[164:165], v[4:5], v[164:165]
	ds_read2_b64 v[6:9], v38 offset0:39 offset1:40
	s_waitcnt lgkmcnt(0)
	v_fma_f64 v[128:129], -v[164:165], v[6:7], v[128:129]
	v_fma_f64 v[162:163], -v[164:165], v[8:9], v[162:163]
	ds_read2_b64 v[6:9], v38 offset0:41 offset1:42
	s_waitcnt lgkmcnt(0)
	v_fma_f64 v[126:127], -v[164:165], v[6:7], v[126:127]
	v_fma_f64 v[160:161], -v[164:165], v[8:9], v[160:161]
	;; [unrolled: 4-line block ×8, first 2 shown]
.LBB109_196:
	s_or_b32 exec_lo, exec_lo, s1
	s_mov_b32 s1, exec_lo
	s_waitcnt lgkmcnt(0)
	s_barrier
	buffer_gl0_inv
	v_cmpx_eq_u32_e32 39, v0
	s_cbranch_execz .LBB109_199
; %bb.197:
	v_mov_b32_e32 v6, v162
	v_mov_b32_e32 v7, v163
	;; [unrolled: 1-line block ×4, first 2 shown]
	ds_write_b64 v1, v[128:129]
	ds_write2_b64 v38, v[6:7], v[8:9] offset0:40 offset1:41
	v_mov_b32_e32 v6, v160
	v_mov_b32_e32 v7, v161
	v_mov_b32_e32 v8, v124
	v_mov_b32_e32 v9, v125
	ds_write2_b64 v38, v[6:7], v[8:9] offset0:42 offset1:43
	v_mov_b32_e32 v6, v158
	v_mov_b32_e32 v7, v159
	v_mov_b32_e32 v8, v122
	v_mov_b32_e32 v9, v123
	;; [unrolled: 5-line block ×6, first 2 shown]
	ds_write2_b64 v38, v[6:7], v[8:9] offset0:52 offset1:53
	ds_write_b64 v38, v[222:223] offset:432
	ds_read_b64 v[6:7], v1
	s_waitcnt lgkmcnt(0)
	v_cmp_neq_f64_e32 vcc_lo, 0, v[6:7]
	s_and_b32 exec_lo, exec_lo, vcc_lo
	s_cbranch_execz .LBB109_199
; %bb.198:
	v_div_scale_f64 v[8:9], null, v[6:7], v[6:7], 1.0
	v_rcp_f64_e32 v[10:11], v[8:9]
	v_fma_f64 v[12:13], -v[8:9], v[10:11], 1.0
	v_fma_f64 v[10:11], v[10:11], v[12:13], v[10:11]
	v_fma_f64 v[12:13], -v[8:9], v[10:11], 1.0
	v_fma_f64 v[10:11], v[10:11], v[12:13], v[10:11]
	v_div_scale_f64 v[12:13], vcc_lo, 1.0, v[6:7], 1.0
	v_mul_f64 v[14:15], v[12:13], v[10:11]
	v_fma_f64 v[8:9], -v[8:9], v[14:15], v[12:13]
	v_div_fmas_f64 v[8:9], v[8:9], v[10:11], v[14:15]
	v_div_fixup_f64 v[6:7], v[8:9], v[6:7], 1.0
	ds_write_b64 v1, v[6:7]
.LBB109_199:
	s_or_b32 exec_lo, exec_lo, s1
	s_waitcnt lgkmcnt(0)
	s_barrier
	buffer_gl0_inv
	ds_read_b64 v[6:7], v1
	s_mov_b32 s1, exec_lo
	v_cmpx_lt_u32_e32 39, v0
	s_cbranch_execz .LBB109_201
; %bb.200:
	s_waitcnt lgkmcnt(0)
	v_mul_f64 v[128:129], v[6:7], v[128:129]
	ds_read2_b64 v[8:11], v38 offset0:40 offset1:41
	s_waitcnt lgkmcnt(0)
	v_fma_f64 v[162:163], -v[128:129], v[8:9], v[162:163]
	v_fma_f64 v[126:127], -v[128:129], v[10:11], v[126:127]
	ds_read2_b64 v[8:11], v38 offset0:42 offset1:43
	s_waitcnt lgkmcnt(0)
	v_fma_f64 v[160:161], -v[128:129], v[8:9], v[160:161]
	v_fma_f64 v[124:125], -v[128:129], v[10:11], v[124:125]
	;; [unrolled: 4-line block ×6, first 2 shown]
	ds_read2_b64 v[8:11], v38 offset0:52 offset1:53
	s_waitcnt lgkmcnt(0)
	v_fma_f64 v[150:151], -v[128:129], v[8:9], v[150:151]
	ds_read_b64 v[8:9], v38 offset:432
	v_fma_f64 v[114:115], -v[128:129], v[10:11], v[114:115]
	s_waitcnt lgkmcnt(0)
	v_fma_f64 v[222:223], -v[128:129], v[8:9], v[222:223]
.LBB109_201:
	s_or_b32 exec_lo, exec_lo, s1
	s_mov_b32 s1, exec_lo
	s_waitcnt lgkmcnt(0)
	s_barrier
	buffer_gl0_inv
	v_cmpx_eq_u32_e32 40, v0
	s_cbranch_execz .LBB109_204
; %bb.202:
	ds_write_b64 v1, v[162:163]
	ds_write2_b64 v38, v[126:127], v[160:161] offset0:41 offset1:42
	ds_write2_b64 v38, v[124:125], v[158:159] offset0:43 offset1:44
	;; [unrolled: 1-line block ×7, first 2 shown]
	ds_read_b64 v[8:9], v1
	s_waitcnt lgkmcnt(0)
	v_cmp_neq_f64_e32 vcc_lo, 0, v[8:9]
	s_and_b32 exec_lo, exec_lo, vcc_lo
	s_cbranch_execz .LBB109_204
; %bb.203:
	v_div_scale_f64 v[10:11], null, v[8:9], v[8:9], 1.0
	v_rcp_f64_e32 v[12:13], v[10:11]
	v_fma_f64 v[14:15], -v[10:11], v[12:13], 1.0
	v_fma_f64 v[12:13], v[12:13], v[14:15], v[12:13]
	v_fma_f64 v[14:15], -v[10:11], v[12:13], 1.0
	v_fma_f64 v[12:13], v[12:13], v[14:15], v[12:13]
	v_div_scale_f64 v[14:15], vcc_lo, 1.0, v[8:9], 1.0
	v_mul_f64 v[16:17], v[14:15], v[12:13]
	v_fma_f64 v[10:11], -v[10:11], v[16:17], v[14:15]
	v_div_fmas_f64 v[10:11], v[10:11], v[12:13], v[16:17]
	v_div_fixup_f64 v[8:9], v[10:11], v[8:9], 1.0
	ds_write_b64 v1, v[8:9]
.LBB109_204:
	s_or_b32 exec_lo, exec_lo, s1
	s_waitcnt lgkmcnt(0)
	s_barrier
	buffer_gl0_inv
	ds_read_b64 v[8:9], v1
	s_mov_b32 s1, exec_lo
	v_cmpx_lt_u32_e32 40, v0
	s_cbranch_execz .LBB109_206
; %bb.205:
	s_waitcnt lgkmcnt(0)
	v_mul_f64 v[162:163], v[8:9], v[162:163]
	ds_read2_b64 v[10:13], v38 offset0:41 offset1:42
	s_waitcnt lgkmcnt(0)
	v_fma_f64 v[126:127], -v[162:163], v[10:11], v[126:127]
	v_fma_f64 v[160:161], -v[162:163], v[12:13], v[160:161]
	ds_read2_b64 v[10:13], v38 offset0:43 offset1:44
	s_waitcnt lgkmcnt(0)
	v_fma_f64 v[124:125], -v[162:163], v[10:11], v[124:125]
	v_fma_f64 v[158:159], -v[162:163], v[12:13], v[158:159]
	;; [unrolled: 4-line block ×7, first 2 shown]
.LBB109_206:
	s_or_b32 exec_lo, exec_lo, s1
	s_mov_b32 s1, exec_lo
	s_waitcnt lgkmcnt(0)
	s_barrier
	buffer_gl0_inv
	v_cmpx_eq_u32_e32 41, v0
	s_cbranch_execz .LBB109_209
; %bb.207:
	v_mov_b32_e32 v10, v160
	v_mov_b32_e32 v11, v161
	v_mov_b32_e32 v12, v124
	v_mov_b32_e32 v13, v125
	ds_write_b64 v1, v[126:127]
	ds_write2_b64 v38, v[10:11], v[12:13] offset0:42 offset1:43
	v_mov_b32_e32 v10, v158
	v_mov_b32_e32 v11, v159
	v_mov_b32_e32 v12, v122
	v_mov_b32_e32 v13, v123
	ds_write2_b64 v38, v[10:11], v[12:13] offset0:44 offset1:45
	v_mov_b32_e32 v10, v156
	v_mov_b32_e32 v11, v157
	v_mov_b32_e32 v12, v120
	v_mov_b32_e32 v13, v121
	;; [unrolled: 5-line block ×5, first 2 shown]
	ds_write2_b64 v38, v[10:11], v[12:13] offset0:52 offset1:53
	ds_write_b64 v38, v[222:223] offset:432
	ds_read_b64 v[10:11], v1
	s_waitcnt lgkmcnt(0)
	v_cmp_neq_f64_e32 vcc_lo, 0, v[10:11]
	s_and_b32 exec_lo, exec_lo, vcc_lo
	s_cbranch_execz .LBB109_209
; %bb.208:
	v_div_scale_f64 v[12:13], null, v[10:11], v[10:11], 1.0
	v_rcp_f64_e32 v[14:15], v[12:13]
	v_fma_f64 v[16:17], -v[12:13], v[14:15], 1.0
	v_fma_f64 v[14:15], v[14:15], v[16:17], v[14:15]
	v_fma_f64 v[16:17], -v[12:13], v[14:15], 1.0
	v_fma_f64 v[14:15], v[14:15], v[16:17], v[14:15]
	v_div_scale_f64 v[16:17], vcc_lo, 1.0, v[10:11], 1.0
	v_mul_f64 v[18:19], v[16:17], v[14:15]
	v_fma_f64 v[12:13], -v[12:13], v[18:19], v[16:17]
	v_div_fmas_f64 v[12:13], v[12:13], v[14:15], v[18:19]
	v_div_fixup_f64 v[10:11], v[12:13], v[10:11], 1.0
	ds_write_b64 v1, v[10:11]
.LBB109_209:
	s_or_b32 exec_lo, exec_lo, s1
	s_waitcnt lgkmcnt(0)
	s_barrier
	buffer_gl0_inv
	ds_read_b64 v[10:11], v1
	s_mov_b32 s1, exec_lo
	v_cmpx_lt_u32_e32 41, v0
	s_cbranch_execz .LBB109_211
; %bb.210:
	s_waitcnt lgkmcnt(0)
	v_mul_f64 v[126:127], v[10:11], v[126:127]
	ds_read2_b64 v[12:15], v38 offset0:42 offset1:43
	s_waitcnt lgkmcnt(0)
	v_fma_f64 v[160:161], -v[126:127], v[12:13], v[160:161]
	v_fma_f64 v[124:125], -v[126:127], v[14:15], v[124:125]
	ds_read2_b64 v[12:15], v38 offset0:44 offset1:45
	s_waitcnt lgkmcnt(0)
	v_fma_f64 v[158:159], -v[126:127], v[12:13], v[158:159]
	v_fma_f64 v[122:123], -v[126:127], v[14:15], v[122:123]
	;; [unrolled: 4-line block ×5, first 2 shown]
	ds_read2_b64 v[12:15], v38 offset0:52 offset1:53
	s_waitcnt lgkmcnt(0)
	v_fma_f64 v[150:151], -v[126:127], v[12:13], v[150:151]
	ds_read_b64 v[12:13], v38 offset:432
	v_fma_f64 v[114:115], -v[126:127], v[14:15], v[114:115]
	s_waitcnt lgkmcnt(0)
	v_fma_f64 v[222:223], -v[126:127], v[12:13], v[222:223]
.LBB109_211:
	s_or_b32 exec_lo, exec_lo, s1
	s_mov_b32 s1, exec_lo
	s_waitcnt lgkmcnt(0)
	s_barrier
	buffer_gl0_inv
	v_cmpx_eq_u32_e32 42, v0
	s_cbranch_execz .LBB109_214
; %bb.212:
	ds_write_b64 v1, v[160:161]
	ds_write2_b64 v38, v[124:125], v[158:159] offset0:43 offset1:44
	ds_write2_b64 v38, v[122:123], v[156:157] offset0:45 offset1:46
	;; [unrolled: 1-line block ×6, first 2 shown]
	ds_read_b64 v[12:13], v1
	s_waitcnt lgkmcnt(0)
	v_cmp_neq_f64_e32 vcc_lo, 0, v[12:13]
	s_and_b32 exec_lo, exec_lo, vcc_lo
	s_cbranch_execz .LBB109_214
; %bb.213:
	v_div_scale_f64 v[14:15], null, v[12:13], v[12:13], 1.0
	v_rcp_f64_e32 v[16:17], v[14:15]
	v_fma_f64 v[18:19], -v[14:15], v[16:17], 1.0
	v_fma_f64 v[16:17], v[16:17], v[18:19], v[16:17]
	v_fma_f64 v[18:19], -v[14:15], v[16:17], 1.0
	v_fma_f64 v[16:17], v[16:17], v[18:19], v[16:17]
	v_div_scale_f64 v[18:19], vcc_lo, 1.0, v[12:13], 1.0
	v_mul_f64 v[20:21], v[18:19], v[16:17]
	v_fma_f64 v[14:15], -v[14:15], v[20:21], v[18:19]
	v_div_fmas_f64 v[14:15], v[14:15], v[16:17], v[20:21]
	v_div_fixup_f64 v[12:13], v[14:15], v[12:13], 1.0
	ds_write_b64 v1, v[12:13]
.LBB109_214:
	s_or_b32 exec_lo, exec_lo, s1
	s_waitcnt lgkmcnt(0)
	s_barrier
	buffer_gl0_inv
	ds_read_b64 v[12:13], v1
	s_mov_b32 s1, exec_lo
	v_cmpx_lt_u32_e32 42, v0
	s_cbranch_execz .LBB109_216
; %bb.215:
	s_waitcnt lgkmcnt(0)
	v_mul_f64 v[160:161], v[12:13], v[160:161]
	ds_read2_b64 v[14:17], v38 offset0:43 offset1:44
	s_waitcnt lgkmcnt(0)
	v_fma_f64 v[124:125], -v[160:161], v[14:15], v[124:125]
	v_fma_f64 v[158:159], -v[160:161], v[16:17], v[158:159]
	ds_read2_b64 v[14:17], v38 offset0:45 offset1:46
	s_waitcnt lgkmcnt(0)
	v_fma_f64 v[122:123], -v[160:161], v[14:15], v[122:123]
	v_fma_f64 v[156:157], -v[160:161], v[16:17], v[156:157]
	;; [unrolled: 4-line block ×6, first 2 shown]
.LBB109_216:
	s_or_b32 exec_lo, exec_lo, s1
	s_mov_b32 s1, exec_lo
	s_waitcnt lgkmcnt(0)
	s_barrier
	buffer_gl0_inv
	v_cmpx_eq_u32_e32 43, v0
	s_cbranch_execz .LBB109_219
; %bb.217:
	v_mov_b32_e32 v14, v158
	v_mov_b32_e32 v15, v159
	;; [unrolled: 1-line block ×4, first 2 shown]
	ds_write_b64 v1, v[124:125]
	ds_write2_b64 v38, v[14:15], v[16:17] offset0:44 offset1:45
	v_mov_b32_e32 v14, v156
	v_mov_b32_e32 v15, v157
	v_mov_b32_e32 v16, v120
	v_mov_b32_e32 v17, v121
	ds_write2_b64 v38, v[14:15], v[16:17] offset0:46 offset1:47
	v_mov_b32_e32 v14, v154
	v_mov_b32_e32 v15, v155
	v_mov_b32_e32 v16, v118
	v_mov_b32_e32 v17, v119
	ds_write2_b64 v38, v[14:15], v[16:17] offset0:48 offset1:49
	v_mov_b32_e32 v14, v152
	v_mov_b32_e32 v15, v153
	v_mov_b32_e32 v16, v116
	v_mov_b32_e32 v17, v117
	ds_write2_b64 v38, v[14:15], v[16:17] offset0:50 offset1:51
	v_mov_b32_e32 v14, v150
	v_mov_b32_e32 v15, v151
	v_mov_b32_e32 v16, v114
	v_mov_b32_e32 v17, v115
	ds_write2_b64 v38, v[14:15], v[16:17] offset0:52 offset1:53
	ds_write_b64 v38, v[222:223] offset:432
	ds_read_b64 v[14:15], v1
	s_waitcnt lgkmcnt(0)
	v_cmp_neq_f64_e32 vcc_lo, 0, v[14:15]
	s_and_b32 exec_lo, exec_lo, vcc_lo
	s_cbranch_execz .LBB109_219
; %bb.218:
	v_div_scale_f64 v[16:17], null, v[14:15], v[14:15], 1.0
	v_rcp_f64_e32 v[18:19], v[16:17]
	v_fma_f64 v[20:21], -v[16:17], v[18:19], 1.0
	v_fma_f64 v[18:19], v[18:19], v[20:21], v[18:19]
	v_fma_f64 v[20:21], -v[16:17], v[18:19], 1.0
	v_fma_f64 v[18:19], v[18:19], v[20:21], v[18:19]
	v_div_scale_f64 v[20:21], vcc_lo, 1.0, v[14:15], 1.0
	v_mul_f64 v[22:23], v[20:21], v[18:19]
	v_fma_f64 v[16:17], -v[16:17], v[22:23], v[20:21]
	v_div_fmas_f64 v[16:17], v[16:17], v[18:19], v[22:23]
	v_div_fixup_f64 v[14:15], v[16:17], v[14:15], 1.0
	ds_write_b64 v1, v[14:15]
.LBB109_219:
	s_or_b32 exec_lo, exec_lo, s1
	s_waitcnt lgkmcnt(0)
	s_barrier
	buffer_gl0_inv
	ds_read_b64 v[14:15], v1
	s_mov_b32 s1, exec_lo
	v_cmpx_lt_u32_e32 43, v0
	s_cbranch_execz .LBB109_221
; %bb.220:
	s_waitcnt lgkmcnt(0)
	v_mul_f64 v[124:125], v[14:15], v[124:125]
	ds_read2_b64 v[16:19], v38 offset0:44 offset1:45
	s_waitcnt lgkmcnt(0)
	v_fma_f64 v[158:159], -v[124:125], v[16:17], v[158:159]
	v_fma_f64 v[122:123], -v[124:125], v[18:19], v[122:123]
	ds_read2_b64 v[16:19], v38 offset0:46 offset1:47
	s_waitcnt lgkmcnt(0)
	v_fma_f64 v[156:157], -v[124:125], v[16:17], v[156:157]
	v_fma_f64 v[120:121], -v[124:125], v[18:19], v[120:121]
	;; [unrolled: 4-line block ×4, first 2 shown]
	ds_read2_b64 v[16:19], v38 offset0:52 offset1:53
	s_waitcnt lgkmcnt(0)
	v_fma_f64 v[150:151], -v[124:125], v[16:17], v[150:151]
	ds_read_b64 v[16:17], v38 offset:432
	v_fma_f64 v[114:115], -v[124:125], v[18:19], v[114:115]
	s_waitcnt lgkmcnt(0)
	v_fma_f64 v[222:223], -v[124:125], v[16:17], v[222:223]
.LBB109_221:
	s_or_b32 exec_lo, exec_lo, s1
	s_mov_b32 s1, exec_lo
	s_waitcnt lgkmcnt(0)
	s_barrier
	buffer_gl0_inv
	v_cmpx_eq_u32_e32 44, v0
	s_cbranch_execz .LBB109_224
; %bb.222:
	ds_write_b64 v1, v[158:159]
	ds_write2_b64 v38, v[122:123], v[156:157] offset0:45 offset1:46
	ds_write2_b64 v38, v[120:121], v[154:155] offset0:47 offset1:48
	;; [unrolled: 1-line block ×5, first 2 shown]
	ds_read_b64 v[16:17], v1
	s_waitcnt lgkmcnt(0)
	v_cmp_neq_f64_e32 vcc_lo, 0, v[16:17]
	s_and_b32 exec_lo, exec_lo, vcc_lo
	s_cbranch_execz .LBB109_224
; %bb.223:
	v_div_scale_f64 v[18:19], null, v[16:17], v[16:17], 1.0
	v_rcp_f64_e32 v[20:21], v[18:19]
	v_fma_f64 v[22:23], -v[18:19], v[20:21], 1.0
	v_fma_f64 v[20:21], v[20:21], v[22:23], v[20:21]
	v_fma_f64 v[22:23], -v[18:19], v[20:21], 1.0
	v_fma_f64 v[20:21], v[20:21], v[22:23], v[20:21]
	v_div_scale_f64 v[22:23], vcc_lo, 1.0, v[16:17], 1.0
	v_mul_f64 v[24:25], v[22:23], v[20:21]
	v_fma_f64 v[18:19], -v[18:19], v[24:25], v[22:23]
	v_div_fmas_f64 v[18:19], v[18:19], v[20:21], v[24:25]
	v_div_fixup_f64 v[16:17], v[18:19], v[16:17], 1.0
	ds_write_b64 v1, v[16:17]
.LBB109_224:
	s_or_b32 exec_lo, exec_lo, s1
	s_waitcnt lgkmcnt(0)
	s_barrier
	buffer_gl0_inv
	ds_read_b64 v[16:17], v1
	s_mov_b32 s1, exec_lo
	v_cmpx_lt_u32_e32 44, v0
	s_cbranch_execz .LBB109_226
; %bb.225:
	s_waitcnt lgkmcnt(0)
	v_mul_f64 v[158:159], v[16:17], v[158:159]
	ds_read2_b64 v[18:21], v38 offset0:45 offset1:46
	s_waitcnt lgkmcnt(0)
	v_fma_f64 v[122:123], -v[158:159], v[18:19], v[122:123]
	v_fma_f64 v[156:157], -v[158:159], v[20:21], v[156:157]
	ds_read2_b64 v[18:21], v38 offset0:47 offset1:48
	s_waitcnt lgkmcnt(0)
	v_fma_f64 v[120:121], -v[158:159], v[18:19], v[120:121]
	v_fma_f64 v[154:155], -v[158:159], v[20:21], v[154:155]
	;; [unrolled: 4-line block ×5, first 2 shown]
.LBB109_226:
	s_or_b32 exec_lo, exec_lo, s1
	s_mov_b32 s1, exec_lo
	s_waitcnt lgkmcnt(0)
	s_barrier
	buffer_gl0_inv
	v_cmpx_eq_u32_e32 45, v0
	s_cbranch_execz .LBB109_229
; %bb.227:
	v_mov_b32_e32 v18, v156
	v_mov_b32_e32 v19, v157
	v_mov_b32_e32 v20, v120
	v_mov_b32_e32 v21, v121
	ds_write_b64 v1, v[122:123]
	ds_write2_b64 v38, v[18:19], v[20:21] offset0:46 offset1:47
	v_mov_b32_e32 v18, v154
	v_mov_b32_e32 v19, v155
	v_mov_b32_e32 v20, v118
	v_mov_b32_e32 v21, v119
	ds_write2_b64 v38, v[18:19], v[20:21] offset0:48 offset1:49
	v_mov_b32_e32 v18, v152
	v_mov_b32_e32 v19, v153
	v_mov_b32_e32 v20, v116
	v_mov_b32_e32 v21, v117
	;; [unrolled: 5-line block ×3, first 2 shown]
	ds_write2_b64 v38, v[18:19], v[20:21] offset0:52 offset1:53
	ds_write_b64 v38, v[222:223] offset:432
	ds_read_b64 v[18:19], v1
	s_waitcnt lgkmcnt(0)
	v_cmp_neq_f64_e32 vcc_lo, 0, v[18:19]
	s_and_b32 exec_lo, exec_lo, vcc_lo
	s_cbranch_execz .LBB109_229
; %bb.228:
	v_div_scale_f64 v[20:21], null, v[18:19], v[18:19], 1.0
	v_rcp_f64_e32 v[22:23], v[20:21]
	v_fma_f64 v[24:25], -v[20:21], v[22:23], 1.0
	v_fma_f64 v[22:23], v[22:23], v[24:25], v[22:23]
	v_fma_f64 v[24:25], -v[20:21], v[22:23], 1.0
	v_fma_f64 v[22:23], v[22:23], v[24:25], v[22:23]
	v_div_scale_f64 v[24:25], vcc_lo, 1.0, v[18:19], 1.0
	v_mul_f64 v[26:27], v[24:25], v[22:23]
	v_fma_f64 v[20:21], -v[20:21], v[26:27], v[24:25]
	v_div_fmas_f64 v[20:21], v[20:21], v[22:23], v[26:27]
	v_div_fixup_f64 v[18:19], v[20:21], v[18:19], 1.0
	ds_write_b64 v1, v[18:19]
.LBB109_229:
	s_or_b32 exec_lo, exec_lo, s1
	s_waitcnt lgkmcnt(0)
	s_barrier
	buffer_gl0_inv
	ds_read_b64 v[18:19], v1
	s_mov_b32 s1, exec_lo
	v_cmpx_lt_u32_e32 45, v0
	s_cbranch_execz .LBB109_231
; %bb.230:
	s_waitcnt lgkmcnt(0)
	v_mul_f64 v[122:123], v[18:19], v[122:123]
	ds_read2_b64 v[20:23], v38 offset0:46 offset1:47
	s_waitcnt lgkmcnt(0)
	v_fma_f64 v[156:157], -v[122:123], v[20:21], v[156:157]
	v_fma_f64 v[120:121], -v[122:123], v[22:23], v[120:121]
	ds_read2_b64 v[20:23], v38 offset0:48 offset1:49
	s_waitcnt lgkmcnt(0)
	v_fma_f64 v[154:155], -v[122:123], v[20:21], v[154:155]
	v_fma_f64 v[118:119], -v[122:123], v[22:23], v[118:119]
	;; [unrolled: 4-line block ×3, first 2 shown]
	ds_read2_b64 v[20:23], v38 offset0:52 offset1:53
	s_waitcnt lgkmcnt(0)
	v_fma_f64 v[150:151], -v[122:123], v[20:21], v[150:151]
	ds_read_b64 v[20:21], v38 offset:432
	v_fma_f64 v[114:115], -v[122:123], v[22:23], v[114:115]
	s_waitcnt lgkmcnt(0)
	v_fma_f64 v[222:223], -v[122:123], v[20:21], v[222:223]
.LBB109_231:
	s_or_b32 exec_lo, exec_lo, s1
	s_mov_b32 s1, exec_lo
	s_waitcnt lgkmcnt(0)
	s_barrier
	buffer_gl0_inv
	v_cmpx_eq_u32_e32 46, v0
	s_cbranch_execz .LBB109_234
; %bb.232:
	ds_write_b64 v1, v[156:157]
	ds_write2_b64 v38, v[120:121], v[154:155] offset0:47 offset1:48
	ds_write2_b64 v38, v[118:119], v[152:153] offset0:49 offset1:50
	ds_write2_b64 v38, v[116:117], v[150:151] offset0:51 offset1:52
	ds_write2_b64 v38, v[114:115], v[222:223] offset0:53 offset1:54
	ds_read_b64 v[20:21], v1
	s_waitcnt lgkmcnt(0)
	v_cmp_neq_f64_e32 vcc_lo, 0, v[20:21]
	s_and_b32 exec_lo, exec_lo, vcc_lo
	s_cbranch_execz .LBB109_234
; %bb.233:
	v_div_scale_f64 v[22:23], null, v[20:21], v[20:21], 1.0
	v_rcp_f64_e32 v[24:25], v[22:23]
	v_fma_f64 v[26:27], -v[22:23], v[24:25], 1.0
	v_fma_f64 v[24:25], v[24:25], v[26:27], v[24:25]
	v_fma_f64 v[26:27], -v[22:23], v[24:25], 1.0
	v_fma_f64 v[24:25], v[24:25], v[26:27], v[24:25]
	v_div_scale_f64 v[26:27], vcc_lo, 1.0, v[20:21], 1.0
	v_mul_f64 v[28:29], v[26:27], v[24:25]
	v_fma_f64 v[22:23], -v[22:23], v[28:29], v[26:27]
	v_div_fmas_f64 v[22:23], v[22:23], v[24:25], v[28:29]
	v_div_fixup_f64 v[20:21], v[22:23], v[20:21], 1.0
	ds_write_b64 v1, v[20:21]
.LBB109_234:
	s_or_b32 exec_lo, exec_lo, s1
	s_waitcnt lgkmcnt(0)
	s_barrier
	buffer_gl0_inv
	ds_read_b64 v[20:21], v1
	s_mov_b32 s1, exec_lo
	v_cmpx_lt_u32_e32 46, v0
	s_cbranch_execz .LBB109_236
; %bb.235:
	s_waitcnt lgkmcnt(0)
	v_mul_f64 v[156:157], v[20:21], v[156:157]
	ds_read2_b64 v[22:25], v38 offset0:47 offset1:48
	s_waitcnt lgkmcnt(0)
	v_fma_f64 v[120:121], -v[156:157], v[22:23], v[120:121]
	v_fma_f64 v[154:155], -v[156:157], v[24:25], v[154:155]
	ds_read2_b64 v[22:25], v38 offset0:49 offset1:50
	s_waitcnt lgkmcnt(0)
	v_fma_f64 v[118:119], -v[156:157], v[22:23], v[118:119]
	v_fma_f64 v[152:153], -v[156:157], v[24:25], v[152:153]
	;; [unrolled: 4-line block ×4, first 2 shown]
.LBB109_236:
	s_or_b32 exec_lo, exec_lo, s1
	s_mov_b32 s1, exec_lo
	s_waitcnt lgkmcnt(0)
	s_barrier
	buffer_gl0_inv
	v_cmpx_eq_u32_e32 47, v0
	s_cbranch_execz .LBB109_239
; %bb.237:
	v_mov_b32_e32 v22, v154
	v_mov_b32_e32 v23, v155
	;; [unrolled: 1-line block ×4, first 2 shown]
	ds_write_b64 v1, v[120:121]
	ds_write2_b64 v38, v[22:23], v[24:25] offset0:48 offset1:49
	v_mov_b32_e32 v22, v152
	v_mov_b32_e32 v23, v153
	;; [unrolled: 1-line block ×4, first 2 shown]
	ds_write2_b64 v38, v[22:23], v[24:25] offset0:50 offset1:51
	v_mov_b32_e32 v22, v150
	v_mov_b32_e32 v23, v151
	;; [unrolled: 1-line block ×4, first 2 shown]
	ds_write2_b64 v38, v[22:23], v[24:25] offset0:52 offset1:53
	ds_write_b64 v38, v[222:223] offset:432
	ds_read_b64 v[22:23], v1
	s_waitcnt lgkmcnt(0)
	v_cmp_neq_f64_e32 vcc_lo, 0, v[22:23]
	s_and_b32 exec_lo, exec_lo, vcc_lo
	s_cbranch_execz .LBB109_239
; %bb.238:
	v_div_scale_f64 v[24:25], null, v[22:23], v[22:23], 1.0
	v_rcp_f64_e32 v[26:27], v[24:25]
	v_fma_f64 v[28:29], -v[24:25], v[26:27], 1.0
	v_fma_f64 v[26:27], v[26:27], v[28:29], v[26:27]
	v_fma_f64 v[28:29], -v[24:25], v[26:27], 1.0
	v_fma_f64 v[26:27], v[26:27], v[28:29], v[26:27]
	v_div_scale_f64 v[28:29], vcc_lo, 1.0, v[22:23], 1.0
	v_mul_f64 v[30:31], v[28:29], v[26:27]
	v_fma_f64 v[24:25], -v[24:25], v[30:31], v[28:29]
	v_div_fmas_f64 v[24:25], v[24:25], v[26:27], v[30:31]
	v_div_fixup_f64 v[22:23], v[24:25], v[22:23], 1.0
	ds_write_b64 v1, v[22:23]
.LBB109_239:
	s_or_b32 exec_lo, exec_lo, s1
	s_waitcnt lgkmcnt(0)
	s_barrier
	buffer_gl0_inv
	ds_read_b64 v[24:25], v1
	s_mov_b32 s1, exec_lo
	v_cmpx_lt_u32_e32 47, v0
	s_cbranch_execz .LBB109_241
; %bb.240:
	s_waitcnt lgkmcnt(0)
	v_mul_f64 v[120:121], v[24:25], v[120:121]
	ds_read2_b64 v[26:29], v38 offset0:48 offset1:49
	ds_read_b64 v[22:23], v38 offset:432
	s_waitcnt lgkmcnt(1)
	v_fma_f64 v[154:155], -v[120:121], v[26:27], v[154:155]
	v_fma_f64 v[118:119], -v[120:121], v[28:29], v[118:119]
	ds_read2_b64 v[26:29], v38 offset0:50 offset1:51
	s_waitcnt lgkmcnt(1)
	v_fma_f64 v[222:223], -v[120:121], v[22:23], v[222:223]
	s_waitcnt lgkmcnt(0)
	v_fma_f64 v[152:153], -v[120:121], v[26:27], v[152:153]
	v_fma_f64 v[116:117], -v[120:121], v[28:29], v[116:117]
	ds_read2_b64 v[26:29], v38 offset0:52 offset1:53
	s_waitcnt lgkmcnt(0)
	v_fma_f64 v[150:151], -v[120:121], v[26:27], v[150:151]
	v_fma_f64 v[114:115], -v[120:121], v[28:29], v[114:115]
.LBB109_241:
	s_or_b32 exec_lo, exec_lo, s1
	s_mov_b32 s1, exec_lo
	s_waitcnt lgkmcnt(0)
	s_barrier
	buffer_gl0_inv
	v_cmpx_eq_u32_e32 48, v0
	s_cbranch_execz .LBB109_244
; %bb.242:
	ds_write_b64 v1, v[154:155]
	ds_write2_b64 v38, v[118:119], v[152:153] offset0:49 offset1:50
	ds_write2_b64 v38, v[116:117], v[150:151] offset0:51 offset1:52
	;; [unrolled: 1-line block ×3, first 2 shown]
	ds_read_b64 v[22:23], v1
	s_waitcnt lgkmcnt(0)
	v_cmp_neq_f64_e32 vcc_lo, 0, v[22:23]
	s_and_b32 exec_lo, exec_lo, vcc_lo
	s_cbranch_execz .LBB109_244
; %bb.243:
	v_div_scale_f64 v[26:27], null, v[22:23], v[22:23], 1.0
	v_rcp_f64_e32 v[28:29], v[26:27]
	v_fma_f64 v[30:31], -v[26:27], v[28:29], 1.0
	v_fma_f64 v[28:29], v[28:29], v[30:31], v[28:29]
	v_fma_f64 v[30:31], -v[26:27], v[28:29], 1.0
	v_fma_f64 v[28:29], v[28:29], v[30:31], v[28:29]
	v_div_scale_f64 v[30:31], vcc_lo, 1.0, v[22:23], 1.0
	v_mul_f64 v[32:33], v[30:31], v[28:29]
	v_fma_f64 v[26:27], -v[26:27], v[32:33], v[30:31]
	v_div_fmas_f64 v[26:27], v[26:27], v[28:29], v[32:33]
	v_div_fixup_f64 v[22:23], v[26:27], v[22:23], 1.0
	ds_write_b64 v1, v[22:23]
.LBB109_244:
	s_or_b32 exec_lo, exec_lo, s1
	s_waitcnt lgkmcnt(0)
	s_barrier
	buffer_gl0_inv
	ds_read_b64 v[26:27], v1
	s_mov_b32 s1, exec_lo
	v_cmpx_lt_u32_e32 48, v0
	s_cbranch_execz .LBB109_246
; %bb.245:
	s_waitcnt lgkmcnt(0)
	v_mul_f64 v[154:155], v[26:27], v[154:155]
	ds_read2_b64 v[28:31], v38 offset0:49 offset1:50
	s_waitcnt lgkmcnt(0)
	v_fma_f64 v[118:119], -v[154:155], v[28:29], v[118:119]
	v_fma_f64 v[152:153], -v[154:155], v[30:31], v[152:153]
	ds_read2_b64 v[28:31], v38 offset0:51 offset1:52
	s_waitcnt lgkmcnt(0)
	v_fma_f64 v[116:117], -v[154:155], v[28:29], v[116:117]
	v_fma_f64 v[150:151], -v[154:155], v[30:31], v[150:151]
	;; [unrolled: 4-line block ×3, first 2 shown]
.LBB109_246:
	s_or_b32 exec_lo, exec_lo, s1
	s_mov_b32 s1, exec_lo
	s_waitcnt lgkmcnt(0)
	s_barrier
	buffer_gl0_inv
	v_cmpx_eq_u32_e32 49, v0
	s_cbranch_execz .LBB109_249
; %bb.247:
	v_mov_b32_e32 v22, v152
	v_mov_b32_e32 v23, v153
	;; [unrolled: 1-line block ×4, first 2 shown]
	ds_write_b64 v1, v[118:119]
	ds_write2_b64 v38, v[22:23], v[28:29] offset0:50 offset1:51
	v_mov_b32_e32 v22, v150
	v_mov_b32_e32 v23, v151
	;; [unrolled: 1-line block ×4, first 2 shown]
	ds_write2_b64 v38, v[22:23], v[28:29] offset0:52 offset1:53
	ds_write_b64 v38, v[222:223] offset:432
	ds_read_b64 v[22:23], v1
	s_waitcnt lgkmcnt(0)
	v_cmp_neq_f64_e32 vcc_lo, 0, v[22:23]
	s_and_b32 exec_lo, exec_lo, vcc_lo
	s_cbranch_execz .LBB109_249
; %bb.248:
	v_div_scale_f64 v[28:29], null, v[22:23], v[22:23], 1.0
	v_rcp_f64_e32 v[30:31], v[28:29]
	v_fma_f64 v[32:33], -v[28:29], v[30:31], 1.0
	v_fma_f64 v[30:31], v[30:31], v[32:33], v[30:31]
	v_fma_f64 v[32:33], -v[28:29], v[30:31], 1.0
	v_fma_f64 v[30:31], v[30:31], v[32:33], v[30:31]
	v_div_scale_f64 v[32:33], vcc_lo, 1.0, v[22:23], 1.0
	v_mul_f64 v[34:35], v[32:33], v[30:31]
	v_fma_f64 v[28:29], -v[28:29], v[34:35], v[32:33]
	v_div_fmas_f64 v[28:29], v[28:29], v[30:31], v[34:35]
	v_div_fixup_f64 v[22:23], v[28:29], v[22:23], 1.0
	ds_write_b64 v1, v[22:23]
.LBB109_249:
	s_or_b32 exec_lo, exec_lo, s1
	s_waitcnt lgkmcnt(0)
	s_barrier
	buffer_gl0_inv
	ds_read_b64 v[28:29], v1
	s_mov_b32 s1, exec_lo
	v_cmpx_lt_u32_e32 49, v0
	s_cbranch_execz .LBB109_251
; %bb.250:
	s_waitcnt lgkmcnt(0)
	v_mul_f64 v[118:119], v[28:29], v[118:119]
	ds_read2_b64 v[30:33], v38 offset0:50 offset1:51
	ds_read_b64 v[22:23], v38 offset:432
	s_waitcnt lgkmcnt(1)
	v_fma_f64 v[152:153], -v[118:119], v[30:31], v[152:153]
	v_fma_f64 v[116:117], -v[118:119], v[32:33], v[116:117]
	ds_read2_b64 v[30:33], v38 offset0:52 offset1:53
	s_waitcnt lgkmcnt(1)
	v_fma_f64 v[222:223], -v[118:119], v[22:23], v[222:223]
	s_waitcnt lgkmcnt(0)
	v_fma_f64 v[150:151], -v[118:119], v[30:31], v[150:151]
	v_fma_f64 v[114:115], -v[118:119], v[32:33], v[114:115]
.LBB109_251:
	s_or_b32 exec_lo, exec_lo, s1
	s_mov_b32 s1, exec_lo
	s_waitcnt lgkmcnt(0)
	s_barrier
	buffer_gl0_inv
	v_cmpx_eq_u32_e32 50, v0
	s_cbranch_execz .LBB109_254
; %bb.252:
	ds_write_b64 v1, v[152:153]
	ds_write2_b64 v38, v[116:117], v[150:151] offset0:51 offset1:52
	ds_write2_b64 v38, v[114:115], v[222:223] offset0:53 offset1:54
	ds_read_b64 v[22:23], v1
	s_waitcnt lgkmcnt(0)
	v_cmp_neq_f64_e32 vcc_lo, 0, v[22:23]
	s_and_b32 exec_lo, exec_lo, vcc_lo
	s_cbranch_execz .LBB109_254
; %bb.253:
	v_div_scale_f64 v[30:31], null, v[22:23], v[22:23], 1.0
	v_rcp_f64_e32 v[32:33], v[30:31]
	v_fma_f64 v[34:35], -v[30:31], v[32:33], 1.0
	v_fma_f64 v[32:33], v[32:33], v[34:35], v[32:33]
	v_fma_f64 v[34:35], -v[30:31], v[32:33], 1.0
	v_fma_f64 v[32:33], v[32:33], v[34:35], v[32:33]
	v_div_scale_f64 v[34:35], vcc_lo, 1.0, v[22:23], 1.0
	v_mul_f64 v[36:37], v[34:35], v[32:33]
	v_fma_f64 v[30:31], -v[30:31], v[36:37], v[34:35]
	v_div_fmas_f64 v[30:31], v[30:31], v[32:33], v[36:37]
	v_div_fixup_f64 v[22:23], v[30:31], v[22:23], 1.0
	ds_write_b64 v1, v[22:23]
.LBB109_254:
	s_or_b32 exec_lo, exec_lo, s1
	s_waitcnt lgkmcnt(0)
	s_barrier
	buffer_gl0_inv
	ds_read_b64 v[30:31], v1
	s_mov_b32 s1, exec_lo
	v_cmpx_lt_u32_e32 50, v0
	s_cbranch_execz .LBB109_256
; %bb.255:
	s_waitcnt lgkmcnt(0)
	v_mul_f64 v[152:153], v[30:31], v[152:153]
	ds_read2_b64 v[32:35], v38 offset0:51 offset1:52
	s_waitcnt lgkmcnt(0)
	v_fma_f64 v[116:117], -v[152:153], v[32:33], v[116:117]
	v_fma_f64 v[150:151], -v[152:153], v[34:35], v[150:151]
	ds_read2_b64 v[32:35], v38 offset0:53 offset1:54
	s_waitcnt lgkmcnt(0)
	v_fma_f64 v[114:115], -v[152:153], v[32:33], v[114:115]
	v_fma_f64 v[222:223], -v[152:153], v[34:35], v[222:223]
.LBB109_256:
	s_or_b32 exec_lo, exec_lo, s1
	s_mov_b32 s1, exec_lo
	s_waitcnt lgkmcnt(0)
	s_barrier
	buffer_gl0_inv
	v_cmpx_eq_u32_e32 51, v0
	s_cbranch_execz .LBB109_259
; %bb.257:
	v_mov_b32_e32 v22, v150
	v_mov_b32_e32 v23, v151
	;; [unrolled: 1-line block ×4, first 2 shown]
	ds_write_b64 v1, v[116:117]
	ds_write2_b64 v38, v[22:23], v[32:33] offset0:52 offset1:53
	ds_write_b64 v38, v[222:223] offset:432
	ds_read_b64 v[22:23], v1
	s_waitcnt lgkmcnt(0)
	v_cmp_neq_f64_e32 vcc_lo, 0, v[22:23]
	s_and_b32 exec_lo, exec_lo, vcc_lo
	s_cbranch_execz .LBB109_259
; %bb.258:
	v_div_scale_f64 v[32:33], null, v[22:23], v[22:23], 1.0
	v_rcp_f64_e32 v[34:35], v[32:33]
	v_fma_f64 v[36:37], -v[32:33], v[34:35], 1.0
	v_fma_f64 v[34:35], v[34:35], v[36:37], v[34:35]
	v_fma_f64 v[36:37], -v[32:33], v[34:35], 1.0
	v_fma_f64 v[34:35], v[34:35], v[36:37], v[34:35]
	v_div_scale_f64 v[36:37], vcc_lo, 1.0, v[22:23], 1.0
	v_mul_f64 v[39:40], v[36:37], v[34:35]
	v_fma_f64 v[32:33], -v[32:33], v[39:40], v[36:37]
	v_div_fmas_f64 v[32:33], v[32:33], v[34:35], v[39:40]
	v_div_fixup_f64 v[22:23], v[32:33], v[22:23], 1.0
	ds_write_b64 v1, v[22:23]
.LBB109_259:
	s_or_b32 exec_lo, exec_lo, s1
	s_waitcnt lgkmcnt(0)
	s_barrier
	buffer_gl0_inv
	ds_read_b64 v[32:33], v1
	s_mov_b32 s1, exec_lo
	v_cmpx_lt_u32_e32 51, v0
	s_cbranch_execz .LBB109_261
; %bb.260:
	s_waitcnt lgkmcnt(0)
	v_mul_f64 v[116:117], v[32:33], v[116:117]
	ds_read2_b64 v[34:37], v38 offset0:52 offset1:53
	ds_read_b64 v[22:23], v38 offset:432
	s_waitcnt lgkmcnt(1)
	v_fma_f64 v[150:151], -v[116:117], v[34:35], v[150:151]
	v_fma_f64 v[114:115], -v[116:117], v[36:37], v[114:115]
	s_waitcnt lgkmcnt(0)
	v_fma_f64 v[222:223], -v[116:117], v[22:23], v[222:223]
.LBB109_261:
	s_or_b32 exec_lo, exec_lo, s1
	s_mov_b32 s1, exec_lo
	s_waitcnt lgkmcnt(0)
	s_barrier
	buffer_gl0_inv
	v_cmpx_eq_u32_e32 52, v0
	s_cbranch_execz .LBB109_264
; %bb.262:
	ds_write_b64 v1, v[150:151]
	ds_write2_b64 v38, v[114:115], v[222:223] offset0:53 offset1:54
	ds_read_b64 v[22:23], v1
	s_waitcnt lgkmcnt(0)
	v_cmp_neq_f64_e32 vcc_lo, 0, v[22:23]
	s_and_b32 exec_lo, exec_lo, vcc_lo
	s_cbranch_execz .LBB109_264
; %bb.263:
	v_div_scale_f64 v[34:35], null, v[22:23], v[22:23], 1.0
	v_rcp_f64_e32 v[36:37], v[34:35]
	v_fma_f64 v[39:40], -v[34:35], v[36:37], 1.0
	v_fma_f64 v[36:37], v[36:37], v[39:40], v[36:37]
	v_fma_f64 v[39:40], -v[34:35], v[36:37], 1.0
	v_fma_f64 v[36:37], v[36:37], v[39:40], v[36:37]
	v_div_scale_f64 v[39:40], vcc_lo, 1.0, v[22:23], 1.0
	v_mul_f64 v[41:42], v[39:40], v[36:37]
	v_fma_f64 v[34:35], -v[34:35], v[41:42], v[39:40]
	v_div_fmas_f64 v[34:35], v[34:35], v[36:37], v[41:42]
	v_div_fixup_f64 v[22:23], v[34:35], v[22:23], 1.0
	ds_write_b64 v1, v[22:23]
.LBB109_264:
	s_or_b32 exec_lo, exec_lo, s1
	s_waitcnt lgkmcnt(0)
	s_barrier
	buffer_gl0_inv
	ds_read_b64 v[34:35], v1
	s_mov_b32 s1, exec_lo
	v_cmpx_lt_u32_e32 52, v0
	s_cbranch_execz .LBB109_266
; %bb.265:
	s_waitcnt lgkmcnt(0)
	v_mul_f64 v[150:151], v[34:35], v[150:151]
	ds_read2_b64 v[39:42], v38 offset0:53 offset1:54
	s_waitcnt lgkmcnt(0)
	v_fma_f64 v[114:115], -v[150:151], v[39:40], v[114:115]
	v_fma_f64 v[222:223], -v[150:151], v[41:42], v[222:223]
.LBB109_266:
	s_or_b32 exec_lo, exec_lo, s1
	s_mov_b32 s1, exec_lo
	s_waitcnt lgkmcnt(0)
	s_barrier
	buffer_gl0_inv
	v_cmpx_eq_u32_e32 53, v0
	s_cbranch_execz .LBB109_269
; %bb.267:
	ds_write_b64 v1, v[114:115]
	ds_write_b64 v38, v[222:223] offset:432
	ds_read_b64 v[22:23], v1
	s_waitcnt lgkmcnt(0)
	v_cmp_neq_f64_e32 vcc_lo, 0, v[22:23]
	s_and_b32 exec_lo, exec_lo, vcc_lo
	s_cbranch_execz .LBB109_269
; %bb.268:
	v_div_scale_f64 v[36:37], null, v[22:23], v[22:23], 1.0
	v_mov_b32_e32 v249, v247
	v_mov_b32_e32 v248, v246
	;; [unrolled: 1-line block ×20, first 2 shown]
	v_rcp_f64_e32 v[39:40], v[36:37]
	v_mov_b32_e32 v104, v47
	v_mov_b32_e32 v103, v46
	;; [unrolled: 1-line block ×23, first 2 shown]
	v_fma_f64 v[41:42], -v[36:37], v[39:40], 1.0
	v_mov_b32_e32 v83, v81
	v_mov_b32_e32 v82, v80
	;; [unrolled: 1-line block ×21, first 2 shown]
	v_fma_f64 v[39:40], v[39:40], v[41:42], v[39:40]
	v_mov_b32_e32 v62, v60
	v_mov_b32_e32 v61, v59
	;; [unrolled: 1-line block ×14, first 2 shown]
	v_fma_f64 v[41:42], -v[36:37], v[39:40], 1.0
	v_fma_f64 v[39:40], v[39:40], v[41:42], v[39:40]
	v_div_scale_f64 v[41:42], vcc_lo, 1.0, v[22:23], 1.0
	v_mul_f64 v[43:44], v[41:42], v[39:40]
	v_fma_f64 v[36:37], -v[36:37], v[43:44], v[41:42]
	v_div_fmas_f64 v[36:37], v[36:37], v[39:40], v[43:44]
	v_mov_b32_e32 v44, v49
	v_mov_b32_e32 v45, v50
	;; [unrolled: 1-line block ×45, first 2 shown]
	v_div_fixup_f64 v[22:23], v[36:37], v[22:23], 1.0
	v_mov_b32_e32 v92, v94
	v_mov_b32_e32 v93, v95
	v_mov_b32_e32 v94, v96
	v_mov_b32_e32 v95, v97
	v_mov_b32_e32 v96, v98
	v_mov_b32_e32 v97, v99
	v_mov_b32_e32 v98, v100
	v_mov_b32_e32 v99, v101
	v_mov_b32_e32 v100, v102
	v_mov_b32_e32 v102, v48
	v_mov_b32_e32 v101, v47
	v_mov_b32_e32 v46, v103
	v_mov_b32_e32 v47, v104
	v_mov_b32_e32 v103, v105
	v_mov_b32_e32 v104, v106
	v_mov_b32_e32 v105, v107
	v_mov_b32_e32 v106, v108
	v_mov_b32_e32 v107, v111
	v_mov_b32_e32 v108, v112
	v_mov_b32_e32 v111, v236
	v_mov_b32_e32 v112, v237
	v_mov_b32_e32 v236, v238
	v_mov_b32_e32 v237, v239
	v_mov_b32_e32 v238, v240
	v_mov_b32_e32 v239, v241
	v_mov_b32_e32 v240, v242
	v_mov_b32_e32 v241, v243
	v_mov_b32_e32 v242, v244
	v_mov_b32_e32 v243, v245
	v_mov_b32_e32 v244, v246
	v_mov_b32_e32 v245, v247
	v_mov_b32_e32 v246, v248
	v_mov_b32_e32 v247, v249
	ds_write_b64 v1, v[22:23]
.LBB109_269:
	s_or_b32 exec_lo, exec_lo, s1
	s_waitcnt lgkmcnt(0)
	s_barrier
	buffer_gl0_inv
	ds_read_b64 v[36:37], v1
	s_mov_b32 s1, exec_lo
	v_cmpx_lt_u32_e32 53, v0
	s_cbranch_execz .LBB109_271
; %bb.270:
	s_waitcnt lgkmcnt(0)
	v_mul_f64 v[114:115], v[36:37], v[114:115]
	ds_read_b64 v[22:23], v38 offset:432
	s_waitcnt lgkmcnt(0)
	v_fma_f64 v[222:223], -v[114:115], v[22:23], v[222:223]
.LBB109_271:
	s_or_b32 exec_lo, exec_lo, s1
	s_mov_b32 s1, exec_lo
	s_waitcnt lgkmcnt(0)
	s_barrier
	buffer_gl0_inv
	v_cmpx_eq_u32_e32 54, v0
	s_cbranch_execz .LBB109_274
; %bb.272:
	v_cmp_neq_f64_e32 vcc_lo, 0, v[222:223]
	ds_write_b64 v1, v[222:223]
	s_and_b32 exec_lo, exec_lo, vcc_lo
	s_cbranch_execz .LBB109_274
; %bb.273:
	v_div_scale_f64 v[22:23], null, v[222:223], v[222:223], 1.0
	v_rcp_f64_e32 v[38:39], v[22:23]
	v_fma_f64 v[40:41], -v[22:23], v[38:39], 1.0
	v_fma_f64 v[38:39], v[38:39], v[40:41], v[38:39]
	v_fma_f64 v[40:41], -v[22:23], v[38:39], 1.0
	v_fma_f64 v[38:39], v[38:39], v[40:41], v[38:39]
	v_div_scale_f64 v[40:41], vcc_lo, 1.0, v[222:223], 1.0
	v_mul_f64 v[42:43], v[40:41], v[38:39]
	v_fma_f64 v[22:23], -v[22:23], v[42:43], v[40:41]
	v_div_fmas_f64 v[22:23], v[22:23], v[38:39], v[42:43]
	v_div_fixup_f64 v[22:23], v[22:23], v[222:223], 1.0
	ds_write_b64 v1, v[22:23]
.LBB109_274:
	s_or_b32 exec_lo, exec_lo, s1
	s_waitcnt lgkmcnt(0)
	s_barrier
	buffer_gl0_inv
	ds_read_b64 v[22:23], v1
	s_waitcnt lgkmcnt(0)
	s_barrier
	buffer_gl0_inv
	s_and_saveexec_b32 s1, s0
	s_cbranch_execz .LBB109_277
; %bb.275:
	v_cmp_eq_f64_e32 vcc_lo, 0, v[69:70]
	v_cmp_neq_f64_e64 s0, 0, v[71:72]
	s_load_dwordx2 s[2:3], s[4:5], 0x28
	v_cndmask_b32_e64 v1, 0, 1, vcc_lo
	s_or_b32 vcc_lo, s0, vcc_lo
	v_cndmask_b32_e32 v1, 2, v1, vcc_lo
	v_cmp_eq_f64_e32 vcc_lo, 0, v[73:74]
	v_cmp_eq_u32_e64 s0, 0, v1
	s_and_b32 s0, vcc_lo, s0
	v_cmp_eq_f64_e32 vcc_lo, 0, v[75:76]
	v_cndmask_b32_e64 v1, v1, 3, s0
	v_cmp_eq_u32_e64 s0, 0, v1
	s_and_b32 s0, vcc_lo, s0
	v_cmp_eq_f64_e32 vcc_lo, 0, v[77:78]
	v_cndmask_b32_e64 v1, v1, 4, s0
	;; [unrolled: 4-line block ×52, first 2 shown]
	v_cmp_eq_u32_e64 s0, 0, v1
	s_and_b32 s0, vcc_lo, s0
	v_cndmask_b32_e64 v4, v1, 55, s0
	v_lshlrev_b64 v[1:2], 2, v[2:3]
	v_cmp_ne_u32_e64 s0, 0, v4
	s_waitcnt lgkmcnt(0)
	v_add_co_u32 v1, vcc_lo, s2, v1
	v_add_co_ci_u32_e64 v2, null, s3, v2, vcc_lo
	global_load_dword v3, v[1:2], off
	s_waitcnt vmcnt(0)
	v_cmp_eq_u32_e32 vcc_lo, 0, v3
	s_and_b32 s0, vcc_lo, s0
	s_and_b32 exec_lo, exec_lo, s0
	s_cbranch_execz .LBB109_277
; %bb.276:
	v_add_nc_u32_e32 v3, s9, v4
	global_store_dword v[1:2], v3, off
.LBB109_277:
	s_or_b32 exec_lo, exec_lo, s1
	s_clause 0x1
	buffer_load_dword v3, off, s[12:15], 0 offset:112
	buffer_load_dword v4, off, s[12:15], 0 offset:116
	v_mul_f64 v[1:2], v[22:23], v[222:223]
	v_cmp_lt_u32_e32 vcc_lo, 54, v0
	v_cndmask_b32_e32 v2, v223, v2, vcc_lo
	v_cndmask_b32_e32 v1, v222, v1, vcc_lo
	s_waitcnt vmcnt(0)
	flat_store_dwordx2 v[3:4], v[184:185]
	s_clause 0x1
	buffer_load_dword v3, off, s[12:15], 0 offset:120
	buffer_load_dword v4, off, s[12:15], 0 offset:124
	s_waitcnt vmcnt(0)
	flat_store_dwordx2 v[3:4], v[202:203]
	s_clause 0x1
	buffer_load_dword v3, off, s[12:15], 0
	buffer_load_dword v4, off, s[12:15], 0 offset:4
	s_waitcnt vmcnt(0)
	flat_store_dwordx2 v[3:4], v[220:221]
	s_clause 0x1
	buffer_load_dword v3, off, s[12:15], 0 offset:8
	buffer_load_dword v4, off, s[12:15], 0 offset:12
	s_waitcnt vmcnt(0)
	flat_store_dwordx2 v[3:4], v[200:201]
	s_clause 0x1
	buffer_load_dword v3, off, s[12:15], 0 offset:16
	;; [unrolled: 5-line block ×41, first 2 shown]
	buffer_load_dword v4, off, s[12:15], 0 offset:348
	s_waitcnt vmcnt(0)
	flat_store_dwordx2 v[3:4], v[124:125]
	flat_store_dwordx2 v[44:45], v[158:159]
	;; [unrolled: 1-line block ×12, first 2 shown]
.LBB109_278:
	s_endpgm
	.section	.rodata,"a",@progbits
	.p2align	6, 0x0
	.amdhsa_kernel _ZN9rocsolver6v33100L23getf2_npvt_small_kernelILi55EdiiPKPdEEvT1_T3_lS5_lPT2_S5_S5_
		.amdhsa_group_segment_fixed_size 0
		.amdhsa_private_segment_fixed_size 356
		.amdhsa_kernarg_size 312
		.amdhsa_user_sgpr_count 6
		.amdhsa_user_sgpr_private_segment_buffer 1
		.amdhsa_user_sgpr_dispatch_ptr 0
		.amdhsa_user_sgpr_queue_ptr 0
		.amdhsa_user_sgpr_kernarg_segment_ptr 1
		.amdhsa_user_sgpr_dispatch_id 0
		.amdhsa_user_sgpr_flat_scratch_init 0
		.amdhsa_user_sgpr_private_segment_size 0
		.amdhsa_wavefront_size32 1
		.amdhsa_uses_dynamic_stack 0
		.amdhsa_system_sgpr_private_segment_wavefront_offset 1
		.amdhsa_system_sgpr_workgroup_id_x 1
		.amdhsa_system_sgpr_workgroup_id_y 1
		.amdhsa_system_sgpr_workgroup_id_z 0
		.amdhsa_system_sgpr_workgroup_info 0
		.amdhsa_system_vgpr_workitem_id 1
		.amdhsa_next_free_vgpr 256
		.amdhsa_next_free_sgpr 16
		.amdhsa_reserve_vcc 1
		.amdhsa_reserve_flat_scratch 1
		.amdhsa_float_round_mode_32 0
		.amdhsa_float_round_mode_16_64 0
		.amdhsa_float_denorm_mode_32 3
		.amdhsa_float_denorm_mode_16_64 3
		.amdhsa_dx10_clamp 1
		.amdhsa_ieee_mode 1
		.amdhsa_fp16_overflow 0
		.amdhsa_workgroup_processor_mode 1
		.amdhsa_memory_ordered 1
		.amdhsa_forward_progress 1
		.amdhsa_shared_vgpr_count 0
		.amdhsa_exception_fp_ieee_invalid_op 0
		.amdhsa_exception_fp_denorm_src 0
		.amdhsa_exception_fp_ieee_div_zero 0
		.amdhsa_exception_fp_ieee_overflow 0
		.amdhsa_exception_fp_ieee_underflow 0
		.amdhsa_exception_fp_ieee_inexact 0
		.amdhsa_exception_int_div_zero 0
	.end_amdhsa_kernel
	.section	.text._ZN9rocsolver6v33100L23getf2_npvt_small_kernelILi55EdiiPKPdEEvT1_T3_lS5_lPT2_S5_S5_,"axG",@progbits,_ZN9rocsolver6v33100L23getf2_npvt_small_kernelILi55EdiiPKPdEEvT1_T3_lS5_lPT2_S5_S5_,comdat
.Lfunc_end109:
	.size	_ZN9rocsolver6v33100L23getf2_npvt_small_kernelILi55EdiiPKPdEEvT1_T3_lS5_lPT2_S5_S5_, .Lfunc_end109-_ZN9rocsolver6v33100L23getf2_npvt_small_kernelILi55EdiiPKPdEEvT1_T3_lS5_lPT2_S5_S5_
                                        ; -- End function
	.set _ZN9rocsolver6v33100L23getf2_npvt_small_kernelILi55EdiiPKPdEEvT1_T3_lS5_lPT2_S5_S5_.num_vgpr, 256
	.set _ZN9rocsolver6v33100L23getf2_npvt_small_kernelILi55EdiiPKPdEEvT1_T3_lS5_lPT2_S5_S5_.num_agpr, 0
	.set _ZN9rocsolver6v33100L23getf2_npvt_small_kernelILi55EdiiPKPdEEvT1_T3_lS5_lPT2_S5_S5_.numbered_sgpr, 16
	.set _ZN9rocsolver6v33100L23getf2_npvt_small_kernelILi55EdiiPKPdEEvT1_T3_lS5_lPT2_S5_S5_.num_named_barrier, 0
	.set _ZN9rocsolver6v33100L23getf2_npvt_small_kernelILi55EdiiPKPdEEvT1_T3_lS5_lPT2_S5_S5_.private_seg_size, 356
	.set _ZN9rocsolver6v33100L23getf2_npvt_small_kernelILi55EdiiPKPdEEvT1_T3_lS5_lPT2_S5_S5_.uses_vcc, 1
	.set _ZN9rocsolver6v33100L23getf2_npvt_small_kernelILi55EdiiPKPdEEvT1_T3_lS5_lPT2_S5_S5_.uses_flat_scratch, 1
	.set _ZN9rocsolver6v33100L23getf2_npvt_small_kernelILi55EdiiPKPdEEvT1_T3_lS5_lPT2_S5_S5_.has_dyn_sized_stack, 0
	.set _ZN9rocsolver6v33100L23getf2_npvt_small_kernelILi55EdiiPKPdEEvT1_T3_lS5_lPT2_S5_S5_.has_recursion, 0
	.set _ZN9rocsolver6v33100L23getf2_npvt_small_kernelILi55EdiiPKPdEEvT1_T3_lS5_lPT2_S5_S5_.has_indirect_call, 0
	.section	.AMDGPU.csdata,"",@progbits
; Kernel info:
; codeLenInByte = 51056
; TotalNumSgprs: 18
; NumVgprs: 256
; ScratchSize: 356
; MemoryBound: 0
; FloatMode: 240
; IeeeMode: 1
; LDSByteSize: 0 bytes/workgroup (compile time only)
; SGPRBlocks: 0
; VGPRBlocks: 31
; NumSGPRsForWavesPerEU: 18
; NumVGPRsForWavesPerEU: 256
; Occupancy: 4
; WaveLimiterHint : 1
; COMPUTE_PGM_RSRC2:SCRATCH_EN: 1
; COMPUTE_PGM_RSRC2:USER_SGPR: 6
; COMPUTE_PGM_RSRC2:TRAP_HANDLER: 0
; COMPUTE_PGM_RSRC2:TGID_X_EN: 1
; COMPUTE_PGM_RSRC2:TGID_Y_EN: 1
; COMPUTE_PGM_RSRC2:TGID_Z_EN: 0
; COMPUTE_PGM_RSRC2:TIDIG_COMP_CNT: 1
	.section	.text._ZN9rocsolver6v33100L18getf2_small_kernelILi56EdiiPKPdEEvT1_T3_lS5_lPS5_llPT2_S5_S5_S7_l,"axG",@progbits,_ZN9rocsolver6v33100L18getf2_small_kernelILi56EdiiPKPdEEvT1_T3_lS5_lPS5_llPT2_S5_S5_S7_l,comdat
	.globl	_ZN9rocsolver6v33100L18getf2_small_kernelILi56EdiiPKPdEEvT1_T3_lS5_lPS5_llPT2_S5_S5_S7_l ; -- Begin function _ZN9rocsolver6v33100L18getf2_small_kernelILi56EdiiPKPdEEvT1_T3_lS5_lPS5_llPT2_S5_S5_S7_l
	.p2align	8
	.type	_ZN9rocsolver6v33100L18getf2_small_kernelILi56EdiiPKPdEEvT1_T3_lS5_lPS5_llPT2_S5_S5_S7_l,@function
_ZN9rocsolver6v33100L18getf2_small_kernelILi56EdiiPKPdEEvT1_T3_lS5_lPS5_llPT2_S5_S5_S7_l: ; @_ZN9rocsolver6v33100L18getf2_small_kernelILi56EdiiPKPdEEvT1_T3_lS5_lPS5_llPT2_S5_S5_S7_l
; %bb.0:
	s_clause 0x1
	s_load_dword s0, s[4:5], 0x6c
	s_load_dwordx2 s[12:13], s[4:5], 0x48
	s_waitcnt lgkmcnt(0)
	s_lshr_b32 s0, s0, 16
	v_mad_u64_u32 v[2:3], null, s7, s0, v[1:2]
	s_mov_b32 s0, exec_lo
	v_cmpx_gt_i32_e64 s12, v2
	s_cbranch_execz .LBB110_949
; %bb.1:
	s_clause 0x1
	s_load_dwordx4 s[0:3], s[4:5], 0x8
	s_load_dwordx4 s[8:11], s[4:5], 0x50
	v_ashrrev_i32_e32 v3, 31, v2
	v_lshlrev_b64 v[4:5], 3, v[2:3]
	s_waitcnt lgkmcnt(0)
	v_add_co_u32 v4, vcc_lo, s0, v4
	v_add_co_ci_u32_e64 v5, null, s1, v5, vcc_lo
	s_cmp_eq_u64 s[8:9], 0
	s_cselect_b32 s6, -1, 0
	global_load_dwordx2 v[6:7], v[4:5], off
	v_mov_b32_e32 v4, 0
	v_mov_b32_e32 v5, 0
	s_and_b32 vcc_lo, exec_lo, s6
	s_cbranch_vccnz .LBB110_3
; %bb.2:
	v_mul_lo_u32 v8, s11, v2
	v_mul_lo_u32 v9, s10, v3
	v_mad_u64_u32 v[4:5], null, s10, v2, 0
	v_add3_u32 v5, v5, v9, v8
	v_lshlrev_b64 v[4:5], 2, v[4:5]
	v_add_co_u32 v4, vcc_lo, s8, v4
	v_add_co_ci_u32_e64 v5, null, s9, v5, vcc_lo
.LBB110_3:
	s_clause 0x1
	s_load_dword s8, s[4:5], 0x18
	s_load_dword s7, s[4:5], 0x0
	s_lshl_b64 s[0:1], s[2:3], 3
	v_lshlrev_b32_e32 v174, 3, v0
	s_waitcnt vmcnt(0)
	v_add_co_u32 v122, vcc_lo, v6, s0
	v_add_co_ci_u32_e64 v123, null, s1, v7, vcc_lo
	s_waitcnt lgkmcnt(0)
	v_add3_u32 v8, s8, s8, v0
	s_ashr_i32 s9, s8, 31
	s_max_i32 s0, s7, 56
	s_lshl_b64 s[10:11], s[8:9], 3
	v_mul_lo_u32 v1, s0, v1
	v_add_nc_u32_e32 v10, s8, v8
	v_ashrrev_i32_e32 v9, 31, v8
	s_cmp_lt_i32 s7, 2
	v_ashrrev_i32_e32 v11, 31, v10
	v_add_nc_u32_e32 v12, s8, v10
	v_lshlrev_b64 v[8:9], 3, v[8:9]
	v_lshlrev_b64 v[6:7], 3, v[10:11]
	v_add_nc_u32_e32 v10, s8, v12
	v_ashrrev_i32_e32 v13, 31, v12
	v_add_co_u32 v8, vcc_lo, v122, v8
	v_add_co_ci_u32_e64 v9, null, v123, v9, vcc_lo
	v_add_nc_u32_e32 v14, s8, v10
	v_ashrrev_i32_e32 v11, 31, v10
	v_lshlrev_b64 v[12:13], 3, v[12:13]
	v_add_co_u32 v6, vcc_lo, v122, v6
	v_add_nc_u32_e32 v16, s8, v14
	v_ashrrev_i32_e32 v15, 31, v14
	v_lshlrev_b64 v[10:11], 3, v[10:11]
	v_add_co_ci_u32_e64 v7, null, v123, v7, vcc_lo
	v_add_nc_u32_e32 v18, s8, v16
	v_ashrrev_i32_e32 v17, 31, v16
	v_lshlrev_b64 v[14:15], 3, v[14:15]
	v_add_co_u32 v12, vcc_lo, v122, v12
	v_add_nc_u32_e32 v20, s8, v18
	v_ashrrev_i32_e32 v19, 31, v18
	v_lshlrev_b64 v[16:17], 3, v[16:17]
	v_add_co_ci_u32_e64 v13, null, v123, v13, vcc_lo
	v_add_nc_u32_e32 v22, s8, v20
	v_ashrrev_i32_e32 v21, 31, v20
	v_add_co_u32 v10, vcc_lo, v122, v10
	v_lshlrev_b64 v[18:19], 3, v[18:19]
	v_add_nc_u32_e32 v24, s8, v22
	v_ashrrev_i32_e32 v23, 31, v22
	v_add_co_ci_u32_e64 v11, null, v123, v11, vcc_lo
	v_add_co_u32 v14, vcc_lo, v122, v14
	v_add_nc_u32_e32 v26, s8, v24
	v_ashrrev_i32_e32 v25, 31, v24
	v_lshlrev_b64 v[20:21], 3, v[20:21]
	v_add_co_ci_u32_e64 v15, null, v123, v15, vcc_lo
	v_add_nc_u32_e32 v28, s8, v26
	v_ashrrev_i32_e32 v27, 31, v26
	v_add_co_u32 v16, vcc_lo, v122, v16
	v_lshlrev_b64 v[22:23], 3, v[22:23]
	v_add_nc_u32_e32 v30, s8, v28
	v_ashrrev_i32_e32 v29, 31, v28
	v_add_co_ci_u32_e64 v17, null, v123, v17, vcc_lo
	v_add_co_u32 v18, vcc_lo, v122, v18
	v_add_nc_u32_e32 v32, s8, v30
	v_lshlrev_b64 v[24:25], 3, v[24:25]
	v_ashrrev_i32_e32 v31, 31, v30
	v_add_co_ci_u32_e64 v19, null, v123, v19, vcc_lo
	v_add_nc_u32_e32 v34, s8, v32
	v_add_co_u32 v20, vcc_lo, v122, v20
	v_lshlrev_b64 v[26:27], 3, v[26:27]
	v_ashrrev_i32_e32 v33, 31, v32
	v_add_nc_u32_e32 v36, s8, v34
	v_add_co_ci_u32_e64 v21, null, v123, v21, vcc_lo
	v_add_co_u32 v22, vcc_lo, v122, v22
	v_add_nc_u32_e32 v38, s8, v36
	v_lshlrev_b64 v[28:29], 3, v[28:29]
	v_ashrrev_i32_e32 v35, 31, v34
	v_add_co_ci_u32_e64 v23, null, v123, v23, vcc_lo
	v_add_nc_u32_e32 v40, s8, v38
	v_add_co_u32 v24, vcc_lo, v122, v24
	v_lshlrev_b64 v[30:31], 3, v[30:31]
	v_ashrrev_i32_e32 v37, 31, v36
	v_add_nc_u32_e32 v42, s8, v40
	;; [unrolled: 11-line block ×4, first 2 shown]
	v_add_co_ci_u32_e64 v33, null, v123, v33, vcc_lo
	v_add_co_u32 v34, vcc_lo, v122, v34
	v_lshlrev_b64 v[40:41], 3, v[40:41]
	v_ashrrev_i32_e32 v47, 31, v46
	v_add_nc_u32_e32 v56, s8, v54
	v_add_co_ci_u32_e64 v35, null, v123, v35, vcc_lo
	v_add_co_u32 v36, vcc_lo, v122, v36
	v_lshlrev_b64 v[42:43], 3, v[42:43]
	v_ashrrev_i32_e32 v49, 31, v48
	v_add_co_ci_u32_e64 v37, null, v123, v37, vcc_lo
	v_add_co_u32 v38, vcc_lo, v122, v38
	v_lshlrev_b64 v[44:45], 3, v[44:45]
	v_ashrrev_i32_e32 v51, 31, v50
	v_add_co_ci_u32_e64 v39, null, v123, v39, vcc_lo
	v_add_co_u32 v40, vcc_lo, v122, v40
	v_lshlrev_b64 v[46:47], 3, v[46:47]
	v_add_nc_u32_e32 v58, s8, v56
	v_ashrrev_i32_e32 v53, 31, v52
	v_add_co_ci_u32_e64 v41, null, v123, v41, vcc_lo
	v_add_co_u32 v42, vcc_lo, v122, v42
	v_lshlrev_b64 v[48:49], 3, v[48:49]
	v_ashrrev_i32_e32 v55, 31, v54
	v_add_co_ci_u32_e64 v43, null, v123, v43, vcc_lo
	v_add_co_u32 v44, vcc_lo, v122, v44
	v_lshlrev_b64 v[50:51], 3, v[50:51]
	v_ashrrev_i32_e32 v57, 31, v56
	v_add_nc_u32_e32 v60, s8, v58
	v_add_co_ci_u32_e64 v45, null, v123, v45, vcc_lo
	v_add_co_u32 v46, vcc_lo, v122, v46
	v_lshlrev_b64 v[52:53], 3, v[52:53]
	v_ashrrev_i32_e32 v59, 31, v58
	v_add_co_ci_u32_e64 v47, null, v123, v47, vcc_lo
	v_add_co_u32 v48, vcc_lo, v122, v48
	v_lshlrev_b64 v[54:55], 3, v[54:55]
	v_add_co_ci_u32_e64 v49, null, v123, v49, vcc_lo
	v_add_co_u32 v50, vcc_lo, v122, v50
	v_lshlrev_b64 v[56:57], 3, v[56:57]
	v_add_nc_u32_e32 v62, s8, v60
	v_add_co_ci_u32_e64 v51, null, v123, v51, vcc_lo
	v_add_co_u32 v52, vcc_lo, v122, v52
	v_lshlrev_b64 v[58:59], 3, v[58:59]
	v_ashrrev_i32_e32 v61, 31, v60
	v_add_co_ci_u32_e64 v53, null, v123, v53, vcc_lo
	v_add_co_u32 v54, vcc_lo, v122, v54
	v_ashrrev_i32_e32 v63, 31, v62
	v_add_nc_u32_e32 v64, s8, v62
	v_add_co_ci_u32_e64 v55, null, v123, v55, vcc_lo
	v_add_co_u32 v56, vcc_lo, v122, v56
	v_lshlrev_b64 v[60:61], 3, v[60:61]
	v_add_co_ci_u32_e64 v57, null, v123, v57, vcc_lo
	v_add_co_u32 v116, vcc_lo, v122, v58
	v_add_co_ci_u32_e64 v117, null, v123, v59, vcc_lo
	v_lshlrev_b64 v[58:59], 3, v[62:63]
	v_ashrrev_i32_e32 v65, 31, v64
	v_add_nc_u32_e32 v62, s8, v64
	v_add_co_u32 v118, vcc_lo, v122, v60
	v_add_co_ci_u32_e64 v119, null, v123, v61, vcc_lo
	v_lshlrev_b64 v[60:61], 3, v[64:65]
	v_ashrrev_i32_e32 v63, 31, v62
	v_add_nc_u32_e32 v64, s8, v62
	;; [unrolled: 5-line block ×22, first 2 shown]
	v_add_co_u32 v162, vcc_lo, v122, v58
	v_add_co_ci_u32_e64 v163, null, v123, v59, vcc_lo
	v_lshlrev_b64 v[58:59], 3, v[62:63]
	v_add_nc_u32_e32 v62, s8, v64
	v_ashrrev_i32_e32 v65, 31, v64
	v_add_co_u32 v164, vcc_lo, v122, v60
	v_add_co_ci_u32_e64 v165, null, v123, v61, vcc_lo
	v_ashrrev_i32_e32 v63, 31, v62
	v_lshlrev_b64 v[60:61], 3, v[64:65]
	v_add_co_u32 v166, vcc_lo, v122, v58
	v_add_co_ci_u32_e64 v167, null, v123, v59, vcc_lo
	v_lshlrev_b64 v[58:59], 3, v[62:63]
	v_add_nc_u32_e32 v62, s8, v62
	v_add_co_u32 v168, vcc_lo, v122, v60
	v_add_co_ci_u32_e64 v169, null, v123, v61, vcc_lo
	v_ashrrev_i32_e32 v63, 31, v62
	v_add_co_u32 v170, vcc_lo, v122, v58
	v_add_co_ci_u32_e64 v171, null, v123, v59, vcc_lo
	v_add_co_u32 v60, vcc_lo, v122, v174
	v_add_co_ci_u32_e64 v61, null, 0, v123, vcc_lo
	v_lshlrev_b64 v[58:59], 3, v[62:63]
	v_add_co_u32 v62, vcc_lo, v60, s10
	v_add_co_ci_u32_e64 v63, null, s11, v61, vcc_lo
	v_add_co_u32 v172, vcc_lo, v122, v58
	v_add_co_ci_u32_e64 v173, null, v123, v59, vcc_lo
	s_clause 0x37
	flat_load_dwordx2 v[114:115], v[60:61]
	flat_load_dwordx2 v[112:113], v[62:63]
	;; [unrolled: 1-line block ×56, first 2 shown]
	v_lshl_add_u32 v124, v1, 3, 0
	v_lshlrev_b32_e32 v125, 3, v1
	v_mov_b32_e32 v120, 0
	v_add_nc_u32_e32 v118, v124, v174
	s_waitcnt vmcnt(55) lgkmcnt(55)
	ds_write_b64 v118, v[114:115]
	s_waitcnt vmcnt(0) lgkmcnt(0)
	s_barrier
	buffer_gl0_inv
	ds_read_b64 v[118:119], v124
	s_cbranch_scc1 .LBB110_6
; %bb.4:
	v_add3_u32 v1, v125, 0, 8
	v_mov_b32_e32 v120, 0
	s_mov_b32 s0, 1
.LBB110_5:                              ; =>This Inner Loop Header: Depth=1
	ds_read_b64 v[126:127], v1
	v_add_nc_u32_e32 v1, 8, v1
	s_waitcnt lgkmcnt(0)
	v_cmp_lt_f64_e64 vcc_lo, |v[118:119]|, |v[126:127]|
	v_cndmask_b32_e32 v119, v119, v127, vcc_lo
	v_cndmask_b32_e32 v118, v118, v126, vcc_lo
	v_cndmask_b32_e64 v120, v120, s0, vcc_lo
	s_add_i32 s0, s0, 1
	s_cmp_eq_u32 s7, s0
	s_cbranch_scc0 .LBB110_5
.LBB110_6:
	s_mov_b32 s0, exec_lo
                                        ; implicit-def: $vgpr127
	v_cmpx_ne_u32_e64 v0, v120
	s_xor_b32 s0, exec_lo, s0
	s_cbranch_execz .LBB110_12
; %bb.7:
	s_mov_b32 s1, exec_lo
	v_cmpx_eq_u32_e32 0, v0
	s_cbranch_execz .LBB110_11
; %bb.8:
	v_cmp_ne_u32_e32 vcc_lo, 0, v120
	s_xor_b32 s2, s6, -1
	s_and_b32 s3, s2, vcc_lo
	s_and_saveexec_b32 s2, s3
	s_cbranch_execz .LBB110_10
; %bb.9:
	v_ashrrev_i32_e32 v121, 31, v120
	v_lshlrev_b64 v[0:1], 2, v[120:121]
	v_add_co_u32 v0, vcc_lo, v4, v0
	v_add_co_ci_u32_e64 v1, null, v5, v1, vcc_lo
	s_clause 0x1
	global_load_dword v121, v[0:1], off
	global_load_dword v126, v[4:5], off
	s_waitcnt vmcnt(1)
	global_store_dword v[4:5], v121, off
	s_waitcnt vmcnt(0)
	global_store_dword v[0:1], v126, off
.LBB110_10:
	s_or_b32 exec_lo, exec_lo, s2
	v_mov_b32_e32 v0, v120
.LBB110_11:
	s_or_b32 exec_lo, exec_lo, s1
	v_mov_b32_e32 v127, v0
                                        ; implicit-def: $vgpr0
.LBB110_12:
	s_or_saveexec_b32 s0, s0
	v_mov_b32_e32 v126, v127
	s_xor_b32 exec_lo, exec_lo, s0
	s_cbranch_execz .LBB110_14
; %bb.13:
	v_mov_b32_e32 v127, 0
	v_mov_b32_e32 v126, v0
	ds_write2_b64 v124, v[112:113], v[110:111] offset0:1 offset1:2
	ds_write2_b64 v124, v[108:109], v[106:107] offset0:3 offset1:4
	;; [unrolled: 1-line block ×27, first 2 shown]
	ds_write_b64 v124, v[116:117] offset:440
.LBB110_14:
	s_or_b32 exec_lo, exec_lo, s0
	s_waitcnt lgkmcnt(0)
	v_cmp_eq_f64_e64 s0, 0, v[118:119]
	s_mov_b32 s1, exec_lo
	s_waitcnt_vscnt null, 0x0
	s_barrier
	buffer_gl0_inv
	v_cmpx_lt_i32_e32 0, v127
	s_cbranch_execz .LBB110_16
; %bb.15:
	v_div_scale_f64 v[0:1], null, v[118:119], v[118:119], 1.0
	v_div_scale_f64 v[130:131], vcc_lo, 1.0, v[118:119], 1.0
	v_rcp_f64_e32 v[120:121], v[0:1]
	v_fma_f64 v[128:129], -v[0:1], v[120:121], 1.0
	v_fma_f64 v[120:121], v[120:121], v[128:129], v[120:121]
	v_fma_f64 v[128:129], -v[0:1], v[120:121], 1.0
	v_fma_f64 v[120:121], v[120:121], v[128:129], v[120:121]
	v_mul_f64 v[128:129], v[130:131], v[120:121]
	v_fma_f64 v[0:1], -v[0:1], v[128:129], v[130:131]
	v_div_fmas_f64 v[0:1], v[0:1], v[120:121], v[128:129]
	v_div_fixup_f64 v[0:1], v[0:1], v[118:119], 1.0
	v_cndmask_b32_e64 v1, v1, v119, s0
	v_cndmask_b32_e64 v0, v0, v118, s0
	ds_read2_b64 v[118:121], v124 offset0:1 offset1:2
	ds_read2_b64 v[128:131], v124 offset0:3 offset1:4
	;; [unrolled: 1-line block ×18, first 2 shown]
	v_mul_f64 v[114:115], v[0:1], v[114:115]
	s_waitcnt lgkmcnt(17)
	v_fma_f64 v[112:113], -v[114:115], v[118:119], v[112:113]
	v_fma_f64 v[110:111], -v[114:115], v[120:121], v[110:111]
	s_waitcnt lgkmcnt(16)
	v_fma_f64 v[108:109], -v[114:115], v[128:129], v[108:109]
	v_fma_f64 v[106:107], -v[114:115], v[130:131], v[106:107]
	ds_read2_b64 v[118:121], v124 offset0:37 offset1:38
	ds_read2_b64 v[128:131], v124 offset0:39 offset1:40
	s_waitcnt lgkmcnt(17)
	v_fma_f64 v[104:105], -v[114:115], v[132:133], v[104:105]
	v_fma_f64 v[102:103], -v[114:115], v[134:135], v[102:103]
	s_waitcnt lgkmcnt(16)
	v_fma_f64 v[98:99], -v[114:115], v[136:137], v[98:99]
	v_fma_f64 v[100:101], -v[114:115], v[138:139], v[100:101]
	ds_read2_b64 v[132:135], v124 offset0:41 offset1:42
	ds_read2_b64 v[136:139], v124 offset0:43 offset1:44
	;; [unrolled: 8-line block ×4, first 2 shown]
	s_waitcnt lgkmcnt(17)
	v_fma_f64 v[78:79], -v[114:115], v[156:157], v[78:79]
	v_fma_f64 v[80:81], -v[114:115], v[158:159], v[80:81]
	ds_read2_b64 v[156:159], v124 offset0:53 offset1:54
	ds_read_b64 v[0:1], v124 offset:440
	s_waitcnt lgkmcnt(18)
	v_fma_f64 v[74:75], -v[114:115], v[160:161], v[74:75]
	v_fma_f64 v[76:77], -v[114:115], v[162:163], v[76:77]
	s_waitcnt lgkmcnt(17)
	v_fma_f64 v[72:73], -v[114:115], v[164:165], v[72:73]
	v_fma_f64 v[70:71], -v[114:115], v[166:167], v[70:71]
	;; [unrolled: 3-line block ×18, first 2 shown]
	s_waitcnt lgkmcnt(0)
	v_fma_f64 v[116:117], -v[114:115], v[0:1], v[116:117]
.LBB110_16:
	s_or_b32 exec_lo, exec_lo, s1
	v_lshl_add_u32 v0, v127, 3, v124
	s_barrier
	buffer_gl0_inv
	v_mov_b32_e32 v118, 1
	ds_write_b64 v0, v[112:113]
	s_waitcnt lgkmcnt(0)
	s_barrier
	buffer_gl0_inv
	ds_read_b64 v[0:1], v124 offset:8
	s_cmp_lt_i32 s7, 3
	s_cbranch_scc1 .LBB110_19
; %bb.17:
	v_add3_u32 v119, v125, 0, 16
	v_mov_b32_e32 v118, 1
	s_mov_b32 s1, 2
.LBB110_18:                             ; =>This Inner Loop Header: Depth=1
	ds_read_b64 v[120:121], v119
	v_add_nc_u32_e32 v119, 8, v119
	s_waitcnt lgkmcnt(0)
	v_cmp_lt_f64_e64 vcc_lo, |v[0:1]|, |v[120:121]|
	v_cndmask_b32_e32 v1, v1, v121, vcc_lo
	v_cndmask_b32_e32 v0, v0, v120, vcc_lo
	v_cndmask_b32_e64 v118, v118, s1, vcc_lo
	s_add_i32 s1, s1, 1
	s_cmp_lg_u32 s7, s1
	s_cbranch_scc1 .LBB110_18
.LBB110_19:
	s_mov_b32 s1, exec_lo
	v_cmpx_ne_u32_e64 v127, v118
	s_xor_b32 s1, exec_lo, s1
	s_cbranch_execz .LBB110_25
; %bb.20:
	s_mov_b32 s2, exec_lo
	v_cmpx_eq_u32_e32 1, v127
	s_cbranch_execz .LBB110_24
; %bb.21:
	v_cmp_ne_u32_e32 vcc_lo, 1, v118
	s_xor_b32 s3, s6, -1
	s_and_b32 s9, s3, vcc_lo
	s_and_saveexec_b32 s3, s9
	s_cbranch_execz .LBB110_23
; %bb.22:
	v_ashrrev_i32_e32 v119, 31, v118
	v_lshlrev_b64 v[119:120], 2, v[118:119]
	v_add_co_u32 v119, vcc_lo, v4, v119
	v_add_co_ci_u32_e64 v120, null, v5, v120, vcc_lo
	s_clause 0x1
	global_load_dword v121, v[119:120], off
	global_load_dword v126, v[4:5], off offset:4
	s_waitcnt vmcnt(1)
	global_store_dword v[4:5], v121, off offset:4
	s_waitcnt vmcnt(0)
	global_store_dword v[119:120], v126, off
.LBB110_23:
	s_or_b32 exec_lo, exec_lo, s3
	v_mov_b32_e32 v126, v118
	v_mov_b32_e32 v127, v118
.LBB110_24:
	s_or_b32 exec_lo, exec_lo, s2
.LBB110_25:
	s_andn2_saveexec_b32 s1, s1
	s_cbranch_execz .LBB110_27
; %bb.26:
	v_mov_b32_e32 v118, v110
	v_mov_b32_e32 v119, v111
	;; [unrolled: 1-line block ×12, first 2 shown]
	ds_write2_b64 v124, v[118:119], v[120:121] offset0:2 offset1:3
	ds_write2_b64 v124, v[127:128], v[129:130] offset0:4 offset1:5
	ds_write2_b64 v124, v[131:132], v[133:134] offset0:6 offset1:7
	v_mov_b32_e32 v118, v100
	v_mov_b32_e32 v119, v101
	v_mov_b32_e32 v120, v94
	v_mov_b32_e32 v121, v95
	v_mov_b32_e32 v127, v96
	v_mov_b32_e32 v128, v97
	v_mov_b32_e32 v129, v92
	v_mov_b32_e32 v130, v93
	v_mov_b32_e32 v131, v90
	v_mov_b32_e32 v132, v91
	v_mov_b32_e32 v133, v88
	v_mov_b32_e32 v134, v89
	v_mov_b32_e32 v135, v86
	v_mov_b32_e32 v136, v87
	v_mov_b32_e32 v137, v84
	v_mov_b32_e32 v138, v85
	v_mov_b32_e32 v139, v82
	v_mov_b32_e32 v140, v83
	v_mov_b32_e32 v141, v78
	v_mov_b32_e32 v142, v79
	ds_write2_b64 v124, v[118:119], v[120:121] offset0:8 offset1:9
	ds_write2_b64 v124, v[127:128], v[129:130] offset0:10 offset1:11
	ds_write2_b64 v124, v[131:132], v[133:134] offset0:12 offset1:13
	ds_write2_b64 v124, v[135:136], v[137:138] offset0:14 offset1:15
	ds_write2_b64 v124, v[139:140], v[141:142] offset0:16 offset1:17
	v_mov_b32_e32 v118, v80
	v_mov_b32_e32 v119, v81
	v_mov_b32_e32 v120, v74
	v_mov_b32_e32 v121, v75
	v_mov_b32_e32 v127, v76
	v_mov_b32_e32 v128, v77
	v_mov_b32_e32 v129, v72
	v_mov_b32_e32 v130, v73
	v_mov_b32_e32 v131, v70
	v_mov_b32_e32 v132, v71
	v_mov_b32_e32 v133, v68
	v_mov_b32_e32 v134, v69
	v_mov_b32_e32 v135, v66
	v_mov_b32_e32 v136, v67
	v_mov_b32_e32 v137, v64
	v_mov_b32_e32 v138, v65
	v_mov_b32_e32 v139, v62
	v_mov_b32_e32 v140, v63
	v_mov_b32_e32 v141, v58
	v_mov_b32_e32 v142, v59
	ds_write2_b64 v124, v[118:119], v[120:121] offset0:18 offset1:19
	ds_write2_b64 v124, v[127:128], v[129:130] offset0:20 offset1:21
	;; [unrolled: 25-line block ×4, first 2 shown]
	ds_write2_b64 v124, v[131:132], v[133:134] offset0:42 offset1:43
	ds_write2_b64 v124, v[135:136], v[137:138] offset0:44 offset1:45
	;; [unrolled: 1-line block ×3, first 2 shown]
	v_mov_b32_e32 v118, v20
	v_mov_b32_e32 v119, v21
	;; [unrolled: 1-line block ×15, first 2 shown]
	ds_write2_b64 v124, v[118:119], v[120:121] offset0:48 offset1:49
	ds_write2_b64 v124, v[128:129], v[130:131] offset0:50 offset1:51
	;; [unrolled: 1-line block ×4, first 2 shown]
.LBB110_27:
	s_or_b32 exec_lo, exec_lo, s1
	s_waitcnt lgkmcnt(0)
	v_cmp_neq_f64_e64 s1, 0, v[0:1]
	s_mov_b32 s2, exec_lo
	s_waitcnt_vscnt null, 0x0
	s_barrier
	buffer_gl0_inv
	v_cmpx_lt_i32_e32 1, v127
	s_cbranch_execz .LBB110_29
; %bb.28:
	v_div_scale_f64 v[118:119], null, v[0:1], v[0:1], 1.0
	v_div_scale_f64 v[130:131], vcc_lo, 1.0, v[0:1], 1.0
	v_rcp_f64_e32 v[120:121], v[118:119]
	v_fma_f64 v[128:129], -v[118:119], v[120:121], 1.0
	v_fma_f64 v[120:121], v[120:121], v[128:129], v[120:121]
	v_fma_f64 v[128:129], -v[118:119], v[120:121], 1.0
	v_fma_f64 v[120:121], v[120:121], v[128:129], v[120:121]
	v_mul_f64 v[128:129], v[130:131], v[120:121]
	v_fma_f64 v[118:119], -v[118:119], v[128:129], v[130:131]
	v_div_fmas_f64 v[118:119], v[118:119], v[120:121], v[128:129]
	v_div_fixup_f64 v[132:133], v[118:119], v[0:1], 1.0
	ds_read2_b64 v[118:121], v124 offset0:2 offset1:3
	ds_read2_b64 v[128:131], v124 offset0:4 offset1:5
	v_cndmask_b32_e64 v1, v1, v133, s1
	v_cndmask_b32_e64 v0, v0, v132, s1
	ds_read2_b64 v[132:135], v124 offset0:6 offset1:7
	ds_read2_b64 v[136:139], v124 offset0:8 offset1:9
	ds_read2_b64 v[140:143], v124 offset0:10 offset1:11
	ds_read2_b64 v[144:147], v124 offset0:12 offset1:13
	ds_read2_b64 v[148:151], v124 offset0:14 offset1:15
	ds_read2_b64 v[152:155], v124 offset0:16 offset1:17
	ds_read2_b64 v[156:159], v124 offset0:18 offset1:19
	ds_read2_b64 v[160:163], v124 offset0:20 offset1:21
	ds_read2_b64 v[164:167], v124 offset0:22 offset1:23
	ds_read2_b64 v[168:171], v124 offset0:24 offset1:25
	ds_read2_b64 v[172:175], v124 offset0:26 offset1:27
	ds_read2_b64 v[176:179], v124 offset0:28 offset1:29
	ds_read2_b64 v[180:183], v124 offset0:30 offset1:31
	ds_read2_b64 v[184:187], v124 offset0:32 offset1:33
	ds_read2_b64 v[188:191], v124 offset0:34 offset1:35
	ds_read2_b64 v[192:195], v124 offset0:36 offset1:37
	ds_read2_b64 v[196:199], v124 offset0:38 offset1:39
	ds_read2_b64 v[200:203], v124 offset0:40 offset1:41
	ds_read2_b64 v[204:207], v124 offset0:42 offset1:43
	ds_read2_b64 v[208:211], v124 offset0:44 offset1:45
	ds_read2_b64 v[212:215], v124 offset0:46 offset1:47
	ds_read2_b64 v[216:219], v124 offset0:48 offset1:49
	ds_read2_b64 v[220:223], v124 offset0:50 offset1:51
	ds_read2_b64 v[224:227], v124 offset0:52 offset1:53
	ds_read2_b64 v[228:231], v124 offset0:54 offset1:55
	v_mul_f64 v[112:113], v[0:1], v[112:113]
	s_waitcnt lgkmcnt(26)
	v_fma_f64 v[110:111], -v[112:113], v[118:119], v[110:111]
	v_fma_f64 v[108:109], -v[112:113], v[120:121], v[108:109]
	s_waitcnt lgkmcnt(25)
	v_fma_f64 v[106:107], -v[112:113], v[128:129], v[106:107]
	v_fma_f64 v[104:105], -v[112:113], v[130:131], v[104:105]
	;; [unrolled: 3-line block ×27, first 2 shown]
.LBB110_29:
	s_or_b32 exec_lo, exec_lo, s2
	v_lshl_add_u32 v0, v127, 3, v124
	s_barrier
	buffer_gl0_inv
	v_mov_b32_e32 v118, 2
	ds_write_b64 v0, v[110:111]
	s_waitcnt lgkmcnt(0)
	s_barrier
	buffer_gl0_inv
	ds_read_b64 v[0:1], v124 offset:16
	s_cmp_lt_i32 s7, 4
	s_mov_b32 s2, 3
	s_cbranch_scc1 .LBB110_32
; %bb.30:
	v_add3_u32 v119, v125, 0, 24
	v_mov_b32_e32 v118, 2
.LBB110_31:                             ; =>This Inner Loop Header: Depth=1
	ds_read_b64 v[120:121], v119
	v_add_nc_u32_e32 v119, 8, v119
	s_waitcnt lgkmcnt(0)
	v_cmp_lt_f64_e64 vcc_lo, |v[0:1]|, |v[120:121]|
	v_cndmask_b32_e32 v1, v1, v121, vcc_lo
	v_cndmask_b32_e32 v0, v0, v120, vcc_lo
	v_cndmask_b32_e64 v118, v118, s2, vcc_lo
	s_add_i32 s2, s2, 1
	s_cmp_lg_u32 s7, s2
	s_cbranch_scc1 .LBB110_31
.LBB110_32:
	v_cndmask_b32_e64 v119, 2, 1, s0
	v_cndmask_b32_e64 v120, 0, 1, s0
	s_mov_b32 s0, exec_lo
	v_cndmask_b32_e64 v121, v119, v120, s1
	s_waitcnt lgkmcnt(0)
	v_cmpx_eq_f64_e32 0, v[0:1]
	s_xor_b32 s0, exec_lo, s0
; %bb.33:
	v_cmp_ne_u32_e32 vcc_lo, 0, v121
	v_cndmask_b32_e32 v121, 3, v121, vcc_lo
; %bb.34:
	s_andn2_saveexec_b32 s0, s0
	s_cbranch_execz .LBB110_36
; %bb.35:
	v_div_scale_f64 v[119:120], null, v[0:1], v[0:1], 1.0
	v_rcp_f64_e32 v[128:129], v[119:120]
	v_fma_f64 v[130:131], -v[119:120], v[128:129], 1.0
	v_fma_f64 v[128:129], v[128:129], v[130:131], v[128:129]
	v_fma_f64 v[130:131], -v[119:120], v[128:129], 1.0
	v_fma_f64 v[128:129], v[128:129], v[130:131], v[128:129]
	v_div_scale_f64 v[130:131], vcc_lo, 1.0, v[0:1], 1.0
	v_mul_f64 v[132:133], v[130:131], v[128:129]
	v_fma_f64 v[119:120], -v[119:120], v[132:133], v[130:131]
	v_div_fmas_f64 v[119:120], v[119:120], v[128:129], v[132:133]
	v_div_fixup_f64 v[0:1], v[119:120], v[0:1], 1.0
.LBB110_36:
	s_or_b32 exec_lo, exec_lo, s0
	s_mov_b32 s0, exec_lo
	v_cmpx_ne_u32_e64 v127, v118
	s_xor_b32 s0, exec_lo, s0
	s_cbranch_execz .LBB110_42
; %bb.37:
	s_mov_b32 s1, exec_lo
	v_cmpx_eq_u32_e32 2, v127
	s_cbranch_execz .LBB110_41
; %bb.38:
	v_cmp_ne_u32_e32 vcc_lo, 2, v118
	s_xor_b32 s2, s6, -1
	s_and_b32 s3, s2, vcc_lo
	s_and_saveexec_b32 s2, s3
	s_cbranch_execz .LBB110_40
; %bb.39:
	v_ashrrev_i32_e32 v119, 31, v118
	v_lshlrev_b64 v[119:120], 2, v[118:119]
	v_add_co_u32 v119, vcc_lo, v4, v119
	v_add_co_ci_u32_e64 v120, null, v5, v120, vcc_lo
	s_clause 0x1
	global_load_dword v126, v[119:120], off
	global_load_dword v127, v[4:5], off offset:8
	s_waitcnt vmcnt(1)
	global_store_dword v[4:5], v126, off offset:8
	s_waitcnt vmcnt(0)
	global_store_dword v[119:120], v127, off
.LBB110_40:
	s_or_b32 exec_lo, exec_lo, s2
	v_mov_b32_e32 v126, v118
	v_mov_b32_e32 v127, v118
.LBB110_41:
	s_or_b32 exec_lo, exec_lo, s1
.LBB110_42:
	s_andn2_saveexec_b32 s0, s0
	s_cbranch_execz .LBB110_44
; %bb.43:
	v_mov_b32_e32 v127, 2
	ds_write2_b64 v124, v[108:109], v[106:107] offset0:3 offset1:4
	ds_write2_b64 v124, v[104:105], v[102:103] offset0:5 offset1:6
	;; [unrolled: 1-line block ×26, first 2 shown]
	ds_write_b64 v124, v[116:117] offset:440
.LBB110_44:
	s_or_b32 exec_lo, exec_lo, s0
	s_mov_b32 s0, exec_lo
	s_waitcnt lgkmcnt(0)
	s_waitcnt_vscnt null, 0x0
	s_barrier
	buffer_gl0_inv
	v_cmpx_lt_i32_e32 2, v127
	s_cbranch_execz .LBB110_46
; %bb.45:
	v_mul_f64 v[110:111], v[0:1], v[110:111]
	ds_read2_b64 v[128:131], v124 offset0:3 offset1:4
	ds_read2_b64 v[132:135], v124 offset0:5 offset1:6
	;; [unrolled: 1-line block ×12, first 2 shown]
	ds_read_b64 v[0:1], v124 offset:440
	s_waitcnt lgkmcnt(12)
	v_fma_f64 v[108:109], -v[110:111], v[128:129], v[108:109]
	v_fma_f64 v[106:107], -v[110:111], v[130:131], v[106:107]
	s_waitcnt lgkmcnt(11)
	v_fma_f64 v[104:105], -v[110:111], v[132:133], v[104:105]
	v_fma_f64 v[102:103], -v[110:111], v[134:135], v[102:103]
	;; [unrolled: 3-line block ×4, first 2 shown]
	ds_read2_b64 v[128:131], v124 offset0:27 offset1:28
	ds_read2_b64 v[132:135], v124 offset0:29 offset1:30
	;; [unrolled: 1-line block ×4, first 2 shown]
	s_waitcnt lgkmcnt(12)
	v_fma_f64 v[92:93], -v[110:111], v[144:145], v[92:93]
	v_fma_f64 v[90:91], -v[110:111], v[146:147], v[90:91]
	s_waitcnt lgkmcnt(11)
	v_fma_f64 v[88:89], -v[110:111], v[148:149], v[88:89]
	v_fma_f64 v[86:87], -v[110:111], v[150:151], v[86:87]
	;; [unrolled: 3-line block ×6, first 2 shown]
	ds_read2_b64 v[144:147], v124 offset0:35 offset1:36
	ds_read2_b64 v[148:151], v124 offset0:37 offset1:38
	;; [unrolled: 1-line block ×4, first 2 shown]
	s_waitcnt lgkmcnt(7)
	v_fma_f64 v[58:59], -v[110:111], v[128:129], v[58:59]
	v_fma_f64 v[60:61], -v[110:111], v[130:131], v[60:61]
	ds_read2_b64 v[128:131], v124 offset0:41 offset1:42
	s_waitcnt lgkmcnt(7)
	v_fma_f64 v[54:55], -v[110:111], v[132:133], v[54:55]
	v_fma_f64 v[56:57], -v[110:111], v[134:135], v[56:57]
	ds_read2_b64 v[132:135], v124 offset0:45 offset1:46
	s_waitcnt lgkmcnt(7)
	v_fma_f64 v[52:53], -v[110:111], v[136:137], v[52:53]
	ds_read2_b64 v[160:163], v124 offset0:47 offset1:48
	v_fma_f64 v[50:51], -v[110:111], v[138:139], v[50:51]
	ds_read2_b64 v[136:139], v124 offset0:49 offset1:50
	s_waitcnt lgkmcnt(8)
	v_fma_f64 v[48:49], -v[110:111], v[140:141], v[48:49]
	ds_read2_b64 v[164:167], v124 offset0:51 offset1:52
	v_fma_f64 v[46:47], -v[110:111], v[142:143], v[46:47]
	ds_read2_b64 v[140:143], v124 offset0:53 offset1:54
	v_fma_f64 v[68:69], -v[110:111], v[168:169], v[68:69]
	v_fma_f64 v[66:67], -v[110:111], v[170:171], v[66:67]
	;; [unrolled: 1-line block ×4, first 2 shown]
	s_waitcnt lgkmcnt(9)
	v_fma_f64 v[44:45], -v[110:111], v[144:145], v[44:45]
	v_fma_f64 v[42:43], -v[110:111], v[146:147], v[42:43]
	s_waitcnt lgkmcnt(8)
	v_fma_f64 v[38:39], -v[110:111], v[148:149], v[38:39]
	v_fma_f64 v[40:41], -v[110:111], v[150:151], v[40:41]
	;; [unrolled: 3-line block ×4, first 2 shown]
	v_fma_f64 v[28:29], -v[110:111], v[156:157], v[28:29]
	v_fma_f64 v[26:27], -v[110:111], v[158:159], v[26:27]
	s_waitcnt lgkmcnt(4)
	v_fma_f64 v[24:25], -v[110:111], v[132:133], v[24:25]
	v_fma_f64 v[22:23], -v[110:111], v[134:135], v[22:23]
	s_waitcnt lgkmcnt(3)
	;; [unrolled: 3-line block ×5, first 2 shown]
	v_fma_f64 v[6:7], -v[110:111], v[140:141], v[6:7]
	v_fma_f64 v[10:11], -v[110:111], v[142:143], v[10:11]
	;; [unrolled: 1-line block ×3, first 2 shown]
.LBB110_46:
	s_or_b32 exec_lo, exec_lo, s0
	v_lshl_add_u32 v0, v127, 3, v124
	s_barrier
	buffer_gl0_inv
	v_mov_b32_e32 v118, 3
	ds_write_b64 v0, v[108:109]
	s_waitcnt lgkmcnt(0)
	s_barrier
	buffer_gl0_inv
	ds_read_b64 v[0:1], v124 offset:24
	s_cmp_lt_i32 s7, 5
	s_cbranch_scc1 .LBB110_49
; %bb.47:
	v_mov_b32_e32 v118, 3
	v_add3_u32 v119, v125, 0, 32
	s_mov_b32 s0, 4
.LBB110_48:                             ; =>This Inner Loop Header: Depth=1
	ds_read_b64 v[128:129], v119
	v_add_nc_u32_e32 v119, 8, v119
	s_waitcnt lgkmcnt(0)
	v_cmp_lt_f64_e64 vcc_lo, |v[0:1]|, |v[128:129]|
	v_cndmask_b32_e32 v1, v1, v129, vcc_lo
	v_cndmask_b32_e32 v0, v0, v128, vcc_lo
	v_cndmask_b32_e64 v118, v118, s0, vcc_lo
	s_add_i32 s0, s0, 1
	s_cmp_lg_u32 s7, s0
	s_cbranch_scc1 .LBB110_48
.LBB110_49:
	s_mov_b32 s0, exec_lo
	s_waitcnt lgkmcnt(0)
	v_cmpx_eq_f64_e32 0, v[0:1]
	s_xor_b32 s0, exec_lo, s0
; %bb.50:
	v_cmp_ne_u32_e32 vcc_lo, 0, v121
	v_cndmask_b32_e32 v121, 4, v121, vcc_lo
; %bb.51:
	s_andn2_saveexec_b32 s0, s0
	s_cbranch_execz .LBB110_53
; %bb.52:
	v_div_scale_f64 v[119:120], null, v[0:1], v[0:1], 1.0
	v_rcp_f64_e32 v[128:129], v[119:120]
	v_fma_f64 v[130:131], -v[119:120], v[128:129], 1.0
	v_fma_f64 v[128:129], v[128:129], v[130:131], v[128:129]
	v_fma_f64 v[130:131], -v[119:120], v[128:129], 1.0
	v_fma_f64 v[128:129], v[128:129], v[130:131], v[128:129]
	v_div_scale_f64 v[130:131], vcc_lo, 1.0, v[0:1], 1.0
	v_mul_f64 v[132:133], v[130:131], v[128:129]
	v_fma_f64 v[119:120], -v[119:120], v[132:133], v[130:131]
	v_div_fmas_f64 v[119:120], v[119:120], v[128:129], v[132:133]
	v_div_fixup_f64 v[0:1], v[119:120], v[0:1], 1.0
.LBB110_53:
	s_or_b32 exec_lo, exec_lo, s0
	s_mov_b32 s0, exec_lo
	v_cmpx_ne_u32_e64 v127, v118
	s_xor_b32 s0, exec_lo, s0
	s_cbranch_execz .LBB110_59
; %bb.54:
	s_mov_b32 s1, exec_lo
	v_cmpx_eq_u32_e32 3, v127
	s_cbranch_execz .LBB110_58
; %bb.55:
	v_cmp_ne_u32_e32 vcc_lo, 3, v118
	s_xor_b32 s2, s6, -1
	s_and_b32 s3, s2, vcc_lo
	s_and_saveexec_b32 s2, s3
	s_cbranch_execz .LBB110_57
; %bb.56:
	v_ashrrev_i32_e32 v119, 31, v118
	v_lshlrev_b64 v[119:120], 2, v[118:119]
	v_add_co_u32 v119, vcc_lo, v4, v119
	v_add_co_ci_u32_e64 v120, null, v5, v120, vcc_lo
	s_clause 0x1
	global_load_dword v126, v[119:120], off
	global_load_dword v127, v[4:5], off offset:12
	s_waitcnt vmcnt(1)
	global_store_dword v[4:5], v126, off offset:12
	s_waitcnt vmcnt(0)
	global_store_dword v[119:120], v127, off
.LBB110_57:
	s_or_b32 exec_lo, exec_lo, s2
	v_mov_b32_e32 v126, v118
	v_mov_b32_e32 v127, v118
.LBB110_58:
	s_or_b32 exec_lo, exec_lo, s1
.LBB110_59:
	s_andn2_saveexec_b32 s0, s0
	s_cbranch_execz .LBB110_61
; %bb.60:
	v_mov_b32_e32 v118, v106
	v_mov_b32_e32 v119, v107
	;; [unrolled: 1-line block ×8, first 2 shown]
	ds_write2_b64 v124, v[118:119], v[127:128] offset0:4 offset1:5
	ds_write2_b64 v124, v[129:130], v[131:132] offset0:6 offset1:7
	v_mov_b32_e32 v118, v100
	v_mov_b32_e32 v119, v101
	v_mov_b32_e32 v127, v94
	v_mov_b32_e32 v128, v95
	v_mov_b32_e32 v129, v96
	v_mov_b32_e32 v130, v97
	v_mov_b32_e32 v131, v92
	v_mov_b32_e32 v132, v93
	v_mov_b32_e32 v133, v90
	v_mov_b32_e32 v134, v91
	v_mov_b32_e32 v135, v88
	v_mov_b32_e32 v136, v89
	v_mov_b32_e32 v137, v86
	v_mov_b32_e32 v138, v87
	v_mov_b32_e32 v139, v84
	v_mov_b32_e32 v140, v85
	v_mov_b32_e32 v141, v82
	v_mov_b32_e32 v142, v83
	v_mov_b32_e32 v143, v78
	v_mov_b32_e32 v144, v79
	ds_write2_b64 v124, v[118:119], v[127:128] offset0:8 offset1:9
	ds_write2_b64 v124, v[129:130], v[131:132] offset0:10 offset1:11
	ds_write2_b64 v124, v[133:134], v[135:136] offset0:12 offset1:13
	ds_write2_b64 v124, v[137:138], v[139:140] offset0:14 offset1:15
	ds_write2_b64 v124, v[141:142], v[143:144] offset0:16 offset1:17
	v_mov_b32_e32 v118, v80
	v_mov_b32_e32 v119, v81
	v_mov_b32_e32 v127, v74
	v_mov_b32_e32 v128, v75
	v_mov_b32_e32 v129, v76
	v_mov_b32_e32 v130, v77
	v_mov_b32_e32 v131, v72
	v_mov_b32_e32 v132, v73
	v_mov_b32_e32 v133, v70
	v_mov_b32_e32 v134, v71
	v_mov_b32_e32 v135, v68
	v_mov_b32_e32 v136, v69
	v_mov_b32_e32 v137, v66
	v_mov_b32_e32 v138, v67
	v_mov_b32_e32 v139, v64
	v_mov_b32_e32 v140, v65
	v_mov_b32_e32 v141, v62
	v_mov_b32_e32 v142, v63
	v_mov_b32_e32 v143, v58
	v_mov_b32_e32 v144, v59
	ds_write2_b64 v124, v[118:119], v[127:128] offset0:18 offset1:19
	ds_write2_b64 v124, v[129:130], v[131:132] offset0:20 offset1:21
	ds_write2_b64 v124, v[133:134], v[135:136] offset0:22 offset1:23
	ds_write2_b64 v124, v[137:138], v[139:140] offset0:24 offset1:25
	ds_write2_b64 v124, v[141:142], v[143:144] offset0:26 offset1:27
	v_mov_b32_e32 v118, v60
	v_mov_b32_e32 v119, v61
	v_mov_b32_e32 v127, v54
	v_mov_b32_e32 v128, v55
	v_mov_b32_e32 v129, v56
	v_mov_b32_e32 v130, v57
	v_mov_b32_e32 v131, v52
	v_mov_b32_e32 v132, v53
	v_mov_b32_e32 v133, v50
	v_mov_b32_e32 v134, v51
	v_mov_b32_e32 v135, v48
	v_mov_b32_e32 v136, v49
	v_mov_b32_e32 v137, v46
	v_mov_b32_e32 v138, v47
	v_mov_b32_e32 v139, v44
	v_mov_b32_e32 v140, v45
	v_mov_b32_e32 v141, v42
	v_mov_b32_e32 v142, v43
	v_mov_b32_e32 v143, v38
	v_mov_b32_e32 v144, v39
	ds_write2_b64 v124, v[118:119], v[127:128] offset0:28 offset1:29
	ds_write2_b64 v124, v[129:130], v[131:132] offset0:30 offset1:31
	ds_write2_b64 v124, v[133:134], v[135:136] offset0:32 offset1:33
	ds_write2_b64 v124, v[137:138], v[139:140] offset0:34 offset1:35
	ds_write2_b64 v124, v[141:142], v[143:144] offset0:36 offset1:37
	v_mov_b32_e32 v118, v40
	v_mov_b32_e32 v119, v41
	v_mov_b32_e32 v127, v34
	v_mov_b32_e32 v128, v35
	v_mov_b32_e32 v129, v36
	v_mov_b32_e32 v130, v37
	v_mov_b32_e32 v131, v32
	v_mov_b32_e32 v132, v33
	v_mov_b32_e32 v133, v30
	v_mov_b32_e32 v134, v31
	v_mov_b32_e32 v135, v28
	v_mov_b32_e32 v136, v29
	v_mov_b32_e32 v137, v26
	v_mov_b32_e32 v138, v27
	v_mov_b32_e32 v139, v24
	v_mov_b32_e32 v140, v25
	v_mov_b32_e32 v141, v22
	v_mov_b32_e32 v142, v23
	v_mov_b32_e32 v143, v18
	v_mov_b32_e32 v144, v19
	ds_write2_b64 v124, v[118:119], v[127:128] offset0:38 offset1:39
	ds_write2_b64 v124, v[129:130], v[131:132] offset0:40 offset1:41
	ds_write2_b64 v124, v[133:134], v[135:136] offset0:42 offset1:43
	ds_write2_b64 v124, v[137:138], v[139:140] offset0:44 offset1:45
	ds_write2_b64 v124, v[141:142], v[143:144] offset0:46 offset1:47
	v_mov_b32_e32 v118, v20
	v_mov_b32_e32 v119, v21
	;; [unrolled: 1-line block ×15, first 2 shown]
	ds_write2_b64 v124, v[118:119], v[128:129] offset0:48 offset1:49
	ds_write2_b64 v124, v[130:131], v[132:133] offset0:50 offset1:51
	;; [unrolled: 1-line block ×4, first 2 shown]
.LBB110_61:
	s_or_b32 exec_lo, exec_lo, s0
	s_mov_b32 s0, exec_lo
	s_waitcnt lgkmcnt(0)
	s_waitcnt_vscnt null, 0x0
	s_barrier
	buffer_gl0_inv
	v_cmpx_lt_i32_e32 3, v127
	s_cbranch_execz .LBB110_63
; %bb.62:
	v_mul_f64 v[108:109], v[0:1], v[108:109]
	ds_read2_b64 v[128:131], v124 offset0:4 offset1:5
	ds_read2_b64 v[132:135], v124 offset0:6 offset1:7
	;; [unrolled: 1-line block ×12, first 2 shown]
	s_waitcnt lgkmcnt(11)
	v_fma_f64 v[106:107], -v[108:109], v[128:129], v[106:107]
	v_fma_f64 v[104:105], -v[108:109], v[130:131], v[104:105]
	s_waitcnt lgkmcnt(10)
	v_fma_f64 v[102:103], -v[108:109], v[132:133], v[102:103]
	v_fma_f64 v[98:99], -v[108:109], v[134:135], v[98:99]
	;; [unrolled: 3-line block ×3, first 2 shown]
	ds_read2_b64 v[128:131], v124 offset0:28 offset1:29
	ds_read2_b64 v[132:135], v124 offset0:30 offset1:31
	;; [unrolled: 1-line block ×3, first 2 shown]
	s_waitcnt lgkmcnt(11)
	v_fma_f64 v[96:97], -v[108:109], v[140:141], v[96:97]
	v_fma_f64 v[92:93], -v[108:109], v[142:143], v[92:93]
	s_waitcnt lgkmcnt(10)
	v_fma_f64 v[90:91], -v[108:109], v[144:145], v[90:91]
	v_fma_f64 v[88:89], -v[108:109], v[146:147], v[88:89]
	;; [unrolled: 3-line block ×7, first 2 shown]
	ds_read2_b64 v[140:143], v124 offset0:34 offset1:35
	s_waitcnt lgkmcnt(5)
	v_fma_f64 v[66:67], -v[108:109], v[168:169], v[66:67]
	v_fma_f64 v[64:65], -v[108:109], v[170:171], v[64:65]
	ds_read2_b64 v[144:147], v124 offset0:36 offset1:37
	ds_read2_b64 v[148:151], v124 offset0:38 offset1:39
	;; [unrolled: 1-line block ×4, first 2 shown]
	s_waitcnt lgkmcnt(7)
	v_fma_f64 v[60:61], -v[108:109], v[128:129], v[60:61]
	v_fma_f64 v[54:55], -v[108:109], v[130:131], v[54:55]
	ds_read2_b64 v[128:131], v124 offset0:44 offset1:45
	ds_read2_b64 v[160:163], v124 offset0:46 offset1:47
	s_waitcnt lgkmcnt(8)
	v_fma_f64 v[56:57], -v[108:109], v[132:133], v[56:57]
	v_fma_f64 v[52:53], -v[108:109], v[134:135], v[52:53]
	ds_read2_b64 v[132:135], v124 offset0:48 offset1:49
	ds_read2_b64 v[164:167], v124 offset0:50 offset1:51
	;; [unrolled: 5-line block ×3, first 2 shown]
	v_fma_f64 v[62:63], -v[108:109], v[172:173], v[62:63]
	v_fma_f64 v[58:59], -v[108:109], v[174:175], v[58:59]
	s_waitcnt lgkmcnt(10)
	v_fma_f64 v[46:47], -v[108:109], v[140:141], v[46:47]
	v_fma_f64 v[44:45], -v[108:109], v[142:143], v[44:45]
	s_waitcnt lgkmcnt(9)
	;; [unrolled: 3-line block ×11, first 2 shown]
	v_fma_f64 v[10:11], -v[108:109], v[168:169], v[10:11]
	v_fma_f64 v[116:117], -v[108:109], v[170:171], v[116:117]
.LBB110_63:
	s_or_b32 exec_lo, exec_lo, s0
	v_lshl_add_u32 v0, v127, 3, v124
	s_barrier
	buffer_gl0_inv
	v_mov_b32_e32 v118, 4
	ds_write_b64 v0, v[106:107]
	s_waitcnt lgkmcnt(0)
	s_barrier
	buffer_gl0_inv
	ds_read_b64 v[0:1], v124 offset:32
	s_cmp_lt_i32 s7, 6
	s_cbranch_scc1 .LBB110_66
; %bb.64:
	v_add3_u32 v119, v125, 0, 40
	v_mov_b32_e32 v118, 4
	s_mov_b32 s0, 5
.LBB110_65:                             ; =>This Inner Loop Header: Depth=1
	ds_read_b64 v[128:129], v119
	v_add_nc_u32_e32 v119, 8, v119
	s_waitcnt lgkmcnt(0)
	v_cmp_lt_f64_e64 vcc_lo, |v[0:1]|, |v[128:129]|
	v_cndmask_b32_e32 v1, v1, v129, vcc_lo
	v_cndmask_b32_e32 v0, v0, v128, vcc_lo
	v_cndmask_b32_e64 v118, v118, s0, vcc_lo
	s_add_i32 s0, s0, 1
	s_cmp_lg_u32 s7, s0
	s_cbranch_scc1 .LBB110_65
.LBB110_66:
	s_mov_b32 s0, exec_lo
	s_waitcnt lgkmcnt(0)
	v_cmpx_eq_f64_e32 0, v[0:1]
	s_xor_b32 s0, exec_lo, s0
; %bb.67:
	v_cmp_ne_u32_e32 vcc_lo, 0, v121
	v_cndmask_b32_e32 v121, 5, v121, vcc_lo
; %bb.68:
	s_andn2_saveexec_b32 s0, s0
	s_cbranch_execz .LBB110_70
; %bb.69:
	v_div_scale_f64 v[119:120], null, v[0:1], v[0:1], 1.0
	v_rcp_f64_e32 v[128:129], v[119:120]
	v_fma_f64 v[130:131], -v[119:120], v[128:129], 1.0
	v_fma_f64 v[128:129], v[128:129], v[130:131], v[128:129]
	v_fma_f64 v[130:131], -v[119:120], v[128:129], 1.0
	v_fma_f64 v[128:129], v[128:129], v[130:131], v[128:129]
	v_div_scale_f64 v[130:131], vcc_lo, 1.0, v[0:1], 1.0
	v_mul_f64 v[132:133], v[130:131], v[128:129]
	v_fma_f64 v[119:120], -v[119:120], v[132:133], v[130:131]
	v_div_fmas_f64 v[119:120], v[119:120], v[128:129], v[132:133]
	v_div_fixup_f64 v[0:1], v[119:120], v[0:1], 1.0
.LBB110_70:
	s_or_b32 exec_lo, exec_lo, s0
	s_mov_b32 s0, exec_lo
	v_cmpx_ne_u32_e64 v127, v118
	s_xor_b32 s0, exec_lo, s0
	s_cbranch_execz .LBB110_76
; %bb.71:
	s_mov_b32 s1, exec_lo
	v_cmpx_eq_u32_e32 4, v127
	s_cbranch_execz .LBB110_75
; %bb.72:
	v_cmp_ne_u32_e32 vcc_lo, 4, v118
	s_xor_b32 s2, s6, -1
	s_and_b32 s3, s2, vcc_lo
	s_and_saveexec_b32 s2, s3
	s_cbranch_execz .LBB110_74
; %bb.73:
	v_ashrrev_i32_e32 v119, 31, v118
	v_lshlrev_b64 v[119:120], 2, v[118:119]
	v_add_co_u32 v119, vcc_lo, v4, v119
	v_add_co_ci_u32_e64 v120, null, v5, v120, vcc_lo
	s_clause 0x1
	global_load_dword v126, v[119:120], off
	global_load_dword v127, v[4:5], off offset:16
	s_waitcnt vmcnt(1)
	global_store_dword v[4:5], v126, off offset:16
	s_waitcnt vmcnt(0)
	global_store_dword v[119:120], v127, off
.LBB110_74:
	s_or_b32 exec_lo, exec_lo, s2
	v_mov_b32_e32 v126, v118
	v_mov_b32_e32 v127, v118
.LBB110_75:
	s_or_b32 exec_lo, exec_lo, s1
.LBB110_76:
	s_andn2_saveexec_b32 s0, s0
	s_cbranch_execz .LBB110_78
; %bb.77:
	v_mov_b32_e32 v127, 4
	ds_write2_b64 v124, v[104:105], v[102:103] offset0:5 offset1:6
	ds_write2_b64 v124, v[98:99], v[100:101] offset0:7 offset1:8
	ds_write2_b64 v124, v[94:95], v[96:97] offset0:9 offset1:10
	ds_write2_b64 v124, v[92:93], v[90:91] offset0:11 offset1:12
	ds_write2_b64 v124, v[88:89], v[86:87] offset0:13 offset1:14
	ds_write2_b64 v124, v[84:85], v[82:83] offset0:15 offset1:16
	ds_write2_b64 v124, v[78:79], v[80:81] offset0:17 offset1:18
	ds_write2_b64 v124, v[74:75], v[76:77] offset0:19 offset1:20
	ds_write2_b64 v124, v[72:73], v[70:71] offset0:21 offset1:22
	ds_write2_b64 v124, v[68:69], v[66:67] offset0:23 offset1:24
	ds_write2_b64 v124, v[64:65], v[62:63] offset0:25 offset1:26
	ds_write2_b64 v124, v[58:59], v[60:61] offset0:27 offset1:28
	ds_write2_b64 v124, v[54:55], v[56:57] offset0:29 offset1:30
	ds_write2_b64 v124, v[52:53], v[50:51] offset0:31 offset1:32
	ds_write2_b64 v124, v[48:49], v[46:47] offset0:33 offset1:34
	ds_write2_b64 v124, v[44:45], v[42:43] offset0:35 offset1:36
	ds_write2_b64 v124, v[38:39], v[40:41] offset0:37 offset1:38
	ds_write2_b64 v124, v[34:35], v[36:37] offset0:39 offset1:40
	ds_write2_b64 v124, v[32:33], v[30:31] offset0:41 offset1:42
	ds_write2_b64 v124, v[28:29], v[26:27] offset0:43 offset1:44
	ds_write2_b64 v124, v[24:25], v[22:23] offset0:45 offset1:46
	ds_write2_b64 v124, v[18:19], v[20:21] offset0:47 offset1:48
	ds_write2_b64 v124, v[16:17], v[14:15] offset0:49 offset1:50
	ds_write2_b64 v124, v[8:9], v[12:13] offset0:51 offset1:52
	ds_write2_b64 v124, v[6:7], v[10:11] offset0:53 offset1:54
	ds_write_b64 v124, v[116:117] offset:440
.LBB110_78:
	s_or_b32 exec_lo, exec_lo, s0
	s_mov_b32 s0, exec_lo
	s_waitcnt lgkmcnt(0)
	s_waitcnt_vscnt null, 0x0
	s_barrier
	buffer_gl0_inv
	v_cmpx_lt_i32_e32 4, v127
	s_cbranch_execz .LBB110_80
; %bb.79:
	v_mul_f64 v[106:107], v[0:1], v[106:107]
	ds_read2_b64 v[128:131], v124 offset0:5 offset1:6
	ds_read2_b64 v[132:135], v124 offset0:7 offset1:8
	;; [unrolled: 1-line block ×12, first 2 shown]
	ds_read_b64 v[0:1], v124 offset:440
	s_waitcnt lgkmcnt(12)
	v_fma_f64 v[104:105], -v[106:107], v[128:129], v[104:105]
	v_fma_f64 v[102:103], -v[106:107], v[130:131], v[102:103]
	s_waitcnt lgkmcnt(11)
	v_fma_f64 v[98:99], -v[106:107], v[132:133], v[98:99]
	v_fma_f64 v[100:101], -v[106:107], v[134:135], v[100:101]
	;; [unrolled: 3-line block ×3, first 2 shown]
	ds_read2_b64 v[128:131], v124 offset0:29 offset1:30
	ds_read2_b64 v[132:135], v124 offset0:31 offset1:32
	;; [unrolled: 1-line block ×3, first 2 shown]
	s_waitcnt lgkmcnt(12)
	v_fma_f64 v[92:93], -v[106:107], v[140:141], v[92:93]
	v_fma_f64 v[90:91], -v[106:107], v[142:143], v[90:91]
	s_waitcnt lgkmcnt(11)
	v_fma_f64 v[88:89], -v[106:107], v[144:145], v[88:89]
	v_fma_f64 v[86:87], -v[106:107], v[146:147], v[86:87]
	s_waitcnt lgkmcnt(10)
	v_fma_f64 v[84:85], -v[106:107], v[148:149], v[84:85]
	v_fma_f64 v[82:83], -v[106:107], v[150:151], v[82:83]
	s_waitcnt lgkmcnt(9)
	v_fma_f64 v[78:79], -v[106:107], v[152:153], v[78:79]
	v_fma_f64 v[80:81], -v[106:107], v[154:155], v[80:81]
	s_waitcnt lgkmcnt(8)
	v_fma_f64 v[74:75], -v[106:107], v[156:157], v[74:75]
	v_fma_f64 v[76:77], -v[106:107], v[158:159], v[76:77]
	s_waitcnt lgkmcnt(7)
	v_fma_f64 v[72:73], -v[106:107], v[160:161], v[72:73]
	v_fma_f64 v[70:71], -v[106:107], v[162:163], v[70:71]
	s_waitcnt lgkmcnt(6)
	v_fma_f64 v[68:69], -v[106:107], v[164:165], v[68:69]
	v_fma_f64 v[66:67], -v[106:107], v[166:167], v[66:67]
	ds_read2_b64 v[140:143], v124 offset0:35 offset1:36
	ds_read2_b64 v[144:147], v124 offset0:37 offset1:38
	;; [unrolled: 1-line block ×5, first 2 shown]
	s_waitcnt lgkmcnt(7)
	v_fma_f64 v[54:55], -v[106:107], v[128:129], v[54:55]
	v_fma_f64 v[56:57], -v[106:107], v[130:131], v[56:57]
	ds_read2_b64 v[128:131], v124 offset0:45 offset1:46
	ds_read2_b64 v[160:163], v124 offset0:47 offset1:48
	s_waitcnt lgkmcnt(8)
	v_fma_f64 v[52:53], -v[106:107], v[132:133], v[52:53]
	v_fma_f64 v[50:51], -v[106:107], v[134:135], v[50:51]
	ds_read2_b64 v[132:135], v124 offset0:49 offset1:50
	ds_read2_b64 v[164:167], v124 offset0:51 offset1:52
	s_waitcnt lgkmcnt(9)
	v_fma_f64 v[48:49], -v[106:107], v[136:137], v[48:49]
	v_fma_f64 v[46:47], -v[106:107], v[138:139], v[46:47]
	ds_read2_b64 v[136:139], v124 offset0:53 offset1:54
	v_fma_f64 v[64:65], -v[106:107], v[168:169], v[64:65]
	v_fma_f64 v[62:63], -v[106:107], v[170:171], v[62:63]
	;; [unrolled: 1-line block ×4, first 2 shown]
	s_waitcnt lgkmcnt(9)
	v_fma_f64 v[44:45], -v[106:107], v[140:141], v[44:45]
	v_fma_f64 v[42:43], -v[106:107], v[142:143], v[42:43]
	s_waitcnt lgkmcnt(8)
	v_fma_f64 v[38:39], -v[106:107], v[144:145], v[38:39]
	v_fma_f64 v[40:41], -v[106:107], v[146:147], v[40:41]
	;; [unrolled: 3-line block ×10, first 2 shown]
	v_fma_f64 v[116:117], -v[106:107], v[0:1], v[116:117]
.LBB110_80:
	s_or_b32 exec_lo, exec_lo, s0
	v_lshl_add_u32 v0, v127, 3, v124
	s_barrier
	buffer_gl0_inv
	v_mov_b32_e32 v118, 5
	ds_write_b64 v0, v[104:105]
	s_waitcnt lgkmcnt(0)
	s_barrier
	buffer_gl0_inv
	ds_read_b64 v[0:1], v124 offset:40
	s_cmp_lt_i32 s7, 7
	s_cbranch_scc1 .LBB110_83
; %bb.81:
	v_add3_u32 v119, v125, 0, 48
	v_mov_b32_e32 v118, 5
	s_mov_b32 s0, 6
.LBB110_82:                             ; =>This Inner Loop Header: Depth=1
	ds_read_b64 v[128:129], v119
	v_add_nc_u32_e32 v119, 8, v119
	s_waitcnt lgkmcnt(0)
	v_cmp_lt_f64_e64 vcc_lo, |v[0:1]|, |v[128:129]|
	v_cndmask_b32_e32 v1, v1, v129, vcc_lo
	v_cndmask_b32_e32 v0, v0, v128, vcc_lo
	v_cndmask_b32_e64 v118, v118, s0, vcc_lo
	s_add_i32 s0, s0, 1
	s_cmp_lg_u32 s7, s0
	s_cbranch_scc1 .LBB110_82
.LBB110_83:
	s_mov_b32 s0, exec_lo
	s_waitcnt lgkmcnt(0)
	v_cmpx_eq_f64_e32 0, v[0:1]
	s_xor_b32 s0, exec_lo, s0
; %bb.84:
	v_cmp_ne_u32_e32 vcc_lo, 0, v121
	v_cndmask_b32_e32 v121, 6, v121, vcc_lo
; %bb.85:
	s_andn2_saveexec_b32 s0, s0
	s_cbranch_execz .LBB110_87
; %bb.86:
	v_div_scale_f64 v[119:120], null, v[0:1], v[0:1], 1.0
	v_rcp_f64_e32 v[128:129], v[119:120]
	v_fma_f64 v[130:131], -v[119:120], v[128:129], 1.0
	v_fma_f64 v[128:129], v[128:129], v[130:131], v[128:129]
	v_fma_f64 v[130:131], -v[119:120], v[128:129], 1.0
	v_fma_f64 v[128:129], v[128:129], v[130:131], v[128:129]
	v_div_scale_f64 v[130:131], vcc_lo, 1.0, v[0:1], 1.0
	v_mul_f64 v[132:133], v[130:131], v[128:129]
	v_fma_f64 v[119:120], -v[119:120], v[132:133], v[130:131]
	v_div_fmas_f64 v[119:120], v[119:120], v[128:129], v[132:133]
	v_div_fixup_f64 v[0:1], v[119:120], v[0:1], 1.0
.LBB110_87:
	s_or_b32 exec_lo, exec_lo, s0
	s_mov_b32 s0, exec_lo
	v_cmpx_ne_u32_e64 v127, v118
	s_xor_b32 s0, exec_lo, s0
	s_cbranch_execz .LBB110_93
; %bb.88:
	s_mov_b32 s1, exec_lo
	v_cmpx_eq_u32_e32 5, v127
	s_cbranch_execz .LBB110_92
; %bb.89:
	v_cmp_ne_u32_e32 vcc_lo, 5, v118
	s_xor_b32 s2, s6, -1
	s_and_b32 s3, s2, vcc_lo
	s_and_saveexec_b32 s2, s3
	s_cbranch_execz .LBB110_91
; %bb.90:
	v_ashrrev_i32_e32 v119, 31, v118
	v_lshlrev_b64 v[119:120], 2, v[118:119]
	v_add_co_u32 v119, vcc_lo, v4, v119
	v_add_co_ci_u32_e64 v120, null, v5, v120, vcc_lo
	s_clause 0x1
	global_load_dword v126, v[119:120], off
	global_load_dword v127, v[4:5], off offset:20
	s_waitcnt vmcnt(1)
	global_store_dword v[4:5], v126, off offset:20
	s_waitcnt vmcnt(0)
	global_store_dword v[119:120], v127, off
.LBB110_91:
	s_or_b32 exec_lo, exec_lo, s2
	v_mov_b32_e32 v126, v118
	v_mov_b32_e32 v127, v118
.LBB110_92:
	s_or_b32 exec_lo, exec_lo, s1
.LBB110_93:
	s_andn2_saveexec_b32 s0, s0
	s_cbranch_execz .LBB110_95
; %bb.94:
	v_mov_b32_e32 v118, v102
	v_mov_b32_e32 v119, v103
	;; [unrolled: 1-line block ×8, first 2 shown]
	ds_write2_b64 v124, v[118:119], v[127:128] offset0:6 offset1:7
	v_mov_b32_e32 v118, v94
	v_mov_b32_e32 v119, v95
	v_mov_b32_e32 v127, v96
	v_mov_b32_e32 v128, v97
	v_mov_b32_e32 v133, v90
	v_mov_b32_e32 v134, v91
	v_mov_b32_e32 v135, v88
	v_mov_b32_e32 v136, v89
	v_mov_b32_e32 v137, v86
	v_mov_b32_e32 v138, v87
	v_mov_b32_e32 v139, v84
	v_mov_b32_e32 v140, v85
	v_mov_b32_e32 v141, v82
	v_mov_b32_e32 v142, v83
	v_mov_b32_e32 v143, v78
	v_mov_b32_e32 v144, v79
	ds_write2_b64 v124, v[129:130], v[118:119] offset0:8 offset1:9
	ds_write2_b64 v124, v[127:128], v[131:132] offset0:10 offset1:11
	ds_write2_b64 v124, v[133:134], v[135:136] offset0:12 offset1:13
	ds_write2_b64 v124, v[137:138], v[139:140] offset0:14 offset1:15
	ds_write2_b64 v124, v[141:142], v[143:144] offset0:16 offset1:17
	v_mov_b32_e32 v118, v80
	v_mov_b32_e32 v119, v81
	v_mov_b32_e32 v127, v74
	v_mov_b32_e32 v128, v75
	v_mov_b32_e32 v129, v76
	v_mov_b32_e32 v130, v77
	v_mov_b32_e32 v131, v72
	v_mov_b32_e32 v132, v73
	v_mov_b32_e32 v133, v70
	v_mov_b32_e32 v134, v71
	v_mov_b32_e32 v135, v68
	v_mov_b32_e32 v136, v69
	v_mov_b32_e32 v137, v66
	v_mov_b32_e32 v138, v67
	v_mov_b32_e32 v139, v64
	v_mov_b32_e32 v140, v65
	v_mov_b32_e32 v141, v62
	v_mov_b32_e32 v142, v63
	v_mov_b32_e32 v143, v58
	v_mov_b32_e32 v144, v59
	ds_write2_b64 v124, v[118:119], v[127:128] offset0:18 offset1:19
	ds_write2_b64 v124, v[129:130], v[131:132] offset0:20 offset1:21
	ds_write2_b64 v124, v[133:134], v[135:136] offset0:22 offset1:23
	ds_write2_b64 v124, v[137:138], v[139:140] offset0:24 offset1:25
	ds_write2_b64 v124, v[141:142], v[143:144] offset0:26 offset1:27
	v_mov_b32_e32 v118, v60
	v_mov_b32_e32 v119, v61
	v_mov_b32_e32 v127, v54
	v_mov_b32_e32 v128, v55
	;; [unrolled: 25-line block ×4, first 2 shown]
	v_mov_b32_e32 v127, 5
	v_mov_b32_e32 v130, v14
	v_mov_b32_e32 v131, v15
	v_mov_b32_e32 v132, v8
	v_mov_b32_e32 v133, v9
	v_mov_b32_e32 v134, v12
	v_mov_b32_e32 v135, v13
	v_mov_b32_e32 v136, v6
	v_mov_b32_e32 v137, v7
	v_mov_b32_e32 v138, v10
	v_mov_b32_e32 v139, v11
	ds_write2_b64 v124, v[118:119], v[128:129] offset0:48 offset1:49
	ds_write2_b64 v124, v[130:131], v[132:133] offset0:50 offset1:51
	;; [unrolled: 1-line block ×4, first 2 shown]
.LBB110_95:
	s_or_b32 exec_lo, exec_lo, s0
	s_mov_b32 s0, exec_lo
	s_waitcnt lgkmcnt(0)
	s_waitcnt_vscnt null, 0x0
	s_barrier
	buffer_gl0_inv
	v_cmpx_lt_i32_e32 5, v127
	s_cbranch_execz .LBB110_97
; %bb.96:
	v_mul_f64 v[104:105], v[0:1], v[104:105]
	ds_read2_b64 v[128:131], v124 offset0:6 offset1:7
	ds_read2_b64 v[132:135], v124 offset0:8 offset1:9
	;; [unrolled: 1-line block ×12, first 2 shown]
	s_waitcnt lgkmcnt(11)
	v_fma_f64 v[102:103], -v[104:105], v[128:129], v[102:103]
	v_fma_f64 v[98:99], -v[104:105], v[130:131], v[98:99]
	s_waitcnt lgkmcnt(10)
	v_fma_f64 v[100:101], -v[104:105], v[132:133], v[100:101]
	v_fma_f64 v[94:95], -v[104:105], v[134:135], v[94:95]
	ds_read2_b64 v[128:131], v124 offset0:30 offset1:31
	ds_read2_b64 v[132:135], v124 offset0:32 offset1:33
	s_waitcnt lgkmcnt(11)
	v_fma_f64 v[96:97], -v[104:105], v[136:137], v[96:97]
	v_fma_f64 v[92:93], -v[104:105], v[138:139], v[92:93]
	s_waitcnt lgkmcnt(10)
	v_fma_f64 v[90:91], -v[104:105], v[140:141], v[90:91]
	v_fma_f64 v[88:89], -v[104:105], v[142:143], v[88:89]
	;; [unrolled: 3-line block ×7, first 2 shown]
	ds_read2_b64 v[136:139], v124 offset0:34 offset1:35
	ds_read2_b64 v[140:143], v124 offset0:36 offset1:37
	s_waitcnt lgkmcnt(6)
	v_fma_f64 v[66:67], -v[104:105], v[164:165], v[66:67]
	v_fma_f64 v[64:65], -v[104:105], v[166:167], v[64:65]
	s_waitcnt lgkmcnt(5)
	v_fma_f64 v[62:63], -v[104:105], v[168:169], v[62:63]
	ds_read2_b64 v[144:147], v124 offset0:38 offset1:39
	ds_read2_b64 v[148:151], v124 offset0:40 offset1:41
	v_fma_f64 v[58:59], -v[104:105], v[170:171], v[58:59]
	ds_read2_b64 v[152:155], v124 offset0:42 offset1:43
	ds_read2_b64 v[156:159], v124 offset0:44 offset1:45
	s_waitcnt lgkmcnt(7)
	v_fma_f64 v[56:57], -v[104:105], v[128:129], v[56:57]
	ds_read2_b64 v[160:163], v124 offset0:46 offset1:47
	v_fma_f64 v[52:53], -v[104:105], v[130:131], v[52:53]
	ds_read2_b64 v[128:131], v124 offset0:48 offset1:49
	s_waitcnt lgkmcnt(8)
	v_fma_f64 v[50:51], -v[104:105], v[132:133], v[50:51]
	ds_read2_b64 v[164:167], v124 offset0:50 offset1:51
	v_fma_f64 v[48:49], -v[104:105], v[134:135], v[48:49]
	ds_read2_b64 v[132:135], v124 offset0:52 offset1:53
	ds_read2_b64 v[168:171], v124 offset0:54 offset1:55
	v_fma_f64 v[60:61], -v[104:105], v[172:173], v[60:61]
	v_fma_f64 v[54:55], -v[104:105], v[174:175], v[54:55]
	s_waitcnt lgkmcnt(10)
	v_fma_f64 v[46:47], -v[104:105], v[136:137], v[46:47]
	v_fma_f64 v[44:45], -v[104:105], v[138:139], v[44:45]
	s_waitcnt lgkmcnt(9)
	;; [unrolled: 3-line block ×11, first 2 shown]
	v_fma_f64 v[10:11], -v[104:105], v[168:169], v[10:11]
	v_fma_f64 v[116:117], -v[104:105], v[170:171], v[116:117]
.LBB110_97:
	s_or_b32 exec_lo, exec_lo, s0
	v_lshl_add_u32 v0, v127, 3, v124
	s_barrier
	buffer_gl0_inv
	v_mov_b32_e32 v118, 6
	ds_write_b64 v0, v[102:103]
	s_waitcnt lgkmcnt(0)
	s_barrier
	buffer_gl0_inv
	ds_read_b64 v[0:1], v124 offset:48
	s_cmp_lt_i32 s7, 8
	s_cbranch_scc1 .LBB110_100
; %bb.98:
	v_add3_u32 v119, v125, 0, 56
	v_mov_b32_e32 v118, 6
	s_mov_b32 s0, 7
.LBB110_99:                             ; =>This Inner Loop Header: Depth=1
	ds_read_b64 v[128:129], v119
	v_add_nc_u32_e32 v119, 8, v119
	s_waitcnt lgkmcnt(0)
	v_cmp_lt_f64_e64 vcc_lo, |v[0:1]|, |v[128:129]|
	v_cndmask_b32_e32 v1, v1, v129, vcc_lo
	v_cndmask_b32_e32 v0, v0, v128, vcc_lo
	v_cndmask_b32_e64 v118, v118, s0, vcc_lo
	s_add_i32 s0, s0, 1
	s_cmp_lg_u32 s7, s0
	s_cbranch_scc1 .LBB110_99
.LBB110_100:
	s_mov_b32 s0, exec_lo
	s_waitcnt lgkmcnt(0)
	v_cmpx_eq_f64_e32 0, v[0:1]
	s_xor_b32 s0, exec_lo, s0
; %bb.101:
	v_cmp_ne_u32_e32 vcc_lo, 0, v121
	v_cndmask_b32_e32 v121, 7, v121, vcc_lo
; %bb.102:
	s_andn2_saveexec_b32 s0, s0
	s_cbranch_execz .LBB110_104
; %bb.103:
	v_div_scale_f64 v[119:120], null, v[0:1], v[0:1], 1.0
	v_rcp_f64_e32 v[128:129], v[119:120]
	v_fma_f64 v[130:131], -v[119:120], v[128:129], 1.0
	v_fma_f64 v[128:129], v[128:129], v[130:131], v[128:129]
	v_fma_f64 v[130:131], -v[119:120], v[128:129], 1.0
	v_fma_f64 v[128:129], v[128:129], v[130:131], v[128:129]
	v_div_scale_f64 v[130:131], vcc_lo, 1.0, v[0:1], 1.0
	v_mul_f64 v[132:133], v[130:131], v[128:129]
	v_fma_f64 v[119:120], -v[119:120], v[132:133], v[130:131]
	v_div_fmas_f64 v[119:120], v[119:120], v[128:129], v[132:133]
	v_div_fixup_f64 v[0:1], v[119:120], v[0:1], 1.0
.LBB110_104:
	s_or_b32 exec_lo, exec_lo, s0
	s_mov_b32 s0, exec_lo
	v_cmpx_ne_u32_e64 v127, v118
	s_xor_b32 s0, exec_lo, s0
	s_cbranch_execz .LBB110_110
; %bb.105:
	s_mov_b32 s1, exec_lo
	v_cmpx_eq_u32_e32 6, v127
	s_cbranch_execz .LBB110_109
; %bb.106:
	v_cmp_ne_u32_e32 vcc_lo, 6, v118
	s_xor_b32 s2, s6, -1
	s_and_b32 s3, s2, vcc_lo
	s_and_saveexec_b32 s2, s3
	s_cbranch_execz .LBB110_108
; %bb.107:
	v_ashrrev_i32_e32 v119, 31, v118
	v_lshlrev_b64 v[119:120], 2, v[118:119]
	v_add_co_u32 v119, vcc_lo, v4, v119
	v_add_co_ci_u32_e64 v120, null, v5, v120, vcc_lo
	s_clause 0x1
	global_load_dword v126, v[119:120], off
	global_load_dword v127, v[4:5], off offset:24
	s_waitcnt vmcnt(1)
	global_store_dword v[4:5], v126, off offset:24
	s_waitcnt vmcnt(0)
	global_store_dword v[119:120], v127, off
.LBB110_108:
	s_or_b32 exec_lo, exec_lo, s2
	v_mov_b32_e32 v126, v118
	v_mov_b32_e32 v127, v118
.LBB110_109:
	s_or_b32 exec_lo, exec_lo, s1
.LBB110_110:
	s_andn2_saveexec_b32 s0, s0
	s_cbranch_execz .LBB110_112
; %bb.111:
	v_mov_b32_e32 v127, 6
	ds_write2_b64 v124, v[98:99], v[100:101] offset0:7 offset1:8
	ds_write2_b64 v124, v[94:95], v[96:97] offset0:9 offset1:10
	;; [unrolled: 1-line block ×24, first 2 shown]
	ds_write_b64 v124, v[116:117] offset:440
.LBB110_112:
	s_or_b32 exec_lo, exec_lo, s0
	s_mov_b32 s0, exec_lo
	s_waitcnt lgkmcnt(0)
	s_waitcnt_vscnt null, 0x0
	s_barrier
	buffer_gl0_inv
	v_cmpx_lt_i32_e32 6, v127
	s_cbranch_execz .LBB110_114
; %bb.113:
	v_mul_f64 v[102:103], v[0:1], v[102:103]
	ds_read2_b64 v[128:131], v124 offset0:7 offset1:8
	ds_read2_b64 v[132:135], v124 offset0:9 offset1:10
	ds_read2_b64 v[136:139], v124 offset0:11 offset1:12
	ds_read2_b64 v[140:143], v124 offset0:13 offset1:14
	ds_read2_b64 v[144:147], v124 offset0:15 offset1:16
	ds_read2_b64 v[148:151], v124 offset0:17 offset1:18
	ds_read2_b64 v[152:155], v124 offset0:19 offset1:20
	ds_read2_b64 v[156:159], v124 offset0:21 offset1:22
	ds_read2_b64 v[160:163], v124 offset0:23 offset1:24
	ds_read2_b64 v[164:167], v124 offset0:25 offset1:26
	ds_read2_b64 v[168:171], v124 offset0:27 offset1:28
	ds_read2_b64 v[172:175], v124 offset0:29 offset1:30
	ds_read_b64 v[0:1], v124 offset:440
	s_waitcnt lgkmcnt(12)
	v_fma_f64 v[98:99], -v[102:103], v[128:129], v[98:99]
	v_fma_f64 v[100:101], -v[102:103], v[130:131], v[100:101]
	s_waitcnt lgkmcnt(11)
	v_fma_f64 v[94:95], -v[102:103], v[132:133], v[94:95]
	v_fma_f64 v[96:97], -v[102:103], v[134:135], v[96:97]
	ds_read2_b64 v[128:131], v124 offset0:31 offset1:32
	ds_read2_b64 v[132:135], v124 offset0:33 offset1:34
	s_waitcnt lgkmcnt(12)
	v_fma_f64 v[92:93], -v[102:103], v[136:137], v[92:93]
	v_fma_f64 v[90:91], -v[102:103], v[138:139], v[90:91]
	s_waitcnt lgkmcnt(11)
	v_fma_f64 v[88:89], -v[102:103], v[140:141], v[88:89]
	v_fma_f64 v[86:87], -v[102:103], v[142:143], v[86:87]
	;; [unrolled: 3-line block ×7, first 2 shown]
	ds_read2_b64 v[136:139], v124 offset0:35 offset1:36
	ds_read2_b64 v[140:143], v124 offset0:37 offset1:38
	s_waitcnt lgkmcnt(7)
	v_fma_f64 v[64:65], -v[102:103], v[164:165], v[64:65]
	v_fma_f64 v[62:63], -v[102:103], v[166:167], v[62:63]
	ds_read2_b64 v[144:147], v124 offset0:39 offset1:40
	ds_read2_b64 v[148:151], v124 offset0:41 offset1:42
	;; [unrolled: 1-line block ×4, first 2 shown]
	s_waitcnt lgkmcnt(7)
	v_fma_f64 v[52:53], -v[102:103], v[128:129], v[52:53]
	ds_read2_b64 v[160:163], v124 offset0:47 offset1:48
	v_fma_f64 v[50:51], -v[102:103], v[130:131], v[50:51]
	ds_read2_b64 v[128:131], v124 offset0:49 offset1:50
	s_waitcnt lgkmcnt(8)
	v_fma_f64 v[48:49], -v[102:103], v[132:133], v[48:49]
	ds_read2_b64 v[164:167], v124 offset0:51 offset1:52
	v_fma_f64 v[46:47], -v[102:103], v[134:135], v[46:47]
	ds_read2_b64 v[132:135], v124 offset0:53 offset1:54
	v_fma_f64 v[58:59], -v[102:103], v[168:169], v[58:59]
	v_fma_f64 v[60:61], -v[102:103], v[170:171], v[60:61]
	;; [unrolled: 1-line block ×4, first 2 shown]
	s_waitcnt lgkmcnt(9)
	v_fma_f64 v[44:45], -v[102:103], v[136:137], v[44:45]
	v_fma_f64 v[42:43], -v[102:103], v[138:139], v[42:43]
	s_waitcnt lgkmcnt(8)
	v_fma_f64 v[38:39], -v[102:103], v[140:141], v[38:39]
	v_fma_f64 v[40:41], -v[102:103], v[142:143], v[40:41]
	;; [unrolled: 3-line block ×10, first 2 shown]
	v_fma_f64 v[116:117], -v[102:103], v[0:1], v[116:117]
.LBB110_114:
	s_or_b32 exec_lo, exec_lo, s0
	v_lshl_add_u32 v0, v127, 3, v124
	s_barrier
	buffer_gl0_inv
	v_mov_b32_e32 v118, 7
	ds_write_b64 v0, v[98:99]
	s_waitcnt lgkmcnt(0)
	s_barrier
	buffer_gl0_inv
	ds_read_b64 v[0:1], v124 offset:56
	s_cmp_lt_i32 s7, 9
	s_cbranch_scc1 .LBB110_117
; %bb.115:
	v_add3_u32 v119, v125, 0, 64
	v_mov_b32_e32 v118, 7
	s_mov_b32 s0, 8
.LBB110_116:                            ; =>This Inner Loop Header: Depth=1
	ds_read_b64 v[128:129], v119
	v_add_nc_u32_e32 v119, 8, v119
	s_waitcnt lgkmcnt(0)
	v_cmp_lt_f64_e64 vcc_lo, |v[0:1]|, |v[128:129]|
	v_cndmask_b32_e32 v1, v1, v129, vcc_lo
	v_cndmask_b32_e32 v0, v0, v128, vcc_lo
	v_cndmask_b32_e64 v118, v118, s0, vcc_lo
	s_add_i32 s0, s0, 1
	s_cmp_lg_u32 s7, s0
	s_cbranch_scc1 .LBB110_116
.LBB110_117:
	s_mov_b32 s0, exec_lo
	s_waitcnt lgkmcnt(0)
	v_cmpx_eq_f64_e32 0, v[0:1]
	s_xor_b32 s0, exec_lo, s0
; %bb.118:
	v_cmp_ne_u32_e32 vcc_lo, 0, v121
	v_cndmask_b32_e32 v121, 8, v121, vcc_lo
; %bb.119:
	s_andn2_saveexec_b32 s0, s0
	s_cbranch_execz .LBB110_121
; %bb.120:
	v_div_scale_f64 v[119:120], null, v[0:1], v[0:1], 1.0
	v_rcp_f64_e32 v[128:129], v[119:120]
	v_fma_f64 v[130:131], -v[119:120], v[128:129], 1.0
	v_fma_f64 v[128:129], v[128:129], v[130:131], v[128:129]
	v_fma_f64 v[130:131], -v[119:120], v[128:129], 1.0
	v_fma_f64 v[128:129], v[128:129], v[130:131], v[128:129]
	v_div_scale_f64 v[130:131], vcc_lo, 1.0, v[0:1], 1.0
	v_mul_f64 v[132:133], v[130:131], v[128:129]
	v_fma_f64 v[119:120], -v[119:120], v[132:133], v[130:131]
	v_div_fmas_f64 v[119:120], v[119:120], v[128:129], v[132:133]
	v_div_fixup_f64 v[0:1], v[119:120], v[0:1], 1.0
.LBB110_121:
	s_or_b32 exec_lo, exec_lo, s0
	s_mov_b32 s0, exec_lo
	v_cmpx_ne_u32_e64 v127, v118
	s_xor_b32 s0, exec_lo, s0
	s_cbranch_execz .LBB110_127
; %bb.122:
	s_mov_b32 s1, exec_lo
	v_cmpx_eq_u32_e32 7, v127
	s_cbranch_execz .LBB110_126
; %bb.123:
	v_cmp_ne_u32_e32 vcc_lo, 7, v118
	s_xor_b32 s2, s6, -1
	s_and_b32 s3, s2, vcc_lo
	s_and_saveexec_b32 s2, s3
	s_cbranch_execz .LBB110_125
; %bb.124:
	v_ashrrev_i32_e32 v119, 31, v118
	v_lshlrev_b64 v[119:120], 2, v[118:119]
	v_add_co_u32 v119, vcc_lo, v4, v119
	v_add_co_ci_u32_e64 v120, null, v5, v120, vcc_lo
	s_clause 0x1
	global_load_dword v126, v[119:120], off
	global_load_dword v127, v[4:5], off offset:28
	s_waitcnt vmcnt(1)
	global_store_dword v[4:5], v126, off offset:28
	s_waitcnt vmcnt(0)
	global_store_dword v[119:120], v127, off
.LBB110_125:
	s_or_b32 exec_lo, exec_lo, s2
	v_mov_b32_e32 v126, v118
	v_mov_b32_e32 v127, v118
.LBB110_126:
	s_or_b32 exec_lo, exec_lo, s1
.LBB110_127:
	s_andn2_saveexec_b32 s0, s0
	s_cbranch_execz .LBB110_129
; %bb.128:
	v_mov_b32_e32 v118, v100
	v_mov_b32_e32 v119, v101
	v_mov_b32_e32 v127, v94
	v_mov_b32_e32 v128, v95
	v_mov_b32_e32 v129, v96
	v_mov_b32_e32 v130, v97
	v_mov_b32_e32 v131, v92
	v_mov_b32_e32 v132, v93
	v_mov_b32_e32 v133, v90
	v_mov_b32_e32 v134, v91
	v_mov_b32_e32 v135, v88
	v_mov_b32_e32 v136, v89
	v_mov_b32_e32 v137, v86
	v_mov_b32_e32 v138, v87
	v_mov_b32_e32 v139, v84
	v_mov_b32_e32 v140, v85
	v_mov_b32_e32 v141, v82
	v_mov_b32_e32 v142, v83
	v_mov_b32_e32 v143, v78
	v_mov_b32_e32 v144, v79
	ds_write2_b64 v124, v[118:119], v[127:128] offset0:8 offset1:9
	ds_write2_b64 v124, v[129:130], v[131:132] offset0:10 offset1:11
	ds_write2_b64 v124, v[133:134], v[135:136] offset0:12 offset1:13
	ds_write2_b64 v124, v[137:138], v[139:140] offset0:14 offset1:15
	ds_write2_b64 v124, v[141:142], v[143:144] offset0:16 offset1:17
	v_mov_b32_e32 v118, v80
	v_mov_b32_e32 v119, v81
	v_mov_b32_e32 v127, v74
	v_mov_b32_e32 v128, v75
	v_mov_b32_e32 v129, v76
	v_mov_b32_e32 v130, v77
	v_mov_b32_e32 v131, v72
	v_mov_b32_e32 v132, v73
	v_mov_b32_e32 v133, v70
	v_mov_b32_e32 v134, v71
	v_mov_b32_e32 v135, v68
	v_mov_b32_e32 v136, v69
	v_mov_b32_e32 v137, v66
	v_mov_b32_e32 v138, v67
	v_mov_b32_e32 v139, v64
	v_mov_b32_e32 v140, v65
	v_mov_b32_e32 v141, v62
	v_mov_b32_e32 v142, v63
	v_mov_b32_e32 v143, v58
	v_mov_b32_e32 v144, v59
	ds_write2_b64 v124, v[118:119], v[127:128] offset0:18 offset1:19
	ds_write2_b64 v124, v[129:130], v[131:132] offset0:20 offset1:21
	ds_write2_b64 v124, v[133:134], v[135:136] offset0:22 offset1:23
	ds_write2_b64 v124, v[137:138], v[139:140] offset0:24 offset1:25
	ds_write2_b64 v124, v[141:142], v[143:144] offset0:26 offset1:27
	;; [unrolled: 25-line block ×4, first 2 shown]
	v_mov_b32_e32 v118, v20
	v_mov_b32_e32 v119, v21
	;; [unrolled: 1-line block ×15, first 2 shown]
	ds_write2_b64 v124, v[118:119], v[128:129] offset0:48 offset1:49
	ds_write2_b64 v124, v[130:131], v[132:133] offset0:50 offset1:51
	;; [unrolled: 1-line block ×4, first 2 shown]
.LBB110_129:
	s_or_b32 exec_lo, exec_lo, s0
	s_mov_b32 s0, exec_lo
	s_waitcnt lgkmcnt(0)
	s_waitcnt_vscnt null, 0x0
	s_barrier
	buffer_gl0_inv
	v_cmpx_lt_i32_e32 7, v127
	s_cbranch_execz .LBB110_131
; %bb.130:
	v_mul_f64 v[98:99], v[0:1], v[98:99]
	ds_read2_b64 v[128:131], v124 offset0:8 offset1:9
	ds_read2_b64 v[132:135], v124 offset0:10 offset1:11
	;; [unrolled: 1-line block ×12, first 2 shown]
	s_waitcnt lgkmcnt(11)
	v_fma_f64 v[100:101], -v[98:99], v[128:129], v[100:101]
	v_fma_f64 v[94:95], -v[98:99], v[130:131], v[94:95]
	ds_read2_b64 v[128:131], v124 offset0:32 offset1:33
	s_waitcnt lgkmcnt(11)
	v_fma_f64 v[96:97], -v[98:99], v[132:133], v[96:97]
	v_fma_f64 v[92:93], -v[98:99], v[134:135], v[92:93]
	s_waitcnt lgkmcnt(10)
	v_fma_f64 v[90:91], -v[98:99], v[136:137], v[90:91]
	v_fma_f64 v[88:89], -v[98:99], v[138:139], v[88:89]
	;; [unrolled: 3-line block ×7, first 2 shown]
	ds_read2_b64 v[132:135], v124 offset0:34 offset1:35
	s_waitcnt lgkmcnt(5)
	v_fma_f64 v[66:67], -v[98:99], v[160:161], v[66:67]
	v_fma_f64 v[64:65], -v[98:99], v[162:163], v[64:65]
	ds_read2_b64 v[136:139], v124 offset0:36 offset1:37
	ds_read2_b64 v[140:143], v124 offset0:38 offset1:39
	s_waitcnt lgkmcnt(6)
	v_fma_f64 v[62:63], -v[98:99], v[164:165], v[62:63]
	v_fma_f64 v[58:59], -v[98:99], v[166:167], v[58:59]
	ds_read2_b64 v[144:147], v124 offset0:40 offset1:41
	;; [unrolled: 5-line block ×3, first 2 shown]
	ds_read2_b64 v[156:159], v124 offset0:46 offset1:47
	ds_read2_b64 v[160:163], v124 offset0:48 offset1:49
	;; [unrolled: 1-line block ×3, first 2 shown]
	s_waitcnt lgkmcnt(9)
	v_fma_f64 v[50:51], -v[98:99], v[128:129], v[50:51]
	v_fma_f64 v[48:49], -v[98:99], v[130:131], v[48:49]
	ds_read2_b64 v[128:131], v124 offset0:52 offset1:53
	ds_read2_b64 v[168:171], v124 offset0:54 offset1:55
	v_fma_f64 v[56:57], -v[98:99], v[172:173], v[56:57]
	v_fma_f64 v[52:53], -v[98:99], v[174:175], v[52:53]
	s_waitcnt lgkmcnt(10)
	v_fma_f64 v[46:47], -v[98:99], v[132:133], v[46:47]
	v_fma_f64 v[44:45], -v[98:99], v[134:135], v[44:45]
	s_waitcnt lgkmcnt(9)
	;; [unrolled: 3-line block ×11, first 2 shown]
	v_fma_f64 v[10:11], -v[98:99], v[168:169], v[10:11]
	v_fma_f64 v[116:117], -v[98:99], v[170:171], v[116:117]
.LBB110_131:
	s_or_b32 exec_lo, exec_lo, s0
	v_lshl_add_u32 v0, v127, 3, v124
	s_barrier
	buffer_gl0_inv
	v_mov_b32_e32 v118, 8
	ds_write_b64 v0, v[100:101]
	s_waitcnt lgkmcnt(0)
	s_barrier
	buffer_gl0_inv
	ds_read_b64 v[0:1], v124 offset:64
	s_cmp_lt_i32 s7, 10
	s_cbranch_scc1 .LBB110_134
; %bb.132:
	v_add3_u32 v119, v125, 0, 0x48
	v_mov_b32_e32 v118, 8
	s_mov_b32 s0, 9
.LBB110_133:                            ; =>This Inner Loop Header: Depth=1
	ds_read_b64 v[128:129], v119
	v_add_nc_u32_e32 v119, 8, v119
	s_waitcnt lgkmcnt(0)
	v_cmp_lt_f64_e64 vcc_lo, |v[0:1]|, |v[128:129]|
	v_cndmask_b32_e32 v1, v1, v129, vcc_lo
	v_cndmask_b32_e32 v0, v0, v128, vcc_lo
	v_cndmask_b32_e64 v118, v118, s0, vcc_lo
	s_add_i32 s0, s0, 1
	s_cmp_lg_u32 s7, s0
	s_cbranch_scc1 .LBB110_133
.LBB110_134:
	s_mov_b32 s0, exec_lo
	s_waitcnt lgkmcnt(0)
	v_cmpx_eq_f64_e32 0, v[0:1]
	s_xor_b32 s0, exec_lo, s0
; %bb.135:
	v_cmp_ne_u32_e32 vcc_lo, 0, v121
	v_cndmask_b32_e32 v121, 9, v121, vcc_lo
; %bb.136:
	s_andn2_saveexec_b32 s0, s0
	s_cbranch_execz .LBB110_138
; %bb.137:
	v_div_scale_f64 v[119:120], null, v[0:1], v[0:1], 1.0
	v_rcp_f64_e32 v[128:129], v[119:120]
	v_fma_f64 v[130:131], -v[119:120], v[128:129], 1.0
	v_fma_f64 v[128:129], v[128:129], v[130:131], v[128:129]
	v_fma_f64 v[130:131], -v[119:120], v[128:129], 1.0
	v_fma_f64 v[128:129], v[128:129], v[130:131], v[128:129]
	v_div_scale_f64 v[130:131], vcc_lo, 1.0, v[0:1], 1.0
	v_mul_f64 v[132:133], v[130:131], v[128:129]
	v_fma_f64 v[119:120], -v[119:120], v[132:133], v[130:131]
	v_div_fmas_f64 v[119:120], v[119:120], v[128:129], v[132:133]
	v_div_fixup_f64 v[0:1], v[119:120], v[0:1], 1.0
.LBB110_138:
	s_or_b32 exec_lo, exec_lo, s0
	s_mov_b32 s0, exec_lo
	v_cmpx_ne_u32_e64 v127, v118
	s_xor_b32 s0, exec_lo, s0
	s_cbranch_execz .LBB110_144
; %bb.139:
	s_mov_b32 s1, exec_lo
	v_cmpx_eq_u32_e32 8, v127
	s_cbranch_execz .LBB110_143
; %bb.140:
	v_cmp_ne_u32_e32 vcc_lo, 8, v118
	s_xor_b32 s2, s6, -1
	s_and_b32 s3, s2, vcc_lo
	s_and_saveexec_b32 s2, s3
	s_cbranch_execz .LBB110_142
; %bb.141:
	v_ashrrev_i32_e32 v119, 31, v118
	v_lshlrev_b64 v[119:120], 2, v[118:119]
	v_add_co_u32 v119, vcc_lo, v4, v119
	v_add_co_ci_u32_e64 v120, null, v5, v120, vcc_lo
	s_clause 0x1
	global_load_dword v126, v[119:120], off
	global_load_dword v127, v[4:5], off offset:32
	s_waitcnt vmcnt(1)
	global_store_dword v[4:5], v126, off offset:32
	s_waitcnt vmcnt(0)
	global_store_dword v[119:120], v127, off
.LBB110_142:
	s_or_b32 exec_lo, exec_lo, s2
	v_mov_b32_e32 v126, v118
	v_mov_b32_e32 v127, v118
.LBB110_143:
	s_or_b32 exec_lo, exec_lo, s1
.LBB110_144:
	s_andn2_saveexec_b32 s0, s0
	s_cbranch_execz .LBB110_146
; %bb.145:
	v_mov_b32_e32 v127, 8
	ds_write2_b64 v124, v[94:95], v[96:97] offset0:9 offset1:10
	ds_write2_b64 v124, v[92:93], v[90:91] offset0:11 offset1:12
	;; [unrolled: 1-line block ×23, first 2 shown]
	ds_write_b64 v124, v[116:117] offset:440
.LBB110_146:
	s_or_b32 exec_lo, exec_lo, s0
	s_mov_b32 s0, exec_lo
	s_waitcnt lgkmcnt(0)
	s_waitcnt_vscnt null, 0x0
	s_barrier
	buffer_gl0_inv
	v_cmpx_lt_i32_e32 8, v127
	s_cbranch_execz .LBB110_148
; %bb.147:
	v_mul_f64 v[100:101], v[0:1], v[100:101]
	ds_read2_b64 v[128:131], v124 offset0:9 offset1:10
	ds_read2_b64 v[132:135], v124 offset0:11 offset1:12
	;; [unrolled: 1-line block ×12, first 2 shown]
	ds_read_b64 v[0:1], v124 offset:440
	s_waitcnt lgkmcnt(12)
	v_fma_f64 v[94:95], -v[100:101], v[128:129], v[94:95]
	v_fma_f64 v[96:97], -v[100:101], v[130:131], v[96:97]
	ds_read2_b64 v[128:131], v124 offset0:33 offset1:34
	s_waitcnt lgkmcnt(12)
	v_fma_f64 v[92:93], -v[100:101], v[132:133], v[92:93]
	v_fma_f64 v[90:91], -v[100:101], v[134:135], v[90:91]
	s_waitcnt lgkmcnt(11)
	v_fma_f64 v[88:89], -v[100:101], v[136:137], v[88:89]
	v_fma_f64 v[86:87], -v[100:101], v[138:139], v[86:87]
	;; [unrolled: 3-line block ×7, first 2 shown]
	ds_read2_b64 v[132:135], v124 offset0:35 offset1:36
	s_waitcnt lgkmcnt(6)
	v_fma_f64 v[64:65], -v[100:101], v[160:161], v[64:65]
	v_fma_f64 v[62:63], -v[100:101], v[162:163], v[62:63]
	ds_read2_b64 v[136:139], v124 offset0:37 offset1:38
	ds_read2_b64 v[140:143], v124 offset0:39 offset1:40
	s_waitcnt lgkmcnt(7)
	v_fma_f64 v[58:59], -v[100:101], v[164:165], v[58:59]
	v_fma_f64 v[60:61], -v[100:101], v[166:167], v[60:61]
	ds_read2_b64 v[144:147], v124 offset0:41 offset1:42
	ds_read2_b64 v[148:151], v124 offset0:43 offset1:44
	;; [unrolled: 1-line block ×6, first 2 shown]
	s_waitcnt lgkmcnt(9)
	v_fma_f64 v[48:49], -v[100:101], v[128:129], v[48:49]
	v_fma_f64 v[46:47], -v[100:101], v[130:131], v[46:47]
	ds_read2_b64 v[128:131], v124 offset0:53 offset1:54
	v_fma_f64 v[54:55], -v[100:101], v[168:169], v[54:55]
	v_fma_f64 v[56:57], -v[100:101], v[170:171], v[56:57]
	v_fma_f64 v[52:53], -v[100:101], v[172:173], v[52:53]
	v_fma_f64 v[50:51], -v[100:101], v[174:175], v[50:51]
	s_waitcnt lgkmcnt(9)
	v_fma_f64 v[44:45], -v[100:101], v[132:133], v[44:45]
	v_fma_f64 v[42:43], -v[100:101], v[134:135], v[42:43]
	;; [unrolled: 1-line block ×3, first 2 shown]
	s_waitcnt lgkmcnt(8)
	v_fma_f64 v[38:39], -v[100:101], v[136:137], v[38:39]
	v_fma_f64 v[40:41], -v[100:101], v[138:139], v[40:41]
	s_waitcnt lgkmcnt(7)
	v_fma_f64 v[34:35], -v[100:101], v[140:141], v[34:35]
	v_fma_f64 v[36:37], -v[100:101], v[142:143], v[36:37]
	;; [unrolled: 3-line block ×9, first 2 shown]
.LBB110_148:
	s_or_b32 exec_lo, exec_lo, s0
	v_lshl_add_u32 v0, v127, 3, v124
	s_barrier
	buffer_gl0_inv
	v_mov_b32_e32 v118, 9
	ds_write_b64 v0, v[94:95]
	s_waitcnt lgkmcnt(0)
	s_barrier
	buffer_gl0_inv
	ds_read_b64 v[0:1], v124 offset:72
	s_cmp_lt_i32 s7, 11
	s_cbranch_scc1 .LBB110_151
; %bb.149:
	v_add3_u32 v119, v125, 0, 0x50
	v_mov_b32_e32 v118, 9
	s_mov_b32 s0, 10
.LBB110_150:                            ; =>This Inner Loop Header: Depth=1
	ds_read_b64 v[128:129], v119
	v_add_nc_u32_e32 v119, 8, v119
	s_waitcnt lgkmcnt(0)
	v_cmp_lt_f64_e64 vcc_lo, |v[0:1]|, |v[128:129]|
	v_cndmask_b32_e32 v1, v1, v129, vcc_lo
	v_cndmask_b32_e32 v0, v0, v128, vcc_lo
	v_cndmask_b32_e64 v118, v118, s0, vcc_lo
	s_add_i32 s0, s0, 1
	s_cmp_lg_u32 s7, s0
	s_cbranch_scc1 .LBB110_150
.LBB110_151:
	s_mov_b32 s0, exec_lo
	s_waitcnt lgkmcnt(0)
	v_cmpx_eq_f64_e32 0, v[0:1]
	s_xor_b32 s0, exec_lo, s0
; %bb.152:
	v_cmp_ne_u32_e32 vcc_lo, 0, v121
	v_cndmask_b32_e32 v121, 10, v121, vcc_lo
; %bb.153:
	s_andn2_saveexec_b32 s0, s0
	s_cbranch_execz .LBB110_155
; %bb.154:
	v_div_scale_f64 v[119:120], null, v[0:1], v[0:1], 1.0
	v_rcp_f64_e32 v[128:129], v[119:120]
	v_fma_f64 v[130:131], -v[119:120], v[128:129], 1.0
	v_fma_f64 v[128:129], v[128:129], v[130:131], v[128:129]
	v_fma_f64 v[130:131], -v[119:120], v[128:129], 1.0
	v_fma_f64 v[128:129], v[128:129], v[130:131], v[128:129]
	v_div_scale_f64 v[130:131], vcc_lo, 1.0, v[0:1], 1.0
	v_mul_f64 v[132:133], v[130:131], v[128:129]
	v_fma_f64 v[119:120], -v[119:120], v[132:133], v[130:131]
	v_div_fmas_f64 v[119:120], v[119:120], v[128:129], v[132:133]
	v_div_fixup_f64 v[0:1], v[119:120], v[0:1], 1.0
.LBB110_155:
	s_or_b32 exec_lo, exec_lo, s0
	s_mov_b32 s0, exec_lo
	v_cmpx_ne_u32_e64 v127, v118
	s_xor_b32 s0, exec_lo, s0
	s_cbranch_execz .LBB110_161
; %bb.156:
	s_mov_b32 s1, exec_lo
	v_cmpx_eq_u32_e32 9, v127
	s_cbranch_execz .LBB110_160
; %bb.157:
	v_cmp_ne_u32_e32 vcc_lo, 9, v118
	s_xor_b32 s2, s6, -1
	s_and_b32 s3, s2, vcc_lo
	s_and_saveexec_b32 s2, s3
	s_cbranch_execz .LBB110_159
; %bb.158:
	v_ashrrev_i32_e32 v119, 31, v118
	v_lshlrev_b64 v[119:120], 2, v[118:119]
	v_add_co_u32 v119, vcc_lo, v4, v119
	v_add_co_ci_u32_e64 v120, null, v5, v120, vcc_lo
	s_clause 0x1
	global_load_dword v126, v[119:120], off
	global_load_dword v127, v[4:5], off offset:36
	s_waitcnt vmcnt(1)
	global_store_dword v[4:5], v126, off offset:36
	s_waitcnt vmcnt(0)
	global_store_dword v[119:120], v127, off
.LBB110_159:
	s_or_b32 exec_lo, exec_lo, s2
	v_mov_b32_e32 v126, v118
	v_mov_b32_e32 v127, v118
.LBB110_160:
	s_or_b32 exec_lo, exec_lo, s1
.LBB110_161:
	s_andn2_saveexec_b32 s0, s0
	s_cbranch_execz .LBB110_163
; %bb.162:
	v_mov_b32_e32 v118, v96
	v_mov_b32_e32 v119, v97
	;; [unrolled: 1-line block ×16, first 2 shown]
	ds_write2_b64 v124, v[118:119], v[127:128] offset0:10 offset1:11
	ds_write2_b64 v124, v[129:130], v[131:132] offset0:12 offset1:13
	ds_write2_b64 v124, v[133:134], v[135:136] offset0:14 offset1:15
	ds_write2_b64 v124, v[137:138], v[139:140] offset0:16 offset1:17
	v_mov_b32_e32 v118, v80
	v_mov_b32_e32 v119, v81
	v_mov_b32_e32 v127, v74
	v_mov_b32_e32 v128, v75
	v_mov_b32_e32 v129, v76
	v_mov_b32_e32 v130, v77
	v_mov_b32_e32 v131, v72
	v_mov_b32_e32 v132, v73
	v_mov_b32_e32 v133, v70
	v_mov_b32_e32 v134, v71
	v_mov_b32_e32 v135, v68
	v_mov_b32_e32 v136, v69
	v_mov_b32_e32 v137, v66
	v_mov_b32_e32 v138, v67
	v_mov_b32_e32 v139, v64
	v_mov_b32_e32 v140, v65
	v_mov_b32_e32 v141, v62
	v_mov_b32_e32 v142, v63
	v_mov_b32_e32 v143, v58
	v_mov_b32_e32 v144, v59
	ds_write2_b64 v124, v[118:119], v[127:128] offset0:18 offset1:19
	ds_write2_b64 v124, v[129:130], v[131:132] offset0:20 offset1:21
	ds_write2_b64 v124, v[133:134], v[135:136] offset0:22 offset1:23
	ds_write2_b64 v124, v[137:138], v[139:140] offset0:24 offset1:25
	ds_write2_b64 v124, v[141:142], v[143:144] offset0:26 offset1:27
	v_mov_b32_e32 v118, v60
	v_mov_b32_e32 v119, v61
	v_mov_b32_e32 v127, v54
	v_mov_b32_e32 v128, v55
	v_mov_b32_e32 v129, v56
	v_mov_b32_e32 v130, v57
	v_mov_b32_e32 v131, v52
	v_mov_b32_e32 v132, v53
	v_mov_b32_e32 v133, v50
	v_mov_b32_e32 v134, v51
	v_mov_b32_e32 v135, v48
	v_mov_b32_e32 v136, v49
	v_mov_b32_e32 v137, v46
	v_mov_b32_e32 v138, v47
	v_mov_b32_e32 v139, v44
	v_mov_b32_e32 v140, v45
	v_mov_b32_e32 v141, v42
	v_mov_b32_e32 v142, v43
	v_mov_b32_e32 v143, v38
	v_mov_b32_e32 v144, v39
	ds_write2_b64 v124, v[118:119], v[127:128] offset0:28 offset1:29
	;; [unrolled: 25-line block ×3, first 2 shown]
	ds_write2_b64 v124, v[129:130], v[131:132] offset0:40 offset1:41
	ds_write2_b64 v124, v[133:134], v[135:136] offset0:42 offset1:43
	;; [unrolled: 1-line block ×4, first 2 shown]
	v_mov_b32_e32 v118, v20
	v_mov_b32_e32 v119, v21
	;; [unrolled: 1-line block ×15, first 2 shown]
	ds_write2_b64 v124, v[118:119], v[128:129] offset0:48 offset1:49
	ds_write2_b64 v124, v[130:131], v[132:133] offset0:50 offset1:51
	;; [unrolled: 1-line block ×4, first 2 shown]
.LBB110_163:
	s_or_b32 exec_lo, exec_lo, s0
	s_mov_b32 s0, exec_lo
	s_waitcnt lgkmcnt(0)
	s_waitcnt_vscnt null, 0x0
	s_barrier
	buffer_gl0_inv
	v_cmpx_lt_i32_e32 9, v127
	s_cbranch_execz .LBB110_165
; %bb.164:
	v_mul_f64 v[94:95], v[0:1], v[94:95]
	ds_read2_b64 v[128:131], v124 offset0:10 offset1:11
	ds_read2_b64 v[132:135], v124 offset0:12 offset1:13
	;; [unrolled: 1-line block ×11, first 2 shown]
	s_waitcnt lgkmcnt(10)
	v_fma_f64 v[96:97], -v[94:95], v[128:129], v[96:97]
	v_fma_f64 v[92:93], -v[94:95], v[130:131], v[92:93]
	ds_read2_b64 v[128:131], v124 offset0:32 offset1:33
	s_waitcnt lgkmcnt(10)
	v_fma_f64 v[90:91], -v[94:95], v[132:133], v[90:91]
	v_fma_f64 v[88:89], -v[94:95], v[134:135], v[88:89]
	s_waitcnt lgkmcnt(9)
	v_fma_f64 v[86:87], -v[94:95], v[136:137], v[86:87]
	v_fma_f64 v[84:85], -v[94:95], v[138:139], v[84:85]
	;; [unrolled: 3-line block ×6, first 2 shown]
	ds_read2_b64 v[132:135], v124 offset0:34 offset1:35
	s_waitcnt lgkmcnt(5)
	v_fma_f64 v[66:67], -v[94:95], v[156:157], v[66:67]
	v_fma_f64 v[64:65], -v[94:95], v[158:159], v[64:65]
	ds_read2_b64 v[136:139], v124 offset0:36 offset1:37
	ds_read2_b64 v[140:143], v124 offset0:38 offset1:39
	s_waitcnt lgkmcnt(6)
	v_fma_f64 v[62:63], -v[94:95], v[160:161], v[62:63]
	v_fma_f64 v[58:59], -v[94:95], v[162:163], v[58:59]
	ds_read2_b64 v[144:147], v124 offset0:40 offset1:41
	;; [unrolled: 5-line block ×5, first 2 shown]
	ds_read2_b64 v[168:171], v124 offset0:54 offset1:55
	s_waitcnt lgkmcnt(10)
	v_fma_f64 v[46:47], -v[94:95], v[132:133], v[46:47]
	v_fma_f64 v[44:45], -v[94:95], v[134:135], v[44:45]
	s_waitcnt lgkmcnt(9)
	v_fma_f64 v[42:43], -v[94:95], v[136:137], v[42:43]
	v_fma_f64 v[38:39], -v[94:95], v[138:139], v[38:39]
	;; [unrolled: 3-line block ×11, first 2 shown]
.LBB110_165:
	s_or_b32 exec_lo, exec_lo, s0
	v_lshl_add_u32 v0, v127, 3, v124
	s_barrier
	buffer_gl0_inv
	v_mov_b32_e32 v118, 10
	ds_write_b64 v0, v[96:97]
	s_waitcnt lgkmcnt(0)
	s_barrier
	buffer_gl0_inv
	ds_read_b64 v[0:1], v124 offset:80
	s_cmp_lt_i32 s7, 12
	s_cbranch_scc1 .LBB110_168
; %bb.166:
	v_add3_u32 v119, v125, 0, 0x58
	v_mov_b32_e32 v118, 10
	s_mov_b32 s0, 11
.LBB110_167:                            ; =>This Inner Loop Header: Depth=1
	ds_read_b64 v[128:129], v119
	v_add_nc_u32_e32 v119, 8, v119
	s_waitcnt lgkmcnt(0)
	v_cmp_lt_f64_e64 vcc_lo, |v[0:1]|, |v[128:129]|
	v_cndmask_b32_e32 v1, v1, v129, vcc_lo
	v_cndmask_b32_e32 v0, v0, v128, vcc_lo
	v_cndmask_b32_e64 v118, v118, s0, vcc_lo
	s_add_i32 s0, s0, 1
	s_cmp_lg_u32 s7, s0
	s_cbranch_scc1 .LBB110_167
.LBB110_168:
	s_mov_b32 s0, exec_lo
	s_waitcnt lgkmcnt(0)
	v_cmpx_eq_f64_e32 0, v[0:1]
	s_xor_b32 s0, exec_lo, s0
; %bb.169:
	v_cmp_ne_u32_e32 vcc_lo, 0, v121
	v_cndmask_b32_e32 v121, 11, v121, vcc_lo
; %bb.170:
	s_andn2_saveexec_b32 s0, s0
	s_cbranch_execz .LBB110_172
; %bb.171:
	v_div_scale_f64 v[119:120], null, v[0:1], v[0:1], 1.0
	v_rcp_f64_e32 v[128:129], v[119:120]
	v_fma_f64 v[130:131], -v[119:120], v[128:129], 1.0
	v_fma_f64 v[128:129], v[128:129], v[130:131], v[128:129]
	v_fma_f64 v[130:131], -v[119:120], v[128:129], 1.0
	v_fma_f64 v[128:129], v[128:129], v[130:131], v[128:129]
	v_div_scale_f64 v[130:131], vcc_lo, 1.0, v[0:1], 1.0
	v_mul_f64 v[132:133], v[130:131], v[128:129]
	v_fma_f64 v[119:120], -v[119:120], v[132:133], v[130:131]
	v_div_fmas_f64 v[119:120], v[119:120], v[128:129], v[132:133]
	v_div_fixup_f64 v[0:1], v[119:120], v[0:1], 1.0
.LBB110_172:
	s_or_b32 exec_lo, exec_lo, s0
	s_mov_b32 s0, exec_lo
	v_cmpx_ne_u32_e64 v127, v118
	s_xor_b32 s0, exec_lo, s0
	s_cbranch_execz .LBB110_178
; %bb.173:
	s_mov_b32 s1, exec_lo
	v_cmpx_eq_u32_e32 10, v127
	s_cbranch_execz .LBB110_177
; %bb.174:
	v_cmp_ne_u32_e32 vcc_lo, 10, v118
	s_xor_b32 s2, s6, -1
	s_and_b32 s3, s2, vcc_lo
	s_and_saveexec_b32 s2, s3
	s_cbranch_execz .LBB110_176
; %bb.175:
	v_ashrrev_i32_e32 v119, 31, v118
	v_lshlrev_b64 v[119:120], 2, v[118:119]
	v_add_co_u32 v119, vcc_lo, v4, v119
	v_add_co_ci_u32_e64 v120, null, v5, v120, vcc_lo
	s_clause 0x1
	global_load_dword v126, v[119:120], off
	global_load_dword v127, v[4:5], off offset:40
	s_waitcnt vmcnt(1)
	global_store_dword v[4:5], v126, off offset:40
	s_waitcnt vmcnt(0)
	global_store_dword v[119:120], v127, off
.LBB110_176:
	s_or_b32 exec_lo, exec_lo, s2
	v_mov_b32_e32 v126, v118
	v_mov_b32_e32 v127, v118
.LBB110_177:
	s_or_b32 exec_lo, exec_lo, s1
.LBB110_178:
	s_andn2_saveexec_b32 s0, s0
	s_cbranch_execz .LBB110_180
; %bb.179:
	v_mov_b32_e32 v127, 10
	ds_write2_b64 v124, v[92:93], v[90:91] offset0:11 offset1:12
	ds_write2_b64 v124, v[88:89], v[86:87] offset0:13 offset1:14
	;; [unrolled: 1-line block ×22, first 2 shown]
	ds_write_b64 v124, v[116:117] offset:440
.LBB110_180:
	s_or_b32 exec_lo, exec_lo, s0
	s_mov_b32 s0, exec_lo
	s_waitcnt lgkmcnt(0)
	s_waitcnt_vscnt null, 0x0
	s_barrier
	buffer_gl0_inv
	v_cmpx_lt_i32_e32 10, v127
	s_cbranch_execz .LBB110_182
; %bb.181:
	v_mul_f64 v[96:97], v[0:1], v[96:97]
	ds_read2_b64 v[128:131], v124 offset0:11 offset1:12
	ds_read2_b64 v[132:135], v124 offset0:13 offset1:14
	ds_read2_b64 v[136:139], v124 offset0:15 offset1:16
	ds_read2_b64 v[140:143], v124 offset0:17 offset1:18
	ds_read2_b64 v[144:147], v124 offset0:19 offset1:20
	ds_read2_b64 v[148:151], v124 offset0:21 offset1:22
	ds_read2_b64 v[152:155], v124 offset0:23 offset1:24
	ds_read2_b64 v[156:159], v124 offset0:25 offset1:26
	ds_read2_b64 v[160:163], v124 offset0:27 offset1:28
	ds_read2_b64 v[164:167], v124 offset0:29 offset1:30
	ds_read2_b64 v[168:171], v124 offset0:31 offset1:32
	ds_read_b64 v[0:1], v124 offset:440
	s_waitcnt lgkmcnt(11)
	v_fma_f64 v[92:93], -v[96:97], v[128:129], v[92:93]
	v_fma_f64 v[90:91], -v[96:97], v[130:131], v[90:91]
	ds_read2_b64 v[128:131], v124 offset0:33 offset1:34
	s_waitcnt lgkmcnt(11)
	v_fma_f64 v[88:89], -v[96:97], v[132:133], v[88:89]
	v_fma_f64 v[86:87], -v[96:97], v[134:135], v[86:87]
	s_waitcnt lgkmcnt(10)
	v_fma_f64 v[84:85], -v[96:97], v[136:137], v[84:85]
	v_fma_f64 v[82:83], -v[96:97], v[138:139], v[82:83]
	s_waitcnt lgkmcnt(9)
	v_fma_f64 v[78:79], -v[96:97], v[140:141], v[78:79]
	v_fma_f64 v[80:81], -v[96:97], v[142:143], v[80:81]
	s_waitcnt lgkmcnt(8)
	v_fma_f64 v[74:75], -v[96:97], v[144:145], v[74:75]
	v_fma_f64 v[76:77], -v[96:97], v[146:147], v[76:77]
	s_waitcnt lgkmcnt(7)
	v_fma_f64 v[72:73], -v[96:97], v[148:149], v[72:73]
	v_fma_f64 v[70:71], -v[96:97], v[150:151], v[70:71]
	s_waitcnt lgkmcnt(6)
	v_fma_f64 v[68:69], -v[96:97], v[152:153], v[68:69]
	v_fma_f64 v[66:67], -v[96:97], v[154:155], v[66:67]
	ds_read2_b64 v[132:135], v124 offset0:35 offset1:36
	s_waitcnt lgkmcnt(6)
	v_fma_f64 v[64:65], -v[96:97], v[156:157], v[64:65]
	v_fma_f64 v[62:63], -v[96:97], v[158:159], v[62:63]
	ds_read2_b64 v[136:139], v124 offset0:37 offset1:38
	ds_read2_b64 v[140:143], v124 offset0:39 offset1:40
	s_waitcnt lgkmcnt(7)
	v_fma_f64 v[58:59], -v[96:97], v[160:161], v[58:59]
	v_fma_f64 v[60:61], -v[96:97], v[162:163], v[60:61]
	ds_read2_b64 v[144:147], v124 offset0:41 offset1:42
	;; [unrolled: 5-line block ×3, first 2 shown]
	ds_read2_b64 v[156:159], v124 offset0:47 offset1:48
	ds_read2_b64 v[160:163], v124 offset0:49 offset1:50
	;; [unrolled: 1-line block ×3, first 2 shown]
	s_waitcnt lgkmcnt(9)
	v_fma_f64 v[48:49], -v[96:97], v[128:129], v[48:49]
	v_fma_f64 v[46:47], -v[96:97], v[130:131], v[46:47]
	ds_read2_b64 v[128:131], v124 offset0:53 offset1:54
	v_fma_f64 v[52:53], -v[96:97], v[168:169], v[52:53]
	v_fma_f64 v[50:51], -v[96:97], v[170:171], v[50:51]
	s_waitcnt lgkmcnt(9)
	v_fma_f64 v[44:45], -v[96:97], v[132:133], v[44:45]
	v_fma_f64 v[42:43], -v[96:97], v[134:135], v[42:43]
	;; [unrolled: 1-line block ×3, first 2 shown]
	s_waitcnt lgkmcnt(8)
	v_fma_f64 v[38:39], -v[96:97], v[136:137], v[38:39]
	v_fma_f64 v[40:41], -v[96:97], v[138:139], v[40:41]
	s_waitcnt lgkmcnt(7)
	v_fma_f64 v[34:35], -v[96:97], v[140:141], v[34:35]
	v_fma_f64 v[36:37], -v[96:97], v[142:143], v[36:37]
	;; [unrolled: 3-line block ×9, first 2 shown]
.LBB110_182:
	s_or_b32 exec_lo, exec_lo, s0
	v_lshl_add_u32 v0, v127, 3, v124
	s_barrier
	buffer_gl0_inv
	v_mov_b32_e32 v118, 11
	ds_write_b64 v0, v[92:93]
	s_waitcnt lgkmcnt(0)
	s_barrier
	buffer_gl0_inv
	ds_read_b64 v[0:1], v124 offset:88
	s_cmp_lt_i32 s7, 13
	s_cbranch_scc1 .LBB110_185
; %bb.183:
	v_add3_u32 v119, v125, 0, 0x60
	v_mov_b32_e32 v118, 11
	s_mov_b32 s0, 12
.LBB110_184:                            ; =>This Inner Loop Header: Depth=1
	ds_read_b64 v[128:129], v119
	v_add_nc_u32_e32 v119, 8, v119
	s_waitcnt lgkmcnt(0)
	v_cmp_lt_f64_e64 vcc_lo, |v[0:1]|, |v[128:129]|
	v_cndmask_b32_e32 v1, v1, v129, vcc_lo
	v_cndmask_b32_e32 v0, v0, v128, vcc_lo
	v_cndmask_b32_e64 v118, v118, s0, vcc_lo
	s_add_i32 s0, s0, 1
	s_cmp_lg_u32 s7, s0
	s_cbranch_scc1 .LBB110_184
.LBB110_185:
	s_mov_b32 s0, exec_lo
	s_waitcnt lgkmcnt(0)
	v_cmpx_eq_f64_e32 0, v[0:1]
	s_xor_b32 s0, exec_lo, s0
; %bb.186:
	v_cmp_ne_u32_e32 vcc_lo, 0, v121
	v_cndmask_b32_e32 v121, 12, v121, vcc_lo
; %bb.187:
	s_andn2_saveexec_b32 s0, s0
	s_cbranch_execz .LBB110_189
; %bb.188:
	v_div_scale_f64 v[119:120], null, v[0:1], v[0:1], 1.0
	v_rcp_f64_e32 v[128:129], v[119:120]
	v_fma_f64 v[130:131], -v[119:120], v[128:129], 1.0
	v_fma_f64 v[128:129], v[128:129], v[130:131], v[128:129]
	v_fma_f64 v[130:131], -v[119:120], v[128:129], 1.0
	v_fma_f64 v[128:129], v[128:129], v[130:131], v[128:129]
	v_div_scale_f64 v[130:131], vcc_lo, 1.0, v[0:1], 1.0
	v_mul_f64 v[132:133], v[130:131], v[128:129]
	v_fma_f64 v[119:120], -v[119:120], v[132:133], v[130:131]
	v_div_fmas_f64 v[119:120], v[119:120], v[128:129], v[132:133]
	v_div_fixup_f64 v[0:1], v[119:120], v[0:1], 1.0
.LBB110_189:
	s_or_b32 exec_lo, exec_lo, s0
	s_mov_b32 s0, exec_lo
	v_cmpx_ne_u32_e64 v127, v118
	s_xor_b32 s0, exec_lo, s0
	s_cbranch_execz .LBB110_195
; %bb.190:
	s_mov_b32 s1, exec_lo
	v_cmpx_eq_u32_e32 11, v127
	s_cbranch_execz .LBB110_194
; %bb.191:
	v_cmp_ne_u32_e32 vcc_lo, 11, v118
	s_xor_b32 s2, s6, -1
	s_and_b32 s3, s2, vcc_lo
	s_and_saveexec_b32 s2, s3
	s_cbranch_execz .LBB110_193
; %bb.192:
	v_ashrrev_i32_e32 v119, 31, v118
	v_lshlrev_b64 v[119:120], 2, v[118:119]
	v_add_co_u32 v119, vcc_lo, v4, v119
	v_add_co_ci_u32_e64 v120, null, v5, v120, vcc_lo
	s_clause 0x1
	global_load_dword v126, v[119:120], off
	global_load_dword v127, v[4:5], off offset:44
	s_waitcnt vmcnt(1)
	global_store_dword v[4:5], v126, off offset:44
	s_waitcnt vmcnt(0)
	global_store_dword v[119:120], v127, off
.LBB110_193:
	s_or_b32 exec_lo, exec_lo, s2
	v_mov_b32_e32 v126, v118
	v_mov_b32_e32 v127, v118
.LBB110_194:
	s_or_b32 exec_lo, exec_lo, s1
.LBB110_195:
	s_andn2_saveexec_b32 s0, s0
	s_cbranch_execz .LBB110_197
; %bb.196:
	v_mov_b32_e32 v118, v90
	v_mov_b32_e32 v119, v91
	;; [unrolled: 1-line block ×12, first 2 shown]
	ds_write2_b64 v124, v[118:119], v[127:128] offset0:12 offset1:13
	ds_write2_b64 v124, v[129:130], v[131:132] offset0:14 offset1:15
	ds_write2_b64 v124, v[133:134], v[135:136] offset0:16 offset1:17
	v_mov_b32_e32 v118, v80
	v_mov_b32_e32 v119, v81
	v_mov_b32_e32 v127, v74
	v_mov_b32_e32 v128, v75
	v_mov_b32_e32 v129, v76
	v_mov_b32_e32 v130, v77
	v_mov_b32_e32 v131, v72
	v_mov_b32_e32 v132, v73
	v_mov_b32_e32 v133, v70
	v_mov_b32_e32 v134, v71
	v_mov_b32_e32 v135, v68
	v_mov_b32_e32 v136, v69
	v_mov_b32_e32 v137, v66
	v_mov_b32_e32 v138, v67
	v_mov_b32_e32 v139, v64
	v_mov_b32_e32 v140, v65
	v_mov_b32_e32 v141, v62
	v_mov_b32_e32 v142, v63
	v_mov_b32_e32 v143, v58
	v_mov_b32_e32 v144, v59
	ds_write2_b64 v124, v[118:119], v[127:128] offset0:18 offset1:19
	ds_write2_b64 v124, v[129:130], v[131:132] offset0:20 offset1:21
	ds_write2_b64 v124, v[133:134], v[135:136] offset0:22 offset1:23
	ds_write2_b64 v124, v[137:138], v[139:140] offset0:24 offset1:25
	ds_write2_b64 v124, v[141:142], v[143:144] offset0:26 offset1:27
	v_mov_b32_e32 v118, v60
	v_mov_b32_e32 v119, v61
	v_mov_b32_e32 v127, v54
	v_mov_b32_e32 v128, v55
	v_mov_b32_e32 v129, v56
	v_mov_b32_e32 v130, v57
	v_mov_b32_e32 v131, v52
	v_mov_b32_e32 v132, v53
	v_mov_b32_e32 v133, v50
	v_mov_b32_e32 v134, v51
	v_mov_b32_e32 v135, v48
	v_mov_b32_e32 v136, v49
	v_mov_b32_e32 v137, v46
	v_mov_b32_e32 v138, v47
	v_mov_b32_e32 v139, v44
	v_mov_b32_e32 v140, v45
	v_mov_b32_e32 v141, v42
	v_mov_b32_e32 v142, v43
	v_mov_b32_e32 v143, v38
	v_mov_b32_e32 v144, v39
	ds_write2_b64 v124, v[118:119], v[127:128] offset0:28 offset1:29
	ds_write2_b64 v124, v[129:130], v[131:132] offset0:30 offset1:31
	;; [unrolled: 25-line block ×3, first 2 shown]
	ds_write2_b64 v124, v[133:134], v[135:136] offset0:42 offset1:43
	ds_write2_b64 v124, v[137:138], v[139:140] offset0:44 offset1:45
	;; [unrolled: 1-line block ×3, first 2 shown]
	v_mov_b32_e32 v118, v20
	v_mov_b32_e32 v119, v21
	;; [unrolled: 1-line block ×15, first 2 shown]
	ds_write2_b64 v124, v[118:119], v[128:129] offset0:48 offset1:49
	ds_write2_b64 v124, v[130:131], v[132:133] offset0:50 offset1:51
	;; [unrolled: 1-line block ×4, first 2 shown]
.LBB110_197:
	s_or_b32 exec_lo, exec_lo, s0
	s_mov_b32 s0, exec_lo
	s_waitcnt lgkmcnt(0)
	s_waitcnt_vscnt null, 0x0
	s_barrier
	buffer_gl0_inv
	v_cmpx_lt_i32_e32 11, v127
	s_cbranch_execz .LBB110_199
; %bb.198:
	v_mul_f64 v[92:93], v[0:1], v[92:93]
	ds_read2_b64 v[128:131], v124 offset0:12 offset1:13
	ds_read2_b64 v[132:135], v124 offset0:14 offset1:15
	;; [unrolled: 1-line block ×11, first 2 shown]
	s_waitcnt lgkmcnt(10)
	v_fma_f64 v[90:91], -v[92:93], v[128:129], v[90:91]
	v_fma_f64 v[88:89], -v[92:93], v[130:131], v[88:89]
	s_waitcnt lgkmcnt(9)
	v_fma_f64 v[86:87], -v[92:93], v[132:133], v[86:87]
	v_fma_f64 v[84:85], -v[92:93], v[134:135], v[84:85]
	s_waitcnt lgkmcnt(8)
	v_fma_f64 v[82:83], -v[92:93], v[136:137], v[82:83]
	v_fma_f64 v[78:79], -v[92:93], v[138:139], v[78:79]
	s_waitcnt lgkmcnt(7)
	v_fma_f64 v[80:81], -v[92:93], v[140:141], v[80:81]
	v_fma_f64 v[74:75], -v[92:93], v[142:143], v[74:75]
	s_waitcnt lgkmcnt(6)
	v_fma_f64 v[76:77], -v[92:93], v[144:145], v[76:77]
	v_fma_f64 v[72:73], -v[92:93], v[146:147], v[72:73]
	s_waitcnt lgkmcnt(5)
	v_fma_f64 v[70:71], -v[92:93], v[148:149], v[70:71]
	v_fma_f64 v[68:69], -v[92:93], v[150:151], v[68:69]
	ds_read2_b64 v[128:131], v124 offset0:34 offset1:35
	ds_read2_b64 v[132:135], v124 offset0:36 offset1:37
	s_waitcnt lgkmcnt(6)
	v_fma_f64 v[66:67], -v[92:93], v[152:153], v[66:67]
	v_fma_f64 v[64:65], -v[92:93], v[154:155], v[64:65]
	s_waitcnt lgkmcnt(5)
	v_fma_f64 v[62:63], -v[92:93], v[156:157], v[62:63]
	ds_read2_b64 v[136:139], v124 offset0:38 offset1:39
	ds_read2_b64 v[140:143], v124 offset0:40 offset1:41
	v_fma_f64 v[58:59], -v[92:93], v[158:159], v[58:59]
	s_waitcnt lgkmcnt(6)
	v_fma_f64 v[60:61], -v[92:93], v[160:161], v[60:61]
	ds_read2_b64 v[144:147], v124 offset0:42 offset1:43
	ds_read2_b64 v[148:151], v124 offset0:44 offset1:45
	v_fma_f64 v[54:55], -v[92:93], v[162:163], v[54:55]
	s_waitcnt lgkmcnt(7)
	v_fma_f64 v[56:57], -v[92:93], v[164:165], v[56:57]
	ds_read2_b64 v[152:155], v124 offset0:46 offset1:47
	ds_read2_b64 v[156:159], v124 offset0:48 offset1:49
	v_fma_f64 v[52:53], -v[92:93], v[166:167], v[52:53]
	s_waitcnt lgkmcnt(8)
	v_fma_f64 v[50:51], -v[92:93], v[168:169], v[50:51]
	ds_read2_b64 v[160:163], v124 offset0:50 offset1:51
	ds_read2_b64 v[164:167], v124 offset0:52 offset1:53
	v_fma_f64 v[48:49], -v[92:93], v[170:171], v[48:49]
	ds_read2_b64 v[168:171], v124 offset0:54 offset1:55
	s_waitcnt lgkmcnt(10)
	v_fma_f64 v[46:47], -v[92:93], v[128:129], v[46:47]
	v_fma_f64 v[44:45], -v[92:93], v[130:131], v[44:45]
	s_waitcnt lgkmcnt(9)
	v_fma_f64 v[42:43], -v[92:93], v[132:133], v[42:43]
	v_fma_f64 v[38:39], -v[92:93], v[134:135], v[38:39]
	s_waitcnt lgkmcnt(8)
	v_fma_f64 v[40:41], -v[92:93], v[136:137], v[40:41]
	v_fma_f64 v[34:35], -v[92:93], v[138:139], v[34:35]
	s_waitcnt lgkmcnt(7)
	v_fma_f64 v[36:37], -v[92:93], v[140:141], v[36:37]
	v_fma_f64 v[32:33], -v[92:93], v[142:143], v[32:33]
	s_waitcnt lgkmcnt(6)
	v_fma_f64 v[30:31], -v[92:93], v[144:145], v[30:31]
	v_fma_f64 v[28:29], -v[92:93], v[146:147], v[28:29]
	s_waitcnt lgkmcnt(5)
	v_fma_f64 v[26:27], -v[92:93], v[148:149], v[26:27]
	v_fma_f64 v[24:25], -v[92:93], v[150:151], v[24:25]
	s_waitcnt lgkmcnt(4)
	v_fma_f64 v[22:23], -v[92:93], v[152:153], v[22:23]
	v_fma_f64 v[18:19], -v[92:93], v[154:155], v[18:19]
	s_waitcnt lgkmcnt(3)
	v_fma_f64 v[20:21], -v[92:93], v[156:157], v[20:21]
	v_fma_f64 v[16:17], -v[92:93], v[158:159], v[16:17]
	s_waitcnt lgkmcnt(2)
	v_fma_f64 v[14:15], -v[92:93], v[160:161], v[14:15]
	v_fma_f64 v[8:9], -v[92:93], v[162:163], v[8:9]
	s_waitcnt lgkmcnt(1)
	v_fma_f64 v[12:13], -v[92:93], v[164:165], v[12:13]
	v_fma_f64 v[6:7], -v[92:93], v[166:167], v[6:7]
	s_waitcnt lgkmcnt(0)
	v_fma_f64 v[10:11], -v[92:93], v[168:169], v[10:11]
	v_fma_f64 v[116:117], -v[92:93], v[170:171], v[116:117]
.LBB110_199:
	s_or_b32 exec_lo, exec_lo, s0
	v_lshl_add_u32 v0, v127, 3, v124
	s_barrier
	buffer_gl0_inv
	v_mov_b32_e32 v118, 12
	ds_write_b64 v0, v[90:91]
	s_waitcnt lgkmcnt(0)
	s_barrier
	buffer_gl0_inv
	ds_read_b64 v[0:1], v124 offset:96
	s_cmp_lt_i32 s7, 14
	s_cbranch_scc1 .LBB110_202
; %bb.200:
	v_add3_u32 v119, v125, 0, 0x68
	v_mov_b32_e32 v118, 12
	s_mov_b32 s0, 13
.LBB110_201:                            ; =>This Inner Loop Header: Depth=1
	ds_read_b64 v[128:129], v119
	v_add_nc_u32_e32 v119, 8, v119
	s_waitcnt lgkmcnt(0)
	v_cmp_lt_f64_e64 vcc_lo, |v[0:1]|, |v[128:129]|
	v_cndmask_b32_e32 v1, v1, v129, vcc_lo
	v_cndmask_b32_e32 v0, v0, v128, vcc_lo
	v_cndmask_b32_e64 v118, v118, s0, vcc_lo
	s_add_i32 s0, s0, 1
	s_cmp_lg_u32 s7, s0
	s_cbranch_scc1 .LBB110_201
.LBB110_202:
	s_mov_b32 s0, exec_lo
	s_waitcnt lgkmcnt(0)
	v_cmpx_eq_f64_e32 0, v[0:1]
	s_xor_b32 s0, exec_lo, s0
; %bb.203:
	v_cmp_ne_u32_e32 vcc_lo, 0, v121
	v_cndmask_b32_e32 v121, 13, v121, vcc_lo
; %bb.204:
	s_andn2_saveexec_b32 s0, s0
	s_cbranch_execz .LBB110_206
; %bb.205:
	v_div_scale_f64 v[119:120], null, v[0:1], v[0:1], 1.0
	v_rcp_f64_e32 v[128:129], v[119:120]
	v_fma_f64 v[130:131], -v[119:120], v[128:129], 1.0
	v_fma_f64 v[128:129], v[128:129], v[130:131], v[128:129]
	v_fma_f64 v[130:131], -v[119:120], v[128:129], 1.0
	v_fma_f64 v[128:129], v[128:129], v[130:131], v[128:129]
	v_div_scale_f64 v[130:131], vcc_lo, 1.0, v[0:1], 1.0
	v_mul_f64 v[132:133], v[130:131], v[128:129]
	v_fma_f64 v[119:120], -v[119:120], v[132:133], v[130:131]
	v_div_fmas_f64 v[119:120], v[119:120], v[128:129], v[132:133]
	v_div_fixup_f64 v[0:1], v[119:120], v[0:1], 1.0
.LBB110_206:
	s_or_b32 exec_lo, exec_lo, s0
	s_mov_b32 s0, exec_lo
	v_cmpx_ne_u32_e64 v127, v118
	s_xor_b32 s0, exec_lo, s0
	s_cbranch_execz .LBB110_212
; %bb.207:
	s_mov_b32 s1, exec_lo
	v_cmpx_eq_u32_e32 12, v127
	s_cbranch_execz .LBB110_211
; %bb.208:
	v_cmp_ne_u32_e32 vcc_lo, 12, v118
	s_xor_b32 s2, s6, -1
	s_and_b32 s3, s2, vcc_lo
	s_and_saveexec_b32 s2, s3
	s_cbranch_execz .LBB110_210
; %bb.209:
	v_ashrrev_i32_e32 v119, 31, v118
	v_lshlrev_b64 v[119:120], 2, v[118:119]
	v_add_co_u32 v119, vcc_lo, v4, v119
	v_add_co_ci_u32_e64 v120, null, v5, v120, vcc_lo
	s_clause 0x1
	global_load_dword v126, v[119:120], off
	global_load_dword v127, v[4:5], off offset:48
	s_waitcnt vmcnt(1)
	global_store_dword v[4:5], v126, off offset:48
	s_waitcnt vmcnt(0)
	global_store_dword v[119:120], v127, off
.LBB110_210:
	s_or_b32 exec_lo, exec_lo, s2
	v_mov_b32_e32 v126, v118
	v_mov_b32_e32 v127, v118
.LBB110_211:
	s_or_b32 exec_lo, exec_lo, s1
.LBB110_212:
	s_andn2_saveexec_b32 s0, s0
	s_cbranch_execz .LBB110_214
; %bb.213:
	v_mov_b32_e32 v127, 12
	ds_write2_b64 v124, v[88:89], v[86:87] offset0:13 offset1:14
	ds_write2_b64 v124, v[84:85], v[82:83] offset0:15 offset1:16
	;; [unrolled: 1-line block ×21, first 2 shown]
	ds_write_b64 v124, v[116:117] offset:440
.LBB110_214:
	s_or_b32 exec_lo, exec_lo, s0
	s_mov_b32 s0, exec_lo
	s_waitcnt lgkmcnt(0)
	s_waitcnt_vscnt null, 0x0
	s_barrier
	buffer_gl0_inv
	v_cmpx_lt_i32_e32 12, v127
	s_cbranch_execz .LBB110_216
; %bb.215:
	v_mul_f64 v[90:91], v[0:1], v[90:91]
	ds_read2_b64 v[128:131], v124 offset0:13 offset1:14
	ds_read2_b64 v[132:135], v124 offset0:15 offset1:16
	ds_read2_b64 v[136:139], v124 offset0:17 offset1:18
	ds_read2_b64 v[140:143], v124 offset0:19 offset1:20
	ds_read2_b64 v[144:147], v124 offset0:21 offset1:22
	ds_read2_b64 v[148:151], v124 offset0:23 offset1:24
	ds_read2_b64 v[152:155], v124 offset0:25 offset1:26
	ds_read2_b64 v[156:159], v124 offset0:27 offset1:28
	ds_read2_b64 v[160:163], v124 offset0:29 offset1:30
	ds_read2_b64 v[164:167], v124 offset0:31 offset1:32
	ds_read2_b64 v[168:171], v124 offset0:33 offset1:34
	ds_read_b64 v[0:1], v124 offset:440
	s_waitcnt lgkmcnt(11)
	v_fma_f64 v[88:89], -v[90:91], v[128:129], v[88:89]
	v_fma_f64 v[86:87], -v[90:91], v[130:131], v[86:87]
	s_waitcnt lgkmcnt(10)
	v_fma_f64 v[84:85], -v[90:91], v[132:133], v[84:85]
	v_fma_f64 v[82:83], -v[90:91], v[134:135], v[82:83]
	;; [unrolled: 3-line block ×6, first 2 shown]
	ds_read2_b64 v[128:131], v124 offset0:35 offset1:36
	ds_read2_b64 v[132:135], v124 offset0:37 offset1:38
	s_waitcnt lgkmcnt(7)
	v_fma_f64 v[64:65], -v[90:91], v[152:153], v[64:65]
	v_fma_f64 v[62:63], -v[90:91], v[154:155], v[62:63]
	s_waitcnt lgkmcnt(6)
	v_fma_f64 v[58:59], -v[90:91], v[156:157], v[58:59]
	ds_read2_b64 v[136:139], v124 offset0:39 offset1:40
	ds_read2_b64 v[140:143], v124 offset0:41 offset1:42
	v_fma_f64 v[60:61], -v[90:91], v[158:159], v[60:61]
	s_waitcnt lgkmcnt(7)
	v_fma_f64 v[54:55], -v[90:91], v[160:161], v[54:55]
	ds_read2_b64 v[144:147], v124 offset0:43 offset1:44
	ds_read2_b64 v[148:151], v124 offset0:45 offset1:46
	v_fma_f64 v[56:57], -v[90:91], v[162:163], v[56:57]
	s_waitcnt lgkmcnt(8)
	v_fma_f64 v[52:53], -v[90:91], v[164:165], v[52:53]
	ds_read2_b64 v[152:155], v124 offset0:47 offset1:48
	ds_read2_b64 v[156:159], v124 offset0:49 offset1:50
	v_fma_f64 v[50:51], -v[90:91], v[166:167], v[50:51]
	ds_read2_b64 v[160:163], v124 offset0:51 offset1:52
	ds_read2_b64 v[164:167], v124 offset0:53 offset1:54
	s_waitcnt lgkmcnt(11)
	v_fma_f64 v[48:49], -v[90:91], v[168:169], v[48:49]
	v_fma_f64 v[46:47], -v[90:91], v[170:171], v[46:47]
	s_waitcnt lgkmcnt(9)
	v_fma_f64 v[44:45], -v[90:91], v[128:129], v[44:45]
	v_fma_f64 v[42:43], -v[90:91], v[130:131], v[42:43]
	;; [unrolled: 3-line block ×3, first 2 shown]
	v_fma_f64 v[116:117], -v[90:91], v[0:1], v[116:117]
	s_waitcnt lgkmcnt(7)
	v_fma_f64 v[34:35], -v[90:91], v[136:137], v[34:35]
	v_fma_f64 v[36:37], -v[90:91], v[138:139], v[36:37]
	s_waitcnt lgkmcnt(6)
	v_fma_f64 v[32:33], -v[90:91], v[140:141], v[32:33]
	;; [unrolled: 3-line block ×8, first 2 shown]
	v_fma_f64 v[10:11], -v[90:91], v[166:167], v[10:11]
.LBB110_216:
	s_or_b32 exec_lo, exec_lo, s0
	v_lshl_add_u32 v0, v127, 3, v124
	s_barrier
	buffer_gl0_inv
	v_mov_b32_e32 v118, 13
	ds_write_b64 v0, v[88:89]
	s_waitcnt lgkmcnt(0)
	s_barrier
	buffer_gl0_inv
	ds_read_b64 v[0:1], v124 offset:104
	s_cmp_lt_i32 s7, 15
	s_cbranch_scc1 .LBB110_219
; %bb.217:
	v_add3_u32 v119, v125, 0, 0x70
	v_mov_b32_e32 v118, 13
	s_mov_b32 s0, 14
.LBB110_218:                            ; =>This Inner Loop Header: Depth=1
	ds_read_b64 v[128:129], v119
	v_add_nc_u32_e32 v119, 8, v119
	s_waitcnt lgkmcnt(0)
	v_cmp_lt_f64_e64 vcc_lo, |v[0:1]|, |v[128:129]|
	v_cndmask_b32_e32 v1, v1, v129, vcc_lo
	v_cndmask_b32_e32 v0, v0, v128, vcc_lo
	v_cndmask_b32_e64 v118, v118, s0, vcc_lo
	s_add_i32 s0, s0, 1
	s_cmp_lg_u32 s7, s0
	s_cbranch_scc1 .LBB110_218
.LBB110_219:
	s_mov_b32 s0, exec_lo
	s_waitcnt lgkmcnt(0)
	v_cmpx_eq_f64_e32 0, v[0:1]
	s_xor_b32 s0, exec_lo, s0
; %bb.220:
	v_cmp_ne_u32_e32 vcc_lo, 0, v121
	v_cndmask_b32_e32 v121, 14, v121, vcc_lo
; %bb.221:
	s_andn2_saveexec_b32 s0, s0
	s_cbranch_execz .LBB110_223
; %bb.222:
	v_div_scale_f64 v[119:120], null, v[0:1], v[0:1], 1.0
	v_rcp_f64_e32 v[128:129], v[119:120]
	v_fma_f64 v[130:131], -v[119:120], v[128:129], 1.0
	v_fma_f64 v[128:129], v[128:129], v[130:131], v[128:129]
	v_fma_f64 v[130:131], -v[119:120], v[128:129], 1.0
	v_fma_f64 v[128:129], v[128:129], v[130:131], v[128:129]
	v_div_scale_f64 v[130:131], vcc_lo, 1.0, v[0:1], 1.0
	v_mul_f64 v[132:133], v[130:131], v[128:129]
	v_fma_f64 v[119:120], -v[119:120], v[132:133], v[130:131]
	v_div_fmas_f64 v[119:120], v[119:120], v[128:129], v[132:133]
	v_div_fixup_f64 v[0:1], v[119:120], v[0:1], 1.0
.LBB110_223:
	s_or_b32 exec_lo, exec_lo, s0
	s_mov_b32 s0, exec_lo
	v_cmpx_ne_u32_e64 v127, v118
	s_xor_b32 s0, exec_lo, s0
	s_cbranch_execz .LBB110_229
; %bb.224:
	s_mov_b32 s1, exec_lo
	v_cmpx_eq_u32_e32 13, v127
	s_cbranch_execz .LBB110_228
; %bb.225:
	v_cmp_ne_u32_e32 vcc_lo, 13, v118
	s_xor_b32 s2, s6, -1
	s_and_b32 s3, s2, vcc_lo
	s_and_saveexec_b32 s2, s3
	s_cbranch_execz .LBB110_227
; %bb.226:
	v_ashrrev_i32_e32 v119, 31, v118
	v_lshlrev_b64 v[119:120], 2, v[118:119]
	v_add_co_u32 v119, vcc_lo, v4, v119
	v_add_co_ci_u32_e64 v120, null, v5, v120, vcc_lo
	s_clause 0x1
	global_load_dword v126, v[119:120], off
	global_load_dword v127, v[4:5], off offset:52
	s_waitcnt vmcnt(1)
	global_store_dword v[4:5], v126, off offset:52
	s_waitcnt vmcnt(0)
	global_store_dword v[119:120], v127, off
.LBB110_227:
	s_or_b32 exec_lo, exec_lo, s2
	v_mov_b32_e32 v126, v118
	v_mov_b32_e32 v127, v118
.LBB110_228:
	s_or_b32 exec_lo, exec_lo, s1
.LBB110_229:
	s_andn2_saveexec_b32 s0, s0
	s_cbranch_execz .LBB110_231
; %bb.230:
	v_mov_b32_e32 v118, v86
	v_mov_b32_e32 v119, v87
	;; [unrolled: 1-line block ×8, first 2 shown]
	ds_write2_b64 v124, v[118:119], v[127:128] offset0:14 offset1:15
	ds_write2_b64 v124, v[129:130], v[131:132] offset0:16 offset1:17
	v_mov_b32_e32 v118, v80
	v_mov_b32_e32 v119, v81
	v_mov_b32_e32 v127, v74
	v_mov_b32_e32 v128, v75
	v_mov_b32_e32 v129, v76
	v_mov_b32_e32 v130, v77
	v_mov_b32_e32 v131, v72
	v_mov_b32_e32 v132, v73
	v_mov_b32_e32 v133, v70
	v_mov_b32_e32 v134, v71
	v_mov_b32_e32 v135, v68
	v_mov_b32_e32 v136, v69
	v_mov_b32_e32 v137, v66
	v_mov_b32_e32 v138, v67
	v_mov_b32_e32 v139, v64
	v_mov_b32_e32 v140, v65
	v_mov_b32_e32 v141, v62
	v_mov_b32_e32 v142, v63
	v_mov_b32_e32 v143, v58
	v_mov_b32_e32 v144, v59
	ds_write2_b64 v124, v[118:119], v[127:128] offset0:18 offset1:19
	ds_write2_b64 v124, v[129:130], v[131:132] offset0:20 offset1:21
	ds_write2_b64 v124, v[133:134], v[135:136] offset0:22 offset1:23
	ds_write2_b64 v124, v[137:138], v[139:140] offset0:24 offset1:25
	ds_write2_b64 v124, v[141:142], v[143:144] offset0:26 offset1:27
	v_mov_b32_e32 v118, v60
	v_mov_b32_e32 v119, v61
	v_mov_b32_e32 v127, v54
	v_mov_b32_e32 v128, v55
	v_mov_b32_e32 v129, v56
	v_mov_b32_e32 v130, v57
	v_mov_b32_e32 v131, v52
	v_mov_b32_e32 v132, v53
	v_mov_b32_e32 v133, v50
	v_mov_b32_e32 v134, v51
	v_mov_b32_e32 v135, v48
	v_mov_b32_e32 v136, v49
	v_mov_b32_e32 v137, v46
	v_mov_b32_e32 v138, v47
	v_mov_b32_e32 v139, v44
	v_mov_b32_e32 v140, v45
	v_mov_b32_e32 v141, v42
	v_mov_b32_e32 v142, v43
	v_mov_b32_e32 v143, v38
	v_mov_b32_e32 v144, v39
	ds_write2_b64 v124, v[118:119], v[127:128] offset0:28 offset1:29
	ds_write2_b64 v124, v[129:130], v[131:132] offset0:30 offset1:31
	ds_write2_b64 v124, v[133:134], v[135:136] offset0:32 offset1:33
	;; [unrolled: 25-line block ×3, first 2 shown]
	ds_write2_b64 v124, v[137:138], v[139:140] offset0:44 offset1:45
	ds_write2_b64 v124, v[141:142], v[143:144] offset0:46 offset1:47
	v_mov_b32_e32 v118, v20
	v_mov_b32_e32 v119, v21
	;; [unrolled: 1-line block ×15, first 2 shown]
	ds_write2_b64 v124, v[118:119], v[128:129] offset0:48 offset1:49
	ds_write2_b64 v124, v[130:131], v[132:133] offset0:50 offset1:51
	;; [unrolled: 1-line block ×4, first 2 shown]
.LBB110_231:
	s_or_b32 exec_lo, exec_lo, s0
	s_mov_b32 s0, exec_lo
	s_waitcnt lgkmcnt(0)
	s_waitcnt_vscnt null, 0x0
	s_barrier
	buffer_gl0_inv
	v_cmpx_lt_i32_e32 13, v127
	s_cbranch_execz .LBB110_233
; %bb.232:
	v_mul_f64 v[88:89], v[0:1], v[88:89]
	ds_read2_b64 v[128:131], v124 offset0:14 offset1:15
	ds_read2_b64 v[132:135], v124 offset0:16 offset1:17
	;; [unrolled: 1-line block ×11, first 2 shown]
	s_waitcnt lgkmcnt(10)
	v_fma_f64 v[86:87], -v[88:89], v[128:129], v[86:87]
	v_fma_f64 v[84:85], -v[88:89], v[130:131], v[84:85]
	s_waitcnt lgkmcnt(9)
	v_fma_f64 v[82:83], -v[88:89], v[132:133], v[82:83]
	v_fma_f64 v[78:79], -v[88:89], v[134:135], v[78:79]
	;; [unrolled: 3-line block ×6, first 2 shown]
	ds_read2_b64 v[128:131], v124 offset0:36 offset1:37
	ds_read2_b64 v[132:135], v124 offset0:38 offset1:39
	s_waitcnt lgkmcnt(6)
	v_fma_f64 v[62:63], -v[88:89], v[152:153], v[62:63]
	v_fma_f64 v[58:59], -v[88:89], v[154:155], v[58:59]
	ds_read2_b64 v[136:139], v124 offset0:40 offset1:41
	ds_read2_b64 v[140:143], v124 offset0:42 offset1:43
	s_waitcnt lgkmcnt(7)
	v_fma_f64 v[60:61], -v[88:89], v[156:157], v[60:61]
	v_fma_f64 v[54:55], -v[88:89], v[158:159], v[54:55]
	;; [unrolled: 5-line block ×5, first 2 shown]
	s_waitcnt lgkmcnt(9)
	v_fma_f64 v[42:43], -v[88:89], v[128:129], v[42:43]
	v_fma_f64 v[38:39], -v[88:89], v[130:131], v[38:39]
	s_waitcnt lgkmcnt(8)
	v_fma_f64 v[40:41], -v[88:89], v[132:133], v[40:41]
	v_fma_f64 v[34:35], -v[88:89], v[134:135], v[34:35]
	s_waitcnt lgkmcnt(7)
	v_fma_f64 v[36:37], -v[88:89], v[136:137], v[36:37]
	v_fma_f64 v[32:33], -v[88:89], v[138:139], v[32:33]
	s_waitcnt lgkmcnt(6)
	v_fma_f64 v[30:31], -v[88:89], v[140:141], v[30:31]
	v_fma_f64 v[28:29], -v[88:89], v[142:143], v[28:29]
	s_waitcnt lgkmcnt(5)
	v_fma_f64 v[26:27], -v[88:89], v[144:145], v[26:27]
	v_fma_f64 v[24:25], -v[88:89], v[146:147], v[24:25]
	s_waitcnt lgkmcnt(4)
	v_fma_f64 v[22:23], -v[88:89], v[148:149], v[22:23]
	v_fma_f64 v[18:19], -v[88:89], v[150:151], v[18:19]
	s_waitcnt lgkmcnt(3)
	v_fma_f64 v[20:21], -v[88:89], v[152:153], v[20:21]
	v_fma_f64 v[16:17], -v[88:89], v[154:155], v[16:17]
	s_waitcnt lgkmcnt(2)
	v_fma_f64 v[14:15], -v[88:89], v[156:157], v[14:15]
	v_fma_f64 v[8:9], -v[88:89], v[158:159], v[8:9]
	s_waitcnt lgkmcnt(1)
	v_fma_f64 v[12:13], -v[88:89], v[160:161], v[12:13]
	v_fma_f64 v[6:7], -v[88:89], v[162:163], v[6:7]
	s_waitcnt lgkmcnt(0)
	v_fma_f64 v[10:11], -v[88:89], v[164:165], v[10:11]
	v_fma_f64 v[116:117], -v[88:89], v[166:167], v[116:117]
.LBB110_233:
	s_or_b32 exec_lo, exec_lo, s0
	v_lshl_add_u32 v0, v127, 3, v124
	s_barrier
	buffer_gl0_inv
	v_mov_b32_e32 v118, 14
	ds_write_b64 v0, v[86:87]
	s_waitcnt lgkmcnt(0)
	s_barrier
	buffer_gl0_inv
	ds_read_b64 v[0:1], v124 offset:112
	s_cmp_lt_i32 s7, 16
	s_cbranch_scc1 .LBB110_236
; %bb.234:
	v_add3_u32 v119, v125, 0, 0x78
	v_mov_b32_e32 v118, 14
	s_mov_b32 s0, 15
.LBB110_235:                            ; =>This Inner Loop Header: Depth=1
	ds_read_b64 v[128:129], v119
	v_add_nc_u32_e32 v119, 8, v119
	s_waitcnt lgkmcnt(0)
	v_cmp_lt_f64_e64 vcc_lo, |v[0:1]|, |v[128:129]|
	v_cndmask_b32_e32 v1, v1, v129, vcc_lo
	v_cndmask_b32_e32 v0, v0, v128, vcc_lo
	v_cndmask_b32_e64 v118, v118, s0, vcc_lo
	s_add_i32 s0, s0, 1
	s_cmp_lg_u32 s7, s0
	s_cbranch_scc1 .LBB110_235
.LBB110_236:
	s_mov_b32 s0, exec_lo
	s_waitcnt lgkmcnt(0)
	v_cmpx_eq_f64_e32 0, v[0:1]
	s_xor_b32 s0, exec_lo, s0
; %bb.237:
	v_cmp_ne_u32_e32 vcc_lo, 0, v121
	v_cndmask_b32_e32 v121, 15, v121, vcc_lo
; %bb.238:
	s_andn2_saveexec_b32 s0, s0
	s_cbranch_execz .LBB110_240
; %bb.239:
	v_div_scale_f64 v[119:120], null, v[0:1], v[0:1], 1.0
	v_rcp_f64_e32 v[128:129], v[119:120]
	v_fma_f64 v[130:131], -v[119:120], v[128:129], 1.0
	v_fma_f64 v[128:129], v[128:129], v[130:131], v[128:129]
	v_fma_f64 v[130:131], -v[119:120], v[128:129], 1.0
	v_fma_f64 v[128:129], v[128:129], v[130:131], v[128:129]
	v_div_scale_f64 v[130:131], vcc_lo, 1.0, v[0:1], 1.0
	v_mul_f64 v[132:133], v[130:131], v[128:129]
	v_fma_f64 v[119:120], -v[119:120], v[132:133], v[130:131]
	v_div_fmas_f64 v[119:120], v[119:120], v[128:129], v[132:133]
	v_div_fixup_f64 v[0:1], v[119:120], v[0:1], 1.0
.LBB110_240:
	s_or_b32 exec_lo, exec_lo, s0
	s_mov_b32 s0, exec_lo
	v_cmpx_ne_u32_e64 v127, v118
	s_xor_b32 s0, exec_lo, s0
	s_cbranch_execz .LBB110_246
; %bb.241:
	s_mov_b32 s1, exec_lo
	v_cmpx_eq_u32_e32 14, v127
	s_cbranch_execz .LBB110_245
; %bb.242:
	v_cmp_ne_u32_e32 vcc_lo, 14, v118
	s_xor_b32 s2, s6, -1
	s_and_b32 s3, s2, vcc_lo
	s_and_saveexec_b32 s2, s3
	s_cbranch_execz .LBB110_244
; %bb.243:
	v_ashrrev_i32_e32 v119, 31, v118
	v_lshlrev_b64 v[119:120], 2, v[118:119]
	v_add_co_u32 v119, vcc_lo, v4, v119
	v_add_co_ci_u32_e64 v120, null, v5, v120, vcc_lo
	s_clause 0x1
	global_load_dword v126, v[119:120], off
	global_load_dword v127, v[4:5], off offset:56
	s_waitcnt vmcnt(1)
	global_store_dword v[4:5], v126, off offset:56
	s_waitcnt vmcnt(0)
	global_store_dword v[119:120], v127, off
.LBB110_244:
	s_or_b32 exec_lo, exec_lo, s2
	v_mov_b32_e32 v126, v118
	v_mov_b32_e32 v127, v118
.LBB110_245:
	s_or_b32 exec_lo, exec_lo, s1
.LBB110_246:
	s_andn2_saveexec_b32 s0, s0
	s_cbranch_execz .LBB110_248
; %bb.247:
	v_mov_b32_e32 v127, 14
	ds_write2_b64 v124, v[84:85], v[82:83] offset0:15 offset1:16
	ds_write2_b64 v124, v[78:79], v[80:81] offset0:17 offset1:18
	;; [unrolled: 1-line block ×20, first 2 shown]
	ds_write_b64 v124, v[116:117] offset:440
.LBB110_248:
	s_or_b32 exec_lo, exec_lo, s0
	s_mov_b32 s0, exec_lo
	s_waitcnt lgkmcnt(0)
	s_waitcnt_vscnt null, 0x0
	s_barrier
	buffer_gl0_inv
	v_cmpx_lt_i32_e32 14, v127
	s_cbranch_execz .LBB110_250
; %bb.249:
	v_mul_f64 v[86:87], v[0:1], v[86:87]
	ds_read2_b64 v[128:131], v124 offset0:15 offset1:16
	ds_read2_b64 v[132:135], v124 offset0:17 offset1:18
	;; [unrolled: 1-line block ×11, first 2 shown]
	ds_read_b64 v[0:1], v124 offset:440
	s_waitcnt lgkmcnt(11)
	v_fma_f64 v[84:85], -v[86:87], v[128:129], v[84:85]
	v_fma_f64 v[82:83], -v[86:87], v[130:131], v[82:83]
	s_waitcnt lgkmcnt(10)
	v_fma_f64 v[78:79], -v[86:87], v[132:133], v[78:79]
	v_fma_f64 v[80:81], -v[86:87], v[134:135], v[80:81]
	;; [unrolled: 3-line block ×6, first 2 shown]
	ds_read2_b64 v[128:131], v124 offset0:37 offset1:38
	ds_read2_b64 v[132:135], v124 offset0:39 offset1:40
	s_waitcnt lgkmcnt(7)
	v_fma_f64 v[58:59], -v[86:87], v[152:153], v[58:59]
	v_fma_f64 v[60:61], -v[86:87], v[154:155], v[60:61]
	ds_read2_b64 v[136:139], v124 offset0:41 offset1:42
	ds_read2_b64 v[140:143], v124 offset0:43 offset1:44
	s_waitcnt lgkmcnt(8)
	v_fma_f64 v[54:55], -v[86:87], v[156:157], v[54:55]
	v_fma_f64 v[56:57], -v[86:87], v[158:159], v[56:57]
	;; [unrolled: 5-line block ×3, first 2 shown]
	ds_read2_b64 v[152:155], v124 offset0:49 offset1:50
	ds_read2_b64 v[156:159], v124 offset0:51 offset1:52
	;; [unrolled: 1-line block ×3, first 2 shown]
	s_waitcnt lgkmcnt(11)
	v_fma_f64 v[48:49], -v[86:87], v[164:165], v[48:49]
	v_fma_f64 v[46:47], -v[86:87], v[166:167], v[46:47]
	s_waitcnt lgkmcnt(10)
	v_fma_f64 v[44:45], -v[86:87], v[168:169], v[44:45]
	v_fma_f64 v[42:43], -v[86:87], v[170:171], v[42:43]
	s_waitcnt lgkmcnt(9)
	v_fma_f64 v[116:117], -v[86:87], v[0:1], v[116:117]
	s_waitcnt lgkmcnt(8)
	v_fma_f64 v[38:39], -v[86:87], v[128:129], v[38:39]
	v_fma_f64 v[40:41], -v[86:87], v[130:131], v[40:41]
	s_waitcnt lgkmcnt(7)
	v_fma_f64 v[34:35], -v[86:87], v[132:133], v[34:35]
	v_fma_f64 v[36:37], -v[86:87], v[134:135], v[36:37]
	s_waitcnt lgkmcnt(6)
	v_fma_f64 v[32:33], -v[86:87], v[136:137], v[32:33]
	v_fma_f64 v[30:31], -v[86:87], v[138:139], v[30:31]
	s_waitcnt lgkmcnt(5)
	v_fma_f64 v[28:29], -v[86:87], v[140:141], v[28:29]
	v_fma_f64 v[26:27], -v[86:87], v[142:143], v[26:27]
	s_waitcnt lgkmcnt(4)
	v_fma_f64 v[24:25], -v[86:87], v[144:145], v[24:25]
	v_fma_f64 v[22:23], -v[86:87], v[146:147], v[22:23]
	s_waitcnt lgkmcnt(3)
	v_fma_f64 v[18:19], -v[86:87], v[148:149], v[18:19]
	v_fma_f64 v[20:21], -v[86:87], v[150:151], v[20:21]
	s_waitcnt lgkmcnt(2)
	v_fma_f64 v[16:17], -v[86:87], v[152:153], v[16:17]
	v_fma_f64 v[14:15], -v[86:87], v[154:155], v[14:15]
	s_waitcnt lgkmcnt(1)
	v_fma_f64 v[8:9], -v[86:87], v[156:157], v[8:9]
	v_fma_f64 v[12:13], -v[86:87], v[158:159], v[12:13]
	s_waitcnt lgkmcnt(0)
	v_fma_f64 v[6:7], -v[86:87], v[160:161], v[6:7]
	v_fma_f64 v[10:11], -v[86:87], v[162:163], v[10:11]
.LBB110_250:
	s_or_b32 exec_lo, exec_lo, s0
	v_lshl_add_u32 v0, v127, 3, v124
	s_barrier
	buffer_gl0_inv
	v_mov_b32_e32 v118, 15
	ds_write_b64 v0, v[84:85]
	s_waitcnt lgkmcnt(0)
	s_barrier
	buffer_gl0_inv
	ds_read_b64 v[0:1], v124 offset:120
	s_cmp_lt_i32 s7, 17
	s_cbranch_scc1 .LBB110_253
; %bb.251:
	v_add3_u32 v119, v125, 0, 0x80
	v_mov_b32_e32 v118, 15
	s_mov_b32 s0, 16
.LBB110_252:                            ; =>This Inner Loop Header: Depth=1
	ds_read_b64 v[128:129], v119
	v_add_nc_u32_e32 v119, 8, v119
	s_waitcnt lgkmcnt(0)
	v_cmp_lt_f64_e64 vcc_lo, |v[0:1]|, |v[128:129]|
	v_cndmask_b32_e32 v1, v1, v129, vcc_lo
	v_cndmask_b32_e32 v0, v0, v128, vcc_lo
	v_cndmask_b32_e64 v118, v118, s0, vcc_lo
	s_add_i32 s0, s0, 1
	s_cmp_lg_u32 s7, s0
	s_cbranch_scc1 .LBB110_252
.LBB110_253:
	s_mov_b32 s0, exec_lo
	s_waitcnt lgkmcnt(0)
	v_cmpx_eq_f64_e32 0, v[0:1]
	s_xor_b32 s0, exec_lo, s0
; %bb.254:
	v_cmp_ne_u32_e32 vcc_lo, 0, v121
	v_cndmask_b32_e32 v121, 16, v121, vcc_lo
; %bb.255:
	s_andn2_saveexec_b32 s0, s0
	s_cbranch_execz .LBB110_257
; %bb.256:
	v_div_scale_f64 v[119:120], null, v[0:1], v[0:1], 1.0
	v_rcp_f64_e32 v[128:129], v[119:120]
	v_fma_f64 v[130:131], -v[119:120], v[128:129], 1.0
	v_fma_f64 v[128:129], v[128:129], v[130:131], v[128:129]
	v_fma_f64 v[130:131], -v[119:120], v[128:129], 1.0
	v_fma_f64 v[128:129], v[128:129], v[130:131], v[128:129]
	v_div_scale_f64 v[130:131], vcc_lo, 1.0, v[0:1], 1.0
	v_mul_f64 v[132:133], v[130:131], v[128:129]
	v_fma_f64 v[119:120], -v[119:120], v[132:133], v[130:131]
	v_div_fmas_f64 v[119:120], v[119:120], v[128:129], v[132:133]
	v_div_fixup_f64 v[0:1], v[119:120], v[0:1], 1.0
.LBB110_257:
	s_or_b32 exec_lo, exec_lo, s0
	s_mov_b32 s0, exec_lo
	v_cmpx_ne_u32_e64 v127, v118
	s_xor_b32 s0, exec_lo, s0
	s_cbranch_execz .LBB110_263
; %bb.258:
	s_mov_b32 s1, exec_lo
	v_cmpx_eq_u32_e32 15, v127
	s_cbranch_execz .LBB110_262
; %bb.259:
	v_cmp_ne_u32_e32 vcc_lo, 15, v118
	s_xor_b32 s2, s6, -1
	s_and_b32 s3, s2, vcc_lo
	s_and_saveexec_b32 s2, s3
	s_cbranch_execz .LBB110_261
; %bb.260:
	v_ashrrev_i32_e32 v119, 31, v118
	v_lshlrev_b64 v[119:120], 2, v[118:119]
	v_add_co_u32 v119, vcc_lo, v4, v119
	v_add_co_ci_u32_e64 v120, null, v5, v120, vcc_lo
	s_clause 0x1
	global_load_dword v126, v[119:120], off
	global_load_dword v127, v[4:5], off offset:60
	s_waitcnt vmcnt(1)
	global_store_dword v[4:5], v126, off offset:60
	s_waitcnt vmcnt(0)
	global_store_dword v[119:120], v127, off
.LBB110_261:
	s_or_b32 exec_lo, exec_lo, s2
	v_mov_b32_e32 v126, v118
	v_mov_b32_e32 v127, v118
.LBB110_262:
	s_or_b32 exec_lo, exec_lo, s1
.LBB110_263:
	s_andn2_saveexec_b32 s0, s0
	s_cbranch_execz .LBB110_265
; %bb.264:
	v_mov_b32_e32 v118, v82
	v_mov_b32_e32 v119, v83
	;; [unrolled: 1-line block ×8, first 2 shown]
	ds_write2_b64 v124, v[118:119], v[127:128] offset0:16 offset1:17
	v_mov_b32_e32 v118, v74
	v_mov_b32_e32 v119, v75
	v_mov_b32_e32 v127, v76
	v_mov_b32_e32 v128, v77
	v_mov_b32_e32 v133, v70
	v_mov_b32_e32 v134, v71
	v_mov_b32_e32 v135, v68
	v_mov_b32_e32 v136, v69
	v_mov_b32_e32 v137, v66
	v_mov_b32_e32 v138, v67
	v_mov_b32_e32 v139, v64
	v_mov_b32_e32 v140, v65
	v_mov_b32_e32 v141, v62
	v_mov_b32_e32 v142, v63
	v_mov_b32_e32 v143, v58
	v_mov_b32_e32 v144, v59
	ds_write2_b64 v124, v[129:130], v[118:119] offset0:18 offset1:19
	ds_write2_b64 v124, v[127:128], v[131:132] offset0:20 offset1:21
	ds_write2_b64 v124, v[133:134], v[135:136] offset0:22 offset1:23
	ds_write2_b64 v124, v[137:138], v[139:140] offset0:24 offset1:25
	ds_write2_b64 v124, v[141:142], v[143:144] offset0:26 offset1:27
	v_mov_b32_e32 v118, v60
	v_mov_b32_e32 v119, v61
	v_mov_b32_e32 v127, v54
	v_mov_b32_e32 v128, v55
	v_mov_b32_e32 v129, v56
	v_mov_b32_e32 v130, v57
	v_mov_b32_e32 v131, v52
	v_mov_b32_e32 v132, v53
	v_mov_b32_e32 v133, v50
	v_mov_b32_e32 v134, v51
	v_mov_b32_e32 v135, v48
	v_mov_b32_e32 v136, v49
	v_mov_b32_e32 v137, v46
	v_mov_b32_e32 v138, v47
	v_mov_b32_e32 v139, v44
	v_mov_b32_e32 v140, v45
	v_mov_b32_e32 v141, v42
	v_mov_b32_e32 v142, v43
	v_mov_b32_e32 v143, v38
	v_mov_b32_e32 v144, v39
	ds_write2_b64 v124, v[118:119], v[127:128] offset0:28 offset1:29
	ds_write2_b64 v124, v[129:130], v[131:132] offset0:30 offset1:31
	ds_write2_b64 v124, v[133:134], v[135:136] offset0:32 offset1:33
	ds_write2_b64 v124, v[137:138], v[139:140] offset0:34 offset1:35
	ds_write2_b64 v124, v[141:142], v[143:144] offset0:36 offset1:37
	v_mov_b32_e32 v118, v40
	v_mov_b32_e32 v119, v41
	v_mov_b32_e32 v127, v34
	v_mov_b32_e32 v128, v35
	;; [unrolled: 25-line block ×3, first 2 shown]
	v_mov_b32_e32 v127, 15
	v_mov_b32_e32 v130, v14
	;; [unrolled: 1-line block ×11, first 2 shown]
	ds_write2_b64 v124, v[118:119], v[128:129] offset0:48 offset1:49
	ds_write2_b64 v124, v[130:131], v[132:133] offset0:50 offset1:51
	;; [unrolled: 1-line block ×4, first 2 shown]
.LBB110_265:
	s_or_b32 exec_lo, exec_lo, s0
	s_mov_b32 s0, exec_lo
	s_waitcnt lgkmcnt(0)
	s_waitcnt_vscnt null, 0x0
	s_barrier
	buffer_gl0_inv
	v_cmpx_lt_i32_e32 15, v127
	s_cbranch_execz .LBB110_267
; %bb.266:
	v_mul_f64 v[84:85], v[0:1], v[84:85]
	ds_read2_b64 v[128:131], v124 offset0:16 offset1:17
	ds_read2_b64 v[132:135], v124 offset0:18 offset1:19
	;; [unrolled: 1-line block ×11, first 2 shown]
	s_waitcnt lgkmcnt(10)
	v_fma_f64 v[82:83], -v[84:85], v[128:129], v[82:83]
	v_fma_f64 v[78:79], -v[84:85], v[130:131], v[78:79]
	s_waitcnt lgkmcnt(9)
	v_fma_f64 v[80:81], -v[84:85], v[132:133], v[80:81]
	v_fma_f64 v[74:75], -v[84:85], v[134:135], v[74:75]
	;; [unrolled: 3-line block ×5, first 2 shown]
	s_waitcnt lgkmcnt(5)
	v_fma_f64 v[62:63], -v[84:85], v[148:149], v[62:63]
	ds_read2_b64 v[128:131], v124 offset0:38 offset1:39
	ds_read2_b64 v[132:135], v124 offset0:40 offset1:41
	v_fma_f64 v[58:59], -v[84:85], v[150:151], v[58:59]
	s_waitcnt lgkmcnt(6)
	v_fma_f64 v[60:61], -v[84:85], v[152:153], v[60:61]
	ds_read2_b64 v[136:139], v124 offset0:42 offset1:43
	ds_read2_b64 v[140:143], v124 offset0:44 offset1:45
	v_fma_f64 v[54:55], -v[84:85], v[154:155], v[54:55]
	;; [unrolled: 5-line block ×4, first 2 shown]
	ds_read2_b64 v[160:163], v124 offset0:54 offset1:55
	s_waitcnt lgkmcnt(10)
	v_fma_f64 v[46:47], -v[84:85], v[164:165], v[46:47]
	v_fma_f64 v[44:45], -v[84:85], v[166:167], v[44:45]
	s_waitcnt lgkmcnt(9)
	v_fma_f64 v[42:43], -v[84:85], v[168:169], v[42:43]
	v_fma_f64 v[38:39], -v[84:85], v[170:171], v[38:39]
	;; [unrolled: 3-line block ×11, first 2 shown]
.LBB110_267:
	s_or_b32 exec_lo, exec_lo, s0
	v_lshl_add_u32 v0, v127, 3, v124
	s_barrier
	buffer_gl0_inv
	v_mov_b32_e32 v118, 16
	ds_write_b64 v0, v[82:83]
	s_waitcnt lgkmcnt(0)
	s_barrier
	buffer_gl0_inv
	ds_read_b64 v[0:1], v124 offset:128
	s_cmp_lt_i32 s7, 18
	s_cbranch_scc1 .LBB110_270
; %bb.268:
	v_add3_u32 v119, v125, 0, 0x88
	v_mov_b32_e32 v118, 16
	s_mov_b32 s0, 17
.LBB110_269:                            ; =>This Inner Loop Header: Depth=1
	ds_read_b64 v[128:129], v119
	v_add_nc_u32_e32 v119, 8, v119
	s_waitcnt lgkmcnt(0)
	v_cmp_lt_f64_e64 vcc_lo, |v[0:1]|, |v[128:129]|
	v_cndmask_b32_e32 v1, v1, v129, vcc_lo
	v_cndmask_b32_e32 v0, v0, v128, vcc_lo
	v_cndmask_b32_e64 v118, v118, s0, vcc_lo
	s_add_i32 s0, s0, 1
	s_cmp_lg_u32 s7, s0
	s_cbranch_scc1 .LBB110_269
.LBB110_270:
	s_mov_b32 s0, exec_lo
	s_waitcnt lgkmcnt(0)
	v_cmpx_eq_f64_e32 0, v[0:1]
	s_xor_b32 s0, exec_lo, s0
; %bb.271:
	v_cmp_ne_u32_e32 vcc_lo, 0, v121
	v_cndmask_b32_e32 v121, 17, v121, vcc_lo
; %bb.272:
	s_andn2_saveexec_b32 s0, s0
	s_cbranch_execz .LBB110_274
; %bb.273:
	v_div_scale_f64 v[119:120], null, v[0:1], v[0:1], 1.0
	v_rcp_f64_e32 v[128:129], v[119:120]
	v_fma_f64 v[130:131], -v[119:120], v[128:129], 1.0
	v_fma_f64 v[128:129], v[128:129], v[130:131], v[128:129]
	v_fma_f64 v[130:131], -v[119:120], v[128:129], 1.0
	v_fma_f64 v[128:129], v[128:129], v[130:131], v[128:129]
	v_div_scale_f64 v[130:131], vcc_lo, 1.0, v[0:1], 1.0
	v_mul_f64 v[132:133], v[130:131], v[128:129]
	v_fma_f64 v[119:120], -v[119:120], v[132:133], v[130:131]
	v_div_fmas_f64 v[119:120], v[119:120], v[128:129], v[132:133]
	v_div_fixup_f64 v[0:1], v[119:120], v[0:1], 1.0
.LBB110_274:
	s_or_b32 exec_lo, exec_lo, s0
	s_mov_b32 s0, exec_lo
	v_cmpx_ne_u32_e64 v127, v118
	s_xor_b32 s0, exec_lo, s0
	s_cbranch_execz .LBB110_280
; %bb.275:
	s_mov_b32 s1, exec_lo
	v_cmpx_eq_u32_e32 16, v127
	s_cbranch_execz .LBB110_279
; %bb.276:
	v_cmp_ne_u32_e32 vcc_lo, 16, v118
	s_xor_b32 s2, s6, -1
	s_and_b32 s3, s2, vcc_lo
	s_and_saveexec_b32 s2, s3
	s_cbranch_execz .LBB110_278
; %bb.277:
	v_ashrrev_i32_e32 v119, 31, v118
	v_lshlrev_b64 v[119:120], 2, v[118:119]
	v_add_co_u32 v119, vcc_lo, v4, v119
	v_add_co_ci_u32_e64 v120, null, v5, v120, vcc_lo
	s_clause 0x1
	global_load_dword v126, v[119:120], off
	global_load_dword v127, v[4:5], off offset:64
	s_waitcnt vmcnt(1)
	global_store_dword v[4:5], v126, off offset:64
	s_waitcnt vmcnt(0)
	global_store_dword v[119:120], v127, off
.LBB110_278:
	s_or_b32 exec_lo, exec_lo, s2
	v_mov_b32_e32 v126, v118
	v_mov_b32_e32 v127, v118
.LBB110_279:
	s_or_b32 exec_lo, exec_lo, s1
.LBB110_280:
	s_andn2_saveexec_b32 s0, s0
	s_cbranch_execz .LBB110_282
; %bb.281:
	v_mov_b32_e32 v127, 16
	ds_write2_b64 v124, v[78:79], v[80:81] offset0:17 offset1:18
	ds_write2_b64 v124, v[74:75], v[76:77] offset0:19 offset1:20
	;; [unrolled: 1-line block ×19, first 2 shown]
	ds_write_b64 v124, v[116:117] offset:440
.LBB110_282:
	s_or_b32 exec_lo, exec_lo, s0
	s_mov_b32 s0, exec_lo
	s_waitcnt lgkmcnt(0)
	s_waitcnt_vscnt null, 0x0
	s_barrier
	buffer_gl0_inv
	v_cmpx_lt_i32_e32 16, v127
	s_cbranch_execz .LBB110_284
; %bb.283:
	v_mul_f64 v[82:83], v[0:1], v[82:83]
	ds_read2_b64 v[128:131], v124 offset0:17 offset1:18
	ds_read2_b64 v[132:135], v124 offset0:19 offset1:20
	;; [unrolled: 1-line block ×11, first 2 shown]
	ds_read_b64 v[0:1], v124 offset:440
	s_waitcnt lgkmcnt(11)
	v_fma_f64 v[78:79], -v[82:83], v[128:129], v[78:79]
	v_fma_f64 v[80:81], -v[82:83], v[130:131], v[80:81]
	s_waitcnt lgkmcnt(10)
	v_fma_f64 v[74:75], -v[82:83], v[132:133], v[74:75]
	v_fma_f64 v[76:77], -v[82:83], v[134:135], v[76:77]
	;; [unrolled: 3-line block ×5, first 2 shown]
	s_waitcnt lgkmcnt(6)
	v_fma_f64 v[58:59], -v[82:83], v[148:149], v[58:59]
	ds_read2_b64 v[128:131], v124 offset0:39 offset1:40
	ds_read2_b64 v[132:135], v124 offset0:41 offset1:42
	v_fma_f64 v[60:61], -v[82:83], v[150:151], v[60:61]
	s_waitcnt lgkmcnt(7)
	v_fma_f64 v[54:55], -v[82:83], v[152:153], v[54:55]
	ds_read2_b64 v[136:139], v124 offset0:43 offset1:44
	ds_read2_b64 v[140:143], v124 offset0:45 offset1:46
	v_fma_f64 v[56:57], -v[82:83], v[154:155], v[56:57]
	;; [unrolled: 5-line block ×3, first 2 shown]
	ds_read2_b64 v[152:155], v124 offset0:51 offset1:52
	ds_read2_b64 v[156:159], v124 offset0:53 offset1:54
	s_waitcnt lgkmcnt(11)
	v_fma_f64 v[48:49], -v[82:83], v[160:161], v[48:49]
	v_fma_f64 v[46:47], -v[82:83], v[162:163], v[46:47]
	s_waitcnt lgkmcnt(10)
	v_fma_f64 v[44:45], -v[82:83], v[164:165], v[44:45]
	v_fma_f64 v[42:43], -v[82:83], v[166:167], v[42:43]
	;; [unrolled: 3-line block ×3, first 2 shown]
	s_waitcnt lgkmcnt(8)
	v_fma_f64 v[116:117], -v[82:83], v[0:1], v[116:117]
	s_waitcnt lgkmcnt(7)
	v_fma_f64 v[34:35], -v[82:83], v[128:129], v[34:35]
	v_fma_f64 v[36:37], -v[82:83], v[130:131], v[36:37]
	s_waitcnt lgkmcnt(6)
	v_fma_f64 v[32:33], -v[82:83], v[132:133], v[32:33]
	;; [unrolled: 3-line block ×8, first 2 shown]
	v_fma_f64 v[10:11], -v[82:83], v[158:159], v[10:11]
.LBB110_284:
	s_or_b32 exec_lo, exec_lo, s0
	v_lshl_add_u32 v0, v127, 3, v124
	s_barrier
	buffer_gl0_inv
	v_mov_b32_e32 v118, 17
	ds_write_b64 v0, v[78:79]
	s_waitcnt lgkmcnt(0)
	s_barrier
	buffer_gl0_inv
	ds_read_b64 v[0:1], v124 offset:136
	s_cmp_lt_i32 s7, 19
	s_cbranch_scc1 .LBB110_287
; %bb.285:
	v_add3_u32 v119, v125, 0, 0x90
	v_mov_b32_e32 v118, 17
	s_mov_b32 s0, 18
.LBB110_286:                            ; =>This Inner Loop Header: Depth=1
	ds_read_b64 v[128:129], v119
	v_add_nc_u32_e32 v119, 8, v119
	s_waitcnt lgkmcnt(0)
	v_cmp_lt_f64_e64 vcc_lo, |v[0:1]|, |v[128:129]|
	v_cndmask_b32_e32 v1, v1, v129, vcc_lo
	v_cndmask_b32_e32 v0, v0, v128, vcc_lo
	v_cndmask_b32_e64 v118, v118, s0, vcc_lo
	s_add_i32 s0, s0, 1
	s_cmp_lg_u32 s7, s0
	s_cbranch_scc1 .LBB110_286
.LBB110_287:
	s_mov_b32 s0, exec_lo
	s_waitcnt lgkmcnt(0)
	v_cmpx_eq_f64_e32 0, v[0:1]
	s_xor_b32 s0, exec_lo, s0
; %bb.288:
	v_cmp_ne_u32_e32 vcc_lo, 0, v121
	v_cndmask_b32_e32 v121, 18, v121, vcc_lo
; %bb.289:
	s_andn2_saveexec_b32 s0, s0
	s_cbranch_execz .LBB110_291
; %bb.290:
	v_div_scale_f64 v[119:120], null, v[0:1], v[0:1], 1.0
	v_rcp_f64_e32 v[128:129], v[119:120]
	v_fma_f64 v[130:131], -v[119:120], v[128:129], 1.0
	v_fma_f64 v[128:129], v[128:129], v[130:131], v[128:129]
	v_fma_f64 v[130:131], -v[119:120], v[128:129], 1.0
	v_fma_f64 v[128:129], v[128:129], v[130:131], v[128:129]
	v_div_scale_f64 v[130:131], vcc_lo, 1.0, v[0:1], 1.0
	v_mul_f64 v[132:133], v[130:131], v[128:129]
	v_fma_f64 v[119:120], -v[119:120], v[132:133], v[130:131]
	v_div_fmas_f64 v[119:120], v[119:120], v[128:129], v[132:133]
	v_div_fixup_f64 v[0:1], v[119:120], v[0:1], 1.0
.LBB110_291:
	s_or_b32 exec_lo, exec_lo, s0
	s_mov_b32 s0, exec_lo
	v_cmpx_ne_u32_e64 v127, v118
	s_xor_b32 s0, exec_lo, s0
	s_cbranch_execz .LBB110_297
; %bb.292:
	s_mov_b32 s1, exec_lo
	v_cmpx_eq_u32_e32 17, v127
	s_cbranch_execz .LBB110_296
; %bb.293:
	v_cmp_ne_u32_e32 vcc_lo, 17, v118
	s_xor_b32 s2, s6, -1
	s_and_b32 s3, s2, vcc_lo
	s_and_saveexec_b32 s2, s3
	s_cbranch_execz .LBB110_295
; %bb.294:
	v_ashrrev_i32_e32 v119, 31, v118
	v_lshlrev_b64 v[119:120], 2, v[118:119]
	v_add_co_u32 v119, vcc_lo, v4, v119
	v_add_co_ci_u32_e64 v120, null, v5, v120, vcc_lo
	s_clause 0x1
	global_load_dword v126, v[119:120], off
	global_load_dword v127, v[4:5], off offset:68
	s_waitcnt vmcnt(1)
	global_store_dword v[4:5], v126, off offset:68
	s_waitcnt vmcnt(0)
	global_store_dword v[119:120], v127, off
.LBB110_295:
	s_or_b32 exec_lo, exec_lo, s2
	v_mov_b32_e32 v126, v118
	v_mov_b32_e32 v127, v118
.LBB110_296:
	s_or_b32 exec_lo, exec_lo, s1
.LBB110_297:
	s_andn2_saveexec_b32 s0, s0
	s_cbranch_execz .LBB110_299
; %bb.298:
	v_mov_b32_e32 v118, v80
	v_mov_b32_e32 v119, v81
	v_mov_b32_e32 v127, v74
	v_mov_b32_e32 v128, v75
	v_mov_b32_e32 v129, v76
	v_mov_b32_e32 v130, v77
	v_mov_b32_e32 v131, v72
	v_mov_b32_e32 v132, v73
	v_mov_b32_e32 v133, v70
	v_mov_b32_e32 v134, v71
	v_mov_b32_e32 v135, v68
	v_mov_b32_e32 v136, v69
	v_mov_b32_e32 v137, v66
	v_mov_b32_e32 v138, v67
	v_mov_b32_e32 v139, v64
	v_mov_b32_e32 v140, v65
	v_mov_b32_e32 v141, v62
	v_mov_b32_e32 v142, v63
	v_mov_b32_e32 v143, v58
	v_mov_b32_e32 v144, v59
	ds_write2_b64 v124, v[118:119], v[127:128] offset0:18 offset1:19
	ds_write2_b64 v124, v[129:130], v[131:132] offset0:20 offset1:21
	ds_write2_b64 v124, v[133:134], v[135:136] offset0:22 offset1:23
	ds_write2_b64 v124, v[137:138], v[139:140] offset0:24 offset1:25
	ds_write2_b64 v124, v[141:142], v[143:144] offset0:26 offset1:27
	v_mov_b32_e32 v118, v60
	v_mov_b32_e32 v119, v61
	v_mov_b32_e32 v127, v54
	v_mov_b32_e32 v128, v55
	v_mov_b32_e32 v129, v56
	v_mov_b32_e32 v130, v57
	v_mov_b32_e32 v131, v52
	v_mov_b32_e32 v132, v53
	v_mov_b32_e32 v133, v50
	v_mov_b32_e32 v134, v51
	v_mov_b32_e32 v135, v48
	v_mov_b32_e32 v136, v49
	v_mov_b32_e32 v137, v46
	v_mov_b32_e32 v138, v47
	v_mov_b32_e32 v139, v44
	v_mov_b32_e32 v140, v45
	v_mov_b32_e32 v141, v42
	v_mov_b32_e32 v142, v43
	v_mov_b32_e32 v143, v38
	v_mov_b32_e32 v144, v39
	ds_write2_b64 v124, v[118:119], v[127:128] offset0:28 offset1:29
	ds_write2_b64 v124, v[129:130], v[131:132] offset0:30 offset1:31
	ds_write2_b64 v124, v[133:134], v[135:136] offset0:32 offset1:33
	ds_write2_b64 v124, v[137:138], v[139:140] offset0:34 offset1:35
	ds_write2_b64 v124, v[141:142], v[143:144] offset0:36 offset1:37
	;; [unrolled: 25-line block ×3, first 2 shown]
	v_mov_b32_e32 v118, v20
	v_mov_b32_e32 v119, v21
	v_mov_b32_e32 v128, v16
	v_mov_b32_e32 v129, v17
	v_mov_b32_e32 v127, 17
	v_mov_b32_e32 v130, v14
	v_mov_b32_e32 v131, v15
	v_mov_b32_e32 v132, v8
	v_mov_b32_e32 v133, v9
	v_mov_b32_e32 v134, v12
	v_mov_b32_e32 v135, v13
	v_mov_b32_e32 v136, v6
	v_mov_b32_e32 v137, v7
	v_mov_b32_e32 v138, v10
	v_mov_b32_e32 v139, v11
	ds_write2_b64 v124, v[118:119], v[128:129] offset0:48 offset1:49
	ds_write2_b64 v124, v[130:131], v[132:133] offset0:50 offset1:51
	;; [unrolled: 1-line block ×4, first 2 shown]
.LBB110_299:
	s_or_b32 exec_lo, exec_lo, s0
	s_mov_b32 s0, exec_lo
	s_waitcnt lgkmcnt(0)
	s_waitcnt_vscnt null, 0x0
	s_barrier
	buffer_gl0_inv
	v_cmpx_lt_i32_e32 17, v127
	s_cbranch_execz .LBB110_301
; %bb.300:
	v_mul_f64 v[78:79], v[0:1], v[78:79]
	ds_read2_b64 v[128:131], v124 offset0:18 offset1:19
	ds_read2_b64 v[132:135], v124 offset0:20 offset1:21
	;; [unrolled: 1-line block ×12, first 2 shown]
	s_waitcnt lgkmcnt(11)
	v_fma_f64 v[80:81], -v[78:79], v[128:129], v[80:81]
	v_fma_f64 v[74:75], -v[78:79], v[130:131], v[74:75]
	s_waitcnt lgkmcnt(10)
	v_fma_f64 v[76:77], -v[78:79], v[132:133], v[76:77]
	v_fma_f64 v[72:73], -v[78:79], v[134:135], v[72:73]
	s_waitcnt lgkmcnt(9)
	v_fma_f64 v[70:71], -v[78:79], v[136:137], v[70:71]
	v_fma_f64 v[68:69], -v[78:79], v[138:139], v[68:69]
	s_waitcnt lgkmcnt(8)
	v_fma_f64 v[66:67], -v[78:79], v[140:141], v[66:67]
	v_fma_f64 v[64:65], -v[78:79], v[142:143], v[64:65]
	s_waitcnt lgkmcnt(7)
	v_fma_f64 v[62:63], -v[78:79], v[144:145], v[62:63]
	v_fma_f64 v[58:59], -v[78:79], v[146:147], v[58:59]
	s_waitcnt lgkmcnt(6)
	v_fma_f64 v[60:61], -v[78:79], v[148:149], v[60:61]
	ds_read2_b64 v[128:131], v124 offset0:42 offset1:43
	ds_read2_b64 v[132:135], v124 offset0:44 offset1:45
	v_fma_f64 v[54:55], -v[78:79], v[150:151], v[54:55]
	s_waitcnt lgkmcnt(7)
	v_fma_f64 v[56:57], -v[78:79], v[152:153], v[56:57]
	ds_read2_b64 v[136:139], v124 offset0:46 offset1:47
	ds_read2_b64 v[140:143], v124 offset0:48 offset1:49
	v_fma_f64 v[52:53], -v[78:79], v[154:155], v[52:53]
	ds_read2_b64 v[144:147], v124 offset0:50 offset1:51
	ds_read2_b64 v[148:151], v124 offset0:52 offset1:53
	;; [unrolled: 1-line block ×3, first 2 shown]
	s_waitcnt lgkmcnt(11)
	v_fma_f64 v[50:51], -v[78:79], v[156:157], v[50:51]
	v_fma_f64 v[48:49], -v[78:79], v[158:159], v[48:49]
	s_waitcnt lgkmcnt(10)
	v_fma_f64 v[46:47], -v[78:79], v[160:161], v[46:47]
	v_fma_f64 v[44:45], -v[78:79], v[162:163], v[44:45]
	;; [unrolled: 3-line block ×12, first 2 shown]
.LBB110_301:
	s_or_b32 exec_lo, exec_lo, s0
	v_lshl_add_u32 v0, v127, 3, v124
	s_barrier
	buffer_gl0_inv
	v_mov_b32_e32 v118, 18
	ds_write_b64 v0, v[80:81]
	s_waitcnt lgkmcnt(0)
	s_barrier
	buffer_gl0_inv
	ds_read_b64 v[0:1], v124 offset:144
	s_cmp_lt_i32 s7, 20
	s_cbranch_scc1 .LBB110_304
; %bb.302:
	v_add3_u32 v119, v125, 0, 0x98
	v_mov_b32_e32 v118, 18
	s_mov_b32 s0, 19
.LBB110_303:                            ; =>This Inner Loop Header: Depth=1
	ds_read_b64 v[128:129], v119
	v_add_nc_u32_e32 v119, 8, v119
	s_waitcnt lgkmcnt(0)
	v_cmp_lt_f64_e64 vcc_lo, |v[0:1]|, |v[128:129]|
	v_cndmask_b32_e32 v1, v1, v129, vcc_lo
	v_cndmask_b32_e32 v0, v0, v128, vcc_lo
	v_cndmask_b32_e64 v118, v118, s0, vcc_lo
	s_add_i32 s0, s0, 1
	s_cmp_lg_u32 s7, s0
	s_cbranch_scc1 .LBB110_303
.LBB110_304:
	s_mov_b32 s0, exec_lo
	s_waitcnt lgkmcnt(0)
	v_cmpx_eq_f64_e32 0, v[0:1]
	s_xor_b32 s0, exec_lo, s0
; %bb.305:
	v_cmp_ne_u32_e32 vcc_lo, 0, v121
	v_cndmask_b32_e32 v121, 19, v121, vcc_lo
; %bb.306:
	s_andn2_saveexec_b32 s0, s0
	s_cbranch_execz .LBB110_308
; %bb.307:
	v_div_scale_f64 v[119:120], null, v[0:1], v[0:1], 1.0
	v_rcp_f64_e32 v[128:129], v[119:120]
	v_fma_f64 v[130:131], -v[119:120], v[128:129], 1.0
	v_fma_f64 v[128:129], v[128:129], v[130:131], v[128:129]
	v_fma_f64 v[130:131], -v[119:120], v[128:129], 1.0
	v_fma_f64 v[128:129], v[128:129], v[130:131], v[128:129]
	v_div_scale_f64 v[130:131], vcc_lo, 1.0, v[0:1], 1.0
	v_mul_f64 v[132:133], v[130:131], v[128:129]
	v_fma_f64 v[119:120], -v[119:120], v[132:133], v[130:131]
	v_div_fmas_f64 v[119:120], v[119:120], v[128:129], v[132:133]
	v_div_fixup_f64 v[0:1], v[119:120], v[0:1], 1.0
.LBB110_308:
	s_or_b32 exec_lo, exec_lo, s0
	s_mov_b32 s0, exec_lo
	v_cmpx_ne_u32_e64 v127, v118
	s_xor_b32 s0, exec_lo, s0
	s_cbranch_execz .LBB110_314
; %bb.309:
	s_mov_b32 s1, exec_lo
	v_cmpx_eq_u32_e32 18, v127
	s_cbranch_execz .LBB110_313
; %bb.310:
	v_cmp_ne_u32_e32 vcc_lo, 18, v118
	s_xor_b32 s2, s6, -1
	s_and_b32 s3, s2, vcc_lo
	s_and_saveexec_b32 s2, s3
	s_cbranch_execz .LBB110_312
; %bb.311:
	v_ashrrev_i32_e32 v119, 31, v118
	v_lshlrev_b64 v[119:120], 2, v[118:119]
	v_add_co_u32 v119, vcc_lo, v4, v119
	v_add_co_ci_u32_e64 v120, null, v5, v120, vcc_lo
	s_clause 0x1
	global_load_dword v126, v[119:120], off
	global_load_dword v127, v[4:5], off offset:72
	s_waitcnt vmcnt(1)
	global_store_dword v[4:5], v126, off offset:72
	s_waitcnt vmcnt(0)
	global_store_dword v[119:120], v127, off
.LBB110_312:
	s_or_b32 exec_lo, exec_lo, s2
	v_mov_b32_e32 v126, v118
	v_mov_b32_e32 v127, v118
.LBB110_313:
	s_or_b32 exec_lo, exec_lo, s1
.LBB110_314:
	s_andn2_saveexec_b32 s0, s0
	s_cbranch_execz .LBB110_316
; %bb.315:
	v_mov_b32_e32 v127, 18
	ds_write2_b64 v124, v[74:75], v[76:77] offset0:19 offset1:20
	ds_write2_b64 v124, v[72:73], v[70:71] offset0:21 offset1:22
	;; [unrolled: 1-line block ×18, first 2 shown]
	ds_write_b64 v124, v[116:117] offset:440
.LBB110_316:
	s_or_b32 exec_lo, exec_lo, s0
	s_mov_b32 s0, exec_lo
	s_waitcnt lgkmcnt(0)
	s_waitcnt_vscnt null, 0x0
	s_barrier
	buffer_gl0_inv
	v_cmpx_lt_i32_e32 18, v127
	s_cbranch_execz .LBB110_318
; %bb.317:
	v_mul_f64 v[80:81], v[0:1], v[80:81]
	ds_read2_b64 v[128:131], v124 offset0:19 offset1:20
	ds_read2_b64 v[132:135], v124 offset0:21 offset1:22
	;; [unrolled: 1-line block ×12, first 2 shown]
	ds_read_b64 v[0:1], v124 offset:440
	s_waitcnt lgkmcnt(12)
	v_fma_f64 v[74:75], -v[80:81], v[128:129], v[74:75]
	v_fma_f64 v[76:77], -v[80:81], v[130:131], v[76:77]
	s_waitcnt lgkmcnt(11)
	v_fma_f64 v[72:73], -v[80:81], v[132:133], v[72:73]
	v_fma_f64 v[70:71], -v[80:81], v[134:135], v[70:71]
	s_waitcnt lgkmcnt(10)
	v_fma_f64 v[68:69], -v[80:81], v[136:137], v[68:69]
	v_fma_f64 v[66:67], -v[80:81], v[138:139], v[66:67]
	s_waitcnt lgkmcnt(9)
	v_fma_f64 v[64:65], -v[80:81], v[140:141], v[64:65]
	v_fma_f64 v[62:63], -v[80:81], v[142:143], v[62:63]
	s_waitcnt lgkmcnt(8)
	v_fma_f64 v[58:59], -v[80:81], v[144:145], v[58:59]
	v_fma_f64 v[60:61], -v[80:81], v[146:147], v[60:61]
	s_waitcnt lgkmcnt(7)
	v_fma_f64 v[54:55], -v[80:81], v[148:149], v[54:55]
	ds_read2_b64 v[128:131], v124 offset0:43 offset1:44
	ds_read2_b64 v[132:135], v124 offset0:45 offset1:46
	v_fma_f64 v[56:57], -v[80:81], v[150:151], v[56:57]
	ds_read2_b64 v[136:139], v124 offset0:47 offset1:48
	ds_read2_b64 v[140:143], v124 offset0:49 offset1:50
	;; [unrolled: 1-line block ×4, first 2 shown]
	s_waitcnt lgkmcnt(12)
	v_fma_f64 v[52:53], -v[80:81], v[152:153], v[52:53]
	v_fma_f64 v[50:51], -v[80:81], v[154:155], v[50:51]
	s_waitcnt lgkmcnt(11)
	v_fma_f64 v[48:49], -v[80:81], v[156:157], v[48:49]
	v_fma_f64 v[46:47], -v[80:81], v[158:159], v[46:47]
	;; [unrolled: 3-line block ×6, first 2 shown]
	s_waitcnt lgkmcnt(6)
	v_fma_f64 v[116:117], -v[80:81], v[0:1], v[116:117]
	s_waitcnt lgkmcnt(5)
	v_fma_f64 v[28:29], -v[80:81], v[128:129], v[28:29]
	v_fma_f64 v[26:27], -v[80:81], v[130:131], v[26:27]
	s_waitcnt lgkmcnt(4)
	v_fma_f64 v[24:25], -v[80:81], v[132:133], v[24:25]
	;; [unrolled: 3-line block ×6, first 2 shown]
	v_fma_f64 v[10:11], -v[80:81], v[150:151], v[10:11]
.LBB110_318:
	s_or_b32 exec_lo, exec_lo, s0
	v_lshl_add_u32 v0, v127, 3, v124
	s_barrier
	buffer_gl0_inv
	v_mov_b32_e32 v118, 19
	ds_write_b64 v0, v[74:75]
	s_waitcnt lgkmcnt(0)
	s_barrier
	buffer_gl0_inv
	ds_read_b64 v[0:1], v124 offset:152
	s_cmp_lt_i32 s7, 21
	s_cbranch_scc1 .LBB110_321
; %bb.319:
	v_add3_u32 v119, v125, 0, 0xa0
	v_mov_b32_e32 v118, 19
	s_mov_b32 s0, 20
.LBB110_320:                            ; =>This Inner Loop Header: Depth=1
	ds_read_b64 v[128:129], v119
	v_add_nc_u32_e32 v119, 8, v119
	s_waitcnt lgkmcnt(0)
	v_cmp_lt_f64_e64 vcc_lo, |v[0:1]|, |v[128:129]|
	v_cndmask_b32_e32 v1, v1, v129, vcc_lo
	v_cndmask_b32_e32 v0, v0, v128, vcc_lo
	v_cndmask_b32_e64 v118, v118, s0, vcc_lo
	s_add_i32 s0, s0, 1
	s_cmp_lg_u32 s7, s0
	s_cbranch_scc1 .LBB110_320
.LBB110_321:
	s_mov_b32 s0, exec_lo
	s_waitcnt lgkmcnt(0)
	v_cmpx_eq_f64_e32 0, v[0:1]
	s_xor_b32 s0, exec_lo, s0
; %bb.322:
	v_cmp_ne_u32_e32 vcc_lo, 0, v121
	v_cndmask_b32_e32 v121, 20, v121, vcc_lo
; %bb.323:
	s_andn2_saveexec_b32 s0, s0
	s_cbranch_execz .LBB110_325
; %bb.324:
	v_div_scale_f64 v[119:120], null, v[0:1], v[0:1], 1.0
	v_rcp_f64_e32 v[128:129], v[119:120]
	v_fma_f64 v[130:131], -v[119:120], v[128:129], 1.0
	v_fma_f64 v[128:129], v[128:129], v[130:131], v[128:129]
	v_fma_f64 v[130:131], -v[119:120], v[128:129], 1.0
	v_fma_f64 v[128:129], v[128:129], v[130:131], v[128:129]
	v_div_scale_f64 v[130:131], vcc_lo, 1.0, v[0:1], 1.0
	v_mul_f64 v[132:133], v[130:131], v[128:129]
	v_fma_f64 v[119:120], -v[119:120], v[132:133], v[130:131]
	v_div_fmas_f64 v[119:120], v[119:120], v[128:129], v[132:133]
	v_div_fixup_f64 v[0:1], v[119:120], v[0:1], 1.0
.LBB110_325:
	s_or_b32 exec_lo, exec_lo, s0
	s_mov_b32 s0, exec_lo
	v_cmpx_ne_u32_e64 v127, v118
	s_xor_b32 s0, exec_lo, s0
	s_cbranch_execz .LBB110_331
; %bb.326:
	s_mov_b32 s1, exec_lo
	v_cmpx_eq_u32_e32 19, v127
	s_cbranch_execz .LBB110_330
; %bb.327:
	v_cmp_ne_u32_e32 vcc_lo, 19, v118
	s_xor_b32 s2, s6, -1
	s_and_b32 s3, s2, vcc_lo
	s_and_saveexec_b32 s2, s3
	s_cbranch_execz .LBB110_329
; %bb.328:
	v_ashrrev_i32_e32 v119, 31, v118
	v_lshlrev_b64 v[119:120], 2, v[118:119]
	v_add_co_u32 v119, vcc_lo, v4, v119
	v_add_co_ci_u32_e64 v120, null, v5, v120, vcc_lo
	s_clause 0x1
	global_load_dword v126, v[119:120], off
	global_load_dword v127, v[4:5], off offset:76
	s_waitcnt vmcnt(1)
	global_store_dword v[4:5], v126, off offset:76
	s_waitcnt vmcnt(0)
	global_store_dword v[119:120], v127, off
.LBB110_329:
	s_or_b32 exec_lo, exec_lo, s2
	v_mov_b32_e32 v126, v118
	v_mov_b32_e32 v127, v118
.LBB110_330:
	s_or_b32 exec_lo, exec_lo, s1
.LBB110_331:
	s_andn2_saveexec_b32 s0, s0
	s_cbranch_execz .LBB110_333
; %bb.332:
	v_mov_b32_e32 v118, v76
	v_mov_b32_e32 v119, v77
	;; [unrolled: 1-line block ×16, first 2 shown]
	ds_write2_b64 v124, v[118:119], v[127:128] offset0:20 offset1:21
	ds_write2_b64 v124, v[129:130], v[131:132] offset0:22 offset1:23
	;; [unrolled: 1-line block ×4, first 2 shown]
	v_mov_b32_e32 v118, v60
	v_mov_b32_e32 v119, v61
	;; [unrolled: 1-line block ×20, first 2 shown]
	ds_write2_b64 v124, v[118:119], v[127:128] offset0:28 offset1:29
	ds_write2_b64 v124, v[129:130], v[131:132] offset0:30 offset1:31
	;; [unrolled: 1-line block ×5, first 2 shown]
	v_mov_b32_e32 v118, v40
	v_mov_b32_e32 v119, v41
	;; [unrolled: 1-line block ×20, first 2 shown]
	ds_write2_b64 v124, v[118:119], v[127:128] offset0:38 offset1:39
	ds_write2_b64 v124, v[129:130], v[131:132] offset0:40 offset1:41
	;; [unrolled: 1-line block ×5, first 2 shown]
	v_mov_b32_e32 v118, v20
	v_mov_b32_e32 v119, v21
	;; [unrolled: 1-line block ×15, first 2 shown]
	ds_write2_b64 v124, v[118:119], v[128:129] offset0:48 offset1:49
	ds_write2_b64 v124, v[130:131], v[132:133] offset0:50 offset1:51
	;; [unrolled: 1-line block ×4, first 2 shown]
.LBB110_333:
	s_or_b32 exec_lo, exec_lo, s0
	s_mov_b32 s0, exec_lo
	s_waitcnt lgkmcnt(0)
	s_waitcnt_vscnt null, 0x0
	s_barrier
	buffer_gl0_inv
	v_cmpx_lt_i32_e32 19, v127
	s_cbranch_execz .LBB110_335
; %bb.334:
	v_mul_f64 v[74:75], v[0:1], v[74:75]
	ds_read2_b64 v[128:131], v124 offset0:20 offset1:21
	ds_read2_b64 v[132:135], v124 offset0:22 offset1:23
	;; [unrolled: 1-line block ×12, first 2 shown]
	s_waitcnt lgkmcnt(11)
	v_fma_f64 v[76:77], -v[74:75], v[128:129], v[76:77]
	v_fma_f64 v[72:73], -v[74:75], v[130:131], v[72:73]
	s_waitcnt lgkmcnt(10)
	v_fma_f64 v[70:71], -v[74:75], v[132:133], v[70:71]
	v_fma_f64 v[68:69], -v[74:75], v[134:135], v[68:69]
	;; [unrolled: 3-line block ×5, first 2 shown]
	ds_read2_b64 v[128:131], v124 offset0:44 offset1:45
	ds_read2_b64 v[132:135], v124 offset0:46 offset1:47
	s_waitcnt lgkmcnt(8)
	v_fma_f64 v[56:57], -v[74:75], v[148:149], v[56:57]
	v_fma_f64 v[52:53], -v[74:75], v[150:151], v[52:53]
	ds_read2_b64 v[136:139], v124 offset0:48 offset1:49
	ds_read2_b64 v[140:143], v124 offset0:50 offset1:51
	ds_read2_b64 v[144:147], v124 offset0:52 offset1:53
	ds_read2_b64 v[148:151], v124 offset0:54 offset1:55
	s_waitcnt lgkmcnt(11)
	v_fma_f64 v[50:51], -v[74:75], v[152:153], v[50:51]
	v_fma_f64 v[48:49], -v[74:75], v[154:155], v[48:49]
	s_waitcnt lgkmcnt(10)
	v_fma_f64 v[46:47], -v[74:75], v[156:157], v[46:47]
	v_fma_f64 v[44:45], -v[74:75], v[158:159], v[44:45]
	;; [unrolled: 3-line block ×12, first 2 shown]
.LBB110_335:
	s_or_b32 exec_lo, exec_lo, s0
	v_lshl_add_u32 v0, v127, 3, v124
	s_barrier
	buffer_gl0_inv
	v_mov_b32_e32 v118, 20
	ds_write_b64 v0, v[76:77]
	s_waitcnt lgkmcnt(0)
	s_barrier
	buffer_gl0_inv
	ds_read_b64 v[0:1], v124 offset:160
	s_cmp_lt_i32 s7, 22
	s_cbranch_scc1 .LBB110_338
; %bb.336:
	v_add3_u32 v119, v125, 0, 0xa8
	v_mov_b32_e32 v118, 20
	s_mov_b32 s0, 21
.LBB110_337:                            ; =>This Inner Loop Header: Depth=1
	ds_read_b64 v[128:129], v119
	v_add_nc_u32_e32 v119, 8, v119
	s_waitcnt lgkmcnt(0)
	v_cmp_lt_f64_e64 vcc_lo, |v[0:1]|, |v[128:129]|
	v_cndmask_b32_e32 v1, v1, v129, vcc_lo
	v_cndmask_b32_e32 v0, v0, v128, vcc_lo
	v_cndmask_b32_e64 v118, v118, s0, vcc_lo
	s_add_i32 s0, s0, 1
	s_cmp_lg_u32 s7, s0
	s_cbranch_scc1 .LBB110_337
.LBB110_338:
	s_mov_b32 s0, exec_lo
	s_waitcnt lgkmcnt(0)
	v_cmpx_eq_f64_e32 0, v[0:1]
	s_xor_b32 s0, exec_lo, s0
; %bb.339:
	v_cmp_ne_u32_e32 vcc_lo, 0, v121
	v_cndmask_b32_e32 v121, 21, v121, vcc_lo
; %bb.340:
	s_andn2_saveexec_b32 s0, s0
	s_cbranch_execz .LBB110_342
; %bb.341:
	v_div_scale_f64 v[119:120], null, v[0:1], v[0:1], 1.0
	v_rcp_f64_e32 v[128:129], v[119:120]
	v_fma_f64 v[130:131], -v[119:120], v[128:129], 1.0
	v_fma_f64 v[128:129], v[128:129], v[130:131], v[128:129]
	v_fma_f64 v[130:131], -v[119:120], v[128:129], 1.0
	v_fma_f64 v[128:129], v[128:129], v[130:131], v[128:129]
	v_div_scale_f64 v[130:131], vcc_lo, 1.0, v[0:1], 1.0
	v_mul_f64 v[132:133], v[130:131], v[128:129]
	v_fma_f64 v[119:120], -v[119:120], v[132:133], v[130:131]
	v_div_fmas_f64 v[119:120], v[119:120], v[128:129], v[132:133]
	v_div_fixup_f64 v[0:1], v[119:120], v[0:1], 1.0
.LBB110_342:
	s_or_b32 exec_lo, exec_lo, s0
	s_mov_b32 s0, exec_lo
	v_cmpx_ne_u32_e64 v127, v118
	s_xor_b32 s0, exec_lo, s0
	s_cbranch_execz .LBB110_348
; %bb.343:
	s_mov_b32 s1, exec_lo
	v_cmpx_eq_u32_e32 20, v127
	s_cbranch_execz .LBB110_347
; %bb.344:
	v_cmp_ne_u32_e32 vcc_lo, 20, v118
	s_xor_b32 s2, s6, -1
	s_and_b32 s3, s2, vcc_lo
	s_and_saveexec_b32 s2, s3
	s_cbranch_execz .LBB110_346
; %bb.345:
	v_ashrrev_i32_e32 v119, 31, v118
	v_lshlrev_b64 v[119:120], 2, v[118:119]
	v_add_co_u32 v119, vcc_lo, v4, v119
	v_add_co_ci_u32_e64 v120, null, v5, v120, vcc_lo
	s_clause 0x1
	global_load_dword v126, v[119:120], off
	global_load_dword v127, v[4:5], off offset:80
	s_waitcnt vmcnt(1)
	global_store_dword v[4:5], v126, off offset:80
	s_waitcnt vmcnt(0)
	global_store_dword v[119:120], v127, off
.LBB110_346:
	s_or_b32 exec_lo, exec_lo, s2
	v_mov_b32_e32 v126, v118
	v_mov_b32_e32 v127, v118
.LBB110_347:
	s_or_b32 exec_lo, exec_lo, s1
.LBB110_348:
	s_andn2_saveexec_b32 s0, s0
	s_cbranch_execz .LBB110_350
; %bb.349:
	v_mov_b32_e32 v127, 20
	ds_write2_b64 v124, v[72:73], v[70:71] offset0:21 offset1:22
	ds_write2_b64 v124, v[68:69], v[66:67] offset0:23 offset1:24
	;; [unrolled: 1-line block ×17, first 2 shown]
	ds_write_b64 v124, v[116:117] offset:440
.LBB110_350:
	s_or_b32 exec_lo, exec_lo, s0
	s_mov_b32 s0, exec_lo
	s_waitcnt lgkmcnt(0)
	s_waitcnt_vscnt null, 0x0
	s_barrier
	buffer_gl0_inv
	v_cmpx_lt_i32_e32 20, v127
	s_cbranch_execz .LBB110_352
; %bb.351:
	v_mul_f64 v[76:77], v[0:1], v[76:77]
	ds_read2_b64 v[128:131], v124 offset0:21 offset1:22
	ds_read2_b64 v[132:135], v124 offset0:23 offset1:24
	ds_read2_b64 v[136:139], v124 offset0:25 offset1:26
	ds_read2_b64 v[140:143], v124 offset0:27 offset1:28
	ds_read2_b64 v[144:147], v124 offset0:29 offset1:30
	ds_read2_b64 v[148:151], v124 offset0:31 offset1:32
	ds_read2_b64 v[152:155], v124 offset0:33 offset1:34
	ds_read2_b64 v[156:159], v124 offset0:35 offset1:36
	ds_read2_b64 v[160:163], v124 offset0:37 offset1:38
	ds_read2_b64 v[164:167], v124 offset0:39 offset1:40
	ds_read2_b64 v[168:171], v124 offset0:41 offset1:42
	ds_read2_b64 v[172:175], v124 offset0:43 offset1:44
	ds_read_b64 v[0:1], v124 offset:440
	s_waitcnt lgkmcnt(12)
	v_fma_f64 v[72:73], -v[76:77], v[128:129], v[72:73]
	v_fma_f64 v[70:71], -v[76:77], v[130:131], v[70:71]
	s_waitcnt lgkmcnt(11)
	v_fma_f64 v[68:69], -v[76:77], v[132:133], v[68:69]
	v_fma_f64 v[66:67], -v[76:77], v[134:135], v[66:67]
	;; [unrolled: 3-line block ×5, first 2 shown]
	ds_read2_b64 v[128:131], v124 offset0:45 offset1:46
	ds_read2_b64 v[132:135], v124 offset0:47 offset1:48
	;; [unrolled: 1-line block ×5, first 2 shown]
	s_waitcnt lgkmcnt(12)
	v_fma_f64 v[52:53], -v[76:77], v[148:149], v[52:53]
	v_fma_f64 v[50:51], -v[76:77], v[150:151], v[50:51]
	s_waitcnt lgkmcnt(11)
	v_fma_f64 v[48:49], -v[76:77], v[152:153], v[48:49]
	v_fma_f64 v[46:47], -v[76:77], v[154:155], v[46:47]
	;; [unrolled: 3-line block ×7, first 2 shown]
	s_waitcnt lgkmcnt(5)
	v_fma_f64 v[116:117], -v[76:77], v[0:1], v[116:117]
	s_waitcnt lgkmcnt(4)
	v_fma_f64 v[24:25], -v[76:77], v[128:129], v[24:25]
	v_fma_f64 v[22:23], -v[76:77], v[130:131], v[22:23]
	s_waitcnt lgkmcnt(3)
	v_fma_f64 v[18:19], -v[76:77], v[132:133], v[18:19]
	;; [unrolled: 3-line block ×5, first 2 shown]
	v_fma_f64 v[10:11], -v[76:77], v[146:147], v[10:11]
.LBB110_352:
	s_or_b32 exec_lo, exec_lo, s0
	v_lshl_add_u32 v0, v127, 3, v124
	s_barrier
	buffer_gl0_inv
	v_mov_b32_e32 v118, 21
	ds_write_b64 v0, v[72:73]
	s_waitcnt lgkmcnt(0)
	s_barrier
	buffer_gl0_inv
	ds_read_b64 v[0:1], v124 offset:168
	s_cmp_lt_i32 s7, 23
	s_cbranch_scc1 .LBB110_355
; %bb.353:
	v_add3_u32 v119, v125, 0, 0xb0
	v_mov_b32_e32 v118, 21
	s_mov_b32 s0, 22
.LBB110_354:                            ; =>This Inner Loop Header: Depth=1
	ds_read_b64 v[128:129], v119
	v_add_nc_u32_e32 v119, 8, v119
	s_waitcnt lgkmcnt(0)
	v_cmp_lt_f64_e64 vcc_lo, |v[0:1]|, |v[128:129]|
	v_cndmask_b32_e32 v1, v1, v129, vcc_lo
	v_cndmask_b32_e32 v0, v0, v128, vcc_lo
	v_cndmask_b32_e64 v118, v118, s0, vcc_lo
	s_add_i32 s0, s0, 1
	s_cmp_lg_u32 s7, s0
	s_cbranch_scc1 .LBB110_354
.LBB110_355:
	s_mov_b32 s0, exec_lo
	s_waitcnt lgkmcnt(0)
	v_cmpx_eq_f64_e32 0, v[0:1]
	s_xor_b32 s0, exec_lo, s0
; %bb.356:
	v_cmp_ne_u32_e32 vcc_lo, 0, v121
	v_cndmask_b32_e32 v121, 22, v121, vcc_lo
; %bb.357:
	s_andn2_saveexec_b32 s0, s0
	s_cbranch_execz .LBB110_359
; %bb.358:
	v_div_scale_f64 v[119:120], null, v[0:1], v[0:1], 1.0
	v_rcp_f64_e32 v[128:129], v[119:120]
	v_fma_f64 v[130:131], -v[119:120], v[128:129], 1.0
	v_fma_f64 v[128:129], v[128:129], v[130:131], v[128:129]
	v_fma_f64 v[130:131], -v[119:120], v[128:129], 1.0
	v_fma_f64 v[128:129], v[128:129], v[130:131], v[128:129]
	v_div_scale_f64 v[130:131], vcc_lo, 1.0, v[0:1], 1.0
	v_mul_f64 v[132:133], v[130:131], v[128:129]
	v_fma_f64 v[119:120], -v[119:120], v[132:133], v[130:131]
	v_div_fmas_f64 v[119:120], v[119:120], v[128:129], v[132:133]
	v_div_fixup_f64 v[0:1], v[119:120], v[0:1], 1.0
.LBB110_359:
	s_or_b32 exec_lo, exec_lo, s0
	s_mov_b32 s0, exec_lo
	v_cmpx_ne_u32_e64 v127, v118
	s_xor_b32 s0, exec_lo, s0
	s_cbranch_execz .LBB110_365
; %bb.360:
	s_mov_b32 s1, exec_lo
	v_cmpx_eq_u32_e32 21, v127
	s_cbranch_execz .LBB110_364
; %bb.361:
	v_cmp_ne_u32_e32 vcc_lo, 21, v118
	s_xor_b32 s2, s6, -1
	s_and_b32 s3, s2, vcc_lo
	s_and_saveexec_b32 s2, s3
	s_cbranch_execz .LBB110_363
; %bb.362:
	v_ashrrev_i32_e32 v119, 31, v118
	v_lshlrev_b64 v[119:120], 2, v[118:119]
	v_add_co_u32 v119, vcc_lo, v4, v119
	v_add_co_ci_u32_e64 v120, null, v5, v120, vcc_lo
	s_clause 0x1
	global_load_dword v126, v[119:120], off
	global_load_dword v127, v[4:5], off offset:84
	s_waitcnt vmcnt(1)
	global_store_dword v[4:5], v126, off offset:84
	s_waitcnt vmcnt(0)
	global_store_dword v[119:120], v127, off
.LBB110_363:
	s_or_b32 exec_lo, exec_lo, s2
	v_mov_b32_e32 v126, v118
	v_mov_b32_e32 v127, v118
.LBB110_364:
	s_or_b32 exec_lo, exec_lo, s1
.LBB110_365:
	s_andn2_saveexec_b32 s0, s0
	s_cbranch_execz .LBB110_367
; %bb.366:
	v_mov_b32_e32 v118, v70
	v_mov_b32_e32 v119, v71
	;; [unrolled: 1-line block ×12, first 2 shown]
	ds_write2_b64 v124, v[118:119], v[127:128] offset0:22 offset1:23
	ds_write2_b64 v124, v[129:130], v[131:132] offset0:24 offset1:25
	;; [unrolled: 1-line block ×3, first 2 shown]
	v_mov_b32_e32 v118, v60
	v_mov_b32_e32 v119, v61
	;; [unrolled: 1-line block ×20, first 2 shown]
	ds_write2_b64 v124, v[118:119], v[127:128] offset0:28 offset1:29
	ds_write2_b64 v124, v[129:130], v[131:132] offset0:30 offset1:31
	;; [unrolled: 1-line block ×5, first 2 shown]
	v_mov_b32_e32 v118, v40
	v_mov_b32_e32 v119, v41
	;; [unrolled: 1-line block ×20, first 2 shown]
	ds_write2_b64 v124, v[118:119], v[127:128] offset0:38 offset1:39
	ds_write2_b64 v124, v[129:130], v[131:132] offset0:40 offset1:41
	;; [unrolled: 1-line block ×5, first 2 shown]
	v_mov_b32_e32 v118, v20
	v_mov_b32_e32 v119, v21
	;; [unrolled: 1-line block ×15, first 2 shown]
	ds_write2_b64 v124, v[118:119], v[128:129] offset0:48 offset1:49
	ds_write2_b64 v124, v[130:131], v[132:133] offset0:50 offset1:51
	ds_write2_b64 v124, v[134:135], v[136:137] offset0:52 offset1:53
	ds_write2_b64 v124, v[138:139], v[116:117] offset0:54 offset1:55
.LBB110_367:
	s_or_b32 exec_lo, exec_lo, s0
	s_mov_b32 s0, exec_lo
	s_waitcnt lgkmcnt(0)
	s_waitcnt_vscnt null, 0x0
	s_barrier
	buffer_gl0_inv
	v_cmpx_lt_i32_e32 21, v127
	s_cbranch_execz .LBB110_369
; %bb.368:
	v_mul_f64 v[72:73], v[0:1], v[72:73]
	ds_read2_b64 v[128:131], v124 offset0:22 offset1:23
	ds_read2_b64 v[132:135], v124 offset0:24 offset1:25
	;; [unrolled: 1-line block ×13, first 2 shown]
	s_waitcnt lgkmcnt(12)
	v_fma_f64 v[70:71], -v[72:73], v[128:129], v[70:71]
	v_fma_f64 v[68:69], -v[72:73], v[130:131], v[68:69]
	s_waitcnt lgkmcnt(11)
	v_fma_f64 v[66:67], -v[72:73], v[132:133], v[66:67]
	v_fma_f64 v[64:65], -v[72:73], v[134:135], v[64:65]
	s_waitcnt lgkmcnt(10)
	v_fma_f64 v[62:63], -v[72:73], v[136:137], v[62:63]
	v_fma_f64 v[58:59], -v[72:73], v[138:139], v[58:59]
	s_waitcnt lgkmcnt(9)
	v_fma_f64 v[60:61], -v[72:73], v[140:141], v[60:61]
	v_fma_f64 v[54:55], -v[72:73], v[142:143], v[54:55]
	ds_read2_b64 v[128:131], v124 offset0:48 offset1:49
	ds_read2_b64 v[132:135], v124 offset0:50 offset1:51
	;; [unrolled: 1-line block ×4, first 2 shown]
	s_waitcnt lgkmcnt(12)
	v_fma_f64 v[56:57], -v[72:73], v[144:145], v[56:57]
	v_fma_f64 v[52:53], -v[72:73], v[146:147], v[52:53]
	s_waitcnt lgkmcnt(11)
	v_fma_f64 v[50:51], -v[72:73], v[148:149], v[50:51]
	v_fma_f64 v[48:49], -v[72:73], v[150:151], v[48:49]
	;; [unrolled: 3-line block ×13, first 2 shown]
.LBB110_369:
	s_or_b32 exec_lo, exec_lo, s0
	v_lshl_add_u32 v0, v127, 3, v124
	s_barrier
	buffer_gl0_inv
	v_mov_b32_e32 v118, 22
	ds_write_b64 v0, v[70:71]
	s_waitcnt lgkmcnt(0)
	s_barrier
	buffer_gl0_inv
	ds_read_b64 v[0:1], v124 offset:176
	s_cmp_lt_i32 s7, 24
	s_cbranch_scc1 .LBB110_372
; %bb.370:
	v_add3_u32 v119, v125, 0, 0xb8
	v_mov_b32_e32 v118, 22
	s_mov_b32 s0, 23
.LBB110_371:                            ; =>This Inner Loop Header: Depth=1
	ds_read_b64 v[128:129], v119
	v_add_nc_u32_e32 v119, 8, v119
	s_waitcnt lgkmcnt(0)
	v_cmp_lt_f64_e64 vcc_lo, |v[0:1]|, |v[128:129]|
	v_cndmask_b32_e32 v1, v1, v129, vcc_lo
	v_cndmask_b32_e32 v0, v0, v128, vcc_lo
	v_cndmask_b32_e64 v118, v118, s0, vcc_lo
	s_add_i32 s0, s0, 1
	s_cmp_lg_u32 s7, s0
	s_cbranch_scc1 .LBB110_371
.LBB110_372:
	s_mov_b32 s0, exec_lo
	s_waitcnt lgkmcnt(0)
	v_cmpx_eq_f64_e32 0, v[0:1]
	s_xor_b32 s0, exec_lo, s0
; %bb.373:
	v_cmp_ne_u32_e32 vcc_lo, 0, v121
	v_cndmask_b32_e32 v121, 23, v121, vcc_lo
; %bb.374:
	s_andn2_saveexec_b32 s0, s0
	s_cbranch_execz .LBB110_376
; %bb.375:
	v_div_scale_f64 v[119:120], null, v[0:1], v[0:1], 1.0
	v_rcp_f64_e32 v[128:129], v[119:120]
	v_fma_f64 v[130:131], -v[119:120], v[128:129], 1.0
	v_fma_f64 v[128:129], v[128:129], v[130:131], v[128:129]
	v_fma_f64 v[130:131], -v[119:120], v[128:129], 1.0
	v_fma_f64 v[128:129], v[128:129], v[130:131], v[128:129]
	v_div_scale_f64 v[130:131], vcc_lo, 1.0, v[0:1], 1.0
	v_mul_f64 v[132:133], v[130:131], v[128:129]
	v_fma_f64 v[119:120], -v[119:120], v[132:133], v[130:131]
	v_div_fmas_f64 v[119:120], v[119:120], v[128:129], v[132:133]
	v_div_fixup_f64 v[0:1], v[119:120], v[0:1], 1.0
.LBB110_376:
	s_or_b32 exec_lo, exec_lo, s0
	s_mov_b32 s0, exec_lo
	v_cmpx_ne_u32_e64 v127, v118
	s_xor_b32 s0, exec_lo, s0
	s_cbranch_execz .LBB110_382
; %bb.377:
	s_mov_b32 s1, exec_lo
	v_cmpx_eq_u32_e32 22, v127
	s_cbranch_execz .LBB110_381
; %bb.378:
	v_cmp_ne_u32_e32 vcc_lo, 22, v118
	s_xor_b32 s2, s6, -1
	s_and_b32 s3, s2, vcc_lo
	s_and_saveexec_b32 s2, s3
	s_cbranch_execz .LBB110_380
; %bb.379:
	v_ashrrev_i32_e32 v119, 31, v118
	v_lshlrev_b64 v[119:120], 2, v[118:119]
	v_add_co_u32 v119, vcc_lo, v4, v119
	v_add_co_ci_u32_e64 v120, null, v5, v120, vcc_lo
	s_clause 0x1
	global_load_dword v126, v[119:120], off
	global_load_dword v127, v[4:5], off offset:88
	s_waitcnt vmcnt(1)
	global_store_dword v[4:5], v126, off offset:88
	s_waitcnt vmcnt(0)
	global_store_dword v[119:120], v127, off
.LBB110_380:
	s_or_b32 exec_lo, exec_lo, s2
	v_mov_b32_e32 v126, v118
	v_mov_b32_e32 v127, v118
.LBB110_381:
	s_or_b32 exec_lo, exec_lo, s1
.LBB110_382:
	s_andn2_saveexec_b32 s0, s0
	s_cbranch_execz .LBB110_384
; %bb.383:
	v_mov_b32_e32 v127, 22
	ds_write2_b64 v124, v[68:69], v[66:67] offset0:23 offset1:24
	ds_write2_b64 v124, v[64:65], v[62:63] offset0:25 offset1:26
	;; [unrolled: 1-line block ×16, first 2 shown]
	ds_write_b64 v124, v[116:117] offset:440
.LBB110_384:
	s_or_b32 exec_lo, exec_lo, s0
	s_mov_b32 s0, exec_lo
	s_waitcnt lgkmcnt(0)
	s_waitcnt_vscnt null, 0x0
	s_barrier
	buffer_gl0_inv
	v_cmpx_lt_i32_e32 22, v127
	s_cbranch_execz .LBB110_386
; %bb.385:
	v_mul_f64 v[70:71], v[0:1], v[70:71]
	ds_read2_b64 v[128:131], v124 offset0:23 offset1:24
	ds_read2_b64 v[132:135], v124 offset0:25 offset1:26
	;; [unrolled: 1-line block ×13, first 2 shown]
	ds_read_b64 v[0:1], v124 offset:440
	s_waitcnt lgkmcnt(13)
	v_fma_f64 v[68:69], -v[70:71], v[128:129], v[68:69]
	v_fma_f64 v[66:67], -v[70:71], v[130:131], v[66:67]
	s_waitcnt lgkmcnt(12)
	v_fma_f64 v[64:65], -v[70:71], v[132:133], v[64:65]
	v_fma_f64 v[62:63], -v[70:71], v[134:135], v[62:63]
	;; [unrolled: 3-line block ×3, first 2 shown]
	ds_read2_b64 v[128:131], v124 offset0:49 offset1:50
	ds_read2_b64 v[132:135], v124 offset0:51 offset1:52
	;; [unrolled: 1-line block ×3, first 2 shown]
	s_waitcnt lgkmcnt(13)
	v_fma_f64 v[54:55], -v[70:71], v[140:141], v[54:55]
	v_fma_f64 v[56:57], -v[70:71], v[142:143], v[56:57]
	s_waitcnt lgkmcnt(12)
	v_fma_f64 v[52:53], -v[70:71], v[144:145], v[52:53]
	v_fma_f64 v[50:51], -v[70:71], v[146:147], v[50:51]
	;; [unrolled: 3-line block ×13, first 2 shown]
	v_fma_f64 v[116:117], -v[70:71], v[0:1], v[116:117]
.LBB110_386:
	s_or_b32 exec_lo, exec_lo, s0
	v_lshl_add_u32 v0, v127, 3, v124
	s_barrier
	buffer_gl0_inv
	v_mov_b32_e32 v118, 23
	ds_write_b64 v0, v[68:69]
	s_waitcnt lgkmcnt(0)
	s_barrier
	buffer_gl0_inv
	ds_read_b64 v[0:1], v124 offset:184
	s_cmp_lt_i32 s7, 25
	s_cbranch_scc1 .LBB110_389
; %bb.387:
	v_add3_u32 v119, v125, 0, 0xc0
	v_mov_b32_e32 v118, 23
	s_mov_b32 s0, 24
.LBB110_388:                            ; =>This Inner Loop Header: Depth=1
	ds_read_b64 v[128:129], v119
	v_add_nc_u32_e32 v119, 8, v119
	s_waitcnt lgkmcnt(0)
	v_cmp_lt_f64_e64 vcc_lo, |v[0:1]|, |v[128:129]|
	v_cndmask_b32_e32 v1, v1, v129, vcc_lo
	v_cndmask_b32_e32 v0, v0, v128, vcc_lo
	v_cndmask_b32_e64 v118, v118, s0, vcc_lo
	s_add_i32 s0, s0, 1
	s_cmp_lg_u32 s7, s0
	s_cbranch_scc1 .LBB110_388
.LBB110_389:
	s_mov_b32 s0, exec_lo
	s_waitcnt lgkmcnt(0)
	v_cmpx_eq_f64_e32 0, v[0:1]
	s_xor_b32 s0, exec_lo, s0
; %bb.390:
	v_cmp_ne_u32_e32 vcc_lo, 0, v121
	v_cndmask_b32_e32 v121, 24, v121, vcc_lo
; %bb.391:
	s_andn2_saveexec_b32 s0, s0
	s_cbranch_execz .LBB110_393
; %bb.392:
	v_div_scale_f64 v[119:120], null, v[0:1], v[0:1], 1.0
	v_rcp_f64_e32 v[128:129], v[119:120]
	v_fma_f64 v[130:131], -v[119:120], v[128:129], 1.0
	v_fma_f64 v[128:129], v[128:129], v[130:131], v[128:129]
	v_fma_f64 v[130:131], -v[119:120], v[128:129], 1.0
	v_fma_f64 v[128:129], v[128:129], v[130:131], v[128:129]
	v_div_scale_f64 v[130:131], vcc_lo, 1.0, v[0:1], 1.0
	v_mul_f64 v[132:133], v[130:131], v[128:129]
	v_fma_f64 v[119:120], -v[119:120], v[132:133], v[130:131]
	v_div_fmas_f64 v[119:120], v[119:120], v[128:129], v[132:133]
	v_div_fixup_f64 v[0:1], v[119:120], v[0:1], 1.0
.LBB110_393:
	s_or_b32 exec_lo, exec_lo, s0
	s_mov_b32 s0, exec_lo
	v_cmpx_ne_u32_e64 v127, v118
	s_xor_b32 s0, exec_lo, s0
	s_cbranch_execz .LBB110_399
; %bb.394:
	s_mov_b32 s1, exec_lo
	v_cmpx_eq_u32_e32 23, v127
	s_cbranch_execz .LBB110_398
; %bb.395:
	v_cmp_ne_u32_e32 vcc_lo, 23, v118
	s_xor_b32 s2, s6, -1
	s_and_b32 s3, s2, vcc_lo
	s_and_saveexec_b32 s2, s3
	s_cbranch_execz .LBB110_397
; %bb.396:
	v_ashrrev_i32_e32 v119, 31, v118
	v_lshlrev_b64 v[119:120], 2, v[118:119]
	v_add_co_u32 v119, vcc_lo, v4, v119
	v_add_co_ci_u32_e64 v120, null, v5, v120, vcc_lo
	s_clause 0x1
	global_load_dword v126, v[119:120], off
	global_load_dword v127, v[4:5], off offset:92
	s_waitcnt vmcnt(1)
	global_store_dword v[4:5], v126, off offset:92
	s_waitcnt vmcnt(0)
	global_store_dword v[119:120], v127, off
.LBB110_397:
	s_or_b32 exec_lo, exec_lo, s2
	v_mov_b32_e32 v126, v118
	v_mov_b32_e32 v127, v118
.LBB110_398:
	s_or_b32 exec_lo, exec_lo, s1
.LBB110_399:
	s_andn2_saveexec_b32 s0, s0
	s_cbranch_execz .LBB110_401
; %bb.400:
	v_mov_b32_e32 v118, v66
	v_mov_b32_e32 v119, v67
	;; [unrolled: 1-line block ×8, first 2 shown]
	ds_write2_b64 v124, v[118:119], v[127:128] offset0:24 offset1:25
	ds_write2_b64 v124, v[129:130], v[131:132] offset0:26 offset1:27
	v_mov_b32_e32 v118, v60
	v_mov_b32_e32 v119, v61
	;; [unrolled: 1-line block ×20, first 2 shown]
	ds_write2_b64 v124, v[118:119], v[127:128] offset0:28 offset1:29
	ds_write2_b64 v124, v[129:130], v[131:132] offset0:30 offset1:31
	;; [unrolled: 1-line block ×5, first 2 shown]
	v_mov_b32_e32 v118, v40
	v_mov_b32_e32 v119, v41
	;; [unrolled: 1-line block ×20, first 2 shown]
	ds_write2_b64 v124, v[118:119], v[127:128] offset0:38 offset1:39
	ds_write2_b64 v124, v[129:130], v[131:132] offset0:40 offset1:41
	;; [unrolled: 1-line block ×5, first 2 shown]
	v_mov_b32_e32 v118, v20
	v_mov_b32_e32 v119, v21
	;; [unrolled: 1-line block ×15, first 2 shown]
	ds_write2_b64 v124, v[118:119], v[128:129] offset0:48 offset1:49
	ds_write2_b64 v124, v[130:131], v[132:133] offset0:50 offset1:51
	;; [unrolled: 1-line block ×4, first 2 shown]
.LBB110_401:
	s_or_b32 exec_lo, exec_lo, s0
	s_mov_b32 s0, exec_lo
	s_waitcnt lgkmcnt(0)
	s_waitcnt_vscnt null, 0x0
	s_barrier
	buffer_gl0_inv
	v_cmpx_lt_i32_e32 23, v127
	s_cbranch_execz .LBB110_403
; %bb.402:
	v_mul_f64 v[68:69], v[0:1], v[68:69]
	ds_read2_b64 v[128:131], v124 offset0:24 offset1:25
	ds_read2_b64 v[132:135], v124 offset0:26 offset1:27
	;; [unrolled: 1-line block ×13, first 2 shown]
	s_waitcnt lgkmcnt(12)
	v_fma_f64 v[66:67], -v[68:69], v[128:129], v[66:67]
	v_fma_f64 v[64:65], -v[68:69], v[130:131], v[64:65]
	s_waitcnt lgkmcnt(11)
	v_fma_f64 v[62:63], -v[68:69], v[132:133], v[62:63]
	v_fma_f64 v[58:59], -v[68:69], v[134:135], v[58:59]
	;; [unrolled: 3-line block ×3, first 2 shown]
	ds_read2_b64 v[128:131], v124 offset0:50 offset1:51
	ds_read2_b64 v[132:135], v124 offset0:52 offset1:53
	;; [unrolled: 1-line block ×3, first 2 shown]
	s_waitcnt lgkmcnt(12)
	v_fma_f64 v[56:57], -v[68:69], v[140:141], v[56:57]
	v_fma_f64 v[52:53], -v[68:69], v[142:143], v[52:53]
	s_waitcnt lgkmcnt(11)
	v_fma_f64 v[50:51], -v[68:69], v[144:145], v[50:51]
	v_fma_f64 v[48:49], -v[68:69], v[146:147], v[48:49]
	;; [unrolled: 3-line block ×13, first 2 shown]
.LBB110_403:
	s_or_b32 exec_lo, exec_lo, s0
	v_lshl_add_u32 v0, v127, 3, v124
	s_barrier
	buffer_gl0_inv
	v_mov_b32_e32 v118, 24
	ds_write_b64 v0, v[66:67]
	s_waitcnt lgkmcnt(0)
	s_barrier
	buffer_gl0_inv
	ds_read_b64 v[0:1], v124 offset:192
	s_cmp_lt_i32 s7, 26
	s_cbranch_scc1 .LBB110_406
; %bb.404:
	v_add3_u32 v119, v125, 0, 0xc8
	v_mov_b32_e32 v118, 24
	s_mov_b32 s0, 25
.LBB110_405:                            ; =>This Inner Loop Header: Depth=1
	ds_read_b64 v[128:129], v119
	v_add_nc_u32_e32 v119, 8, v119
	s_waitcnt lgkmcnt(0)
	v_cmp_lt_f64_e64 vcc_lo, |v[0:1]|, |v[128:129]|
	v_cndmask_b32_e32 v1, v1, v129, vcc_lo
	v_cndmask_b32_e32 v0, v0, v128, vcc_lo
	v_cndmask_b32_e64 v118, v118, s0, vcc_lo
	s_add_i32 s0, s0, 1
	s_cmp_lg_u32 s7, s0
	s_cbranch_scc1 .LBB110_405
.LBB110_406:
	s_mov_b32 s0, exec_lo
	s_waitcnt lgkmcnt(0)
	v_cmpx_eq_f64_e32 0, v[0:1]
	s_xor_b32 s0, exec_lo, s0
; %bb.407:
	v_cmp_ne_u32_e32 vcc_lo, 0, v121
	v_cndmask_b32_e32 v121, 25, v121, vcc_lo
; %bb.408:
	s_andn2_saveexec_b32 s0, s0
	s_cbranch_execz .LBB110_410
; %bb.409:
	v_div_scale_f64 v[119:120], null, v[0:1], v[0:1], 1.0
	v_rcp_f64_e32 v[128:129], v[119:120]
	v_fma_f64 v[130:131], -v[119:120], v[128:129], 1.0
	v_fma_f64 v[128:129], v[128:129], v[130:131], v[128:129]
	v_fma_f64 v[130:131], -v[119:120], v[128:129], 1.0
	v_fma_f64 v[128:129], v[128:129], v[130:131], v[128:129]
	v_div_scale_f64 v[130:131], vcc_lo, 1.0, v[0:1], 1.0
	v_mul_f64 v[132:133], v[130:131], v[128:129]
	v_fma_f64 v[119:120], -v[119:120], v[132:133], v[130:131]
	v_div_fmas_f64 v[119:120], v[119:120], v[128:129], v[132:133]
	v_div_fixup_f64 v[0:1], v[119:120], v[0:1], 1.0
.LBB110_410:
	s_or_b32 exec_lo, exec_lo, s0
	s_mov_b32 s0, exec_lo
	v_cmpx_ne_u32_e64 v127, v118
	s_xor_b32 s0, exec_lo, s0
	s_cbranch_execz .LBB110_416
; %bb.411:
	s_mov_b32 s1, exec_lo
	v_cmpx_eq_u32_e32 24, v127
	s_cbranch_execz .LBB110_415
; %bb.412:
	v_cmp_ne_u32_e32 vcc_lo, 24, v118
	s_xor_b32 s2, s6, -1
	s_and_b32 s3, s2, vcc_lo
	s_and_saveexec_b32 s2, s3
	s_cbranch_execz .LBB110_414
; %bb.413:
	v_ashrrev_i32_e32 v119, 31, v118
	v_lshlrev_b64 v[119:120], 2, v[118:119]
	v_add_co_u32 v119, vcc_lo, v4, v119
	v_add_co_ci_u32_e64 v120, null, v5, v120, vcc_lo
	s_clause 0x1
	global_load_dword v126, v[119:120], off
	global_load_dword v127, v[4:5], off offset:96
	s_waitcnt vmcnt(1)
	global_store_dword v[4:5], v126, off offset:96
	s_waitcnt vmcnt(0)
	global_store_dword v[119:120], v127, off
.LBB110_414:
	s_or_b32 exec_lo, exec_lo, s2
	v_mov_b32_e32 v126, v118
	v_mov_b32_e32 v127, v118
.LBB110_415:
	s_or_b32 exec_lo, exec_lo, s1
.LBB110_416:
	s_andn2_saveexec_b32 s0, s0
	s_cbranch_execz .LBB110_418
; %bb.417:
	v_mov_b32_e32 v127, 24
	ds_write2_b64 v124, v[64:65], v[62:63] offset0:25 offset1:26
	ds_write2_b64 v124, v[58:59], v[60:61] offset0:27 offset1:28
	;; [unrolled: 1-line block ×15, first 2 shown]
	ds_write_b64 v124, v[116:117] offset:440
.LBB110_418:
	s_or_b32 exec_lo, exec_lo, s0
	s_mov_b32 s0, exec_lo
	s_waitcnt lgkmcnt(0)
	s_waitcnt_vscnt null, 0x0
	s_barrier
	buffer_gl0_inv
	v_cmpx_lt_i32_e32 24, v127
	s_cbranch_execz .LBB110_420
; %bb.419:
	v_mul_f64 v[66:67], v[0:1], v[66:67]
	ds_read2_b64 v[128:131], v124 offset0:25 offset1:26
	ds_read2_b64 v[132:135], v124 offset0:27 offset1:28
	;; [unrolled: 1-line block ×13, first 2 shown]
	ds_read_b64 v[0:1], v124 offset:440
	s_waitcnt lgkmcnt(13)
	v_fma_f64 v[64:65], -v[66:67], v[128:129], v[64:65]
	v_fma_f64 v[62:63], -v[66:67], v[130:131], v[62:63]
	s_waitcnt lgkmcnt(12)
	v_fma_f64 v[58:59], -v[66:67], v[132:133], v[58:59]
	v_fma_f64 v[60:61], -v[66:67], v[134:135], v[60:61]
	ds_read2_b64 v[128:131], v124 offset0:51 offset1:52
	ds_read2_b64 v[132:135], v124 offset0:53 offset1:54
	s_waitcnt lgkmcnt(13)
	v_fma_f64 v[54:55], -v[66:67], v[136:137], v[54:55]
	v_fma_f64 v[56:57], -v[66:67], v[138:139], v[56:57]
	s_waitcnt lgkmcnt(12)
	v_fma_f64 v[52:53], -v[66:67], v[140:141], v[52:53]
	v_fma_f64 v[50:51], -v[66:67], v[142:143], v[50:51]
	;; [unrolled: 3-line block ×13, first 2 shown]
	v_fma_f64 v[116:117], -v[66:67], v[0:1], v[116:117]
.LBB110_420:
	s_or_b32 exec_lo, exec_lo, s0
	v_lshl_add_u32 v0, v127, 3, v124
	s_barrier
	buffer_gl0_inv
	v_mov_b32_e32 v118, 25
	ds_write_b64 v0, v[64:65]
	s_waitcnt lgkmcnt(0)
	s_barrier
	buffer_gl0_inv
	ds_read_b64 v[0:1], v124 offset:200
	s_cmp_lt_i32 s7, 27
	s_cbranch_scc1 .LBB110_423
; %bb.421:
	v_add3_u32 v119, v125, 0, 0xd0
	v_mov_b32_e32 v118, 25
	s_mov_b32 s0, 26
.LBB110_422:                            ; =>This Inner Loop Header: Depth=1
	ds_read_b64 v[128:129], v119
	v_add_nc_u32_e32 v119, 8, v119
	s_waitcnt lgkmcnt(0)
	v_cmp_lt_f64_e64 vcc_lo, |v[0:1]|, |v[128:129]|
	v_cndmask_b32_e32 v1, v1, v129, vcc_lo
	v_cndmask_b32_e32 v0, v0, v128, vcc_lo
	v_cndmask_b32_e64 v118, v118, s0, vcc_lo
	s_add_i32 s0, s0, 1
	s_cmp_lg_u32 s7, s0
	s_cbranch_scc1 .LBB110_422
.LBB110_423:
	s_mov_b32 s0, exec_lo
	s_waitcnt lgkmcnt(0)
	v_cmpx_eq_f64_e32 0, v[0:1]
	s_xor_b32 s0, exec_lo, s0
; %bb.424:
	v_cmp_ne_u32_e32 vcc_lo, 0, v121
	v_cndmask_b32_e32 v121, 26, v121, vcc_lo
; %bb.425:
	s_andn2_saveexec_b32 s0, s0
	s_cbranch_execz .LBB110_427
; %bb.426:
	v_div_scale_f64 v[119:120], null, v[0:1], v[0:1], 1.0
	v_rcp_f64_e32 v[128:129], v[119:120]
	v_fma_f64 v[130:131], -v[119:120], v[128:129], 1.0
	v_fma_f64 v[128:129], v[128:129], v[130:131], v[128:129]
	v_fma_f64 v[130:131], -v[119:120], v[128:129], 1.0
	v_fma_f64 v[128:129], v[128:129], v[130:131], v[128:129]
	v_div_scale_f64 v[130:131], vcc_lo, 1.0, v[0:1], 1.0
	v_mul_f64 v[132:133], v[130:131], v[128:129]
	v_fma_f64 v[119:120], -v[119:120], v[132:133], v[130:131]
	v_div_fmas_f64 v[119:120], v[119:120], v[128:129], v[132:133]
	v_div_fixup_f64 v[0:1], v[119:120], v[0:1], 1.0
.LBB110_427:
	s_or_b32 exec_lo, exec_lo, s0
	s_mov_b32 s0, exec_lo
	v_cmpx_ne_u32_e64 v127, v118
	s_xor_b32 s0, exec_lo, s0
	s_cbranch_execz .LBB110_433
; %bb.428:
	s_mov_b32 s1, exec_lo
	v_cmpx_eq_u32_e32 25, v127
	s_cbranch_execz .LBB110_432
; %bb.429:
	v_cmp_ne_u32_e32 vcc_lo, 25, v118
	s_xor_b32 s2, s6, -1
	s_and_b32 s3, s2, vcc_lo
	s_and_saveexec_b32 s2, s3
	s_cbranch_execz .LBB110_431
; %bb.430:
	v_ashrrev_i32_e32 v119, 31, v118
	v_lshlrev_b64 v[119:120], 2, v[118:119]
	v_add_co_u32 v119, vcc_lo, v4, v119
	v_add_co_ci_u32_e64 v120, null, v5, v120, vcc_lo
	s_clause 0x1
	global_load_dword v126, v[119:120], off
	global_load_dword v127, v[4:5], off offset:100
	s_waitcnt vmcnt(1)
	global_store_dword v[4:5], v126, off offset:100
	s_waitcnt vmcnt(0)
	global_store_dword v[119:120], v127, off
.LBB110_431:
	s_or_b32 exec_lo, exec_lo, s2
	v_mov_b32_e32 v126, v118
	v_mov_b32_e32 v127, v118
.LBB110_432:
	s_or_b32 exec_lo, exec_lo, s1
.LBB110_433:
	s_andn2_saveexec_b32 s0, s0
	s_cbranch_execz .LBB110_435
; %bb.434:
	v_mov_b32_e32 v118, v62
	v_mov_b32_e32 v119, v63
	;; [unrolled: 1-line block ×8, first 2 shown]
	ds_write2_b64 v124, v[118:119], v[127:128] offset0:26 offset1:27
	v_mov_b32_e32 v118, v54
	v_mov_b32_e32 v119, v55
	;; [unrolled: 1-line block ×16, first 2 shown]
	ds_write2_b64 v124, v[129:130], v[118:119] offset0:28 offset1:29
	ds_write2_b64 v124, v[127:128], v[131:132] offset0:30 offset1:31
	;; [unrolled: 1-line block ×5, first 2 shown]
	v_mov_b32_e32 v118, v40
	v_mov_b32_e32 v119, v41
	;; [unrolled: 1-line block ×20, first 2 shown]
	ds_write2_b64 v124, v[118:119], v[127:128] offset0:38 offset1:39
	ds_write2_b64 v124, v[129:130], v[131:132] offset0:40 offset1:41
	;; [unrolled: 1-line block ×5, first 2 shown]
	v_mov_b32_e32 v118, v20
	v_mov_b32_e32 v119, v21
	;; [unrolled: 1-line block ×15, first 2 shown]
	ds_write2_b64 v124, v[118:119], v[128:129] offset0:48 offset1:49
	ds_write2_b64 v124, v[130:131], v[132:133] offset0:50 offset1:51
	;; [unrolled: 1-line block ×4, first 2 shown]
.LBB110_435:
	s_or_b32 exec_lo, exec_lo, s0
	s_mov_b32 s0, exec_lo
	s_waitcnt lgkmcnt(0)
	s_waitcnt_vscnt null, 0x0
	s_barrier
	buffer_gl0_inv
	v_cmpx_lt_i32_e32 25, v127
	s_cbranch_execz .LBB110_437
; %bb.436:
	v_mul_f64 v[64:65], v[0:1], v[64:65]
	ds_read2_b64 v[128:131], v124 offset0:26 offset1:27
	ds_read2_b64 v[132:135], v124 offset0:28 offset1:29
	;; [unrolled: 1-line block ×14, first 2 shown]
	s_waitcnt lgkmcnt(13)
	v_fma_f64 v[62:63], -v[64:65], v[128:129], v[62:63]
	v_fma_f64 v[58:59], -v[64:65], v[130:131], v[58:59]
	ds_read2_b64 v[128:131], v124 offset0:54 offset1:55
	s_waitcnt lgkmcnt(13)
	v_fma_f64 v[60:61], -v[64:65], v[132:133], v[60:61]
	v_fma_f64 v[54:55], -v[64:65], v[134:135], v[54:55]
	s_waitcnt lgkmcnt(12)
	v_fma_f64 v[56:57], -v[64:65], v[136:137], v[56:57]
	v_fma_f64 v[52:53], -v[64:65], v[138:139], v[52:53]
	;; [unrolled: 3-line block ×14, first 2 shown]
.LBB110_437:
	s_or_b32 exec_lo, exec_lo, s0
	v_lshl_add_u32 v0, v127, 3, v124
	s_barrier
	buffer_gl0_inv
	v_mov_b32_e32 v118, 26
	ds_write_b64 v0, v[62:63]
	s_waitcnt lgkmcnt(0)
	s_barrier
	buffer_gl0_inv
	ds_read_b64 v[0:1], v124 offset:208
	s_cmp_lt_i32 s7, 28
	s_cbranch_scc1 .LBB110_440
; %bb.438:
	v_add3_u32 v119, v125, 0, 0xd8
	v_mov_b32_e32 v118, 26
	s_mov_b32 s0, 27
.LBB110_439:                            ; =>This Inner Loop Header: Depth=1
	ds_read_b64 v[128:129], v119
	v_add_nc_u32_e32 v119, 8, v119
	s_waitcnt lgkmcnt(0)
	v_cmp_lt_f64_e64 vcc_lo, |v[0:1]|, |v[128:129]|
	v_cndmask_b32_e32 v1, v1, v129, vcc_lo
	v_cndmask_b32_e32 v0, v0, v128, vcc_lo
	v_cndmask_b32_e64 v118, v118, s0, vcc_lo
	s_add_i32 s0, s0, 1
	s_cmp_lg_u32 s7, s0
	s_cbranch_scc1 .LBB110_439
.LBB110_440:
	s_mov_b32 s0, exec_lo
	s_waitcnt lgkmcnt(0)
	v_cmpx_eq_f64_e32 0, v[0:1]
	s_xor_b32 s0, exec_lo, s0
; %bb.441:
	v_cmp_ne_u32_e32 vcc_lo, 0, v121
	v_cndmask_b32_e32 v121, 27, v121, vcc_lo
; %bb.442:
	s_andn2_saveexec_b32 s0, s0
	s_cbranch_execz .LBB110_444
; %bb.443:
	v_div_scale_f64 v[119:120], null, v[0:1], v[0:1], 1.0
	v_rcp_f64_e32 v[128:129], v[119:120]
	v_fma_f64 v[130:131], -v[119:120], v[128:129], 1.0
	v_fma_f64 v[128:129], v[128:129], v[130:131], v[128:129]
	v_fma_f64 v[130:131], -v[119:120], v[128:129], 1.0
	v_fma_f64 v[128:129], v[128:129], v[130:131], v[128:129]
	v_div_scale_f64 v[130:131], vcc_lo, 1.0, v[0:1], 1.0
	v_mul_f64 v[132:133], v[130:131], v[128:129]
	v_fma_f64 v[119:120], -v[119:120], v[132:133], v[130:131]
	v_div_fmas_f64 v[119:120], v[119:120], v[128:129], v[132:133]
	v_div_fixup_f64 v[0:1], v[119:120], v[0:1], 1.0
.LBB110_444:
	s_or_b32 exec_lo, exec_lo, s0
	s_mov_b32 s0, exec_lo
	v_cmpx_ne_u32_e64 v127, v118
	s_xor_b32 s0, exec_lo, s0
	s_cbranch_execz .LBB110_450
; %bb.445:
	s_mov_b32 s1, exec_lo
	v_cmpx_eq_u32_e32 26, v127
	s_cbranch_execz .LBB110_449
; %bb.446:
	v_cmp_ne_u32_e32 vcc_lo, 26, v118
	s_xor_b32 s2, s6, -1
	s_and_b32 s3, s2, vcc_lo
	s_and_saveexec_b32 s2, s3
	s_cbranch_execz .LBB110_448
; %bb.447:
	v_ashrrev_i32_e32 v119, 31, v118
	v_lshlrev_b64 v[119:120], 2, v[118:119]
	v_add_co_u32 v119, vcc_lo, v4, v119
	v_add_co_ci_u32_e64 v120, null, v5, v120, vcc_lo
	s_clause 0x1
	global_load_dword v126, v[119:120], off
	global_load_dword v127, v[4:5], off offset:104
	s_waitcnt vmcnt(1)
	global_store_dword v[4:5], v126, off offset:104
	s_waitcnt vmcnt(0)
	global_store_dword v[119:120], v127, off
.LBB110_448:
	s_or_b32 exec_lo, exec_lo, s2
	v_mov_b32_e32 v126, v118
	v_mov_b32_e32 v127, v118
.LBB110_449:
	s_or_b32 exec_lo, exec_lo, s1
.LBB110_450:
	s_andn2_saveexec_b32 s0, s0
	s_cbranch_execz .LBB110_452
; %bb.451:
	v_mov_b32_e32 v127, 26
	ds_write2_b64 v124, v[58:59], v[60:61] offset0:27 offset1:28
	ds_write2_b64 v124, v[54:55], v[56:57] offset0:29 offset1:30
	;; [unrolled: 1-line block ×14, first 2 shown]
	ds_write_b64 v124, v[116:117] offset:440
.LBB110_452:
	s_or_b32 exec_lo, exec_lo, s0
	s_mov_b32 s0, exec_lo
	s_waitcnt lgkmcnt(0)
	s_waitcnt_vscnt null, 0x0
	s_barrier
	buffer_gl0_inv
	v_cmpx_lt_i32_e32 26, v127
	s_cbranch_execz .LBB110_454
; %bb.453:
	v_mul_f64 v[62:63], v[0:1], v[62:63]
	ds_read2_b64 v[128:131], v124 offset0:27 offset1:28
	ds_read2_b64 v[132:135], v124 offset0:29 offset1:30
	;; [unrolled: 1-line block ×14, first 2 shown]
	ds_read_b64 v[0:1], v124 offset:440
	s_waitcnt lgkmcnt(14)
	v_fma_f64 v[58:59], -v[62:63], v[128:129], v[58:59]
	v_fma_f64 v[60:61], -v[62:63], v[130:131], v[60:61]
	s_waitcnt lgkmcnt(13)
	v_fma_f64 v[54:55], -v[62:63], v[132:133], v[54:55]
	v_fma_f64 v[56:57], -v[62:63], v[134:135], v[56:57]
	;; [unrolled: 3-line block ×14, first 2 shown]
	s_waitcnt lgkmcnt(0)
	v_fma_f64 v[116:117], -v[62:63], v[0:1], v[116:117]
.LBB110_454:
	s_or_b32 exec_lo, exec_lo, s0
	v_lshl_add_u32 v0, v127, 3, v124
	s_barrier
	buffer_gl0_inv
	v_mov_b32_e32 v118, 27
	ds_write_b64 v0, v[58:59]
	s_waitcnt lgkmcnt(0)
	s_barrier
	buffer_gl0_inv
	ds_read_b64 v[0:1], v124 offset:216
	s_cmp_lt_i32 s7, 29
	s_cbranch_scc1 .LBB110_457
; %bb.455:
	v_add3_u32 v119, v125, 0, 0xe0
	v_mov_b32_e32 v118, 27
	s_mov_b32 s0, 28
.LBB110_456:                            ; =>This Inner Loop Header: Depth=1
	ds_read_b64 v[128:129], v119
	v_add_nc_u32_e32 v119, 8, v119
	s_waitcnt lgkmcnt(0)
	v_cmp_lt_f64_e64 vcc_lo, |v[0:1]|, |v[128:129]|
	v_cndmask_b32_e32 v1, v1, v129, vcc_lo
	v_cndmask_b32_e32 v0, v0, v128, vcc_lo
	v_cndmask_b32_e64 v118, v118, s0, vcc_lo
	s_add_i32 s0, s0, 1
	s_cmp_lg_u32 s7, s0
	s_cbranch_scc1 .LBB110_456
.LBB110_457:
	s_mov_b32 s0, exec_lo
	s_waitcnt lgkmcnt(0)
	v_cmpx_eq_f64_e32 0, v[0:1]
	s_xor_b32 s0, exec_lo, s0
; %bb.458:
	v_cmp_ne_u32_e32 vcc_lo, 0, v121
	v_cndmask_b32_e32 v121, 28, v121, vcc_lo
; %bb.459:
	s_andn2_saveexec_b32 s0, s0
	s_cbranch_execz .LBB110_461
; %bb.460:
	v_div_scale_f64 v[119:120], null, v[0:1], v[0:1], 1.0
	v_rcp_f64_e32 v[128:129], v[119:120]
	v_fma_f64 v[130:131], -v[119:120], v[128:129], 1.0
	v_fma_f64 v[128:129], v[128:129], v[130:131], v[128:129]
	v_fma_f64 v[130:131], -v[119:120], v[128:129], 1.0
	v_fma_f64 v[128:129], v[128:129], v[130:131], v[128:129]
	v_div_scale_f64 v[130:131], vcc_lo, 1.0, v[0:1], 1.0
	v_mul_f64 v[132:133], v[130:131], v[128:129]
	v_fma_f64 v[119:120], -v[119:120], v[132:133], v[130:131]
	v_div_fmas_f64 v[119:120], v[119:120], v[128:129], v[132:133]
	v_div_fixup_f64 v[0:1], v[119:120], v[0:1], 1.0
.LBB110_461:
	s_or_b32 exec_lo, exec_lo, s0
	s_mov_b32 s0, exec_lo
	v_cmpx_ne_u32_e64 v127, v118
	s_xor_b32 s0, exec_lo, s0
	s_cbranch_execz .LBB110_467
; %bb.462:
	s_mov_b32 s1, exec_lo
	v_cmpx_eq_u32_e32 27, v127
	s_cbranch_execz .LBB110_466
; %bb.463:
	v_cmp_ne_u32_e32 vcc_lo, 27, v118
	s_xor_b32 s2, s6, -1
	s_and_b32 s3, s2, vcc_lo
	s_and_saveexec_b32 s2, s3
	s_cbranch_execz .LBB110_465
; %bb.464:
	v_ashrrev_i32_e32 v119, 31, v118
	v_lshlrev_b64 v[119:120], 2, v[118:119]
	v_add_co_u32 v119, vcc_lo, v4, v119
	v_add_co_ci_u32_e64 v120, null, v5, v120, vcc_lo
	s_clause 0x1
	global_load_dword v126, v[119:120], off
	global_load_dword v127, v[4:5], off offset:108
	s_waitcnt vmcnt(1)
	global_store_dword v[4:5], v126, off offset:108
	s_waitcnt vmcnt(0)
	global_store_dword v[119:120], v127, off
.LBB110_465:
	s_or_b32 exec_lo, exec_lo, s2
	v_mov_b32_e32 v126, v118
	v_mov_b32_e32 v127, v118
.LBB110_466:
	s_or_b32 exec_lo, exec_lo, s1
.LBB110_467:
	s_andn2_saveexec_b32 s0, s0
	s_cbranch_execz .LBB110_469
; %bb.468:
	v_mov_b32_e32 v118, v60
	v_mov_b32_e32 v119, v61
	;; [unrolled: 1-line block ×20, first 2 shown]
	ds_write2_b64 v124, v[118:119], v[127:128] offset0:28 offset1:29
	ds_write2_b64 v124, v[129:130], v[131:132] offset0:30 offset1:31
	ds_write2_b64 v124, v[133:134], v[135:136] offset0:32 offset1:33
	ds_write2_b64 v124, v[137:138], v[139:140] offset0:34 offset1:35
	ds_write2_b64 v124, v[141:142], v[143:144] offset0:36 offset1:37
	v_mov_b32_e32 v118, v40
	v_mov_b32_e32 v119, v41
	;; [unrolled: 1-line block ×20, first 2 shown]
	ds_write2_b64 v124, v[118:119], v[127:128] offset0:38 offset1:39
	ds_write2_b64 v124, v[129:130], v[131:132] offset0:40 offset1:41
	;; [unrolled: 1-line block ×5, first 2 shown]
	v_mov_b32_e32 v118, v20
	v_mov_b32_e32 v119, v21
	;; [unrolled: 1-line block ×15, first 2 shown]
	ds_write2_b64 v124, v[118:119], v[128:129] offset0:48 offset1:49
	ds_write2_b64 v124, v[130:131], v[132:133] offset0:50 offset1:51
	;; [unrolled: 1-line block ×4, first 2 shown]
.LBB110_469:
	s_or_b32 exec_lo, exec_lo, s0
	s_mov_b32 s0, exec_lo
	s_waitcnt lgkmcnt(0)
	s_waitcnt_vscnt null, 0x0
	s_barrier
	buffer_gl0_inv
	v_cmpx_lt_i32_e32 27, v127
	s_cbranch_execz .LBB110_471
; %bb.470:
	v_mul_f64 v[58:59], v[0:1], v[58:59]
	ds_read2_b64 v[128:131], v124 offset0:28 offset1:29
	ds_read2_b64 v[132:135], v124 offset0:30 offset1:31
	;; [unrolled: 1-line block ×14, first 2 shown]
	s_waitcnt lgkmcnt(13)
	v_fma_f64 v[60:61], -v[58:59], v[128:129], v[60:61]
	v_fma_f64 v[54:55], -v[58:59], v[130:131], v[54:55]
	s_waitcnt lgkmcnt(12)
	v_fma_f64 v[56:57], -v[58:59], v[132:133], v[56:57]
	v_fma_f64 v[52:53], -v[58:59], v[134:135], v[52:53]
	;; [unrolled: 3-line block ×14, first 2 shown]
.LBB110_471:
	s_or_b32 exec_lo, exec_lo, s0
	v_lshl_add_u32 v0, v127, 3, v124
	s_barrier
	buffer_gl0_inv
	v_mov_b32_e32 v118, 28
	ds_write_b64 v0, v[60:61]
	s_waitcnt lgkmcnt(0)
	s_barrier
	buffer_gl0_inv
	ds_read_b64 v[0:1], v124 offset:224
	s_cmp_lt_i32 s7, 30
	s_cbranch_scc1 .LBB110_474
; %bb.472:
	v_add3_u32 v119, v125, 0, 0xe8
	v_mov_b32_e32 v118, 28
	s_mov_b32 s0, 29
.LBB110_473:                            ; =>This Inner Loop Header: Depth=1
	ds_read_b64 v[128:129], v119
	v_add_nc_u32_e32 v119, 8, v119
	s_waitcnt lgkmcnt(0)
	v_cmp_lt_f64_e64 vcc_lo, |v[0:1]|, |v[128:129]|
	v_cndmask_b32_e32 v1, v1, v129, vcc_lo
	v_cndmask_b32_e32 v0, v0, v128, vcc_lo
	v_cndmask_b32_e64 v118, v118, s0, vcc_lo
	s_add_i32 s0, s0, 1
	s_cmp_lg_u32 s7, s0
	s_cbranch_scc1 .LBB110_473
.LBB110_474:
	s_mov_b32 s0, exec_lo
	s_waitcnt lgkmcnt(0)
	v_cmpx_eq_f64_e32 0, v[0:1]
	s_xor_b32 s0, exec_lo, s0
; %bb.475:
	v_cmp_ne_u32_e32 vcc_lo, 0, v121
	v_cndmask_b32_e32 v121, 29, v121, vcc_lo
; %bb.476:
	s_andn2_saveexec_b32 s0, s0
	s_cbranch_execz .LBB110_478
; %bb.477:
	v_div_scale_f64 v[119:120], null, v[0:1], v[0:1], 1.0
	v_rcp_f64_e32 v[128:129], v[119:120]
	v_fma_f64 v[130:131], -v[119:120], v[128:129], 1.0
	v_fma_f64 v[128:129], v[128:129], v[130:131], v[128:129]
	v_fma_f64 v[130:131], -v[119:120], v[128:129], 1.0
	v_fma_f64 v[128:129], v[128:129], v[130:131], v[128:129]
	v_div_scale_f64 v[130:131], vcc_lo, 1.0, v[0:1], 1.0
	v_mul_f64 v[132:133], v[130:131], v[128:129]
	v_fma_f64 v[119:120], -v[119:120], v[132:133], v[130:131]
	v_div_fmas_f64 v[119:120], v[119:120], v[128:129], v[132:133]
	v_div_fixup_f64 v[0:1], v[119:120], v[0:1], 1.0
.LBB110_478:
	s_or_b32 exec_lo, exec_lo, s0
	s_mov_b32 s0, exec_lo
	v_cmpx_ne_u32_e64 v127, v118
	s_xor_b32 s0, exec_lo, s0
	s_cbranch_execz .LBB110_484
; %bb.479:
	s_mov_b32 s1, exec_lo
	v_cmpx_eq_u32_e32 28, v127
	s_cbranch_execz .LBB110_483
; %bb.480:
	v_cmp_ne_u32_e32 vcc_lo, 28, v118
	s_xor_b32 s2, s6, -1
	s_and_b32 s3, s2, vcc_lo
	s_and_saveexec_b32 s2, s3
	s_cbranch_execz .LBB110_482
; %bb.481:
	v_ashrrev_i32_e32 v119, 31, v118
	v_lshlrev_b64 v[119:120], 2, v[118:119]
	v_add_co_u32 v119, vcc_lo, v4, v119
	v_add_co_ci_u32_e64 v120, null, v5, v120, vcc_lo
	s_clause 0x1
	global_load_dword v126, v[119:120], off
	global_load_dword v127, v[4:5], off offset:112
	s_waitcnt vmcnt(1)
	global_store_dword v[4:5], v126, off offset:112
	s_waitcnt vmcnt(0)
	global_store_dword v[119:120], v127, off
.LBB110_482:
	s_or_b32 exec_lo, exec_lo, s2
	v_mov_b32_e32 v126, v118
	v_mov_b32_e32 v127, v118
.LBB110_483:
	s_or_b32 exec_lo, exec_lo, s1
.LBB110_484:
	s_andn2_saveexec_b32 s0, s0
	s_cbranch_execz .LBB110_486
; %bb.485:
	v_mov_b32_e32 v127, 28
	ds_write2_b64 v124, v[54:55], v[56:57] offset0:29 offset1:30
	ds_write2_b64 v124, v[52:53], v[50:51] offset0:31 offset1:32
	;; [unrolled: 1-line block ×13, first 2 shown]
	ds_write_b64 v124, v[116:117] offset:440
.LBB110_486:
	s_or_b32 exec_lo, exec_lo, s0
	s_mov_b32 s0, exec_lo
	s_waitcnt lgkmcnt(0)
	s_waitcnt_vscnt null, 0x0
	s_barrier
	buffer_gl0_inv
	v_cmpx_lt_i32_e32 28, v127
	s_cbranch_execz .LBB110_488
; %bb.487:
	v_mul_f64 v[60:61], v[0:1], v[60:61]
	ds_read2_b64 v[128:131], v124 offset0:29 offset1:30
	ds_read2_b64 v[132:135], v124 offset0:31 offset1:32
	;; [unrolled: 1-line block ×13, first 2 shown]
	ds_read_b64 v[0:1], v124 offset:440
	s_waitcnt lgkmcnt(13)
	v_fma_f64 v[54:55], -v[60:61], v[128:129], v[54:55]
	v_fma_f64 v[56:57], -v[60:61], v[130:131], v[56:57]
	s_waitcnt lgkmcnt(12)
	v_fma_f64 v[52:53], -v[60:61], v[132:133], v[52:53]
	v_fma_f64 v[50:51], -v[60:61], v[134:135], v[50:51]
	;; [unrolled: 3-line block ×13, first 2 shown]
	s_waitcnt lgkmcnt(0)
	v_fma_f64 v[116:117], -v[60:61], v[0:1], v[116:117]
.LBB110_488:
	s_or_b32 exec_lo, exec_lo, s0
	v_lshl_add_u32 v0, v127, 3, v124
	s_barrier
	buffer_gl0_inv
	v_mov_b32_e32 v118, 29
	ds_write_b64 v0, v[54:55]
	s_waitcnt lgkmcnt(0)
	s_barrier
	buffer_gl0_inv
	ds_read_b64 v[0:1], v124 offset:232
	s_cmp_lt_i32 s7, 31
	s_cbranch_scc1 .LBB110_491
; %bb.489:
	v_add3_u32 v119, v125, 0, 0xf0
	v_mov_b32_e32 v118, 29
	s_mov_b32 s0, 30
.LBB110_490:                            ; =>This Inner Loop Header: Depth=1
	ds_read_b64 v[128:129], v119
	v_add_nc_u32_e32 v119, 8, v119
	s_waitcnt lgkmcnt(0)
	v_cmp_lt_f64_e64 vcc_lo, |v[0:1]|, |v[128:129]|
	v_cndmask_b32_e32 v1, v1, v129, vcc_lo
	v_cndmask_b32_e32 v0, v0, v128, vcc_lo
	v_cndmask_b32_e64 v118, v118, s0, vcc_lo
	s_add_i32 s0, s0, 1
	s_cmp_lg_u32 s7, s0
	s_cbranch_scc1 .LBB110_490
.LBB110_491:
	s_mov_b32 s0, exec_lo
	s_waitcnt lgkmcnt(0)
	v_cmpx_eq_f64_e32 0, v[0:1]
	s_xor_b32 s0, exec_lo, s0
; %bb.492:
	v_cmp_ne_u32_e32 vcc_lo, 0, v121
	v_cndmask_b32_e32 v121, 30, v121, vcc_lo
; %bb.493:
	s_andn2_saveexec_b32 s0, s0
	s_cbranch_execz .LBB110_495
; %bb.494:
	v_div_scale_f64 v[119:120], null, v[0:1], v[0:1], 1.0
	v_rcp_f64_e32 v[128:129], v[119:120]
	v_fma_f64 v[130:131], -v[119:120], v[128:129], 1.0
	v_fma_f64 v[128:129], v[128:129], v[130:131], v[128:129]
	v_fma_f64 v[130:131], -v[119:120], v[128:129], 1.0
	v_fma_f64 v[128:129], v[128:129], v[130:131], v[128:129]
	v_div_scale_f64 v[130:131], vcc_lo, 1.0, v[0:1], 1.0
	v_mul_f64 v[132:133], v[130:131], v[128:129]
	v_fma_f64 v[119:120], -v[119:120], v[132:133], v[130:131]
	v_div_fmas_f64 v[119:120], v[119:120], v[128:129], v[132:133]
	v_div_fixup_f64 v[0:1], v[119:120], v[0:1], 1.0
.LBB110_495:
	s_or_b32 exec_lo, exec_lo, s0
	s_mov_b32 s0, exec_lo
	v_cmpx_ne_u32_e64 v127, v118
	s_xor_b32 s0, exec_lo, s0
	s_cbranch_execz .LBB110_501
; %bb.496:
	s_mov_b32 s1, exec_lo
	v_cmpx_eq_u32_e32 29, v127
	s_cbranch_execz .LBB110_500
; %bb.497:
	v_cmp_ne_u32_e32 vcc_lo, 29, v118
	s_xor_b32 s2, s6, -1
	s_and_b32 s3, s2, vcc_lo
	s_and_saveexec_b32 s2, s3
	s_cbranch_execz .LBB110_499
; %bb.498:
	v_ashrrev_i32_e32 v119, 31, v118
	v_lshlrev_b64 v[119:120], 2, v[118:119]
	v_add_co_u32 v119, vcc_lo, v4, v119
	v_add_co_ci_u32_e64 v120, null, v5, v120, vcc_lo
	s_clause 0x1
	global_load_dword v126, v[119:120], off
	global_load_dword v127, v[4:5], off offset:116
	s_waitcnt vmcnt(1)
	global_store_dword v[4:5], v126, off offset:116
	s_waitcnt vmcnt(0)
	global_store_dword v[119:120], v127, off
.LBB110_499:
	s_or_b32 exec_lo, exec_lo, s2
	v_mov_b32_e32 v126, v118
	v_mov_b32_e32 v127, v118
.LBB110_500:
	s_or_b32 exec_lo, exec_lo, s1
.LBB110_501:
	s_andn2_saveexec_b32 s0, s0
	s_cbranch_execz .LBB110_503
; %bb.502:
	v_mov_b32_e32 v118, v56
	v_mov_b32_e32 v119, v57
	;; [unrolled: 1-line block ×16, first 2 shown]
	ds_write2_b64 v124, v[118:119], v[127:128] offset0:30 offset1:31
	ds_write2_b64 v124, v[129:130], v[131:132] offset0:32 offset1:33
	;; [unrolled: 1-line block ×4, first 2 shown]
	v_mov_b32_e32 v118, v40
	v_mov_b32_e32 v119, v41
	;; [unrolled: 1-line block ×20, first 2 shown]
	ds_write2_b64 v124, v[118:119], v[127:128] offset0:38 offset1:39
	ds_write2_b64 v124, v[129:130], v[131:132] offset0:40 offset1:41
	;; [unrolled: 1-line block ×5, first 2 shown]
	v_mov_b32_e32 v118, v20
	v_mov_b32_e32 v119, v21
	;; [unrolled: 1-line block ×15, first 2 shown]
	ds_write2_b64 v124, v[118:119], v[128:129] offset0:48 offset1:49
	ds_write2_b64 v124, v[130:131], v[132:133] offset0:50 offset1:51
	;; [unrolled: 1-line block ×4, first 2 shown]
.LBB110_503:
	s_or_b32 exec_lo, exec_lo, s0
	s_mov_b32 s0, exec_lo
	s_waitcnt lgkmcnt(0)
	s_waitcnt_vscnt null, 0x0
	s_barrier
	buffer_gl0_inv
	v_cmpx_lt_i32_e32 29, v127
	s_cbranch_execz .LBB110_505
; %bb.504:
	v_mul_f64 v[54:55], v[0:1], v[54:55]
	ds_read2_b64 v[128:131], v124 offset0:30 offset1:31
	ds_read2_b64 v[132:135], v124 offset0:32 offset1:33
	;; [unrolled: 1-line block ×13, first 2 shown]
	s_waitcnt lgkmcnt(12)
	v_fma_f64 v[56:57], -v[54:55], v[128:129], v[56:57]
	v_fma_f64 v[52:53], -v[54:55], v[130:131], v[52:53]
	s_waitcnt lgkmcnt(11)
	v_fma_f64 v[50:51], -v[54:55], v[132:133], v[50:51]
	v_fma_f64 v[48:49], -v[54:55], v[134:135], v[48:49]
	;; [unrolled: 3-line block ×13, first 2 shown]
.LBB110_505:
	s_or_b32 exec_lo, exec_lo, s0
	v_lshl_add_u32 v0, v127, 3, v124
	s_barrier
	buffer_gl0_inv
	v_mov_b32_e32 v118, 30
	ds_write_b64 v0, v[56:57]
	s_waitcnt lgkmcnt(0)
	s_barrier
	buffer_gl0_inv
	ds_read_b64 v[0:1], v124 offset:240
	s_cmp_lt_i32 s7, 32
	s_cbranch_scc1 .LBB110_508
; %bb.506:
	v_add3_u32 v119, v125, 0, 0xf8
	v_mov_b32_e32 v118, 30
	s_mov_b32 s0, 31
.LBB110_507:                            ; =>This Inner Loop Header: Depth=1
	ds_read_b64 v[128:129], v119
	v_add_nc_u32_e32 v119, 8, v119
	s_waitcnt lgkmcnt(0)
	v_cmp_lt_f64_e64 vcc_lo, |v[0:1]|, |v[128:129]|
	v_cndmask_b32_e32 v1, v1, v129, vcc_lo
	v_cndmask_b32_e32 v0, v0, v128, vcc_lo
	v_cndmask_b32_e64 v118, v118, s0, vcc_lo
	s_add_i32 s0, s0, 1
	s_cmp_lg_u32 s7, s0
	s_cbranch_scc1 .LBB110_507
.LBB110_508:
	s_mov_b32 s0, exec_lo
	s_waitcnt lgkmcnt(0)
	v_cmpx_eq_f64_e32 0, v[0:1]
	s_xor_b32 s0, exec_lo, s0
; %bb.509:
	v_cmp_ne_u32_e32 vcc_lo, 0, v121
	v_cndmask_b32_e32 v121, 31, v121, vcc_lo
; %bb.510:
	s_andn2_saveexec_b32 s0, s0
	s_cbranch_execz .LBB110_512
; %bb.511:
	v_div_scale_f64 v[119:120], null, v[0:1], v[0:1], 1.0
	v_rcp_f64_e32 v[128:129], v[119:120]
	v_fma_f64 v[130:131], -v[119:120], v[128:129], 1.0
	v_fma_f64 v[128:129], v[128:129], v[130:131], v[128:129]
	v_fma_f64 v[130:131], -v[119:120], v[128:129], 1.0
	v_fma_f64 v[128:129], v[128:129], v[130:131], v[128:129]
	v_div_scale_f64 v[130:131], vcc_lo, 1.0, v[0:1], 1.0
	v_mul_f64 v[132:133], v[130:131], v[128:129]
	v_fma_f64 v[119:120], -v[119:120], v[132:133], v[130:131]
	v_div_fmas_f64 v[119:120], v[119:120], v[128:129], v[132:133]
	v_div_fixup_f64 v[0:1], v[119:120], v[0:1], 1.0
.LBB110_512:
	s_or_b32 exec_lo, exec_lo, s0
	s_mov_b32 s0, exec_lo
	v_cmpx_ne_u32_e64 v127, v118
	s_xor_b32 s0, exec_lo, s0
	s_cbranch_execz .LBB110_518
; %bb.513:
	s_mov_b32 s1, exec_lo
	v_cmpx_eq_u32_e32 30, v127
	s_cbranch_execz .LBB110_517
; %bb.514:
	v_cmp_ne_u32_e32 vcc_lo, 30, v118
	s_xor_b32 s2, s6, -1
	s_and_b32 s3, s2, vcc_lo
	s_and_saveexec_b32 s2, s3
	s_cbranch_execz .LBB110_516
; %bb.515:
	v_ashrrev_i32_e32 v119, 31, v118
	v_lshlrev_b64 v[119:120], 2, v[118:119]
	v_add_co_u32 v119, vcc_lo, v4, v119
	v_add_co_ci_u32_e64 v120, null, v5, v120, vcc_lo
	s_clause 0x1
	global_load_dword v126, v[119:120], off
	global_load_dword v127, v[4:5], off offset:120
	s_waitcnt vmcnt(1)
	global_store_dword v[4:5], v126, off offset:120
	s_waitcnt vmcnt(0)
	global_store_dword v[119:120], v127, off
.LBB110_516:
	s_or_b32 exec_lo, exec_lo, s2
	v_mov_b32_e32 v126, v118
	v_mov_b32_e32 v127, v118
.LBB110_517:
	s_or_b32 exec_lo, exec_lo, s1
.LBB110_518:
	s_andn2_saveexec_b32 s0, s0
	s_cbranch_execz .LBB110_520
; %bb.519:
	v_mov_b32_e32 v127, 30
	ds_write2_b64 v124, v[52:53], v[50:51] offset0:31 offset1:32
	ds_write2_b64 v124, v[48:49], v[46:47] offset0:33 offset1:34
	;; [unrolled: 1-line block ×12, first 2 shown]
	ds_write_b64 v124, v[116:117] offset:440
.LBB110_520:
	s_or_b32 exec_lo, exec_lo, s0
	s_mov_b32 s0, exec_lo
	s_waitcnt lgkmcnt(0)
	s_waitcnt_vscnt null, 0x0
	s_barrier
	buffer_gl0_inv
	v_cmpx_lt_i32_e32 30, v127
	s_cbranch_execz .LBB110_522
; %bb.521:
	v_mul_f64 v[56:57], v[0:1], v[56:57]
	ds_read2_b64 v[128:131], v124 offset0:31 offset1:32
	ds_read2_b64 v[132:135], v124 offset0:33 offset1:34
	;; [unrolled: 1-line block ×12, first 2 shown]
	ds_read_b64 v[0:1], v124 offset:440
	s_waitcnt lgkmcnt(12)
	v_fma_f64 v[52:53], -v[56:57], v[128:129], v[52:53]
	v_fma_f64 v[50:51], -v[56:57], v[130:131], v[50:51]
	s_waitcnt lgkmcnt(11)
	v_fma_f64 v[48:49], -v[56:57], v[132:133], v[48:49]
	v_fma_f64 v[46:47], -v[56:57], v[134:135], v[46:47]
	;; [unrolled: 3-line block ×12, first 2 shown]
	s_waitcnt lgkmcnt(0)
	v_fma_f64 v[116:117], -v[56:57], v[0:1], v[116:117]
.LBB110_522:
	s_or_b32 exec_lo, exec_lo, s0
	v_lshl_add_u32 v0, v127, 3, v124
	s_barrier
	buffer_gl0_inv
	v_mov_b32_e32 v118, 31
	ds_write_b64 v0, v[52:53]
	s_waitcnt lgkmcnt(0)
	s_barrier
	buffer_gl0_inv
	ds_read_b64 v[0:1], v124 offset:248
	s_cmp_lt_i32 s7, 33
	s_cbranch_scc1 .LBB110_525
; %bb.523:
	v_add3_u32 v119, v125, 0, 0x100
	v_mov_b32_e32 v118, 31
	s_mov_b32 s0, 32
.LBB110_524:                            ; =>This Inner Loop Header: Depth=1
	ds_read_b64 v[128:129], v119
	v_add_nc_u32_e32 v119, 8, v119
	s_waitcnt lgkmcnt(0)
	v_cmp_lt_f64_e64 vcc_lo, |v[0:1]|, |v[128:129]|
	v_cndmask_b32_e32 v1, v1, v129, vcc_lo
	v_cndmask_b32_e32 v0, v0, v128, vcc_lo
	v_cndmask_b32_e64 v118, v118, s0, vcc_lo
	s_add_i32 s0, s0, 1
	s_cmp_lg_u32 s7, s0
	s_cbranch_scc1 .LBB110_524
.LBB110_525:
	s_mov_b32 s0, exec_lo
	s_waitcnt lgkmcnt(0)
	v_cmpx_eq_f64_e32 0, v[0:1]
	s_xor_b32 s0, exec_lo, s0
; %bb.526:
	v_cmp_ne_u32_e32 vcc_lo, 0, v121
	v_cndmask_b32_e32 v121, 32, v121, vcc_lo
; %bb.527:
	s_andn2_saveexec_b32 s0, s0
	s_cbranch_execz .LBB110_529
; %bb.528:
	v_div_scale_f64 v[119:120], null, v[0:1], v[0:1], 1.0
	v_rcp_f64_e32 v[128:129], v[119:120]
	v_fma_f64 v[130:131], -v[119:120], v[128:129], 1.0
	v_fma_f64 v[128:129], v[128:129], v[130:131], v[128:129]
	v_fma_f64 v[130:131], -v[119:120], v[128:129], 1.0
	v_fma_f64 v[128:129], v[128:129], v[130:131], v[128:129]
	v_div_scale_f64 v[130:131], vcc_lo, 1.0, v[0:1], 1.0
	v_mul_f64 v[132:133], v[130:131], v[128:129]
	v_fma_f64 v[119:120], -v[119:120], v[132:133], v[130:131]
	v_div_fmas_f64 v[119:120], v[119:120], v[128:129], v[132:133]
	v_div_fixup_f64 v[0:1], v[119:120], v[0:1], 1.0
.LBB110_529:
	s_or_b32 exec_lo, exec_lo, s0
	s_mov_b32 s0, exec_lo
	v_cmpx_ne_u32_e64 v127, v118
	s_xor_b32 s0, exec_lo, s0
	s_cbranch_execz .LBB110_535
; %bb.530:
	s_mov_b32 s1, exec_lo
	v_cmpx_eq_u32_e32 31, v127
	s_cbranch_execz .LBB110_534
; %bb.531:
	v_cmp_ne_u32_e32 vcc_lo, 31, v118
	s_xor_b32 s2, s6, -1
	s_and_b32 s3, s2, vcc_lo
	s_and_saveexec_b32 s2, s3
	s_cbranch_execz .LBB110_533
; %bb.532:
	v_ashrrev_i32_e32 v119, 31, v118
	v_lshlrev_b64 v[119:120], 2, v[118:119]
	v_add_co_u32 v119, vcc_lo, v4, v119
	v_add_co_ci_u32_e64 v120, null, v5, v120, vcc_lo
	s_clause 0x1
	global_load_dword v126, v[119:120], off
	global_load_dword v127, v[4:5], off offset:124
	s_waitcnt vmcnt(1)
	global_store_dword v[4:5], v126, off offset:124
	s_waitcnt vmcnt(0)
	global_store_dword v[119:120], v127, off
.LBB110_533:
	s_or_b32 exec_lo, exec_lo, s2
	v_mov_b32_e32 v126, v118
	v_mov_b32_e32 v127, v118
.LBB110_534:
	s_or_b32 exec_lo, exec_lo, s1
.LBB110_535:
	s_andn2_saveexec_b32 s0, s0
	s_cbranch_execz .LBB110_537
; %bb.536:
	v_mov_b32_e32 v118, v50
	v_mov_b32_e32 v119, v51
	;; [unrolled: 1-line block ×12, first 2 shown]
	ds_write2_b64 v124, v[118:119], v[127:128] offset0:32 offset1:33
	ds_write2_b64 v124, v[129:130], v[131:132] offset0:34 offset1:35
	;; [unrolled: 1-line block ×3, first 2 shown]
	v_mov_b32_e32 v118, v40
	v_mov_b32_e32 v119, v41
	;; [unrolled: 1-line block ×20, first 2 shown]
	ds_write2_b64 v124, v[118:119], v[127:128] offset0:38 offset1:39
	ds_write2_b64 v124, v[129:130], v[131:132] offset0:40 offset1:41
	;; [unrolled: 1-line block ×5, first 2 shown]
	v_mov_b32_e32 v118, v20
	v_mov_b32_e32 v119, v21
	;; [unrolled: 1-line block ×15, first 2 shown]
	ds_write2_b64 v124, v[118:119], v[128:129] offset0:48 offset1:49
	ds_write2_b64 v124, v[130:131], v[132:133] offset0:50 offset1:51
	;; [unrolled: 1-line block ×4, first 2 shown]
.LBB110_537:
	s_or_b32 exec_lo, exec_lo, s0
	s_mov_b32 s0, exec_lo
	s_waitcnt lgkmcnt(0)
	s_waitcnt_vscnt null, 0x0
	s_barrier
	buffer_gl0_inv
	v_cmpx_lt_i32_e32 31, v127
	s_cbranch_execz .LBB110_539
; %bb.538:
	v_mul_f64 v[52:53], v[0:1], v[52:53]
	ds_read2_b64 v[128:131], v124 offset0:32 offset1:33
	ds_read2_b64 v[132:135], v124 offset0:34 offset1:35
	;; [unrolled: 1-line block ×12, first 2 shown]
	s_waitcnt lgkmcnt(11)
	v_fma_f64 v[50:51], -v[52:53], v[128:129], v[50:51]
	v_fma_f64 v[48:49], -v[52:53], v[130:131], v[48:49]
	s_waitcnt lgkmcnt(10)
	v_fma_f64 v[46:47], -v[52:53], v[132:133], v[46:47]
	v_fma_f64 v[44:45], -v[52:53], v[134:135], v[44:45]
	;; [unrolled: 3-line block ×12, first 2 shown]
.LBB110_539:
	s_or_b32 exec_lo, exec_lo, s0
	v_lshl_add_u32 v0, v127, 3, v124
	s_barrier
	buffer_gl0_inv
	v_mov_b32_e32 v118, 32
	ds_write_b64 v0, v[50:51]
	s_waitcnt lgkmcnt(0)
	s_barrier
	buffer_gl0_inv
	ds_read_b64 v[0:1], v124 offset:256
	s_cmp_lt_i32 s7, 34
	s_cbranch_scc1 .LBB110_542
; %bb.540:
	v_add3_u32 v119, v125, 0, 0x108
	v_mov_b32_e32 v118, 32
	s_mov_b32 s0, 33
.LBB110_541:                            ; =>This Inner Loop Header: Depth=1
	ds_read_b64 v[128:129], v119
	v_add_nc_u32_e32 v119, 8, v119
	s_waitcnt lgkmcnt(0)
	v_cmp_lt_f64_e64 vcc_lo, |v[0:1]|, |v[128:129]|
	v_cndmask_b32_e32 v1, v1, v129, vcc_lo
	v_cndmask_b32_e32 v0, v0, v128, vcc_lo
	v_cndmask_b32_e64 v118, v118, s0, vcc_lo
	s_add_i32 s0, s0, 1
	s_cmp_lg_u32 s7, s0
	s_cbranch_scc1 .LBB110_541
.LBB110_542:
	s_mov_b32 s0, exec_lo
	s_waitcnt lgkmcnt(0)
	v_cmpx_eq_f64_e32 0, v[0:1]
	s_xor_b32 s0, exec_lo, s0
; %bb.543:
	v_cmp_ne_u32_e32 vcc_lo, 0, v121
	v_cndmask_b32_e32 v121, 33, v121, vcc_lo
; %bb.544:
	s_andn2_saveexec_b32 s0, s0
	s_cbranch_execz .LBB110_546
; %bb.545:
	v_div_scale_f64 v[119:120], null, v[0:1], v[0:1], 1.0
	v_rcp_f64_e32 v[128:129], v[119:120]
	v_fma_f64 v[130:131], -v[119:120], v[128:129], 1.0
	v_fma_f64 v[128:129], v[128:129], v[130:131], v[128:129]
	v_fma_f64 v[130:131], -v[119:120], v[128:129], 1.0
	v_fma_f64 v[128:129], v[128:129], v[130:131], v[128:129]
	v_div_scale_f64 v[130:131], vcc_lo, 1.0, v[0:1], 1.0
	v_mul_f64 v[132:133], v[130:131], v[128:129]
	v_fma_f64 v[119:120], -v[119:120], v[132:133], v[130:131]
	v_div_fmas_f64 v[119:120], v[119:120], v[128:129], v[132:133]
	v_div_fixup_f64 v[0:1], v[119:120], v[0:1], 1.0
.LBB110_546:
	s_or_b32 exec_lo, exec_lo, s0
	s_mov_b32 s0, exec_lo
	v_cmpx_ne_u32_e64 v127, v118
	s_xor_b32 s0, exec_lo, s0
	s_cbranch_execz .LBB110_552
; %bb.547:
	s_mov_b32 s1, exec_lo
	v_cmpx_eq_u32_e32 32, v127
	s_cbranch_execz .LBB110_551
; %bb.548:
	v_cmp_ne_u32_e32 vcc_lo, 32, v118
	s_xor_b32 s2, s6, -1
	s_and_b32 s3, s2, vcc_lo
	s_and_saveexec_b32 s2, s3
	s_cbranch_execz .LBB110_550
; %bb.549:
	v_ashrrev_i32_e32 v119, 31, v118
	v_lshlrev_b64 v[119:120], 2, v[118:119]
	v_add_co_u32 v119, vcc_lo, v4, v119
	v_add_co_ci_u32_e64 v120, null, v5, v120, vcc_lo
	s_clause 0x1
	global_load_dword v126, v[119:120], off
	global_load_dword v127, v[4:5], off offset:128
	s_waitcnt vmcnt(1)
	global_store_dword v[4:5], v126, off offset:128
	s_waitcnt vmcnt(0)
	global_store_dword v[119:120], v127, off
.LBB110_550:
	s_or_b32 exec_lo, exec_lo, s2
	v_mov_b32_e32 v126, v118
	v_mov_b32_e32 v127, v118
.LBB110_551:
	s_or_b32 exec_lo, exec_lo, s1
.LBB110_552:
	s_andn2_saveexec_b32 s0, s0
	s_cbranch_execz .LBB110_554
; %bb.553:
	v_mov_b32_e32 v127, 32
	ds_write2_b64 v124, v[48:49], v[46:47] offset0:33 offset1:34
	ds_write2_b64 v124, v[44:45], v[42:43] offset0:35 offset1:36
	;; [unrolled: 1-line block ×11, first 2 shown]
	ds_write_b64 v124, v[116:117] offset:440
.LBB110_554:
	s_or_b32 exec_lo, exec_lo, s0
	s_mov_b32 s0, exec_lo
	s_waitcnt lgkmcnt(0)
	s_waitcnt_vscnt null, 0x0
	s_barrier
	buffer_gl0_inv
	v_cmpx_lt_i32_e32 32, v127
	s_cbranch_execz .LBB110_556
; %bb.555:
	v_mul_f64 v[50:51], v[0:1], v[50:51]
	ds_read2_b64 v[128:131], v124 offset0:33 offset1:34
	ds_read2_b64 v[132:135], v124 offset0:35 offset1:36
	;; [unrolled: 1-line block ×11, first 2 shown]
	ds_read_b64 v[0:1], v124 offset:440
	s_waitcnt lgkmcnt(11)
	v_fma_f64 v[48:49], -v[50:51], v[128:129], v[48:49]
	v_fma_f64 v[46:47], -v[50:51], v[130:131], v[46:47]
	s_waitcnt lgkmcnt(10)
	v_fma_f64 v[44:45], -v[50:51], v[132:133], v[44:45]
	v_fma_f64 v[42:43], -v[50:51], v[134:135], v[42:43]
	;; [unrolled: 3-line block ×11, first 2 shown]
	s_waitcnt lgkmcnt(0)
	v_fma_f64 v[116:117], -v[50:51], v[0:1], v[116:117]
.LBB110_556:
	s_or_b32 exec_lo, exec_lo, s0
	v_lshl_add_u32 v0, v127, 3, v124
	s_barrier
	buffer_gl0_inv
	v_mov_b32_e32 v118, 33
	ds_write_b64 v0, v[48:49]
	s_waitcnt lgkmcnt(0)
	s_barrier
	buffer_gl0_inv
	ds_read_b64 v[0:1], v124 offset:264
	s_cmp_lt_i32 s7, 35
	s_cbranch_scc1 .LBB110_559
; %bb.557:
	v_add3_u32 v119, v125, 0, 0x110
	v_mov_b32_e32 v118, 33
	s_mov_b32 s0, 34
.LBB110_558:                            ; =>This Inner Loop Header: Depth=1
	ds_read_b64 v[128:129], v119
	v_add_nc_u32_e32 v119, 8, v119
	s_waitcnt lgkmcnt(0)
	v_cmp_lt_f64_e64 vcc_lo, |v[0:1]|, |v[128:129]|
	v_cndmask_b32_e32 v1, v1, v129, vcc_lo
	v_cndmask_b32_e32 v0, v0, v128, vcc_lo
	v_cndmask_b32_e64 v118, v118, s0, vcc_lo
	s_add_i32 s0, s0, 1
	s_cmp_lg_u32 s7, s0
	s_cbranch_scc1 .LBB110_558
.LBB110_559:
	s_mov_b32 s0, exec_lo
	s_waitcnt lgkmcnt(0)
	v_cmpx_eq_f64_e32 0, v[0:1]
	s_xor_b32 s0, exec_lo, s0
; %bb.560:
	v_cmp_ne_u32_e32 vcc_lo, 0, v121
	v_cndmask_b32_e32 v121, 34, v121, vcc_lo
; %bb.561:
	s_andn2_saveexec_b32 s0, s0
	s_cbranch_execz .LBB110_563
; %bb.562:
	v_div_scale_f64 v[119:120], null, v[0:1], v[0:1], 1.0
	v_rcp_f64_e32 v[128:129], v[119:120]
	v_fma_f64 v[130:131], -v[119:120], v[128:129], 1.0
	v_fma_f64 v[128:129], v[128:129], v[130:131], v[128:129]
	v_fma_f64 v[130:131], -v[119:120], v[128:129], 1.0
	v_fma_f64 v[128:129], v[128:129], v[130:131], v[128:129]
	v_div_scale_f64 v[130:131], vcc_lo, 1.0, v[0:1], 1.0
	v_mul_f64 v[132:133], v[130:131], v[128:129]
	v_fma_f64 v[119:120], -v[119:120], v[132:133], v[130:131]
	v_div_fmas_f64 v[119:120], v[119:120], v[128:129], v[132:133]
	v_div_fixup_f64 v[0:1], v[119:120], v[0:1], 1.0
.LBB110_563:
	s_or_b32 exec_lo, exec_lo, s0
	s_mov_b32 s0, exec_lo
	v_cmpx_ne_u32_e64 v127, v118
	s_xor_b32 s0, exec_lo, s0
	s_cbranch_execz .LBB110_569
; %bb.564:
	s_mov_b32 s1, exec_lo
	v_cmpx_eq_u32_e32 33, v127
	s_cbranch_execz .LBB110_568
; %bb.565:
	v_cmp_ne_u32_e32 vcc_lo, 33, v118
	s_xor_b32 s2, s6, -1
	s_and_b32 s3, s2, vcc_lo
	s_and_saveexec_b32 s2, s3
	s_cbranch_execz .LBB110_567
; %bb.566:
	v_ashrrev_i32_e32 v119, 31, v118
	v_lshlrev_b64 v[119:120], 2, v[118:119]
	v_add_co_u32 v119, vcc_lo, v4, v119
	v_add_co_ci_u32_e64 v120, null, v5, v120, vcc_lo
	s_clause 0x1
	global_load_dword v126, v[119:120], off
	global_load_dword v127, v[4:5], off offset:132
	s_waitcnt vmcnt(1)
	global_store_dword v[4:5], v126, off offset:132
	s_waitcnt vmcnt(0)
	global_store_dword v[119:120], v127, off
.LBB110_567:
	s_or_b32 exec_lo, exec_lo, s2
	v_mov_b32_e32 v126, v118
	v_mov_b32_e32 v127, v118
.LBB110_568:
	s_or_b32 exec_lo, exec_lo, s1
.LBB110_569:
	s_andn2_saveexec_b32 s0, s0
	s_cbranch_execz .LBB110_571
; %bb.570:
	v_mov_b32_e32 v118, v46
	v_mov_b32_e32 v119, v47
	;; [unrolled: 1-line block ×8, first 2 shown]
	ds_write2_b64 v124, v[118:119], v[127:128] offset0:34 offset1:35
	ds_write2_b64 v124, v[129:130], v[131:132] offset0:36 offset1:37
	v_mov_b32_e32 v118, v40
	v_mov_b32_e32 v119, v41
	;; [unrolled: 1-line block ×20, first 2 shown]
	ds_write2_b64 v124, v[118:119], v[127:128] offset0:38 offset1:39
	ds_write2_b64 v124, v[129:130], v[131:132] offset0:40 offset1:41
	;; [unrolled: 1-line block ×5, first 2 shown]
	v_mov_b32_e32 v118, v20
	v_mov_b32_e32 v119, v21
	;; [unrolled: 1-line block ×15, first 2 shown]
	ds_write2_b64 v124, v[118:119], v[128:129] offset0:48 offset1:49
	ds_write2_b64 v124, v[130:131], v[132:133] offset0:50 offset1:51
	;; [unrolled: 1-line block ×4, first 2 shown]
.LBB110_571:
	s_or_b32 exec_lo, exec_lo, s0
	s_mov_b32 s0, exec_lo
	s_waitcnt lgkmcnt(0)
	s_waitcnt_vscnt null, 0x0
	s_barrier
	buffer_gl0_inv
	v_cmpx_lt_i32_e32 33, v127
	s_cbranch_execz .LBB110_573
; %bb.572:
	v_mul_f64 v[48:49], v[0:1], v[48:49]
	ds_read2_b64 v[128:131], v124 offset0:34 offset1:35
	ds_read2_b64 v[132:135], v124 offset0:36 offset1:37
	;; [unrolled: 1-line block ×11, first 2 shown]
	s_waitcnt lgkmcnt(10)
	v_fma_f64 v[46:47], -v[48:49], v[128:129], v[46:47]
	v_fma_f64 v[44:45], -v[48:49], v[130:131], v[44:45]
	s_waitcnt lgkmcnt(9)
	v_fma_f64 v[42:43], -v[48:49], v[132:133], v[42:43]
	v_fma_f64 v[38:39], -v[48:49], v[134:135], v[38:39]
	;; [unrolled: 3-line block ×11, first 2 shown]
.LBB110_573:
	s_or_b32 exec_lo, exec_lo, s0
	v_lshl_add_u32 v0, v127, 3, v124
	s_barrier
	buffer_gl0_inv
	v_mov_b32_e32 v118, 34
	ds_write_b64 v0, v[46:47]
	s_waitcnt lgkmcnt(0)
	s_barrier
	buffer_gl0_inv
	ds_read_b64 v[0:1], v124 offset:272
	s_cmp_lt_i32 s7, 36
	s_cbranch_scc1 .LBB110_576
; %bb.574:
	v_add3_u32 v119, v125, 0, 0x118
	v_mov_b32_e32 v118, 34
	s_mov_b32 s0, 35
.LBB110_575:                            ; =>This Inner Loop Header: Depth=1
	ds_read_b64 v[128:129], v119
	v_add_nc_u32_e32 v119, 8, v119
	s_waitcnt lgkmcnt(0)
	v_cmp_lt_f64_e64 vcc_lo, |v[0:1]|, |v[128:129]|
	v_cndmask_b32_e32 v1, v1, v129, vcc_lo
	v_cndmask_b32_e32 v0, v0, v128, vcc_lo
	v_cndmask_b32_e64 v118, v118, s0, vcc_lo
	s_add_i32 s0, s0, 1
	s_cmp_lg_u32 s7, s0
	s_cbranch_scc1 .LBB110_575
.LBB110_576:
	s_mov_b32 s0, exec_lo
	s_waitcnt lgkmcnt(0)
	v_cmpx_eq_f64_e32 0, v[0:1]
	s_xor_b32 s0, exec_lo, s0
; %bb.577:
	v_cmp_ne_u32_e32 vcc_lo, 0, v121
	v_cndmask_b32_e32 v121, 35, v121, vcc_lo
; %bb.578:
	s_andn2_saveexec_b32 s0, s0
	s_cbranch_execz .LBB110_580
; %bb.579:
	v_div_scale_f64 v[119:120], null, v[0:1], v[0:1], 1.0
	v_rcp_f64_e32 v[128:129], v[119:120]
	v_fma_f64 v[130:131], -v[119:120], v[128:129], 1.0
	v_fma_f64 v[128:129], v[128:129], v[130:131], v[128:129]
	v_fma_f64 v[130:131], -v[119:120], v[128:129], 1.0
	v_fma_f64 v[128:129], v[128:129], v[130:131], v[128:129]
	v_div_scale_f64 v[130:131], vcc_lo, 1.0, v[0:1], 1.0
	v_mul_f64 v[132:133], v[130:131], v[128:129]
	v_fma_f64 v[119:120], -v[119:120], v[132:133], v[130:131]
	v_div_fmas_f64 v[119:120], v[119:120], v[128:129], v[132:133]
	v_div_fixup_f64 v[0:1], v[119:120], v[0:1], 1.0
.LBB110_580:
	s_or_b32 exec_lo, exec_lo, s0
	s_mov_b32 s0, exec_lo
	v_cmpx_ne_u32_e64 v127, v118
	s_xor_b32 s0, exec_lo, s0
	s_cbranch_execz .LBB110_586
; %bb.581:
	s_mov_b32 s1, exec_lo
	v_cmpx_eq_u32_e32 34, v127
	s_cbranch_execz .LBB110_585
; %bb.582:
	v_cmp_ne_u32_e32 vcc_lo, 34, v118
	s_xor_b32 s2, s6, -1
	s_and_b32 s3, s2, vcc_lo
	s_and_saveexec_b32 s2, s3
	s_cbranch_execz .LBB110_584
; %bb.583:
	v_ashrrev_i32_e32 v119, 31, v118
	v_lshlrev_b64 v[119:120], 2, v[118:119]
	v_add_co_u32 v119, vcc_lo, v4, v119
	v_add_co_ci_u32_e64 v120, null, v5, v120, vcc_lo
	s_clause 0x1
	global_load_dword v126, v[119:120], off
	global_load_dword v127, v[4:5], off offset:136
	s_waitcnt vmcnt(1)
	global_store_dword v[4:5], v126, off offset:136
	s_waitcnt vmcnt(0)
	global_store_dword v[119:120], v127, off
.LBB110_584:
	s_or_b32 exec_lo, exec_lo, s2
	v_mov_b32_e32 v126, v118
	v_mov_b32_e32 v127, v118
.LBB110_585:
	s_or_b32 exec_lo, exec_lo, s1
.LBB110_586:
	s_andn2_saveexec_b32 s0, s0
	s_cbranch_execz .LBB110_588
; %bb.587:
	v_mov_b32_e32 v127, 34
	ds_write2_b64 v124, v[44:45], v[42:43] offset0:35 offset1:36
	ds_write2_b64 v124, v[38:39], v[40:41] offset0:37 offset1:38
	;; [unrolled: 1-line block ×10, first 2 shown]
	ds_write_b64 v124, v[116:117] offset:440
.LBB110_588:
	s_or_b32 exec_lo, exec_lo, s0
	s_mov_b32 s0, exec_lo
	s_waitcnt lgkmcnt(0)
	s_waitcnt_vscnt null, 0x0
	s_barrier
	buffer_gl0_inv
	v_cmpx_lt_i32_e32 34, v127
	s_cbranch_execz .LBB110_590
; %bb.589:
	v_mul_f64 v[46:47], v[0:1], v[46:47]
	ds_read2_b64 v[128:131], v124 offset0:35 offset1:36
	ds_read2_b64 v[132:135], v124 offset0:37 offset1:38
	;; [unrolled: 1-line block ×10, first 2 shown]
	ds_read_b64 v[0:1], v124 offset:440
	s_waitcnt lgkmcnt(10)
	v_fma_f64 v[44:45], -v[46:47], v[128:129], v[44:45]
	v_fma_f64 v[42:43], -v[46:47], v[130:131], v[42:43]
	s_waitcnt lgkmcnt(9)
	v_fma_f64 v[38:39], -v[46:47], v[132:133], v[38:39]
	v_fma_f64 v[40:41], -v[46:47], v[134:135], v[40:41]
	;; [unrolled: 3-line block ×10, first 2 shown]
	s_waitcnt lgkmcnt(0)
	v_fma_f64 v[116:117], -v[46:47], v[0:1], v[116:117]
.LBB110_590:
	s_or_b32 exec_lo, exec_lo, s0
	v_lshl_add_u32 v0, v127, 3, v124
	s_barrier
	buffer_gl0_inv
	v_mov_b32_e32 v118, 35
	ds_write_b64 v0, v[44:45]
	s_waitcnt lgkmcnt(0)
	s_barrier
	buffer_gl0_inv
	ds_read_b64 v[0:1], v124 offset:280
	s_cmp_lt_i32 s7, 37
	s_cbranch_scc1 .LBB110_593
; %bb.591:
	v_add3_u32 v119, v125, 0, 0x120
	v_mov_b32_e32 v118, 35
	s_mov_b32 s0, 36
.LBB110_592:                            ; =>This Inner Loop Header: Depth=1
	ds_read_b64 v[128:129], v119
	v_add_nc_u32_e32 v119, 8, v119
	s_waitcnt lgkmcnt(0)
	v_cmp_lt_f64_e64 vcc_lo, |v[0:1]|, |v[128:129]|
	v_cndmask_b32_e32 v1, v1, v129, vcc_lo
	v_cndmask_b32_e32 v0, v0, v128, vcc_lo
	v_cndmask_b32_e64 v118, v118, s0, vcc_lo
	s_add_i32 s0, s0, 1
	s_cmp_lg_u32 s7, s0
	s_cbranch_scc1 .LBB110_592
.LBB110_593:
	s_mov_b32 s0, exec_lo
	s_waitcnt lgkmcnt(0)
	v_cmpx_eq_f64_e32 0, v[0:1]
	s_xor_b32 s0, exec_lo, s0
; %bb.594:
	v_cmp_ne_u32_e32 vcc_lo, 0, v121
	v_cndmask_b32_e32 v121, 36, v121, vcc_lo
; %bb.595:
	s_andn2_saveexec_b32 s0, s0
	s_cbranch_execz .LBB110_597
; %bb.596:
	v_div_scale_f64 v[119:120], null, v[0:1], v[0:1], 1.0
	v_rcp_f64_e32 v[128:129], v[119:120]
	v_fma_f64 v[130:131], -v[119:120], v[128:129], 1.0
	v_fma_f64 v[128:129], v[128:129], v[130:131], v[128:129]
	v_fma_f64 v[130:131], -v[119:120], v[128:129], 1.0
	v_fma_f64 v[128:129], v[128:129], v[130:131], v[128:129]
	v_div_scale_f64 v[130:131], vcc_lo, 1.0, v[0:1], 1.0
	v_mul_f64 v[132:133], v[130:131], v[128:129]
	v_fma_f64 v[119:120], -v[119:120], v[132:133], v[130:131]
	v_div_fmas_f64 v[119:120], v[119:120], v[128:129], v[132:133]
	v_div_fixup_f64 v[0:1], v[119:120], v[0:1], 1.0
.LBB110_597:
	s_or_b32 exec_lo, exec_lo, s0
	s_mov_b32 s0, exec_lo
	v_cmpx_ne_u32_e64 v127, v118
	s_xor_b32 s0, exec_lo, s0
	s_cbranch_execz .LBB110_603
; %bb.598:
	s_mov_b32 s1, exec_lo
	v_cmpx_eq_u32_e32 35, v127
	s_cbranch_execz .LBB110_602
; %bb.599:
	v_cmp_ne_u32_e32 vcc_lo, 35, v118
	s_xor_b32 s2, s6, -1
	s_and_b32 s3, s2, vcc_lo
	s_and_saveexec_b32 s2, s3
	s_cbranch_execz .LBB110_601
; %bb.600:
	v_ashrrev_i32_e32 v119, 31, v118
	v_lshlrev_b64 v[119:120], 2, v[118:119]
	v_add_co_u32 v119, vcc_lo, v4, v119
	v_add_co_ci_u32_e64 v120, null, v5, v120, vcc_lo
	s_clause 0x1
	global_load_dword v126, v[119:120], off
	global_load_dword v127, v[4:5], off offset:140
	s_waitcnt vmcnt(1)
	global_store_dword v[4:5], v126, off offset:140
	s_waitcnt vmcnt(0)
	global_store_dword v[119:120], v127, off
.LBB110_601:
	s_or_b32 exec_lo, exec_lo, s2
	v_mov_b32_e32 v126, v118
	v_mov_b32_e32 v127, v118
.LBB110_602:
	s_or_b32 exec_lo, exec_lo, s1
.LBB110_603:
	s_andn2_saveexec_b32 s0, s0
	s_cbranch_execz .LBB110_605
; %bb.604:
	v_mov_b32_e32 v118, v42
	v_mov_b32_e32 v119, v43
	;; [unrolled: 1-line block ×8, first 2 shown]
	ds_write2_b64 v124, v[118:119], v[127:128] offset0:36 offset1:37
	v_mov_b32_e32 v118, v34
	v_mov_b32_e32 v119, v35
	;; [unrolled: 1-line block ×16, first 2 shown]
	ds_write2_b64 v124, v[129:130], v[118:119] offset0:38 offset1:39
	ds_write2_b64 v124, v[127:128], v[131:132] offset0:40 offset1:41
	;; [unrolled: 1-line block ×5, first 2 shown]
	v_mov_b32_e32 v118, v20
	v_mov_b32_e32 v119, v21
	;; [unrolled: 1-line block ×15, first 2 shown]
	ds_write2_b64 v124, v[118:119], v[128:129] offset0:48 offset1:49
	ds_write2_b64 v124, v[130:131], v[132:133] offset0:50 offset1:51
	;; [unrolled: 1-line block ×4, first 2 shown]
.LBB110_605:
	s_or_b32 exec_lo, exec_lo, s0
	s_mov_b32 s0, exec_lo
	s_waitcnt lgkmcnt(0)
	s_waitcnt_vscnt null, 0x0
	s_barrier
	buffer_gl0_inv
	v_cmpx_lt_i32_e32 35, v127
	s_cbranch_execz .LBB110_607
; %bb.606:
	v_mul_f64 v[44:45], v[0:1], v[44:45]
	ds_read2_b64 v[128:131], v124 offset0:36 offset1:37
	ds_read2_b64 v[132:135], v124 offset0:38 offset1:39
	;; [unrolled: 1-line block ×10, first 2 shown]
	s_waitcnt lgkmcnt(9)
	v_fma_f64 v[42:43], -v[44:45], v[128:129], v[42:43]
	v_fma_f64 v[38:39], -v[44:45], v[130:131], v[38:39]
	s_waitcnt lgkmcnt(8)
	v_fma_f64 v[40:41], -v[44:45], v[132:133], v[40:41]
	v_fma_f64 v[34:35], -v[44:45], v[134:135], v[34:35]
	s_waitcnt lgkmcnt(7)
	v_fma_f64 v[36:37], -v[44:45], v[136:137], v[36:37]
	v_fma_f64 v[32:33], -v[44:45], v[138:139], v[32:33]
	s_waitcnt lgkmcnt(6)
	v_fma_f64 v[30:31], -v[44:45], v[140:141], v[30:31]
	v_fma_f64 v[28:29], -v[44:45], v[142:143], v[28:29]
	s_waitcnt lgkmcnt(5)
	v_fma_f64 v[26:27], -v[44:45], v[144:145], v[26:27]
	v_fma_f64 v[24:25], -v[44:45], v[146:147], v[24:25]
	s_waitcnt lgkmcnt(4)
	v_fma_f64 v[22:23], -v[44:45], v[148:149], v[22:23]
	v_fma_f64 v[18:19], -v[44:45], v[150:151], v[18:19]
	s_waitcnt lgkmcnt(3)
	v_fma_f64 v[20:21], -v[44:45], v[152:153], v[20:21]
	v_fma_f64 v[16:17], -v[44:45], v[154:155], v[16:17]
	s_waitcnt lgkmcnt(2)
	v_fma_f64 v[14:15], -v[44:45], v[156:157], v[14:15]
	v_fma_f64 v[8:9], -v[44:45], v[158:159], v[8:9]
	s_waitcnt lgkmcnt(1)
	v_fma_f64 v[12:13], -v[44:45], v[160:161], v[12:13]
	v_fma_f64 v[6:7], -v[44:45], v[162:163], v[6:7]
	s_waitcnt lgkmcnt(0)
	v_fma_f64 v[10:11], -v[44:45], v[164:165], v[10:11]
	v_fma_f64 v[116:117], -v[44:45], v[166:167], v[116:117]
.LBB110_607:
	s_or_b32 exec_lo, exec_lo, s0
	v_lshl_add_u32 v0, v127, 3, v124
	s_barrier
	buffer_gl0_inv
	v_mov_b32_e32 v118, 36
	ds_write_b64 v0, v[42:43]
	s_waitcnt lgkmcnt(0)
	s_barrier
	buffer_gl0_inv
	ds_read_b64 v[0:1], v124 offset:288
	s_cmp_lt_i32 s7, 38
	s_cbranch_scc1 .LBB110_610
; %bb.608:
	v_add3_u32 v119, v125, 0, 0x128
	v_mov_b32_e32 v118, 36
	s_mov_b32 s0, 37
.LBB110_609:                            ; =>This Inner Loop Header: Depth=1
	ds_read_b64 v[128:129], v119
	v_add_nc_u32_e32 v119, 8, v119
	s_waitcnt lgkmcnt(0)
	v_cmp_lt_f64_e64 vcc_lo, |v[0:1]|, |v[128:129]|
	v_cndmask_b32_e32 v1, v1, v129, vcc_lo
	v_cndmask_b32_e32 v0, v0, v128, vcc_lo
	v_cndmask_b32_e64 v118, v118, s0, vcc_lo
	s_add_i32 s0, s0, 1
	s_cmp_lg_u32 s7, s0
	s_cbranch_scc1 .LBB110_609
.LBB110_610:
	s_mov_b32 s0, exec_lo
	s_waitcnt lgkmcnt(0)
	v_cmpx_eq_f64_e32 0, v[0:1]
	s_xor_b32 s0, exec_lo, s0
; %bb.611:
	v_cmp_ne_u32_e32 vcc_lo, 0, v121
	v_cndmask_b32_e32 v121, 37, v121, vcc_lo
; %bb.612:
	s_andn2_saveexec_b32 s0, s0
	s_cbranch_execz .LBB110_614
; %bb.613:
	v_div_scale_f64 v[119:120], null, v[0:1], v[0:1], 1.0
	v_rcp_f64_e32 v[128:129], v[119:120]
	v_fma_f64 v[130:131], -v[119:120], v[128:129], 1.0
	v_fma_f64 v[128:129], v[128:129], v[130:131], v[128:129]
	v_fma_f64 v[130:131], -v[119:120], v[128:129], 1.0
	v_fma_f64 v[128:129], v[128:129], v[130:131], v[128:129]
	v_div_scale_f64 v[130:131], vcc_lo, 1.0, v[0:1], 1.0
	v_mul_f64 v[132:133], v[130:131], v[128:129]
	v_fma_f64 v[119:120], -v[119:120], v[132:133], v[130:131]
	v_div_fmas_f64 v[119:120], v[119:120], v[128:129], v[132:133]
	v_div_fixup_f64 v[0:1], v[119:120], v[0:1], 1.0
.LBB110_614:
	s_or_b32 exec_lo, exec_lo, s0
	s_mov_b32 s0, exec_lo
	v_cmpx_ne_u32_e64 v127, v118
	s_xor_b32 s0, exec_lo, s0
	s_cbranch_execz .LBB110_620
; %bb.615:
	s_mov_b32 s1, exec_lo
	v_cmpx_eq_u32_e32 36, v127
	s_cbranch_execz .LBB110_619
; %bb.616:
	v_cmp_ne_u32_e32 vcc_lo, 36, v118
	s_xor_b32 s2, s6, -1
	s_and_b32 s3, s2, vcc_lo
	s_and_saveexec_b32 s2, s3
	s_cbranch_execz .LBB110_618
; %bb.617:
	v_ashrrev_i32_e32 v119, 31, v118
	v_lshlrev_b64 v[119:120], 2, v[118:119]
	v_add_co_u32 v119, vcc_lo, v4, v119
	v_add_co_ci_u32_e64 v120, null, v5, v120, vcc_lo
	s_clause 0x1
	global_load_dword v126, v[119:120], off
	global_load_dword v127, v[4:5], off offset:144
	s_waitcnt vmcnt(1)
	global_store_dword v[4:5], v126, off offset:144
	s_waitcnt vmcnt(0)
	global_store_dword v[119:120], v127, off
.LBB110_618:
	s_or_b32 exec_lo, exec_lo, s2
	v_mov_b32_e32 v126, v118
	v_mov_b32_e32 v127, v118
.LBB110_619:
	s_or_b32 exec_lo, exec_lo, s1
.LBB110_620:
	s_andn2_saveexec_b32 s0, s0
	s_cbranch_execz .LBB110_622
; %bb.621:
	v_mov_b32_e32 v127, 36
	ds_write2_b64 v124, v[38:39], v[40:41] offset0:37 offset1:38
	ds_write2_b64 v124, v[34:35], v[36:37] offset0:39 offset1:40
	;; [unrolled: 1-line block ×9, first 2 shown]
	ds_write_b64 v124, v[116:117] offset:440
.LBB110_622:
	s_or_b32 exec_lo, exec_lo, s0
	s_mov_b32 s0, exec_lo
	s_waitcnt lgkmcnt(0)
	s_waitcnt_vscnt null, 0x0
	s_barrier
	buffer_gl0_inv
	v_cmpx_lt_i32_e32 36, v127
	s_cbranch_execz .LBB110_624
; %bb.623:
	v_mul_f64 v[42:43], v[0:1], v[42:43]
	ds_read2_b64 v[128:131], v124 offset0:37 offset1:38
	ds_read2_b64 v[132:135], v124 offset0:39 offset1:40
	;; [unrolled: 1-line block ×9, first 2 shown]
	ds_read_b64 v[0:1], v124 offset:440
	s_waitcnt lgkmcnt(9)
	v_fma_f64 v[38:39], -v[42:43], v[128:129], v[38:39]
	v_fma_f64 v[40:41], -v[42:43], v[130:131], v[40:41]
	s_waitcnt lgkmcnt(8)
	v_fma_f64 v[34:35], -v[42:43], v[132:133], v[34:35]
	v_fma_f64 v[36:37], -v[42:43], v[134:135], v[36:37]
	;; [unrolled: 3-line block ×9, first 2 shown]
	s_waitcnt lgkmcnt(0)
	v_fma_f64 v[116:117], -v[42:43], v[0:1], v[116:117]
.LBB110_624:
	s_or_b32 exec_lo, exec_lo, s0
	v_lshl_add_u32 v0, v127, 3, v124
	s_barrier
	buffer_gl0_inv
	v_mov_b32_e32 v118, 37
	ds_write_b64 v0, v[38:39]
	s_waitcnt lgkmcnt(0)
	s_barrier
	buffer_gl0_inv
	ds_read_b64 v[0:1], v124 offset:296
	s_cmp_lt_i32 s7, 39
	s_cbranch_scc1 .LBB110_627
; %bb.625:
	v_add3_u32 v119, v125, 0, 0x130
	v_mov_b32_e32 v118, 37
	s_mov_b32 s0, 38
.LBB110_626:                            ; =>This Inner Loop Header: Depth=1
	ds_read_b64 v[128:129], v119
	v_add_nc_u32_e32 v119, 8, v119
	s_waitcnt lgkmcnt(0)
	v_cmp_lt_f64_e64 vcc_lo, |v[0:1]|, |v[128:129]|
	v_cndmask_b32_e32 v1, v1, v129, vcc_lo
	v_cndmask_b32_e32 v0, v0, v128, vcc_lo
	v_cndmask_b32_e64 v118, v118, s0, vcc_lo
	s_add_i32 s0, s0, 1
	s_cmp_lg_u32 s7, s0
	s_cbranch_scc1 .LBB110_626
.LBB110_627:
	s_mov_b32 s0, exec_lo
	s_waitcnt lgkmcnt(0)
	v_cmpx_eq_f64_e32 0, v[0:1]
	s_xor_b32 s0, exec_lo, s0
; %bb.628:
	v_cmp_ne_u32_e32 vcc_lo, 0, v121
	v_cndmask_b32_e32 v121, 38, v121, vcc_lo
; %bb.629:
	s_andn2_saveexec_b32 s0, s0
	s_cbranch_execz .LBB110_631
; %bb.630:
	v_div_scale_f64 v[119:120], null, v[0:1], v[0:1], 1.0
	v_rcp_f64_e32 v[128:129], v[119:120]
	v_fma_f64 v[130:131], -v[119:120], v[128:129], 1.0
	v_fma_f64 v[128:129], v[128:129], v[130:131], v[128:129]
	v_fma_f64 v[130:131], -v[119:120], v[128:129], 1.0
	v_fma_f64 v[128:129], v[128:129], v[130:131], v[128:129]
	v_div_scale_f64 v[130:131], vcc_lo, 1.0, v[0:1], 1.0
	v_mul_f64 v[132:133], v[130:131], v[128:129]
	v_fma_f64 v[119:120], -v[119:120], v[132:133], v[130:131]
	v_div_fmas_f64 v[119:120], v[119:120], v[128:129], v[132:133]
	v_div_fixup_f64 v[0:1], v[119:120], v[0:1], 1.0
.LBB110_631:
	s_or_b32 exec_lo, exec_lo, s0
	s_mov_b32 s0, exec_lo
	v_cmpx_ne_u32_e64 v127, v118
	s_xor_b32 s0, exec_lo, s0
	s_cbranch_execz .LBB110_637
; %bb.632:
	s_mov_b32 s1, exec_lo
	v_cmpx_eq_u32_e32 37, v127
	s_cbranch_execz .LBB110_636
; %bb.633:
	v_cmp_ne_u32_e32 vcc_lo, 37, v118
	s_xor_b32 s2, s6, -1
	s_and_b32 s3, s2, vcc_lo
	s_and_saveexec_b32 s2, s3
	s_cbranch_execz .LBB110_635
; %bb.634:
	v_ashrrev_i32_e32 v119, 31, v118
	v_lshlrev_b64 v[119:120], 2, v[118:119]
	v_add_co_u32 v119, vcc_lo, v4, v119
	v_add_co_ci_u32_e64 v120, null, v5, v120, vcc_lo
	s_clause 0x1
	global_load_dword v126, v[119:120], off
	global_load_dword v127, v[4:5], off offset:148
	s_waitcnt vmcnt(1)
	global_store_dword v[4:5], v126, off offset:148
	s_waitcnt vmcnt(0)
	global_store_dword v[119:120], v127, off
.LBB110_635:
	s_or_b32 exec_lo, exec_lo, s2
	v_mov_b32_e32 v126, v118
	v_mov_b32_e32 v127, v118
.LBB110_636:
	s_or_b32 exec_lo, exec_lo, s1
.LBB110_637:
	s_andn2_saveexec_b32 s0, s0
	s_cbranch_execz .LBB110_639
; %bb.638:
	v_mov_b32_e32 v118, v40
	v_mov_b32_e32 v119, v41
	;; [unrolled: 1-line block ×20, first 2 shown]
	ds_write2_b64 v124, v[118:119], v[127:128] offset0:38 offset1:39
	ds_write2_b64 v124, v[129:130], v[131:132] offset0:40 offset1:41
	;; [unrolled: 1-line block ×5, first 2 shown]
	v_mov_b32_e32 v118, v20
	v_mov_b32_e32 v119, v21
	;; [unrolled: 1-line block ×15, first 2 shown]
	ds_write2_b64 v124, v[118:119], v[128:129] offset0:48 offset1:49
	ds_write2_b64 v124, v[130:131], v[132:133] offset0:50 offset1:51
	;; [unrolled: 1-line block ×4, first 2 shown]
.LBB110_639:
	s_or_b32 exec_lo, exec_lo, s0
	s_mov_b32 s0, exec_lo
	s_waitcnt lgkmcnt(0)
	s_waitcnt_vscnt null, 0x0
	s_barrier
	buffer_gl0_inv
	v_cmpx_lt_i32_e32 37, v127
	s_cbranch_execz .LBB110_641
; %bb.640:
	v_mul_f64 v[38:39], v[0:1], v[38:39]
	ds_read2_b64 v[128:131], v124 offset0:38 offset1:39
	ds_read2_b64 v[132:135], v124 offset0:40 offset1:41
	;; [unrolled: 1-line block ×9, first 2 shown]
	s_waitcnt lgkmcnt(8)
	v_fma_f64 v[40:41], -v[38:39], v[128:129], v[40:41]
	v_fma_f64 v[34:35], -v[38:39], v[130:131], v[34:35]
	s_waitcnt lgkmcnt(7)
	v_fma_f64 v[36:37], -v[38:39], v[132:133], v[36:37]
	v_fma_f64 v[32:33], -v[38:39], v[134:135], v[32:33]
	;; [unrolled: 3-line block ×9, first 2 shown]
.LBB110_641:
	s_or_b32 exec_lo, exec_lo, s0
	v_lshl_add_u32 v0, v127, 3, v124
	s_barrier
	buffer_gl0_inv
	v_mov_b32_e32 v118, 38
	ds_write_b64 v0, v[40:41]
	s_waitcnt lgkmcnt(0)
	s_barrier
	buffer_gl0_inv
	ds_read_b64 v[0:1], v124 offset:304
	s_cmp_lt_i32 s7, 40
	s_cbranch_scc1 .LBB110_644
; %bb.642:
	v_add3_u32 v119, v125, 0, 0x138
	v_mov_b32_e32 v118, 38
	s_mov_b32 s0, 39
.LBB110_643:                            ; =>This Inner Loop Header: Depth=1
	ds_read_b64 v[128:129], v119
	v_add_nc_u32_e32 v119, 8, v119
	s_waitcnt lgkmcnt(0)
	v_cmp_lt_f64_e64 vcc_lo, |v[0:1]|, |v[128:129]|
	v_cndmask_b32_e32 v1, v1, v129, vcc_lo
	v_cndmask_b32_e32 v0, v0, v128, vcc_lo
	v_cndmask_b32_e64 v118, v118, s0, vcc_lo
	s_add_i32 s0, s0, 1
	s_cmp_lg_u32 s7, s0
	s_cbranch_scc1 .LBB110_643
.LBB110_644:
	s_mov_b32 s0, exec_lo
	s_waitcnt lgkmcnt(0)
	v_cmpx_eq_f64_e32 0, v[0:1]
	s_xor_b32 s0, exec_lo, s0
; %bb.645:
	v_cmp_ne_u32_e32 vcc_lo, 0, v121
	v_cndmask_b32_e32 v121, 39, v121, vcc_lo
; %bb.646:
	s_andn2_saveexec_b32 s0, s0
	s_cbranch_execz .LBB110_648
; %bb.647:
	v_div_scale_f64 v[119:120], null, v[0:1], v[0:1], 1.0
	v_rcp_f64_e32 v[128:129], v[119:120]
	v_fma_f64 v[130:131], -v[119:120], v[128:129], 1.0
	v_fma_f64 v[128:129], v[128:129], v[130:131], v[128:129]
	v_fma_f64 v[130:131], -v[119:120], v[128:129], 1.0
	v_fma_f64 v[128:129], v[128:129], v[130:131], v[128:129]
	v_div_scale_f64 v[130:131], vcc_lo, 1.0, v[0:1], 1.0
	v_mul_f64 v[132:133], v[130:131], v[128:129]
	v_fma_f64 v[119:120], -v[119:120], v[132:133], v[130:131]
	v_div_fmas_f64 v[119:120], v[119:120], v[128:129], v[132:133]
	v_div_fixup_f64 v[0:1], v[119:120], v[0:1], 1.0
.LBB110_648:
	s_or_b32 exec_lo, exec_lo, s0
	s_mov_b32 s0, exec_lo
	v_cmpx_ne_u32_e64 v127, v118
	s_xor_b32 s0, exec_lo, s0
	s_cbranch_execz .LBB110_654
; %bb.649:
	s_mov_b32 s1, exec_lo
	v_cmpx_eq_u32_e32 38, v127
	s_cbranch_execz .LBB110_653
; %bb.650:
	v_cmp_ne_u32_e32 vcc_lo, 38, v118
	s_xor_b32 s2, s6, -1
	s_and_b32 s3, s2, vcc_lo
	s_and_saveexec_b32 s2, s3
	s_cbranch_execz .LBB110_652
; %bb.651:
	v_ashrrev_i32_e32 v119, 31, v118
	v_lshlrev_b64 v[119:120], 2, v[118:119]
	v_add_co_u32 v119, vcc_lo, v4, v119
	v_add_co_ci_u32_e64 v120, null, v5, v120, vcc_lo
	s_clause 0x1
	global_load_dword v126, v[119:120], off
	global_load_dword v127, v[4:5], off offset:152
	s_waitcnt vmcnt(1)
	global_store_dword v[4:5], v126, off offset:152
	s_waitcnt vmcnt(0)
	global_store_dword v[119:120], v127, off
.LBB110_652:
	s_or_b32 exec_lo, exec_lo, s2
	v_mov_b32_e32 v126, v118
	v_mov_b32_e32 v127, v118
.LBB110_653:
	s_or_b32 exec_lo, exec_lo, s1
.LBB110_654:
	s_andn2_saveexec_b32 s0, s0
	s_cbranch_execz .LBB110_656
; %bb.655:
	v_mov_b32_e32 v127, 38
	ds_write2_b64 v124, v[34:35], v[36:37] offset0:39 offset1:40
	ds_write2_b64 v124, v[32:33], v[30:31] offset0:41 offset1:42
	;; [unrolled: 1-line block ×8, first 2 shown]
	ds_write_b64 v124, v[116:117] offset:440
.LBB110_656:
	s_or_b32 exec_lo, exec_lo, s0
	s_mov_b32 s0, exec_lo
	s_waitcnt lgkmcnt(0)
	s_waitcnt_vscnt null, 0x0
	s_barrier
	buffer_gl0_inv
	v_cmpx_lt_i32_e32 38, v127
	s_cbranch_execz .LBB110_658
; %bb.657:
	v_mul_f64 v[40:41], v[0:1], v[40:41]
	ds_read2_b64 v[128:131], v124 offset0:39 offset1:40
	ds_read2_b64 v[132:135], v124 offset0:41 offset1:42
	;; [unrolled: 1-line block ×8, first 2 shown]
	ds_read_b64 v[0:1], v124 offset:440
	s_waitcnt lgkmcnt(8)
	v_fma_f64 v[34:35], -v[40:41], v[128:129], v[34:35]
	v_fma_f64 v[36:37], -v[40:41], v[130:131], v[36:37]
	s_waitcnt lgkmcnt(7)
	v_fma_f64 v[32:33], -v[40:41], v[132:133], v[32:33]
	v_fma_f64 v[30:31], -v[40:41], v[134:135], v[30:31]
	;; [unrolled: 3-line block ×8, first 2 shown]
	s_waitcnt lgkmcnt(0)
	v_fma_f64 v[116:117], -v[40:41], v[0:1], v[116:117]
.LBB110_658:
	s_or_b32 exec_lo, exec_lo, s0
	v_lshl_add_u32 v0, v127, 3, v124
	s_barrier
	buffer_gl0_inv
	v_mov_b32_e32 v118, 39
	ds_write_b64 v0, v[34:35]
	s_waitcnt lgkmcnt(0)
	s_barrier
	buffer_gl0_inv
	ds_read_b64 v[0:1], v124 offset:312
	s_cmp_lt_i32 s7, 41
	s_cbranch_scc1 .LBB110_661
; %bb.659:
	v_add3_u32 v119, v125, 0, 0x140
	v_mov_b32_e32 v118, 39
	s_mov_b32 s0, 40
.LBB110_660:                            ; =>This Inner Loop Header: Depth=1
	ds_read_b64 v[128:129], v119
	v_add_nc_u32_e32 v119, 8, v119
	s_waitcnt lgkmcnt(0)
	v_cmp_lt_f64_e64 vcc_lo, |v[0:1]|, |v[128:129]|
	v_cndmask_b32_e32 v1, v1, v129, vcc_lo
	v_cndmask_b32_e32 v0, v0, v128, vcc_lo
	v_cndmask_b32_e64 v118, v118, s0, vcc_lo
	s_add_i32 s0, s0, 1
	s_cmp_lg_u32 s7, s0
	s_cbranch_scc1 .LBB110_660
.LBB110_661:
	s_mov_b32 s0, exec_lo
	s_waitcnt lgkmcnt(0)
	v_cmpx_eq_f64_e32 0, v[0:1]
	s_xor_b32 s0, exec_lo, s0
; %bb.662:
	v_cmp_ne_u32_e32 vcc_lo, 0, v121
	v_cndmask_b32_e32 v121, 40, v121, vcc_lo
; %bb.663:
	s_andn2_saveexec_b32 s0, s0
	s_cbranch_execz .LBB110_665
; %bb.664:
	v_div_scale_f64 v[119:120], null, v[0:1], v[0:1], 1.0
	v_rcp_f64_e32 v[128:129], v[119:120]
	v_fma_f64 v[130:131], -v[119:120], v[128:129], 1.0
	v_fma_f64 v[128:129], v[128:129], v[130:131], v[128:129]
	v_fma_f64 v[130:131], -v[119:120], v[128:129], 1.0
	v_fma_f64 v[128:129], v[128:129], v[130:131], v[128:129]
	v_div_scale_f64 v[130:131], vcc_lo, 1.0, v[0:1], 1.0
	v_mul_f64 v[132:133], v[130:131], v[128:129]
	v_fma_f64 v[119:120], -v[119:120], v[132:133], v[130:131]
	v_div_fmas_f64 v[119:120], v[119:120], v[128:129], v[132:133]
	v_div_fixup_f64 v[0:1], v[119:120], v[0:1], 1.0
.LBB110_665:
	s_or_b32 exec_lo, exec_lo, s0
	s_mov_b32 s0, exec_lo
	v_cmpx_ne_u32_e64 v127, v118
	s_xor_b32 s0, exec_lo, s0
	s_cbranch_execz .LBB110_671
; %bb.666:
	s_mov_b32 s1, exec_lo
	v_cmpx_eq_u32_e32 39, v127
	s_cbranch_execz .LBB110_670
; %bb.667:
	v_cmp_ne_u32_e32 vcc_lo, 39, v118
	s_xor_b32 s2, s6, -1
	s_and_b32 s3, s2, vcc_lo
	s_and_saveexec_b32 s2, s3
	s_cbranch_execz .LBB110_669
; %bb.668:
	v_ashrrev_i32_e32 v119, 31, v118
	v_lshlrev_b64 v[119:120], 2, v[118:119]
	v_add_co_u32 v119, vcc_lo, v4, v119
	v_add_co_ci_u32_e64 v120, null, v5, v120, vcc_lo
	s_clause 0x1
	global_load_dword v126, v[119:120], off
	global_load_dword v127, v[4:5], off offset:156
	s_waitcnt vmcnt(1)
	global_store_dword v[4:5], v126, off offset:156
	s_waitcnt vmcnt(0)
	global_store_dword v[119:120], v127, off
.LBB110_669:
	s_or_b32 exec_lo, exec_lo, s2
	v_mov_b32_e32 v126, v118
	v_mov_b32_e32 v127, v118
.LBB110_670:
	s_or_b32 exec_lo, exec_lo, s1
.LBB110_671:
	s_andn2_saveexec_b32 s0, s0
	s_cbranch_execz .LBB110_673
; %bb.672:
	v_mov_b32_e32 v118, v36
	v_mov_b32_e32 v119, v37
	;; [unrolled: 1-line block ×16, first 2 shown]
	ds_write2_b64 v124, v[118:119], v[127:128] offset0:40 offset1:41
	ds_write2_b64 v124, v[129:130], v[131:132] offset0:42 offset1:43
	;; [unrolled: 1-line block ×4, first 2 shown]
	v_mov_b32_e32 v118, v20
	v_mov_b32_e32 v119, v21
	;; [unrolled: 1-line block ×15, first 2 shown]
	ds_write2_b64 v124, v[118:119], v[128:129] offset0:48 offset1:49
	ds_write2_b64 v124, v[130:131], v[132:133] offset0:50 offset1:51
	;; [unrolled: 1-line block ×4, first 2 shown]
.LBB110_673:
	s_or_b32 exec_lo, exec_lo, s0
	s_mov_b32 s0, exec_lo
	s_waitcnt lgkmcnt(0)
	s_waitcnt_vscnt null, 0x0
	s_barrier
	buffer_gl0_inv
	v_cmpx_lt_i32_e32 39, v127
	s_cbranch_execz .LBB110_675
; %bb.674:
	v_mul_f64 v[34:35], v[0:1], v[34:35]
	ds_read2_b64 v[128:131], v124 offset0:40 offset1:41
	ds_read2_b64 v[132:135], v124 offset0:42 offset1:43
	ds_read2_b64 v[136:139], v124 offset0:44 offset1:45
	ds_read2_b64 v[140:143], v124 offset0:46 offset1:47
	ds_read2_b64 v[144:147], v124 offset0:48 offset1:49
	ds_read2_b64 v[148:151], v124 offset0:50 offset1:51
	ds_read2_b64 v[152:155], v124 offset0:52 offset1:53
	ds_read2_b64 v[156:159], v124 offset0:54 offset1:55
	s_waitcnt lgkmcnt(7)
	v_fma_f64 v[36:37], -v[34:35], v[128:129], v[36:37]
	v_fma_f64 v[32:33], -v[34:35], v[130:131], v[32:33]
	s_waitcnt lgkmcnt(6)
	v_fma_f64 v[30:31], -v[34:35], v[132:133], v[30:31]
	v_fma_f64 v[28:29], -v[34:35], v[134:135], v[28:29]
	;; [unrolled: 3-line block ×8, first 2 shown]
.LBB110_675:
	s_or_b32 exec_lo, exec_lo, s0
	v_lshl_add_u32 v0, v127, 3, v124
	s_barrier
	buffer_gl0_inv
	v_mov_b32_e32 v118, 40
	ds_write_b64 v0, v[36:37]
	s_waitcnt lgkmcnt(0)
	s_barrier
	buffer_gl0_inv
	ds_read_b64 v[0:1], v124 offset:320
	s_cmp_lt_i32 s7, 42
	s_cbranch_scc1 .LBB110_678
; %bb.676:
	v_add3_u32 v119, v125, 0, 0x148
	v_mov_b32_e32 v118, 40
	s_mov_b32 s0, 41
.LBB110_677:                            ; =>This Inner Loop Header: Depth=1
	ds_read_b64 v[128:129], v119
	v_add_nc_u32_e32 v119, 8, v119
	s_waitcnt lgkmcnt(0)
	v_cmp_lt_f64_e64 vcc_lo, |v[0:1]|, |v[128:129]|
	v_cndmask_b32_e32 v1, v1, v129, vcc_lo
	v_cndmask_b32_e32 v0, v0, v128, vcc_lo
	v_cndmask_b32_e64 v118, v118, s0, vcc_lo
	s_add_i32 s0, s0, 1
	s_cmp_lg_u32 s7, s0
	s_cbranch_scc1 .LBB110_677
.LBB110_678:
	s_mov_b32 s0, exec_lo
	s_waitcnt lgkmcnt(0)
	v_cmpx_eq_f64_e32 0, v[0:1]
	s_xor_b32 s0, exec_lo, s0
; %bb.679:
	v_cmp_ne_u32_e32 vcc_lo, 0, v121
	v_cndmask_b32_e32 v121, 41, v121, vcc_lo
; %bb.680:
	s_andn2_saveexec_b32 s0, s0
	s_cbranch_execz .LBB110_682
; %bb.681:
	v_div_scale_f64 v[119:120], null, v[0:1], v[0:1], 1.0
	v_rcp_f64_e32 v[128:129], v[119:120]
	v_fma_f64 v[130:131], -v[119:120], v[128:129], 1.0
	v_fma_f64 v[128:129], v[128:129], v[130:131], v[128:129]
	v_fma_f64 v[130:131], -v[119:120], v[128:129], 1.0
	v_fma_f64 v[128:129], v[128:129], v[130:131], v[128:129]
	v_div_scale_f64 v[130:131], vcc_lo, 1.0, v[0:1], 1.0
	v_mul_f64 v[132:133], v[130:131], v[128:129]
	v_fma_f64 v[119:120], -v[119:120], v[132:133], v[130:131]
	v_div_fmas_f64 v[119:120], v[119:120], v[128:129], v[132:133]
	v_div_fixup_f64 v[0:1], v[119:120], v[0:1], 1.0
.LBB110_682:
	s_or_b32 exec_lo, exec_lo, s0
	s_mov_b32 s0, exec_lo
	v_cmpx_ne_u32_e64 v127, v118
	s_xor_b32 s0, exec_lo, s0
	s_cbranch_execz .LBB110_688
; %bb.683:
	s_mov_b32 s1, exec_lo
	v_cmpx_eq_u32_e32 40, v127
	s_cbranch_execz .LBB110_687
; %bb.684:
	v_cmp_ne_u32_e32 vcc_lo, 40, v118
	s_xor_b32 s2, s6, -1
	s_and_b32 s3, s2, vcc_lo
	s_and_saveexec_b32 s2, s3
	s_cbranch_execz .LBB110_686
; %bb.685:
	v_ashrrev_i32_e32 v119, 31, v118
	v_lshlrev_b64 v[119:120], 2, v[118:119]
	v_add_co_u32 v119, vcc_lo, v4, v119
	v_add_co_ci_u32_e64 v120, null, v5, v120, vcc_lo
	s_clause 0x1
	global_load_dword v126, v[119:120], off
	global_load_dword v127, v[4:5], off offset:160
	s_waitcnt vmcnt(1)
	global_store_dword v[4:5], v126, off offset:160
	s_waitcnt vmcnt(0)
	global_store_dword v[119:120], v127, off
.LBB110_686:
	s_or_b32 exec_lo, exec_lo, s2
	v_mov_b32_e32 v126, v118
	v_mov_b32_e32 v127, v118
.LBB110_687:
	s_or_b32 exec_lo, exec_lo, s1
.LBB110_688:
	s_andn2_saveexec_b32 s0, s0
	s_cbranch_execz .LBB110_690
; %bb.689:
	v_mov_b32_e32 v127, 40
	ds_write2_b64 v124, v[32:33], v[30:31] offset0:41 offset1:42
	ds_write2_b64 v124, v[28:29], v[26:27] offset0:43 offset1:44
	;; [unrolled: 1-line block ×7, first 2 shown]
	ds_write_b64 v124, v[116:117] offset:440
.LBB110_690:
	s_or_b32 exec_lo, exec_lo, s0
	s_mov_b32 s0, exec_lo
	s_waitcnt lgkmcnt(0)
	s_waitcnt_vscnt null, 0x0
	s_barrier
	buffer_gl0_inv
	v_cmpx_lt_i32_e32 40, v127
	s_cbranch_execz .LBB110_692
; %bb.691:
	v_mul_f64 v[36:37], v[0:1], v[36:37]
	ds_read2_b64 v[128:131], v124 offset0:41 offset1:42
	ds_read2_b64 v[132:135], v124 offset0:43 offset1:44
	;; [unrolled: 1-line block ×7, first 2 shown]
	ds_read_b64 v[0:1], v124 offset:440
	s_waitcnt lgkmcnt(7)
	v_fma_f64 v[32:33], -v[36:37], v[128:129], v[32:33]
	v_fma_f64 v[30:31], -v[36:37], v[130:131], v[30:31]
	s_waitcnt lgkmcnt(6)
	v_fma_f64 v[28:29], -v[36:37], v[132:133], v[28:29]
	v_fma_f64 v[26:27], -v[36:37], v[134:135], v[26:27]
	;; [unrolled: 3-line block ×7, first 2 shown]
	s_waitcnt lgkmcnt(0)
	v_fma_f64 v[116:117], -v[36:37], v[0:1], v[116:117]
.LBB110_692:
	s_or_b32 exec_lo, exec_lo, s0
	v_lshl_add_u32 v0, v127, 3, v124
	s_barrier
	buffer_gl0_inv
	v_mov_b32_e32 v118, 41
	ds_write_b64 v0, v[32:33]
	s_waitcnt lgkmcnt(0)
	s_barrier
	buffer_gl0_inv
	ds_read_b64 v[0:1], v124 offset:328
	s_cmp_lt_i32 s7, 43
	s_cbranch_scc1 .LBB110_695
; %bb.693:
	v_add3_u32 v119, v125, 0, 0x150
	v_mov_b32_e32 v118, 41
	s_mov_b32 s0, 42
.LBB110_694:                            ; =>This Inner Loop Header: Depth=1
	ds_read_b64 v[128:129], v119
	v_add_nc_u32_e32 v119, 8, v119
	s_waitcnt lgkmcnt(0)
	v_cmp_lt_f64_e64 vcc_lo, |v[0:1]|, |v[128:129]|
	v_cndmask_b32_e32 v1, v1, v129, vcc_lo
	v_cndmask_b32_e32 v0, v0, v128, vcc_lo
	v_cndmask_b32_e64 v118, v118, s0, vcc_lo
	s_add_i32 s0, s0, 1
	s_cmp_lg_u32 s7, s0
	s_cbranch_scc1 .LBB110_694
.LBB110_695:
	s_mov_b32 s0, exec_lo
	s_waitcnt lgkmcnt(0)
	v_cmpx_eq_f64_e32 0, v[0:1]
	s_xor_b32 s0, exec_lo, s0
; %bb.696:
	v_cmp_ne_u32_e32 vcc_lo, 0, v121
	v_cndmask_b32_e32 v121, 42, v121, vcc_lo
; %bb.697:
	s_andn2_saveexec_b32 s0, s0
	s_cbranch_execz .LBB110_699
; %bb.698:
	v_div_scale_f64 v[119:120], null, v[0:1], v[0:1], 1.0
	v_rcp_f64_e32 v[128:129], v[119:120]
	v_fma_f64 v[130:131], -v[119:120], v[128:129], 1.0
	v_fma_f64 v[128:129], v[128:129], v[130:131], v[128:129]
	v_fma_f64 v[130:131], -v[119:120], v[128:129], 1.0
	v_fma_f64 v[128:129], v[128:129], v[130:131], v[128:129]
	v_div_scale_f64 v[130:131], vcc_lo, 1.0, v[0:1], 1.0
	v_mul_f64 v[132:133], v[130:131], v[128:129]
	v_fma_f64 v[119:120], -v[119:120], v[132:133], v[130:131]
	v_div_fmas_f64 v[119:120], v[119:120], v[128:129], v[132:133]
	v_div_fixup_f64 v[0:1], v[119:120], v[0:1], 1.0
.LBB110_699:
	s_or_b32 exec_lo, exec_lo, s0
	s_mov_b32 s0, exec_lo
	v_cmpx_ne_u32_e64 v127, v118
	s_xor_b32 s0, exec_lo, s0
	s_cbranch_execz .LBB110_705
; %bb.700:
	s_mov_b32 s1, exec_lo
	v_cmpx_eq_u32_e32 41, v127
	s_cbranch_execz .LBB110_704
; %bb.701:
	v_cmp_ne_u32_e32 vcc_lo, 41, v118
	s_xor_b32 s2, s6, -1
	s_and_b32 s3, s2, vcc_lo
	s_and_saveexec_b32 s2, s3
	s_cbranch_execz .LBB110_703
; %bb.702:
	v_ashrrev_i32_e32 v119, 31, v118
	v_lshlrev_b64 v[119:120], 2, v[118:119]
	v_add_co_u32 v119, vcc_lo, v4, v119
	v_add_co_ci_u32_e64 v120, null, v5, v120, vcc_lo
	s_clause 0x1
	global_load_dword v126, v[119:120], off
	global_load_dword v127, v[4:5], off offset:164
	s_waitcnt vmcnt(1)
	global_store_dword v[4:5], v126, off offset:164
	s_waitcnt vmcnt(0)
	global_store_dword v[119:120], v127, off
.LBB110_703:
	s_or_b32 exec_lo, exec_lo, s2
	v_mov_b32_e32 v126, v118
	v_mov_b32_e32 v127, v118
.LBB110_704:
	s_or_b32 exec_lo, exec_lo, s1
.LBB110_705:
	s_andn2_saveexec_b32 s0, s0
	s_cbranch_execz .LBB110_707
; %bb.706:
	v_mov_b32_e32 v118, v30
	v_mov_b32_e32 v119, v31
	;; [unrolled: 1-line block ×12, first 2 shown]
	ds_write2_b64 v124, v[118:119], v[127:128] offset0:42 offset1:43
	ds_write2_b64 v124, v[129:130], v[131:132] offset0:44 offset1:45
	;; [unrolled: 1-line block ×3, first 2 shown]
	v_mov_b32_e32 v118, v20
	v_mov_b32_e32 v119, v21
	v_mov_b32_e32 v128, v16
	v_mov_b32_e32 v129, v17
	v_mov_b32_e32 v127, 41
	v_mov_b32_e32 v130, v14
	v_mov_b32_e32 v131, v15
	v_mov_b32_e32 v132, v8
	v_mov_b32_e32 v133, v9
	v_mov_b32_e32 v134, v12
	v_mov_b32_e32 v135, v13
	v_mov_b32_e32 v136, v6
	v_mov_b32_e32 v137, v7
	v_mov_b32_e32 v138, v10
	v_mov_b32_e32 v139, v11
	ds_write2_b64 v124, v[118:119], v[128:129] offset0:48 offset1:49
	ds_write2_b64 v124, v[130:131], v[132:133] offset0:50 offset1:51
	;; [unrolled: 1-line block ×4, first 2 shown]
.LBB110_707:
	s_or_b32 exec_lo, exec_lo, s0
	s_mov_b32 s0, exec_lo
	s_waitcnt lgkmcnt(0)
	s_waitcnt_vscnt null, 0x0
	s_barrier
	buffer_gl0_inv
	v_cmpx_lt_i32_e32 41, v127
	s_cbranch_execz .LBB110_709
; %bb.708:
	v_mul_f64 v[32:33], v[0:1], v[32:33]
	ds_read2_b64 v[128:131], v124 offset0:42 offset1:43
	ds_read2_b64 v[132:135], v124 offset0:44 offset1:45
	;; [unrolled: 1-line block ×7, first 2 shown]
	s_waitcnt lgkmcnt(6)
	v_fma_f64 v[30:31], -v[32:33], v[128:129], v[30:31]
	v_fma_f64 v[28:29], -v[32:33], v[130:131], v[28:29]
	s_waitcnt lgkmcnt(5)
	v_fma_f64 v[26:27], -v[32:33], v[132:133], v[26:27]
	v_fma_f64 v[24:25], -v[32:33], v[134:135], v[24:25]
	;; [unrolled: 3-line block ×7, first 2 shown]
.LBB110_709:
	s_or_b32 exec_lo, exec_lo, s0
	v_lshl_add_u32 v0, v127, 3, v124
	s_barrier
	buffer_gl0_inv
	v_mov_b32_e32 v118, 42
	ds_write_b64 v0, v[30:31]
	s_waitcnt lgkmcnt(0)
	s_barrier
	buffer_gl0_inv
	ds_read_b64 v[0:1], v124 offset:336
	s_cmp_lt_i32 s7, 44
	s_cbranch_scc1 .LBB110_712
; %bb.710:
	v_add3_u32 v119, v125, 0, 0x158
	v_mov_b32_e32 v118, 42
	s_mov_b32 s0, 43
.LBB110_711:                            ; =>This Inner Loop Header: Depth=1
	ds_read_b64 v[128:129], v119
	v_add_nc_u32_e32 v119, 8, v119
	s_waitcnt lgkmcnt(0)
	v_cmp_lt_f64_e64 vcc_lo, |v[0:1]|, |v[128:129]|
	v_cndmask_b32_e32 v1, v1, v129, vcc_lo
	v_cndmask_b32_e32 v0, v0, v128, vcc_lo
	v_cndmask_b32_e64 v118, v118, s0, vcc_lo
	s_add_i32 s0, s0, 1
	s_cmp_lg_u32 s7, s0
	s_cbranch_scc1 .LBB110_711
.LBB110_712:
	s_mov_b32 s0, exec_lo
	s_waitcnt lgkmcnt(0)
	v_cmpx_eq_f64_e32 0, v[0:1]
	s_xor_b32 s0, exec_lo, s0
; %bb.713:
	v_cmp_ne_u32_e32 vcc_lo, 0, v121
	v_cndmask_b32_e32 v121, 43, v121, vcc_lo
; %bb.714:
	s_andn2_saveexec_b32 s0, s0
	s_cbranch_execz .LBB110_716
; %bb.715:
	v_div_scale_f64 v[119:120], null, v[0:1], v[0:1], 1.0
	v_rcp_f64_e32 v[128:129], v[119:120]
	v_fma_f64 v[130:131], -v[119:120], v[128:129], 1.0
	v_fma_f64 v[128:129], v[128:129], v[130:131], v[128:129]
	v_fma_f64 v[130:131], -v[119:120], v[128:129], 1.0
	v_fma_f64 v[128:129], v[128:129], v[130:131], v[128:129]
	v_div_scale_f64 v[130:131], vcc_lo, 1.0, v[0:1], 1.0
	v_mul_f64 v[132:133], v[130:131], v[128:129]
	v_fma_f64 v[119:120], -v[119:120], v[132:133], v[130:131]
	v_div_fmas_f64 v[119:120], v[119:120], v[128:129], v[132:133]
	v_div_fixup_f64 v[0:1], v[119:120], v[0:1], 1.0
.LBB110_716:
	s_or_b32 exec_lo, exec_lo, s0
	s_mov_b32 s0, exec_lo
	v_cmpx_ne_u32_e64 v127, v118
	s_xor_b32 s0, exec_lo, s0
	s_cbranch_execz .LBB110_722
; %bb.717:
	s_mov_b32 s1, exec_lo
	v_cmpx_eq_u32_e32 42, v127
	s_cbranch_execz .LBB110_721
; %bb.718:
	v_cmp_ne_u32_e32 vcc_lo, 42, v118
	s_xor_b32 s2, s6, -1
	s_and_b32 s3, s2, vcc_lo
	s_and_saveexec_b32 s2, s3
	s_cbranch_execz .LBB110_720
; %bb.719:
	v_ashrrev_i32_e32 v119, 31, v118
	v_lshlrev_b64 v[119:120], 2, v[118:119]
	v_add_co_u32 v119, vcc_lo, v4, v119
	v_add_co_ci_u32_e64 v120, null, v5, v120, vcc_lo
	s_clause 0x1
	global_load_dword v126, v[119:120], off
	global_load_dword v127, v[4:5], off offset:168
	s_waitcnt vmcnt(1)
	global_store_dword v[4:5], v126, off offset:168
	s_waitcnt vmcnt(0)
	global_store_dword v[119:120], v127, off
.LBB110_720:
	s_or_b32 exec_lo, exec_lo, s2
	v_mov_b32_e32 v126, v118
	v_mov_b32_e32 v127, v118
.LBB110_721:
	s_or_b32 exec_lo, exec_lo, s1
.LBB110_722:
	s_andn2_saveexec_b32 s0, s0
	s_cbranch_execz .LBB110_724
; %bb.723:
	v_mov_b32_e32 v127, 42
	ds_write2_b64 v124, v[28:29], v[26:27] offset0:43 offset1:44
	ds_write2_b64 v124, v[24:25], v[22:23] offset0:45 offset1:46
	;; [unrolled: 1-line block ×6, first 2 shown]
	ds_write_b64 v124, v[116:117] offset:440
.LBB110_724:
	s_or_b32 exec_lo, exec_lo, s0
	s_mov_b32 s0, exec_lo
	s_waitcnt lgkmcnt(0)
	s_waitcnt_vscnt null, 0x0
	s_barrier
	buffer_gl0_inv
	v_cmpx_lt_i32_e32 42, v127
	s_cbranch_execz .LBB110_726
; %bb.725:
	v_mul_f64 v[30:31], v[0:1], v[30:31]
	ds_read2_b64 v[128:131], v124 offset0:43 offset1:44
	ds_read2_b64 v[132:135], v124 offset0:45 offset1:46
	;; [unrolled: 1-line block ×6, first 2 shown]
	ds_read_b64 v[0:1], v124 offset:440
	s_waitcnt lgkmcnt(6)
	v_fma_f64 v[28:29], -v[30:31], v[128:129], v[28:29]
	v_fma_f64 v[26:27], -v[30:31], v[130:131], v[26:27]
	s_waitcnt lgkmcnt(5)
	v_fma_f64 v[24:25], -v[30:31], v[132:133], v[24:25]
	v_fma_f64 v[22:23], -v[30:31], v[134:135], v[22:23]
	;; [unrolled: 3-line block ×6, first 2 shown]
	s_waitcnt lgkmcnt(0)
	v_fma_f64 v[116:117], -v[30:31], v[0:1], v[116:117]
.LBB110_726:
	s_or_b32 exec_lo, exec_lo, s0
	v_lshl_add_u32 v0, v127, 3, v124
	s_barrier
	buffer_gl0_inv
	v_mov_b32_e32 v118, 43
	ds_write_b64 v0, v[28:29]
	s_waitcnt lgkmcnt(0)
	s_barrier
	buffer_gl0_inv
	ds_read_b64 v[0:1], v124 offset:344
	s_cmp_lt_i32 s7, 45
	s_cbranch_scc1 .LBB110_729
; %bb.727:
	v_add3_u32 v119, v125, 0, 0x160
	v_mov_b32_e32 v118, 43
	s_mov_b32 s0, 44
.LBB110_728:                            ; =>This Inner Loop Header: Depth=1
	ds_read_b64 v[128:129], v119
	v_add_nc_u32_e32 v119, 8, v119
	s_waitcnt lgkmcnt(0)
	v_cmp_lt_f64_e64 vcc_lo, |v[0:1]|, |v[128:129]|
	v_cndmask_b32_e32 v1, v1, v129, vcc_lo
	v_cndmask_b32_e32 v0, v0, v128, vcc_lo
	v_cndmask_b32_e64 v118, v118, s0, vcc_lo
	s_add_i32 s0, s0, 1
	s_cmp_lg_u32 s7, s0
	s_cbranch_scc1 .LBB110_728
.LBB110_729:
	s_mov_b32 s0, exec_lo
	s_waitcnt lgkmcnt(0)
	v_cmpx_eq_f64_e32 0, v[0:1]
	s_xor_b32 s0, exec_lo, s0
; %bb.730:
	v_cmp_ne_u32_e32 vcc_lo, 0, v121
	v_cndmask_b32_e32 v121, 44, v121, vcc_lo
; %bb.731:
	s_andn2_saveexec_b32 s0, s0
	s_cbranch_execz .LBB110_733
; %bb.732:
	v_div_scale_f64 v[119:120], null, v[0:1], v[0:1], 1.0
	v_rcp_f64_e32 v[128:129], v[119:120]
	v_fma_f64 v[130:131], -v[119:120], v[128:129], 1.0
	v_fma_f64 v[128:129], v[128:129], v[130:131], v[128:129]
	v_fma_f64 v[130:131], -v[119:120], v[128:129], 1.0
	v_fma_f64 v[128:129], v[128:129], v[130:131], v[128:129]
	v_div_scale_f64 v[130:131], vcc_lo, 1.0, v[0:1], 1.0
	v_mul_f64 v[132:133], v[130:131], v[128:129]
	v_fma_f64 v[119:120], -v[119:120], v[132:133], v[130:131]
	v_div_fmas_f64 v[119:120], v[119:120], v[128:129], v[132:133]
	v_div_fixup_f64 v[0:1], v[119:120], v[0:1], 1.0
.LBB110_733:
	s_or_b32 exec_lo, exec_lo, s0
	s_mov_b32 s0, exec_lo
	v_cmpx_ne_u32_e64 v127, v118
	s_xor_b32 s0, exec_lo, s0
	s_cbranch_execz .LBB110_739
; %bb.734:
	s_mov_b32 s1, exec_lo
	v_cmpx_eq_u32_e32 43, v127
	s_cbranch_execz .LBB110_738
; %bb.735:
	v_cmp_ne_u32_e32 vcc_lo, 43, v118
	s_xor_b32 s2, s6, -1
	s_and_b32 s3, s2, vcc_lo
	s_and_saveexec_b32 s2, s3
	s_cbranch_execz .LBB110_737
; %bb.736:
	v_ashrrev_i32_e32 v119, 31, v118
	v_lshlrev_b64 v[119:120], 2, v[118:119]
	v_add_co_u32 v119, vcc_lo, v4, v119
	v_add_co_ci_u32_e64 v120, null, v5, v120, vcc_lo
	s_clause 0x1
	global_load_dword v126, v[119:120], off
	global_load_dword v127, v[4:5], off offset:172
	s_waitcnt vmcnt(1)
	global_store_dword v[4:5], v126, off offset:172
	s_waitcnt vmcnt(0)
	global_store_dword v[119:120], v127, off
.LBB110_737:
	s_or_b32 exec_lo, exec_lo, s2
	v_mov_b32_e32 v126, v118
	v_mov_b32_e32 v127, v118
.LBB110_738:
	s_or_b32 exec_lo, exec_lo, s1
.LBB110_739:
	s_andn2_saveexec_b32 s0, s0
	s_cbranch_execz .LBB110_741
; %bb.740:
	v_mov_b32_e32 v118, v26
	v_mov_b32_e32 v119, v27
	;; [unrolled: 1-line block ×8, first 2 shown]
	ds_write2_b64 v124, v[118:119], v[127:128] offset0:44 offset1:45
	ds_write2_b64 v124, v[129:130], v[131:132] offset0:46 offset1:47
	v_mov_b32_e32 v118, v20
	v_mov_b32_e32 v119, v21
	;; [unrolled: 1-line block ×15, first 2 shown]
	ds_write2_b64 v124, v[118:119], v[128:129] offset0:48 offset1:49
	ds_write2_b64 v124, v[130:131], v[132:133] offset0:50 offset1:51
	;; [unrolled: 1-line block ×4, first 2 shown]
.LBB110_741:
	s_or_b32 exec_lo, exec_lo, s0
	s_mov_b32 s0, exec_lo
	s_waitcnt lgkmcnt(0)
	s_waitcnt_vscnt null, 0x0
	s_barrier
	buffer_gl0_inv
	v_cmpx_lt_i32_e32 43, v127
	s_cbranch_execz .LBB110_743
; %bb.742:
	v_mul_f64 v[28:29], v[0:1], v[28:29]
	ds_read2_b64 v[128:131], v124 offset0:44 offset1:45
	ds_read2_b64 v[132:135], v124 offset0:46 offset1:47
	;; [unrolled: 1-line block ×6, first 2 shown]
	s_waitcnt lgkmcnt(5)
	v_fma_f64 v[26:27], -v[28:29], v[128:129], v[26:27]
	v_fma_f64 v[24:25], -v[28:29], v[130:131], v[24:25]
	s_waitcnt lgkmcnt(4)
	v_fma_f64 v[22:23], -v[28:29], v[132:133], v[22:23]
	v_fma_f64 v[18:19], -v[28:29], v[134:135], v[18:19]
	;; [unrolled: 3-line block ×6, first 2 shown]
.LBB110_743:
	s_or_b32 exec_lo, exec_lo, s0
	v_lshl_add_u32 v0, v127, 3, v124
	s_barrier
	buffer_gl0_inv
	v_mov_b32_e32 v118, 44
	ds_write_b64 v0, v[26:27]
	s_waitcnt lgkmcnt(0)
	s_barrier
	buffer_gl0_inv
	ds_read_b64 v[0:1], v124 offset:352
	s_cmp_lt_i32 s7, 46
	s_cbranch_scc1 .LBB110_746
; %bb.744:
	v_add3_u32 v119, v125, 0, 0x168
	v_mov_b32_e32 v118, 44
	s_mov_b32 s0, 45
.LBB110_745:                            ; =>This Inner Loop Header: Depth=1
	ds_read_b64 v[128:129], v119
	v_add_nc_u32_e32 v119, 8, v119
	s_waitcnt lgkmcnt(0)
	v_cmp_lt_f64_e64 vcc_lo, |v[0:1]|, |v[128:129]|
	v_cndmask_b32_e32 v1, v1, v129, vcc_lo
	v_cndmask_b32_e32 v0, v0, v128, vcc_lo
	v_cndmask_b32_e64 v118, v118, s0, vcc_lo
	s_add_i32 s0, s0, 1
	s_cmp_lg_u32 s7, s0
	s_cbranch_scc1 .LBB110_745
.LBB110_746:
	s_mov_b32 s0, exec_lo
	s_waitcnt lgkmcnt(0)
	v_cmpx_eq_f64_e32 0, v[0:1]
	s_xor_b32 s0, exec_lo, s0
; %bb.747:
	v_cmp_ne_u32_e32 vcc_lo, 0, v121
	v_cndmask_b32_e32 v121, 45, v121, vcc_lo
; %bb.748:
	s_andn2_saveexec_b32 s0, s0
	s_cbranch_execz .LBB110_750
; %bb.749:
	v_div_scale_f64 v[119:120], null, v[0:1], v[0:1], 1.0
	v_rcp_f64_e32 v[128:129], v[119:120]
	v_fma_f64 v[130:131], -v[119:120], v[128:129], 1.0
	v_fma_f64 v[128:129], v[128:129], v[130:131], v[128:129]
	v_fma_f64 v[130:131], -v[119:120], v[128:129], 1.0
	v_fma_f64 v[128:129], v[128:129], v[130:131], v[128:129]
	v_div_scale_f64 v[130:131], vcc_lo, 1.0, v[0:1], 1.0
	v_mul_f64 v[132:133], v[130:131], v[128:129]
	v_fma_f64 v[119:120], -v[119:120], v[132:133], v[130:131]
	v_div_fmas_f64 v[119:120], v[119:120], v[128:129], v[132:133]
	v_div_fixup_f64 v[0:1], v[119:120], v[0:1], 1.0
.LBB110_750:
	s_or_b32 exec_lo, exec_lo, s0
	s_mov_b32 s0, exec_lo
	v_cmpx_ne_u32_e64 v127, v118
	s_xor_b32 s0, exec_lo, s0
	s_cbranch_execz .LBB110_756
; %bb.751:
	s_mov_b32 s1, exec_lo
	v_cmpx_eq_u32_e32 44, v127
	s_cbranch_execz .LBB110_755
; %bb.752:
	v_cmp_ne_u32_e32 vcc_lo, 44, v118
	s_xor_b32 s2, s6, -1
	s_and_b32 s3, s2, vcc_lo
	s_and_saveexec_b32 s2, s3
	s_cbranch_execz .LBB110_754
; %bb.753:
	v_ashrrev_i32_e32 v119, 31, v118
	v_lshlrev_b64 v[119:120], 2, v[118:119]
	v_add_co_u32 v119, vcc_lo, v4, v119
	v_add_co_ci_u32_e64 v120, null, v5, v120, vcc_lo
	s_clause 0x1
	global_load_dword v126, v[119:120], off
	global_load_dword v127, v[4:5], off offset:176
	s_waitcnt vmcnt(1)
	global_store_dword v[4:5], v126, off offset:176
	s_waitcnt vmcnt(0)
	global_store_dword v[119:120], v127, off
.LBB110_754:
	s_or_b32 exec_lo, exec_lo, s2
	v_mov_b32_e32 v126, v118
	v_mov_b32_e32 v127, v118
.LBB110_755:
	s_or_b32 exec_lo, exec_lo, s1
.LBB110_756:
	s_andn2_saveexec_b32 s0, s0
	s_cbranch_execz .LBB110_758
; %bb.757:
	v_mov_b32_e32 v127, 44
	ds_write2_b64 v124, v[24:25], v[22:23] offset0:45 offset1:46
	ds_write2_b64 v124, v[18:19], v[20:21] offset0:47 offset1:48
	;; [unrolled: 1-line block ×5, first 2 shown]
	ds_write_b64 v124, v[116:117] offset:440
.LBB110_758:
	s_or_b32 exec_lo, exec_lo, s0
	s_mov_b32 s0, exec_lo
	s_waitcnt lgkmcnt(0)
	s_waitcnt_vscnt null, 0x0
	s_barrier
	buffer_gl0_inv
	v_cmpx_lt_i32_e32 44, v127
	s_cbranch_execz .LBB110_760
; %bb.759:
	v_mul_f64 v[26:27], v[0:1], v[26:27]
	ds_read2_b64 v[128:131], v124 offset0:45 offset1:46
	ds_read2_b64 v[132:135], v124 offset0:47 offset1:48
	;; [unrolled: 1-line block ×5, first 2 shown]
	ds_read_b64 v[0:1], v124 offset:440
	s_waitcnt lgkmcnt(5)
	v_fma_f64 v[24:25], -v[26:27], v[128:129], v[24:25]
	v_fma_f64 v[22:23], -v[26:27], v[130:131], v[22:23]
	s_waitcnt lgkmcnt(4)
	v_fma_f64 v[18:19], -v[26:27], v[132:133], v[18:19]
	v_fma_f64 v[20:21], -v[26:27], v[134:135], v[20:21]
	;; [unrolled: 3-line block ×5, first 2 shown]
	s_waitcnt lgkmcnt(0)
	v_fma_f64 v[116:117], -v[26:27], v[0:1], v[116:117]
.LBB110_760:
	s_or_b32 exec_lo, exec_lo, s0
	v_lshl_add_u32 v0, v127, 3, v124
	s_barrier
	buffer_gl0_inv
	v_mov_b32_e32 v118, 45
	ds_write_b64 v0, v[24:25]
	s_waitcnt lgkmcnt(0)
	s_barrier
	buffer_gl0_inv
	ds_read_b64 v[0:1], v124 offset:360
	s_cmp_lt_i32 s7, 47
	s_cbranch_scc1 .LBB110_763
; %bb.761:
	v_add3_u32 v119, v125, 0, 0x170
	v_mov_b32_e32 v118, 45
	s_mov_b32 s0, 46
.LBB110_762:                            ; =>This Inner Loop Header: Depth=1
	ds_read_b64 v[128:129], v119
	v_add_nc_u32_e32 v119, 8, v119
	s_waitcnt lgkmcnt(0)
	v_cmp_lt_f64_e64 vcc_lo, |v[0:1]|, |v[128:129]|
	v_cndmask_b32_e32 v1, v1, v129, vcc_lo
	v_cndmask_b32_e32 v0, v0, v128, vcc_lo
	v_cndmask_b32_e64 v118, v118, s0, vcc_lo
	s_add_i32 s0, s0, 1
	s_cmp_lg_u32 s7, s0
	s_cbranch_scc1 .LBB110_762
.LBB110_763:
	s_mov_b32 s0, exec_lo
	s_waitcnt lgkmcnt(0)
	v_cmpx_eq_f64_e32 0, v[0:1]
	s_xor_b32 s0, exec_lo, s0
; %bb.764:
	v_cmp_ne_u32_e32 vcc_lo, 0, v121
	v_cndmask_b32_e32 v121, 46, v121, vcc_lo
; %bb.765:
	s_andn2_saveexec_b32 s0, s0
	s_cbranch_execz .LBB110_767
; %bb.766:
	v_div_scale_f64 v[119:120], null, v[0:1], v[0:1], 1.0
	v_rcp_f64_e32 v[128:129], v[119:120]
	v_fma_f64 v[130:131], -v[119:120], v[128:129], 1.0
	v_fma_f64 v[128:129], v[128:129], v[130:131], v[128:129]
	v_fma_f64 v[130:131], -v[119:120], v[128:129], 1.0
	v_fma_f64 v[128:129], v[128:129], v[130:131], v[128:129]
	v_div_scale_f64 v[130:131], vcc_lo, 1.0, v[0:1], 1.0
	v_mul_f64 v[132:133], v[130:131], v[128:129]
	v_fma_f64 v[119:120], -v[119:120], v[132:133], v[130:131]
	v_div_fmas_f64 v[119:120], v[119:120], v[128:129], v[132:133]
	v_div_fixup_f64 v[0:1], v[119:120], v[0:1], 1.0
.LBB110_767:
	s_or_b32 exec_lo, exec_lo, s0
	s_mov_b32 s0, exec_lo
	v_cmpx_ne_u32_e64 v127, v118
	s_xor_b32 s0, exec_lo, s0
	s_cbranch_execz .LBB110_773
; %bb.768:
	s_mov_b32 s1, exec_lo
	v_cmpx_eq_u32_e32 45, v127
	s_cbranch_execz .LBB110_772
; %bb.769:
	v_cmp_ne_u32_e32 vcc_lo, 45, v118
	s_xor_b32 s2, s6, -1
	s_and_b32 s3, s2, vcc_lo
	s_and_saveexec_b32 s2, s3
	s_cbranch_execz .LBB110_771
; %bb.770:
	v_ashrrev_i32_e32 v119, 31, v118
	v_lshlrev_b64 v[119:120], 2, v[118:119]
	v_add_co_u32 v119, vcc_lo, v4, v119
	v_add_co_ci_u32_e64 v120, null, v5, v120, vcc_lo
	s_clause 0x1
	global_load_dword v126, v[119:120], off
	global_load_dword v127, v[4:5], off offset:180
	s_waitcnt vmcnt(1)
	global_store_dword v[4:5], v126, off offset:180
	s_waitcnt vmcnt(0)
	global_store_dword v[119:120], v127, off
.LBB110_771:
	s_or_b32 exec_lo, exec_lo, s2
	v_mov_b32_e32 v126, v118
	v_mov_b32_e32 v127, v118
.LBB110_772:
	s_or_b32 exec_lo, exec_lo, s1
.LBB110_773:
	s_andn2_saveexec_b32 s0, s0
	s_cbranch_execz .LBB110_775
; %bb.774:
	v_mov_b32_e32 v118, v22
	v_mov_b32_e32 v119, v23
	;; [unrolled: 1-line block ×8, first 2 shown]
	ds_write2_b64 v124, v[118:119], v[127:128] offset0:46 offset1:47
	v_mov_b32_e32 v118, v16
	v_mov_b32_e32 v119, v17
	;; [unrolled: 1-line block ×11, first 2 shown]
	ds_write2_b64 v124, v[129:130], v[118:119] offset0:48 offset1:49
	ds_write2_b64 v124, v[131:132], v[133:134] offset0:50 offset1:51
	;; [unrolled: 1-line block ×4, first 2 shown]
.LBB110_775:
	s_or_b32 exec_lo, exec_lo, s0
	s_mov_b32 s0, exec_lo
	s_waitcnt lgkmcnt(0)
	s_waitcnt_vscnt null, 0x0
	s_barrier
	buffer_gl0_inv
	v_cmpx_lt_i32_e32 45, v127
	s_cbranch_execz .LBB110_777
; %bb.776:
	v_mul_f64 v[24:25], v[0:1], v[24:25]
	ds_read2_b64 v[128:131], v124 offset0:46 offset1:47
	ds_read2_b64 v[132:135], v124 offset0:48 offset1:49
	;; [unrolled: 1-line block ×5, first 2 shown]
	s_waitcnt lgkmcnt(4)
	v_fma_f64 v[22:23], -v[24:25], v[128:129], v[22:23]
	v_fma_f64 v[18:19], -v[24:25], v[130:131], v[18:19]
	s_waitcnt lgkmcnt(3)
	v_fma_f64 v[20:21], -v[24:25], v[132:133], v[20:21]
	v_fma_f64 v[16:17], -v[24:25], v[134:135], v[16:17]
	;; [unrolled: 3-line block ×5, first 2 shown]
.LBB110_777:
	s_or_b32 exec_lo, exec_lo, s0
	v_lshl_add_u32 v0, v127, 3, v124
	s_barrier
	buffer_gl0_inv
	v_mov_b32_e32 v118, 46
	ds_write_b64 v0, v[22:23]
	s_waitcnt lgkmcnt(0)
	s_barrier
	buffer_gl0_inv
	ds_read_b64 v[0:1], v124 offset:368
	s_cmp_lt_i32 s7, 48
	s_cbranch_scc1 .LBB110_780
; %bb.778:
	v_add3_u32 v119, v125, 0, 0x178
	v_mov_b32_e32 v118, 46
	s_mov_b32 s0, 47
.LBB110_779:                            ; =>This Inner Loop Header: Depth=1
	ds_read_b64 v[128:129], v119
	v_add_nc_u32_e32 v119, 8, v119
	s_waitcnt lgkmcnt(0)
	v_cmp_lt_f64_e64 vcc_lo, |v[0:1]|, |v[128:129]|
	v_cndmask_b32_e32 v1, v1, v129, vcc_lo
	v_cndmask_b32_e32 v0, v0, v128, vcc_lo
	v_cndmask_b32_e64 v118, v118, s0, vcc_lo
	s_add_i32 s0, s0, 1
	s_cmp_lg_u32 s7, s0
	s_cbranch_scc1 .LBB110_779
.LBB110_780:
	s_mov_b32 s0, exec_lo
	s_waitcnt lgkmcnt(0)
	v_cmpx_eq_f64_e32 0, v[0:1]
	s_xor_b32 s0, exec_lo, s0
; %bb.781:
	v_cmp_ne_u32_e32 vcc_lo, 0, v121
	v_cndmask_b32_e32 v121, 47, v121, vcc_lo
; %bb.782:
	s_andn2_saveexec_b32 s0, s0
	s_cbranch_execz .LBB110_784
; %bb.783:
	v_div_scale_f64 v[119:120], null, v[0:1], v[0:1], 1.0
	v_rcp_f64_e32 v[128:129], v[119:120]
	v_fma_f64 v[130:131], -v[119:120], v[128:129], 1.0
	v_fma_f64 v[128:129], v[128:129], v[130:131], v[128:129]
	v_fma_f64 v[130:131], -v[119:120], v[128:129], 1.0
	v_fma_f64 v[128:129], v[128:129], v[130:131], v[128:129]
	v_div_scale_f64 v[130:131], vcc_lo, 1.0, v[0:1], 1.0
	v_mul_f64 v[132:133], v[130:131], v[128:129]
	v_fma_f64 v[119:120], -v[119:120], v[132:133], v[130:131]
	v_div_fmas_f64 v[119:120], v[119:120], v[128:129], v[132:133]
	v_div_fixup_f64 v[0:1], v[119:120], v[0:1], 1.0
.LBB110_784:
	s_or_b32 exec_lo, exec_lo, s0
	s_mov_b32 s0, exec_lo
	v_cmpx_ne_u32_e64 v127, v118
	s_xor_b32 s0, exec_lo, s0
	s_cbranch_execz .LBB110_790
; %bb.785:
	s_mov_b32 s1, exec_lo
	v_cmpx_eq_u32_e32 46, v127
	s_cbranch_execz .LBB110_789
; %bb.786:
	v_cmp_ne_u32_e32 vcc_lo, 46, v118
	s_xor_b32 s2, s6, -1
	s_and_b32 s3, s2, vcc_lo
	s_and_saveexec_b32 s2, s3
	s_cbranch_execz .LBB110_788
; %bb.787:
	v_ashrrev_i32_e32 v119, 31, v118
	v_lshlrev_b64 v[119:120], 2, v[118:119]
	v_add_co_u32 v119, vcc_lo, v4, v119
	v_add_co_ci_u32_e64 v120, null, v5, v120, vcc_lo
	s_clause 0x1
	global_load_dword v126, v[119:120], off
	global_load_dword v127, v[4:5], off offset:184
	s_waitcnt vmcnt(1)
	global_store_dword v[4:5], v126, off offset:184
	s_waitcnt vmcnt(0)
	global_store_dword v[119:120], v127, off
.LBB110_788:
	s_or_b32 exec_lo, exec_lo, s2
	v_mov_b32_e32 v126, v118
	v_mov_b32_e32 v127, v118
.LBB110_789:
	s_or_b32 exec_lo, exec_lo, s1
.LBB110_790:
	s_andn2_saveexec_b32 s0, s0
	s_cbranch_execz .LBB110_792
; %bb.791:
	v_mov_b32_e32 v127, 46
	ds_write2_b64 v124, v[18:19], v[20:21] offset0:47 offset1:48
	ds_write2_b64 v124, v[16:17], v[14:15] offset0:49 offset1:50
	ds_write2_b64 v124, v[8:9], v[12:13] offset0:51 offset1:52
	ds_write2_b64 v124, v[6:7], v[10:11] offset0:53 offset1:54
	ds_write_b64 v124, v[116:117] offset:440
.LBB110_792:
	s_or_b32 exec_lo, exec_lo, s0
	s_mov_b32 s0, exec_lo
	s_waitcnt lgkmcnt(0)
	s_waitcnt_vscnt null, 0x0
	s_barrier
	buffer_gl0_inv
	v_cmpx_lt_i32_e32 46, v127
	s_cbranch_execz .LBB110_794
; %bb.793:
	v_mul_f64 v[22:23], v[0:1], v[22:23]
	ds_read2_b64 v[128:131], v124 offset0:47 offset1:48
	ds_read2_b64 v[132:135], v124 offset0:49 offset1:50
	;; [unrolled: 1-line block ×4, first 2 shown]
	ds_read_b64 v[0:1], v124 offset:440
	s_waitcnt lgkmcnt(4)
	v_fma_f64 v[18:19], -v[22:23], v[128:129], v[18:19]
	v_fma_f64 v[20:21], -v[22:23], v[130:131], v[20:21]
	s_waitcnt lgkmcnt(3)
	v_fma_f64 v[16:17], -v[22:23], v[132:133], v[16:17]
	v_fma_f64 v[14:15], -v[22:23], v[134:135], v[14:15]
	;; [unrolled: 3-line block ×4, first 2 shown]
	s_waitcnt lgkmcnt(0)
	v_fma_f64 v[116:117], -v[22:23], v[0:1], v[116:117]
.LBB110_794:
	s_or_b32 exec_lo, exec_lo, s0
	v_lshl_add_u32 v0, v127, 3, v124
	s_barrier
	buffer_gl0_inv
	v_mov_b32_e32 v118, 47
	ds_write_b64 v0, v[18:19]
	s_waitcnt lgkmcnt(0)
	s_barrier
	buffer_gl0_inv
	ds_read_b64 v[0:1], v124 offset:376
	s_cmp_lt_i32 s7, 49
	s_cbranch_scc1 .LBB110_797
; %bb.795:
	v_add3_u32 v119, v125, 0, 0x180
	v_mov_b32_e32 v118, 47
	s_mov_b32 s0, 48
.LBB110_796:                            ; =>This Inner Loop Header: Depth=1
	ds_read_b64 v[128:129], v119
	v_add_nc_u32_e32 v119, 8, v119
	s_waitcnt lgkmcnt(0)
	v_cmp_lt_f64_e64 vcc_lo, |v[0:1]|, |v[128:129]|
	v_cndmask_b32_e32 v1, v1, v129, vcc_lo
	v_cndmask_b32_e32 v0, v0, v128, vcc_lo
	v_cndmask_b32_e64 v118, v118, s0, vcc_lo
	s_add_i32 s0, s0, 1
	s_cmp_lg_u32 s7, s0
	s_cbranch_scc1 .LBB110_796
.LBB110_797:
	s_mov_b32 s0, exec_lo
	s_waitcnt lgkmcnt(0)
	v_cmpx_eq_f64_e32 0, v[0:1]
	s_xor_b32 s0, exec_lo, s0
; %bb.798:
	v_cmp_ne_u32_e32 vcc_lo, 0, v121
	v_cndmask_b32_e32 v121, 48, v121, vcc_lo
; %bb.799:
	s_andn2_saveexec_b32 s0, s0
	s_cbranch_execz .LBB110_801
; %bb.800:
	v_div_scale_f64 v[119:120], null, v[0:1], v[0:1], 1.0
	v_rcp_f64_e32 v[128:129], v[119:120]
	v_fma_f64 v[130:131], -v[119:120], v[128:129], 1.0
	v_fma_f64 v[128:129], v[128:129], v[130:131], v[128:129]
	v_fma_f64 v[130:131], -v[119:120], v[128:129], 1.0
	v_fma_f64 v[128:129], v[128:129], v[130:131], v[128:129]
	v_div_scale_f64 v[130:131], vcc_lo, 1.0, v[0:1], 1.0
	v_mul_f64 v[132:133], v[130:131], v[128:129]
	v_fma_f64 v[119:120], -v[119:120], v[132:133], v[130:131]
	v_div_fmas_f64 v[119:120], v[119:120], v[128:129], v[132:133]
	v_div_fixup_f64 v[0:1], v[119:120], v[0:1], 1.0
.LBB110_801:
	s_or_b32 exec_lo, exec_lo, s0
	s_mov_b32 s0, exec_lo
	v_cmpx_ne_u32_e64 v127, v118
	s_xor_b32 s0, exec_lo, s0
	s_cbranch_execz .LBB110_807
; %bb.802:
	s_mov_b32 s1, exec_lo
	v_cmpx_eq_u32_e32 47, v127
	s_cbranch_execz .LBB110_806
; %bb.803:
	v_cmp_ne_u32_e32 vcc_lo, 47, v118
	s_xor_b32 s2, s6, -1
	s_and_b32 s3, s2, vcc_lo
	s_and_saveexec_b32 s2, s3
	s_cbranch_execz .LBB110_805
; %bb.804:
	v_ashrrev_i32_e32 v119, 31, v118
	v_lshlrev_b64 v[119:120], 2, v[118:119]
	v_add_co_u32 v119, vcc_lo, v4, v119
	v_add_co_ci_u32_e64 v120, null, v5, v120, vcc_lo
	s_clause 0x1
	global_load_dword v126, v[119:120], off
	global_load_dword v127, v[4:5], off offset:188
	s_waitcnt vmcnt(1)
	global_store_dword v[4:5], v126, off offset:188
	s_waitcnt vmcnt(0)
	global_store_dword v[119:120], v127, off
.LBB110_805:
	s_or_b32 exec_lo, exec_lo, s2
	v_mov_b32_e32 v126, v118
	v_mov_b32_e32 v127, v118
.LBB110_806:
	s_or_b32 exec_lo, exec_lo, s1
.LBB110_807:
	s_andn2_saveexec_b32 s0, s0
	s_cbranch_execz .LBB110_809
; %bb.808:
	v_mov_b32_e32 v118, v20
	v_mov_b32_e32 v119, v21
	;; [unrolled: 1-line block ×15, first 2 shown]
	ds_write2_b64 v124, v[118:119], v[128:129] offset0:48 offset1:49
	ds_write2_b64 v124, v[130:131], v[132:133] offset0:50 offset1:51
	;; [unrolled: 1-line block ×4, first 2 shown]
.LBB110_809:
	s_or_b32 exec_lo, exec_lo, s0
	s_mov_b32 s0, exec_lo
	s_waitcnt lgkmcnt(0)
	s_waitcnt_vscnt null, 0x0
	s_barrier
	buffer_gl0_inv
	v_cmpx_lt_i32_e32 47, v127
	s_cbranch_execz .LBB110_811
; %bb.810:
	v_mul_f64 v[18:19], v[0:1], v[18:19]
	ds_read2_b64 v[128:131], v124 offset0:48 offset1:49
	ds_read2_b64 v[132:135], v124 offset0:50 offset1:51
	;; [unrolled: 1-line block ×4, first 2 shown]
	s_waitcnt lgkmcnt(3)
	v_fma_f64 v[20:21], -v[18:19], v[128:129], v[20:21]
	v_fma_f64 v[16:17], -v[18:19], v[130:131], v[16:17]
	s_waitcnt lgkmcnt(2)
	v_fma_f64 v[14:15], -v[18:19], v[132:133], v[14:15]
	v_fma_f64 v[8:9], -v[18:19], v[134:135], v[8:9]
	;; [unrolled: 3-line block ×4, first 2 shown]
.LBB110_811:
	s_or_b32 exec_lo, exec_lo, s0
	v_lshl_add_u32 v0, v127, 3, v124
	s_barrier
	buffer_gl0_inv
	v_mov_b32_e32 v118, 48
	ds_write_b64 v0, v[20:21]
	s_waitcnt lgkmcnt(0)
	s_barrier
	buffer_gl0_inv
	ds_read_b64 v[0:1], v124 offset:384
	s_cmp_lt_i32 s7, 50
	s_cbranch_scc1 .LBB110_814
; %bb.812:
	v_add3_u32 v119, v125, 0, 0x188
	v_mov_b32_e32 v118, 48
	s_mov_b32 s0, 49
.LBB110_813:                            ; =>This Inner Loop Header: Depth=1
	ds_read_b64 v[128:129], v119
	v_add_nc_u32_e32 v119, 8, v119
	s_waitcnt lgkmcnt(0)
	v_cmp_lt_f64_e64 vcc_lo, |v[0:1]|, |v[128:129]|
	v_cndmask_b32_e32 v1, v1, v129, vcc_lo
	v_cndmask_b32_e32 v0, v0, v128, vcc_lo
	v_cndmask_b32_e64 v118, v118, s0, vcc_lo
	s_add_i32 s0, s0, 1
	s_cmp_lg_u32 s7, s0
	s_cbranch_scc1 .LBB110_813
.LBB110_814:
	s_mov_b32 s0, exec_lo
	s_waitcnt lgkmcnt(0)
	v_cmpx_eq_f64_e32 0, v[0:1]
	s_xor_b32 s0, exec_lo, s0
; %bb.815:
	v_cmp_ne_u32_e32 vcc_lo, 0, v121
	v_cndmask_b32_e32 v121, 49, v121, vcc_lo
; %bb.816:
	s_andn2_saveexec_b32 s0, s0
	s_cbranch_execz .LBB110_818
; %bb.817:
	v_div_scale_f64 v[119:120], null, v[0:1], v[0:1], 1.0
	v_rcp_f64_e32 v[128:129], v[119:120]
	v_fma_f64 v[130:131], -v[119:120], v[128:129], 1.0
	v_fma_f64 v[128:129], v[128:129], v[130:131], v[128:129]
	v_fma_f64 v[130:131], -v[119:120], v[128:129], 1.0
	v_fma_f64 v[128:129], v[128:129], v[130:131], v[128:129]
	v_div_scale_f64 v[130:131], vcc_lo, 1.0, v[0:1], 1.0
	v_mul_f64 v[132:133], v[130:131], v[128:129]
	v_fma_f64 v[119:120], -v[119:120], v[132:133], v[130:131]
	v_div_fmas_f64 v[119:120], v[119:120], v[128:129], v[132:133]
	v_div_fixup_f64 v[0:1], v[119:120], v[0:1], 1.0
.LBB110_818:
	s_or_b32 exec_lo, exec_lo, s0
	s_mov_b32 s0, exec_lo
	v_cmpx_ne_u32_e64 v127, v118
	s_xor_b32 s0, exec_lo, s0
	s_cbranch_execz .LBB110_824
; %bb.819:
	s_mov_b32 s1, exec_lo
	v_cmpx_eq_u32_e32 48, v127
	s_cbranch_execz .LBB110_823
; %bb.820:
	v_cmp_ne_u32_e32 vcc_lo, 48, v118
	s_xor_b32 s2, s6, -1
	s_and_b32 s3, s2, vcc_lo
	s_and_saveexec_b32 s2, s3
	s_cbranch_execz .LBB110_822
; %bb.821:
	v_ashrrev_i32_e32 v119, 31, v118
	v_lshlrev_b64 v[119:120], 2, v[118:119]
	v_add_co_u32 v119, vcc_lo, v4, v119
	v_add_co_ci_u32_e64 v120, null, v5, v120, vcc_lo
	s_clause 0x1
	global_load_dword v126, v[119:120], off
	global_load_dword v127, v[4:5], off offset:192
	s_waitcnt vmcnt(1)
	global_store_dword v[4:5], v126, off offset:192
	s_waitcnt vmcnt(0)
	global_store_dword v[119:120], v127, off
.LBB110_822:
	s_or_b32 exec_lo, exec_lo, s2
	v_mov_b32_e32 v126, v118
	v_mov_b32_e32 v127, v118
.LBB110_823:
	s_or_b32 exec_lo, exec_lo, s1
.LBB110_824:
	s_andn2_saveexec_b32 s0, s0
	s_cbranch_execz .LBB110_826
; %bb.825:
	v_mov_b32_e32 v127, 48
	ds_write2_b64 v124, v[16:17], v[14:15] offset0:49 offset1:50
	ds_write2_b64 v124, v[8:9], v[12:13] offset0:51 offset1:52
	ds_write2_b64 v124, v[6:7], v[10:11] offset0:53 offset1:54
	ds_write_b64 v124, v[116:117] offset:440
.LBB110_826:
	s_or_b32 exec_lo, exec_lo, s0
	s_mov_b32 s0, exec_lo
	s_waitcnt lgkmcnt(0)
	s_waitcnt_vscnt null, 0x0
	s_barrier
	buffer_gl0_inv
	v_cmpx_lt_i32_e32 48, v127
	s_cbranch_execz .LBB110_828
; %bb.827:
	v_mul_f64 v[20:21], v[0:1], v[20:21]
	ds_read2_b64 v[128:131], v124 offset0:49 offset1:50
	ds_read2_b64 v[132:135], v124 offset0:51 offset1:52
	;; [unrolled: 1-line block ×3, first 2 shown]
	ds_read_b64 v[0:1], v124 offset:440
	s_waitcnt lgkmcnt(3)
	v_fma_f64 v[16:17], -v[20:21], v[128:129], v[16:17]
	v_fma_f64 v[14:15], -v[20:21], v[130:131], v[14:15]
	s_waitcnt lgkmcnt(2)
	v_fma_f64 v[8:9], -v[20:21], v[132:133], v[8:9]
	v_fma_f64 v[12:13], -v[20:21], v[134:135], v[12:13]
	;; [unrolled: 3-line block ×3, first 2 shown]
	s_waitcnt lgkmcnt(0)
	v_fma_f64 v[116:117], -v[20:21], v[0:1], v[116:117]
.LBB110_828:
	s_or_b32 exec_lo, exec_lo, s0
	v_lshl_add_u32 v0, v127, 3, v124
	s_barrier
	buffer_gl0_inv
	v_mov_b32_e32 v118, 49
	ds_write_b64 v0, v[16:17]
	s_waitcnt lgkmcnt(0)
	s_barrier
	buffer_gl0_inv
	ds_read_b64 v[0:1], v124 offset:392
	s_cmp_lt_i32 s7, 51
	s_cbranch_scc1 .LBB110_831
; %bb.829:
	v_add3_u32 v119, v125, 0, 0x190
	v_mov_b32_e32 v118, 49
	s_mov_b32 s0, 50
.LBB110_830:                            ; =>This Inner Loop Header: Depth=1
	ds_read_b64 v[128:129], v119
	v_add_nc_u32_e32 v119, 8, v119
	s_waitcnt lgkmcnt(0)
	v_cmp_lt_f64_e64 vcc_lo, |v[0:1]|, |v[128:129]|
	v_cndmask_b32_e32 v1, v1, v129, vcc_lo
	v_cndmask_b32_e32 v0, v0, v128, vcc_lo
	v_cndmask_b32_e64 v118, v118, s0, vcc_lo
	s_add_i32 s0, s0, 1
	s_cmp_lg_u32 s7, s0
	s_cbranch_scc1 .LBB110_830
.LBB110_831:
	s_mov_b32 s0, exec_lo
	s_waitcnt lgkmcnt(0)
	v_cmpx_eq_f64_e32 0, v[0:1]
	s_xor_b32 s0, exec_lo, s0
; %bb.832:
	v_cmp_ne_u32_e32 vcc_lo, 0, v121
	v_cndmask_b32_e32 v121, 50, v121, vcc_lo
; %bb.833:
	s_andn2_saveexec_b32 s0, s0
	s_cbranch_execz .LBB110_835
; %bb.834:
	v_div_scale_f64 v[119:120], null, v[0:1], v[0:1], 1.0
	v_rcp_f64_e32 v[128:129], v[119:120]
	v_fma_f64 v[130:131], -v[119:120], v[128:129], 1.0
	v_fma_f64 v[128:129], v[128:129], v[130:131], v[128:129]
	v_fma_f64 v[130:131], -v[119:120], v[128:129], 1.0
	v_fma_f64 v[128:129], v[128:129], v[130:131], v[128:129]
	v_div_scale_f64 v[130:131], vcc_lo, 1.0, v[0:1], 1.0
	v_mul_f64 v[132:133], v[130:131], v[128:129]
	v_fma_f64 v[119:120], -v[119:120], v[132:133], v[130:131]
	v_div_fmas_f64 v[119:120], v[119:120], v[128:129], v[132:133]
	v_div_fixup_f64 v[0:1], v[119:120], v[0:1], 1.0
.LBB110_835:
	s_or_b32 exec_lo, exec_lo, s0
	s_mov_b32 s0, exec_lo
	v_cmpx_ne_u32_e64 v127, v118
	s_xor_b32 s0, exec_lo, s0
	s_cbranch_execz .LBB110_841
; %bb.836:
	s_mov_b32 s1, exec_lo
	v_cmpx_eq_u32_e32 49, v127
	s_cbranch_execz .LBB110_840
; %bb.837:
	v_cmp_ne_u32_e32 vcc_lo, 49, v118
	s_xor_b32 s2, s6, -1
	s_and_b32 s3, s2, vcc_lo
	s_and_saveexec_b32 s2, s3
	s_cbranch_execz .LBB110_839
; %bb.838:
	v_ashrrev_i32_e32 v119, 31, v118
	v_lshlrev_b64 v[119:120], 2, v[118:119]
	v_add_co_u32 v119, vcc_lo, v4, v119
	v_add_co_ci_u32_e64 v120, null, v5, v120, vcc_lo
	s_clause 0x1
	global_load_dword v126, v[119:120], off
	global_load_dword v127, v[4:5], off offset:196
	s_waitcnt vmcnt(1)
	global_store_dword v[4:5], v126, off offset:196
	s_waitcnt vmcnt(0)
	global_store_dword v[119:120], v127, off
.LBB110_839:
	s_or_b32 exec_lo, exec_lo, s2
	v_mov_b32_e32 v126, v118
	v_mov_b32_e32 v127, v118
.LBB110_840:
	s_or_b32 exec_lo, exec_lo, s1
.LBB110_841:
	s_andn2_saveexec_b32 s0, s0
	s_cbranch_execz .LBB110_843
; %bb.842:
	v_mov_b32_e32 v118, v14
	v_mov_b32_e32 v119, v15
	;; [unrolled: 1-line block ×11, first 2 shown]
	ds_write2_b64 v124, v[118:119], v[128:129] offset0:50 offset1:51
	ds_write2_b64 v124, v[130:131], v[132:133] offset0:52 offset1:53
	;; [unrolled: 1-line block ×3, first 2 shown]
.LBB110_843:
	s_or_b32 exec_lo, exec_lo, s0
	s_mov_b32 s0, exec_lo
	s_waitcnt lgkmcnt(0)
	s_waitcnt_vscnt null, 0x0
	s_barrier
	buffer_gl0_inv
	v_cmpx_lt_i32_e32 49, v127
	s_cbranch_execz .LBB110_845
; %bb.844:
	v_mul_f64 v[16:17], v[0:1], v[16:17]
	ds_read2_b64 v[128:131], v124 offset0:50 offset1:51
	ds_read2_b64 v[132:135], v124 offset0:52 offset1:53
	;; [unrolled: 1-line block ×3, first 2 shown]
	s_waitcnt lgkmcnt(2)
	v_fma_f64 v[14:15], -v[16:17], v[128:129], v[14:15]
	v_fma_f64 v[8:9], -v[16:17], v[130:131], v[8:9]
	s_waitcnt lgkmcnt(1)
	v_fma_f64 v[12:13], -v[16:17], v[132:133], v[12:13]
	v_fma_f64 v[6:7], -v[16:17], v[134:135], v[6:7]
	;; [unrolled: 3-line block ×3, first 2 shown]
.LBB110_845:
	s_or_b32 exec_lo, exec_lo, s0
	v_lshl_add_u32 v0, v127, 3, v124
	s_barrier
	buffer_gl0_inv
	v_mov_b32_e32 v118, 50
	ds_write_b64 v0, v[14:15]
	s_waitcnt lgkmcnt(0)
	s_barrier
	buffer_gl0_inv
	ds_read_b64 v[0:1], v124 offset:400
	s_cmp_lt_i32 s7, 52
	s_cbranch_scc1 .LBB110_848
; %bb.846:
	v_add3_u32 v119, v125, 0, 0x198
	v_mov_b32_e32 v118, 50
	s_mov_b32 s0, 51
.LBB110_847:                            ; =>This Inner Loop Header: Depth=1
	ds_read_b64 v[128:129], v119
	v_add_nc_u32_e32 v119, 8, v119
	s_waitcnt lgkmcnt(0)
	v_cmp_lt_f64_e64 vcc_lo, |v[0:1]|, |v[128:129]|
	v_cndmask_b32_e32 v1, v1, v129, vcc_lo
	v_cndmask_b32_e32 v0, v0, v128, vcc_lo
	v_cndmask_b32_e64 v118, v118, s0, vcc_lo
	s_add_i32 s0, s0, 1
	s_cmp_lg_u32 s7, s0
	s_cbranch_scc1 .LBB110_847
.LBB110_848:
	s_mov_b32 s0, exec_lo
	s_waitcnt lgkmcnt(0)
	v_cmpx_eq_f64_e32 0, v[0:1]
	s_xor_b32 s0, exec_lo, s0
; %bb.849:
	v_cmp_ne_u32_e32 vcc_lo, 0, v121
	v_cndmask_b32_e32 v121, 51, v121, vcc_lo
; %bb.850:
	s_andn2_saveexec_b32 s0, s0
	s_cbranch_execz .LBB110_852
; %bb.851:
	v_div_scale_f64 v[119:120], null, v[0:1], v[0:1], 1.0
	v_rcp_f64_e32 v[128:129], v[119:120]
	v_fma_f64 v[130:131], -v[119:120], v[128:129], 1.0
	v_fma_f64 v[128:129], v[128:129], v[130:131], v[128:129]
	v_fma_f64 v[130:131], -v[119:120], v[128:129], 1.0
	v_fma_f64 v[128:129], v[128:129], v[130:131], v[128:129]
	v_div_scale_f64 v[130:131], vcc_lo, 1.0, v[0:1], 1.0
	v_mul_f64 v[132:133], v[130:131], v[128:129]
	v_fma_f64 v[119:120], -v[119:120], v[132:133], v[130:131]
	v_div_fmas_f64 v[119:120], v[119:120], v[128:129], v[132:133]
	v_div_fixup_f64 v[0:1], v[119:120], v[0:1], 1.0
.LBB110_852:
	s_or_b32 exec_lo, exec_lo, s0
	s_mov_b32 s0, exec_lo
	v_cmpx_ne_u32_e64 v127, v118
	s_xor_b32 s0, exec_lo, s0
	s_cbranch_execz .LBB110_858
; %bb.853:
	s_mov_b32 s1, exec_lo
	v_cmpx_eq_u32_e32 50, v127
	s_cbranch_execz .LBB110_857
; %bb.854:
	v_cmp_ne_u32_e32 vcc_lo, 50, v118
	s_xor_b32 s2, s6, -1
	s_and_b32 s3, s2, vcc_lo
	s_and_saveexec_b32 s2, s3
	s_cbranch_execz .LBB110_856
; %bb.855:
	v_ashrrev_i32_e32 v119, 31, v118
	v_lshlrev_b64 v[119:120], 2, v[118:119]
	v_add_co_u32 v119, vcc_lo, v4, v119
	v_add_co_ci_u32_e64 v120, null, v5, v120, vcc_lo
	s_clause 0x1
	global_load_dword v126, v[119:120], off
	global_load_dword v127, v[4:5], off offset:200
	s_waitcnt vmcnt(1)
	global_store_dword v[4:5], v126, off offset:200
	s_waitcnt vmcnt(0)
	global_store_dword v[119:120], v127, off
.LBB110_856:
	s_or_b32 exec_lo, exec_lo, s2
	v_mov_b32_e32 v126, v118
	v_mov_b32_e32 v127, v118
.LBB110_857:
	s_or_b32 exec_lo, exec_lo, s1
.LBB110_858:
	s_andn2_saveexec_b32 s0, s0
	s_cbranch_execz .LBB110_860
; %bb.859:
	v_mov_b32_e32 v127, 50
	ds_write2_b64 v124, v[8:9], v[12:13] offset0:51 offset1:52
	ds_write2_b64 v124, v[6:7], v[10:11] offset0:53 offset1:54
	ds_write_b64 v124, v[116:117] offset:440
.LBB110_860:
	s_or_b32 exec_lo, exec_lo, s0
	s_mov_b32 s0, exec_lo
	s_waitcnt lgkmcnt(0)
	s_waitcnt_vscnt null, 0x0
	s_barrier
	buffer_gl0_inv
	v_cmpx_lt_i32_e32 50, v127
	s_cbranch_execz .LBB110_862
; %bb.861:
	v_mul_f64 v[14:15], v[0:1], v[14:15]
	ds_read2_b64 v[128:131], v124 offset0:51 offset1:52
	ds_read2_b64 v[132:135], v124 offset0:53 offset1:54
	ds_read_b64 v[0:1], v124 offset:440
	s_waitcnt lgkmcnt(2)
	v_fma_f64 v[8:9], -v[14:15], v[128:129], v[8:9]
	v_fma_f64 v[12:13], -v[14:15], v[130:131], v[12:13]
	s_waitcnt lgkmcnt(1)
	v_fma_f64 v[6:7], -v[14:15], v[132:133], v[6:7]
	v_fma_f64 v[10:11], -v[14:15], v[134:135], v[10:11]
	s_waitcnt lgkmcnt(0)
	v_fma_f64 v[116:117], -v[14:15], v[0:1], v[116:117]
.LBB110_862:
	s_or_b32 exec_lo, exec_lo, s0
	v_lshl_add_u32 v0, v127, 3, v124
	s_barrier
	buffer_gl0_inv
	v_mov_b32_e32 v118, 51
	ds_write_b64 v0, v[8:9]
	s_waitcnt lgkmcnt(0)
	s_barrier
	buffer_gl0_inv
	ds_read_b64 v[0:1], v124 offset:408
	s_cmp_lt_i32 s7, 53
	s_cbranch_scc1 .LBB110_865
; %bb.863:
	v_add3_u32 v119, v125, 0, 0x1a0
	v_mov_b32_e32 v118, 51
	s_mov_b32 s0, 52
.LBB110_864:                            ; =>This Inner Loop Header: Depth=1
	ds_read_b64 v[128:129], v119
	v_add_nc_u32_e32 v119, 8, v119
	s_waitcnt lgkmcnt(0)
	v_cmp_lt_f64_e64 vcc_lo, |v[0:1]|, |v[128:129]|
	v_cndmask_b32_e32 v1, v1, v129, vcc_lo
	v_cndmask_b32_e32 v0, v0, v128, vcc_lo
	v_cndmask_b32_e64 v118, v118, s0, vcc_lo
	s_add_i32 s0, s0, 1
	s_cmp_lg_u32 s7, s0
	s_cbranch_scc1 .LBB110_864
.LBB110_865:
	s_mov_b32 s0, exec_lo
	s_waitcnt lgkmcnt(0)
	v_cmpx_eq_f64_e32 0, v[0:1]
	s_xor_b32 s0, exec_lo, s0
; %bb.866:
	v_cmp_ne_u32_e32 vcc_lo, 0, v121
	v_cndmask_b32_e32 v121, 52, v121, vcc_lo
; %bb.867:
	s_andn2_saveexec_b32 s0, s0
	s_cbranch_execz .LBB110_869
; %bb.868:
	v_div_scale_f64 v[119:120], null, v[0:1], v[0:1], 1.0
	v_rcp_f64_e32 v[128:129], v[119:120]
	v_fma_f64 v[130:131], -v[119:120], v[128:129], 1.0
	v_fma_f64 v[128:129], v[128:129], v[130:131], v[128:129]
	v_fma_f64 v[130:131], -v[119:120], v[128:129], 1.0
	v_fma_f64 v[128:129], v[128:129], v[130:131], v[128:129]
	v_div_scale_f64 v[130:131], vcc_lo, 1.0, v[0:1], 1.0
	v_mul_f64 v[132:133], v[130:131], v[128:129]
	v_fma_f64 v[119:120], -v[119:120], v[132:133], v[130:131]
	v_div_fmas_f64 v[119:120], v[119:120], v[128:129], v[132:133]
	v_div_fixup_f64 v[0:1], v[119:120], v[0:1], 1.0
.LBB110_869:
	s_or_b32 exec_lo, exec_lo, s0
	s_mov_b32 s0, exec_lo
	v_cmpx_ne_u32_e64 v127, v118
	s_xor_b32 s0, exec_lo, s0
	s_cbranch_execz .LBB110_875
; %bb.870:
	s_mov_b32 s1, exec_lo
	v_cmpx_eq_u32_e32 51, v127
	s_cbranch_execz .LBB110_874
; %bb.871:
	v_cmp_ne_u32_e32 vcc_lo, 51, v118
	s_xor_b32 s2, s6, -1
	s_and_b32 s3, s2, vcc_lo
	s_and_saveexec_b32 s2, s3
	s_cbranch_execz .LBB110_873
; %bb.872:
	v_ashrrev_i32_e32 v119, 31, v118
	v_lshlrev_b64 v[119:120], 2, v[118:119]
	v_add_co_u32 v119, vcc_lo, v4, v119
	v_add_co_ci_u32_e64 v120, null, v5, v120, vcc_lo
	s_clause 0x1
	global_load_dword v126, v[119:120], off
	global_load_dword v127, v[4:5], off offset:204
	s_waitcnt vmcnt(1)
	global_store_dword v[4:5], v126, off offset:204
	s_waitcnt vmcnt(0)
	global_store_dword v[119:120], v127, off
.LBB110_873:
	s_or_b32 exec_lo, exec_lo, s2
	v_mov_b32_e32 v126, v118
	v_mov_b32_e32 v127, v118
.LBB110_874:
	s_or_b32 exec_lo, exec_lo, s1
.LBB110_875:
	s_andn2_saveexec_b32 s0, s0
	s_cbranch_execz .LBB110_877
; %bb.876:
	v_mov_b32_e32 v118, v12
	v_mov_b32_e32 v119, v13
	;; [unrolled: 1-line block ×7, first 2 shown]
	ds_write2_b64 v124, v[118:119], v[128:129] offset0:52 offset1:53
	ds_write2_b64 v124, v[130:131], v[116:117] offset0:54 offset1:55
.LBB110_877:
	s_or_b32 exec_lo, exec_lo, s0
	s_mov_b32 s0, exec_lo
	s_waitcnt lgkmcnt(0)
	s_waitcnt_vscnt null, 0x0
	s_barrier
	buffer_gl0_inv
	v_cmpx_lt_i32_e32 51, v127
	s_cbranch_execz .LBB110_879
; %bb.878:
	v_mul_f64 v[8:9], v[0:1], v[8:9]
	ds_read2_b64 v[128:131], v124 offset0:52 offset1:53
	ds_read2_b64 v[132:135], v124 offset0:54 offset1:55
	s_waitcnt lgkmcnt(1)
	v_fma_f64 v[12:13], -v[8:9], v[128:129], v[12:13]
	v_fma_f64 v[6:7], -v[8:9], v[130:131], v[6:7]
	s_waitcnt lgkmcnt(0)
	v_fma_f64 v[10:11], -v[8:9], v[132:133], v[10:11]
	v_fma_f64 v[116:117], -v[8:9], v[134:135], v[116:117]
.LBB110_879:
	s_or_b32 exec_lo, exec_lo, s0
	v_lshl_add_u32 v0, v127, 3, v124
	s_barrier
	buffer_gl0_inv
	v_mov_b32_e32 v118, 52
	ds_write_b64 v0, v[12:13]
	s_waitcnt lgkmcnt(0)
	s_barrier
	buffer_gl0_inv
	ds_read_b64 v[0:1], v124 offset:416
	s_cmp_lt_i32 s7, 54
	s_cbranch_scc1 .LBB110_882
; %bb.880:
	v_add3_u32 v119, v125, 0, 0x1a8
	v_mov_b32_e32 v118, 52
	s_mov_b32 s0, 53
.LBB110_881:                            ; =>This Inner Loop Header: Depth=1
	ds_read_b64 v[128:129], v119
	v_add_nc_u32_e32 v119, 8, v119
	s_waitcnt lgkmcnt(0)
	v_cmp_lt_f64_e64 vcc_lo, |v[0:1]|, |v[128:129]|
	v_cndmask_b32_e32 v1, v1, v129, vcc_lo
	v_cndmask_b32_e32 v0, v0, v128, vcc_lo
	v_cndmask_b32_e64 v118, v118, s0, vcc_lo
	s_add_i32 s0, s0, 1
	s_cmp_lg_u32 s7, s0
	s_cbranch_scc1 .LBB110_881
.LBB110_882:
	s_mov_b32 s0, exec_lo
	s_waitcnt lgkmcnt(0)
	v_cmpx_eq_f64_e32 0, v[0:1]
	s_xor_b32 s0, exec_lo, s0
; %bb.883:
	v_cmp_ne_u32_e32 vcc_lo, 0, v121
	v_cndmask_b32_e32 v121, 53, v121, vcc_lo
; %bb.884:
	s_andn2_saveexec_b32 s0, s0
	s_cbranch_execz .LBB110_886
; %bb.885:
	v_div_scale_f64 v[119:120], null, v[0:1], v[0:1], 1.0
	v_rcp_f64_e32 v[128:129], v[119:120]
	v_fma_f64 v[130:131], -v[119:120], v[128:129], 1.0
	v_fma_f64 v[128:129], v[128:129], v[130:131], v[128:129]
	v_fma_f64 v[130:131], -v[119:120], v[128:129], 1.0
	v_fma_f64 v[128:129], v[128:129], v[130:131], v[128:129]
	v_div_scale_f64 v[130:131], vcc_lo, 1.0, v[0:1], 1.0
	v_mul_f64 v[132:133], v[130:131], v[128:129]
	v_fma_f64 v[119:120], -v[119:120], v[132:133], v[130:131]
	v_div_fmas_f64 v[119:120], v[119:120], v[128:129], v[132:133]
	v_div_fixup_f64 v[0:1], v[119:120], v[0:1], 1.0
.LBB110_886:
	s_or_b32 exec_lo, exec_lo, s0
	s_mov_b32 s0, exec_lo
	v_cmpx_ne_u32_e64 v127, v118
	s_xor_b32 s0, exec_lo, s0
	s_cbranch_execz .LBB110_892
; %bb.887:
	s_mov_b32 s1, exec_lo
	v_cmpx_eq_u32_e32 52, v127
	s_cbranch_execz .LBB110_891
; %bb.888:
	v_cmp_ne_u32_e32 vcc_lo, 52, v118
	s_xor_b32 s2, s6, -1
	s_and_b32 s3, s2, vcc_lo
	s_and_saveexec_b32 s2, s3
	s_cbranch_execz .LBB110_890
; %bb.889:
	v_ashrrev_i32_e32 v119, 31, v118
	v_lshlrev_b64 v[119:120], 2, v[118:119]
	v_add_co_u32 v119, vcc_lo, v4, v119
	v_add_co_ci_u32_e64 v120, null, v5, v120, vcc_lo
	s_clause 0x1
	global_load_dword v126, v[119:120], off
	global_load_dword v127, v[4:5], off offset:208
	s_waitcnt vmcnt(1)
	global_store_dword v[4:5], v126, off offset:208
	s_waitcnt vmcnt(0)
	global_store_dword v[119:120], v127, off
.LBB110_890:
	s_or_b32 exec_lo, exec_lo, s2
	v_mov_b32_e32 v126, v118
	v_mov_b32_e32 v127, v118
.LBB110_891:
	s_or_b32 exec_lo, exec_lo, s1
.LBB110_892:
	s_andn2_saveexec_b32 s0, s0
	s_cbranch_execz .LBB110_894
; %bb.893:
	v_mov_b32_e32 v127, 52
	ds_write2_b64 v124, v[6:7], v[10:11] offset0:53 offset1:54
	ds_write_b64 v124, v[116:117] offset:440
.LBB110_894:
	s_or_b32 exec_lo, exec_lo, s0
	s_mov_b32 s0, exec_lo
	s_waitcnt lgkmcnt(0)
	s_waitcnt_vscnt null, 0x0
	s_barrier
	buffer_gl0_inv
	v_cmpx_lt_i32_e32 52, v127
	s_cbranch_execz .LBB110_896
; %bb.895:
	v_mul_f64 v[12:13], v[0:1], v[12:13]
	ds_read2_b64 v[128:131], v124 offset0:53 offset1:54
	ds_read_b64 v[0:1], v124 offset:440
	s_waitcnt lgkmcnt(1)
	v_fma_f64 v[6:7], -v[12:13], v[128:129], v[6:7]
	v_fma_f64 v[10:11], -v[12:13], v[130:131], v[10:11]
	s_waitcnt lgkmcnt(0)
	v_fma_f64 v[116:117], -v[12:13], v[0:1], v[116:117]
.LBB110_896:
	s_or_b32 exec_lo, exec_lo, s0
	v_lshl_add_u32 v0, v127, 3, v124
	s_barrier
	buffer_gl0_inv
	v_mov_b32_e32 v118, 53
	ds_write_b64 v0, v[6:7]
	s_waitcnt lgkmcnt(0)
	s_barrier
	buffer_gl0_inv
	ds_read_b64 v[0:1], v124 offset:424
	s_cmp_lt_i32 s7, 55
	s_cbranch_scc1 .LBB110_899
; %bb.897:
	v_add3_u32 v119, v125, 0, 0x1b0
	v_mov_b32_e32 v118, 53
	s_mov_b32 s0, 54
.LBB110_898:                            ; =>This Inner Loop Header: Depth=1
	ds_read_b64 v[128:129], v119
	v_add_nc_u32_e32 v119, 8, v119
	s_waitcnt lgkmcnt(0)
	v_cmp_lt_f64_e64 vcc_lo, |v[0:1]|, |v[128:129]|
	v_cndmask_b32_e32 v1, v1, v129, vcc_lo
	v_cndmask_b32_e32 v0, v0, v128, vcc_lo
	v_cndmask_b32_e64 v118, v118, s0, vcc_lo
	s_add_i32 s0, s0, 1
	s_cmp_lg_u32 s7, s0
	s_cbranch_scc1 .LBB110_898
.LBB110_899:
	s_mov_b32 s0, exec_lo
	s_waitcnt lgkmcnt(0)
	v_cmpx_eq_f64_e32 0, v[0:1]
	s_xor_b32 s0, exec_lo, s0
; %bb.900:
	v_cmp_ne_u32_e32 vcc_lo, 0, v121
	v_cndmask_b32_e32 v121, 54, v121, vcc_lo
; %bb.901:
	s_andn2_saveexec_b32 s0, s0
	s_cbranch_execz .LBB110_903
; %bb.902:
	v_div_scale_f64 v[119:120], null, v[0:1], v[0:1], 1.0
	v_rcp_f64_e32 v[128:129], v[119:120]
	v_fma_f64 v[130:131], -v[119:120], v[128:129], 1.0
	v_fma_f64 v[128:129], v[128:129], v[130:131], v[128:129]
	v_fma_f64 v[130:131], -v[119:120], v[128:129], 1.0
	v_fma_f64 v[128:129], v[128:129], v[130:131], v[128:129]
	v_div_scale_f64 v[130:131], vcc_lo, 1.0, v[0:1], 1.0
	v_mul_f64 v[132:133], v[130:131], v[128:129]
	v_fma_f64 v[119:120], -v[119:120], v[132:133], v[130:131]
	v_div_fmas_f64 v[119:120], v[119:120], v[128:129], v[132:133]
	v_div_fixup_f64 v[0:1], v[119:120], v[0:1], 1.0
.LBB110_903:
	s_or_b32 exec_lo, exec_lo, s0
	s_mov_b32 s0, exec_lo
	v_cmpx_ne_u32_e64 v127, v118
	s_xor_b32 s0, exec_lo, s0
	s_cbranch_execz .LBB110_909
; %bb.904:
	s_mov_b32 s1, exec_lo
	v_cmpx_eq_u32_e32 53, v127
	s_cbranch_execz .LBB110_908
; %bb.905:
	v_cmp_ne_u32_e32 vcc_lo, 53, v118
	s_xor_b32 s2, s6, -1
	s_and_b32 s3, s2, vcc_lo
	s_and_saveexec_b32 s2, s3
	s_cbranch_execz .LBB110_907
; %bb.906:
	v_ashrrev_i32_e32 v119, 31, v118
	v_lshlrev_b64 v[119:120], 2, v[118:119]
	v_add_co_u32 v119, vcc_lo, v4, v119
	v_add_co_ci_u32_e64 v120, null, v5, v120, vcc_lo
	s_clause 0x1
	global_load_dword v126, v[119:120], off
	global_load_dword v127, v[4:5], off offset:212
	s_waitcnt vmcnt(1)
	global_store_dword v[4:5], v126, off offset:212
	s_waitcnt vmcnt(0)
	global_store_dword v[119:120], v127, off
.LBB110_907:
	s_or_b32 exec_lo, exec_lo, s2
	v_mov_b32_e32 v126, v118
	v_mov_b32_e32 v127, v118
.LBB110_908:
	s_or_b32 exec_lo, exec_lo, s1
.LBB110_909:
	s_andn2_saveexec_b32 s0, s0
	s_cbranch_execz .LBB110_911
; %bb.910:
	v_mov_b32_e32 v118, v10
	v_mov_b32_e32 v119, v11
	;; [unrolled: 1-line block ×3, first 2 shown]
	ds_write2_b64 v124, v[118:119], v[116:117] offset0:54 offset1:55
.LBB110_911:
	s_or_b32 exec_lo, exec_lo, s0
	s_mov_b32 s0, exec_lo
	s_waitcnt lgkmcnt(0)
	s_waitcnt_vscnt null, 0x0
	s_barrier
	buffer_gl0_inv
	v_cmpx_lt_i32_e32 53, v127
	s_cbranch_execz .LBB110_913
; %bb.912:
	v_mul_f64 v[6:7], v[0:1], v[6:7]
	ds_read2_b64 v[128:131], v124 offset0:54 offset1:55
	s_waitcnt lgkmcnt(0)
	v_fma_f64 v[10:11], -v[6:7], v[128:129], v[10:11]
	v_fma_f64 v[116:117], -v[6:7], v[130:131], v[116:117]
.LBB110_913:
	s_or_b32 exec_lo, exec_lo, s0
	v_lshl_add_u32 v0, v127, 3, v124
	s_barrier
	buffer_gl0_inv
	v_mov_b32_e32 v118, 54
	ds_write_b64 v0, v[10:11]
	s_waitcnt lgkmcnt(0)
	s_barrier
	buffer_gl0_inv
	ds_read_b64 v[0:1], v124 offset:432
	s_cmp_lt_i32 s7, 56
	s_cbranch_scc1 .LBB110_916
; %bb.914:
	v_add3_u32 v119, v125, 0, 0x1b8
	v_mov_b32_e32 v118, 54
	s_mov_b32 s0, 55
.LBB110_915:                            ; =>This Inner Loop Header: Depth=1
	ds_read_b64 v[128:129], v119
	v_add_nc_u32_e32 v119, 8, v119
	s_waitcnt lgkmcnt(0)
	v_cmp_lt_f64_e64 vcc_lo, |v[0:1]|, |v[128:129]|
	v_cndmask_b32_e32 v1, v1, v129, vcc_lo
	v_cndmask_b32_e32 v0, v0, v128, vcc_lo
	v_cndmask_b32_e64 v118, v118, s0, vcc_lo
	s_add_i32 s0, s0, 1
	s_cmp_lg_u32 s7, s0
	s_cbranch_scc1 .LBB110_915
.LBB110_916:
	s_mov_b32 s0, exec_lo
	s_waitcnt lgkmcnt(0)
	v_cmpx_eq_f64_e32 0, v[0:1]
	s_xor_b32 s0, exec_lo, s0
; %bb.917:
	v_cmp_ne_u32_e32 vcc_lo, 0, v121
	v_cndmask_b32_e32 v121, 55, v121, vcc_lo
; %bb.918:
	s_andn2_saveexec_b32 s0, s0
	s_cbranch_execz .LBB110_920
; %bb.919:
	v_div_scale_f64 v[119:120], null, v[0:1], v[0:1], 1.0
	v_rcp_f64_e32 v[128:129], v[119:120]
	v_fma_f64 v[130:131], -v[119:120], v[128:129], 1.0
	v_fma_f64 v[128:129], v[128:129], v[130:131], v[128:129]
	v_fma_f64 v[130:131], -v[119:120], v[128:129], 1.0
	v_fma_f64 v[128:129], v[128:129], v[130:131], v[128:129]
	v_div_scale_f64 v[130:131], vcc_lo, 1.0, v[0:1], 1.0
	v_mul_f64 v[132:133], v[130:131], v[128:129]
	v_fma_f64 v[119:120], -v[119:120], v[132:133], v[130:131]
	v_div_fmas_f64 v[119:120], v[119:120], v[128:129], v[132:133]
	v_div_fixup_f64 v[0:1], v[119:120], v[0:1], 1.0
.LBB110_920:
	s_or_b32 exec_lo, exec_lo, s0
	s_mov_b32 s0, exec_lo
	v_cmpx_ne_u32_e64 v127, v118
	s_xor_b32 s0, exec_lo, s0
	s_cbranch_execz .LBB110_926
; %bb.921:
	s_mov_b32 s1, exec_lo
	v_cmpx_eq_u32_e32 54, v127
	s_cbranch_execz .LBB110_925
; %bb.922:
	v_cmp_ne_u32_e32 vcc_lo, 54, v118
	s_xor_b32 s2, s6, -1
	s_and_b32 s3, s2, vcc_lo
	s_and_saveexec_b32 s2, s3
	s_cbranch_execz .LBB110_924
; %bb.923:
	v_ashrrev_i32_e32 v119, 31, v118
	v_lshlrev_b64 v[119:120], 2, v[118:119]
	v_add_co_u32 v119, vcc_lo, v4, v119
	v_add_co_ci_u32_e64 v120, null, v5, v120, vcc_lo
	s_clause 0x1
	global_load_dword v126, v[119:120], off
	global_load_dword v127, v[4:5], off offset:216
	s_waitcnt vmcnt(1)
	global_store_dword v[4:5], v126, off offset:216
	s_waitcnt vmcnt(0)
	global_store_dword v[119:120], v127, off
.LBB110_924:
	s_or_b32 exec_lo, exec_lo, s2
	v_mov_b32_e32 v126, v118
	v_mov_b32_e32 v127, v118
.LBB110_925:
	s_or_b32 exec_lo, exec_lo, s1
.LBB110_926:
	s_andn2_saveexec_b32 s0, s0
; %bb.927:
	v_mov_b32_e32 v127, 54
	ds_write_b64 v124, v[116:117] offset:440
; %bb.928:
	s_or_b32 exec_lo, exec_lo, s0
	s_mov_b32 s0, exec_lo
	s_waitcnt lgkmcnt(0)
	s_waitcnt_vscnt null, 0x0
	s_barrier
	buffer_gl0_inv
	v_cmpx_lt_i32_e32 54, v127
	s_cbranch_execz .LBB110_930
; %bb.929:
	v_mul_f64 v[10:11], v[0:1], v[10:11]
	ds_read_b64 v[0:1], v124 offset:440
	s_waitcnt lgkmcnt(0)
	v_fma_f64 v[116:117], -v[10:11], v[0:1], v[116:117]
.LBB110_930:
	s_or_b32 exec_lo, exec_lo, s0
	v_lshl_add_u32 v0, v127, 3, v124
	s_barrier
	buffer_gl0_inv
	v_mov_b32_e32 v118, 55
	ds_write_b64 v0, v[116:117]
	s_waitcnt lgkmcnt(0)
	s_barrier
	buffer_gl0_inv
	ds_read_b64 v[0:1], v124 offset:440
	s_cmp_lt_i32 s7, 57
	s_cbranch_scc1 .LBB110_933
; %bb.931:
	v_add3_u32 v119, v125, 0, 0x1c0
	v_mov_b32_e32 v118, 55
	s_mov_b32 s0, 56
.LBB110_932:                            ; =>This Inner Loop Header: Depth=1
	ds_read_b64 v[124:125], v119
	v_add_nc_u32_e32 v119, 8, v119
	s_waitcnt lgkmcnt(0)
	v_cmp_lt_f64_e64 vcc_lo, |v[0:1]|, |v[124:125]|
	v_cndmask_b32_e32 v1, v1, v125, vcc_lo
	v_cndmask_b32_e32 v0, v0, v124, vcc_lo
	v_cndmask_b32_e64 v118, v118, s0, vcc_lo
	s_add_i32 s0, s0, 1
	s_cmp_lg_u32 s7, s0
	s_cbranch_scc1 .LBB110_932
.LBB110_933:
	s_mov_b32 s0, exec_lo
	s_waitcnt lgkmcnt(0)
	v_cmpx_eq_f64_e32 0, v[0:1]
	s_xor_b32 s0, exec_lo, s0
; %bb.934:
	v_cmp_ne_u32_e32 vcc_lo, 0, v121
	v_cndmask_b32_e32 v121, 56, v121, vcc_lo
; %bb.935:
	s_andn2_saveexec_b32 s0, s0
	s_cbranch_execz .LBB110_937
; %bb.936:
	v_div_scale_f64 v[119:120], null, v[0:1], v[0:1], 1.0
	v_rcp_f64_e32 v[124:125], v[119:120]
	v_fma_f64 v[128:129], -v[119:120], v[124:125], 1.0
	v_fma_f64 v[124:125], v[124:125], v[128:129], v[124:125]
	v_fma_f64 v[128:129], -v[119:120], v[124:125], 1.0
	v_fma_f64 v[124:125], v[124:125], v[128:129], v[124:125]
	v_div_scale_f64 v[128:129], vcc_lo, 1.0, v[0:1], 1.0
	v_mul_f64 v[130:131], v[128:129], v[124:125]
	v_fma_f64 v[119:120], -v[119:120], v[130:131], v[128:129]
	v_div_fmas_f64 v[119:120], v[119:120], v[124:125], v[130:131]
	v_div_fixup_f64 v[0:1], v[119:120], v[0:1], 1.0
.LBB110_937:
	s_or_b32 exec_lo, exec_lo, s0
	v_mov_b32_e32 v119, 55
	s_mov_b32 s0, exec_lo
	v_cmpx_ne_u32_e64 v127, v118
	s_cbranch_execz .LBB110_943
; %bb.938:
	s_mov_b32 s1, exec_lo
	v_cmpx_eq_u32_e32 55, v127
	s_cbranch_execz .LBB110_942
; %bb.939:
	v_cmp_ne_u32_e32 vcc_lo, 55, v118
	s_xor_b32 s2, s6, -1
	s_and_b32 s3, s2, vcc_lo
	s_and_saveexec_b32 s2, s3
	s_cbranch_execz .LBB110_941
; %bb.940:
	v_ashrrev_i32_e32 v119, 31, v118
	v_lshlrev_b64 v[119:120], 2, v[118:119]
	v_add_co_u32 v119, vcc_lo, v4, v119
	v_add_co_ci_u32_e64 v120, null, v5, v120, vcc_lo
	s_clause 0x1
	global_load_dword v124, v[119:120], off
	global_load_dword v125, v[4:5], off offset:220
	s_waitcnt vmcnt(1)
	global_store_dword v[4:5], v124, off offset:220
	s_waitcnt vmcnt(0)
	global_store_dword v[119:120], v125, off
.LBB110_941:
	s_or_b32 exec_lo, exec_lo, s2
	v_mov_b32_e32 v126, v118
	v_mov_b32_e32 v127, v118
.LBB110_942:
	s_or_b32 exec_lo, exec_lo, s1
	v_mov_b32_e32 v119, v127
.LBB110_943:
	s_or_b32 exec_lo, exec_lo, s0
	s_load_dwordx8 s[0:7], s[4:5], 0x28
	v_ashrrev_i32_e32 v120, 31, v119
	s_mov_b32 s9, exec_lo
	s_waitcnt lgkmcnt(0)
	s_waitcnt_vscnt null, 0x0
	s_barrier
	buffer_gl0_inv
	s_barrier
	buffer_gl0_inv
	v_cmpx_gt_i32_e32 56, v119
	s_cbranch_execz .LBB110_945
; %bb.944:
	v_mul_lo_u32 v118, s5, v2
	v_mul_lo_u32 v124, s4, v3
	v_mad_u64_u32 v[4:5], null, s4, v2, 0
	s_lshl_b64 s[2:3], s[2:3], 2
	v_add3_u32 v5, v5, v124, v118
	v_lshlrev_b64 v[4:5], 2, v[4:5]
	v_add_co_u32 v118, vcc_lo, s0, v4
	v_add_co_ci_u32_e64 v124, null, s1, v5, vcc_lo
	v_lshlrev_b64 v[4:5], 2, v[119:120]
	v_add_co_u32 v118, vcc_lo, v118, s2
	v_add_co_ci_u32_e64 v124, null, s3, v124, vcc_lo
	v_add_co_u32 v4, vcc_lo, v118, v4
	v_add_co_ci_u32_e64 v5, null, v124, v5, vcc_lo
	v_add3_u32 v118, v126, s13, 1
	global_store_dword v[4:5], v118, off
.LBB110_945:
	s_or_b32 exec_lo, exec_lo, s9
	s_mov_b32 s1, exec_lo
	v_cmpx_eq_u32_e32 0, v119
	s_cbranch_execz .LBB110_948
; %bb.946:
	v_lshlrev_b64 v[2:3], 2, v[2:3]
	v_cmp_ne_u32_e64 s0, 0, v121
	v_add_co_u32 v2, vcc_lo, s6, v2
	v_add_co_ci_u32_e64 v3, null, s7, v3, vcc_lo
	global_load_dword v4, v[2:3], off
	s_waitcnt vmcnt(0)
	v_cmp_eq_u32_e32 vcc_lo, 0, v4
	s_and_b32 s0, vcc_lo, s0
	s_and_b32 exec_lo, exec_lo, s0
	s_cbranch_execz .LBB110_948
; %bb.947:
	v_add_nc_u32_e32 v4, s13, v121
	global_store_dword v[2:3], v4, off
.LBB110_948:
	s_or_b32 exec_lo, exec_lo, s1
	v_mul_f64 v[0:1], v[0:1], v[116:117]
	v_add3_u32 v2, s8, s8, v119
	v_lshlrev_b64 v[4:5], 3, v[119:120]
	v_add_nc_u32_e32 v118, s8, v2
	v_ashrrev_i32_e32 v3, 31, v2
	v_add_co_u32 v4, vcc_lo, v122, v4
	v_add_co_ci_u32_e64 v5, null, v123, v5, vcc_lo
	v_cmp_lt_i32_e32 vcc_lo, 55, v119
	v_ashrrev_i32_e32 v119, 31, v118
	v_lshlrev_b64 v[2:3], 3, v[2:3]
	flat_store_dwordx2 v[4:5], v[114:115]
	v_add_nc_u32_e32 v120, s8, v118
	v_add_co_u32 v4, s0, v4, s10
	v_lshlrev_b64 v[114:115], 3, v[118:119]
	v_add_co_ci_u32_e64 v5, null, s11, v5, s0
	v_cndmask_b32_e32 v1, v117, v1, vcc_lo
	v_cndmask_b32_e32 v0, v116, v0, vcc_lo
	v_add_co_u32 v2, vcc_lo, v122, v2
	v_add_co_ci_u32_e64 v3, null, v123, v3, vcc_lo
	v_add_co_u32 v114, vcc_lo, v122, v114
	v_add_nc_u32_e32 v116, s8, v120
	v_add_co_ci_u32_e64 v115, null, v123, v115, vcc_lo
	v_ashrrev_i32_e32 v121, 31, v120
	flat_store_dwordx2 v[4:5], v[112:113]
	flat_store_dwordx2 v[2:3], v[110:111]
	flat_store_dwordx2 v[114:115], v[108:109]
	v_add_nc_u32_e32 v108, s8, v116
	v_ashrrev_i32_e32 v117, 31, v116
	v_lshlrev_b64 v[4:5], 3, v[120:121]
	v_add_nc_u32_e32 v110, s8, v108
	v_lshlrev_b64 v[2:3], 3, v[116:117]
	v_ashrrev_i32_e32 v109, 31, v108
	v_add_co_u32 v4, vcc_lo, v122, v4
	v_add_nc_u32_e32 v112, s8, v110
	v_add_co_ci_u32_e64 v5, null, v123, v5, vcc_lo
	v_add_co_u32 v2, vcc_lo, v122, v2
	v_ashrrev_i32_e32 v111, 31, v110
	v_add_co_ci_u32_e64 v3, null, v123, v3, vcc_lo
	v_ashrrev_i32_e32 v113, 31, v112
	v_lshlrev_b64 v[108:109], 3, v[108:109]
	flat_store_dwordx2 v[4:5], v[106:107]
	flat_store_dwordx2 v[2:3], v[104:105]
	v_lshlrev_b64 v[2:3], 3, v[110:111]
	v_add_nc_u32_e32 v106, s8, v112
	v_lshlrev_b64 v[104:105], 3, v[112:113]
	v_add_co_u32 v4, vcc_lo, v122, v108
	v_add_co_ci_u32_e64 v5, null, v123, v109, vcc_lo
	v_add_co_u32 v2, vcc_lo, v122, v2
	v_add_co_ci_u32_e64 v3, null, v123, v3, vcc_lo
	v_add_co_u32 v104, vcc_lo, v122, v104
	v_add_nc_u32_e32 v108, s8, v106
	v_add_co_ci_u32_e64 v105, null, v123, v105, vcc_lo
	v_ashrrev_i32_e32 v107, 31, v106
	flat_store_dwordx2 v[4:5], v[102:103]
	flat_store_dwordx2 v[2:3], v[98:99]
	flat_store_dwordx2 v[104:105], v[100:101]
	v_add_nc_u32_e32 v98, s8, v108
	v_ashrrev_i32_e32 v109, 31, v108
	v_lshlrev_b64 v[4:5], 3, v[106:107]
	v_add_nc_u32_e32 v100, s8, v98
	v_lshlrev_b64 v[2:3], 3, v[108:109]
	v_ashrrev_i32_e32 v99, 31, v98
	v_add_co_u32 v4, vcc_lo, v122, v4
	v_add_nc_u32_e32 v102, s8, v100
	v_add_co_ci_u32_e64 v5, null, v123, v5, vcc_lo
	v_add_co_u32 v2, vcc_lo, v122, v2
	v_ashrrev_i32_e32 v101, 31, v100
	v_add_co_ci_u32_e64 v3, null, v123, v3, vcc_lo
	v_ashrrev_i32_e32 v103, 31, v102
	v_lshlrev_b64 v[98:99], 3, v[98:99]
	flat_store_dwordx2 v[4:5], v[94:95]
	flat_store_dwordx2 v[2:3], v[96:97]
	v_lshlrev_b64 v[2:3], 3, v[100:101]
	v_add_nc_u32_e32 v96, s8, v102
	v_lshlrev_b64 v[94:95], 3, v[102:103]
	v_add_co_u32 v4, vcc_lo, v122, v98
	v_add_co_ci_u32_e64 v5, null, v123, v99, vcc_lo
	;; [unrolled: 30-line block ×9, first 2 shown]
	v_add_co_u32 v2, vcc_lo, v122, v2
	v_add_nc_u32_e32 v28, s8, v26
	v_add_co_ci_u32_e64 v3, null, v123, v3, vcc_lo
	v_add_co_u32 v24, vcc_lo, v122, v24
	v_ashrrev_i32_e32 v27, 31, v26
	v_add_co_ci_u32_e64 v25, null, v123, v25, vcc_lo
	v_ashrrev_i32_e32 v29, 31, v28
	flat_store_dwordx2 v[4:5], v[22:23]
	v_lshlrev_b64 v[4:5], 3, v[26:27]
	flat_store_dwordx2 v[2:3], v[18:19]
	flat_store_dwordx2 v[24:25], v[20:21]
	v_add_nc_u32_e32 v18, s8, v28
	v_lshlrev_b64 v[2:3], 3, v[28:29]
	v_add_co_u32 v4, vcc_lo, v122, v4
	v_add_nc_u32_e32 v20, s8, v18
	v_add_co_ci_u32_e64 v5, null, v123, v5, vcc_lo
	v_add_co_u32 v2, vcc_lo, v122, v2
	v_add_co_ci_u32_e64 v3, null, v123, v3, vcc_lo
	v_add_nc_u32_e32 v22, s8, v20
	v_ashrrev_i32_e32 v19, 31, v18
	flat_store_dwordx2 v[4:5], v[16:17]
	flat_store_dwordx2 v[2:3], v[14:15]
	v_ashrrev_i32_e32 v21, 31, v20
	v_add_nc_u32_e32 v14, s8, v22
	v_lshlrev_b64 v[4:5], 3, v[18:19]
	v_ashrrev_i32_e32 v23, 31, v22
	v_lshlrev_b64 v[2:3], 3, v[20:21]
	v_add_nc_u32_e32 v18, s8, v14
	v_ashrrev_i32_e32 v15, 31, v14
	v_lshlrev_b64 v[16:17], 3, v[22:23]
	v_add_co_u32 v4, vcc_lo, v122, v4
	v_ashrrev_i32_e32 v19, 31, v18
	v_lshlrev_b64 v[14:15], 3, v[14:15]
	v_add_co_ci_u32_e64 v5, null, v123, v5, vcc_lo
	v_add_co_u32 v2, vcc_lo, v122, v2
	v_lshlrev_b64 v[18:19], 3, v[18:19]
	v_add_co_ci_u32_e64 v3, null, v123, v3, vcc_lo
	v_add_co_u32 v16, vcc_lo, v122, v16
	v_add_co_ci_u32_e64 v17, null, v123, v17, vcc_lo
	v_add_co_u32 v14, vcc_lo, v122, v14
	;; [unrolled: 2-line block ×3, first 2 shown]
	v_add_co_ci_u32_e64 v19, null, v123, v19, vcc_lo
	flat_store_dwordx2 v[4:5], v[8:9]
	flat_store_dwordx2 v[2:3], v[12:13]
	flat_store_dwordx2 v[16:17], v[6:7]
	flat_store_dwordx2 v[14:15], v[10:11]
	flat_store_dwordx2 v[18:19], v[0:1]
.LBB110_949:
	s_endpgm
	.section	.rodata,"a",@progbits
	.p2align	6, 0x0
	.amdhsa_kernel _ZN9rocsolver6v33100L18getf2_small_kernelILi56EdiiPKPdEEvT1_T3_lS5_lPS5_llPT2_S5_S5_S7_l
		.amdhsa_group_segment_fixed_size 0
		.amdhsa_private_segment_fixed_size 0
		.amdhsa_kernarg_size 352
		.amdhsa_user_sgpr_count 6
		.amdhsa_user_sgpr_private_segment_buffer 1
		.amdhsa_user_sgpr_dispatch_ptr 0
		.amdhsa_user_sgpr_queue_ptr 0
		.amdhsa_user_sgpr_kernarg_segment_ptr 1
		.amdhsa_user_sgpr_dispatch_id 0
		.amdhsa_user_sgpr_flat_scratch_init 0
		.amdhsa_user_sgpr_private_segment_size 0
		.amdhsa_wavefront_size32 1
		.amdhsa_uses_dynamic_stack 0
		.amdhsa_system_sgpr_private_segment_wavefront_offset 0
		.amdhsa_system_sgpr_workgroup_id_x 1
		.amdhsa_system_sgpr_workgroup_id_y 1
		.amdhsa_system_sgpr_workgroup_id_z 0
		.amdhsa_system_sgpr_workgroup_info 0
		.amdhsa_system_vgpr_workitem_id 1
		.amdhsa_next_free_vgpr 232
		.amdhsa_next_free_sgpr 14
		.amdhsa_reserve_vcc 1
		.amdhsa_reserve_flat_scratch 1
		.amdhsa_float_round_mode_32 0
		.amdhsa_float_round_mode_16_64 0
		.amdhsa_float_denorm_mode_32 3
		.amdhsa_float_denorm_mode_16_64 3
		.amdhsa_dx10_clamp 1
		.amdhsa_ieee_mode 1
		.amdhsa_fp16_overflow 0
		.amdhsa_workgroup_processor_mode 1
		.amdhsa_memory_ordered 1
		.amdhsa_forward_progress 1
		.amdhsa_shared_vgpr_count 0
		.amdhsa_exception_fp_ieee_invalid_op 0
		.amdhsa_exception_fp_denorm_src 0
		.amdhsa_exception_fp_ieee_div_zero 0
		.amdhsa_exception_fp_ieee_overflow 0
		.amdhsa_exception_fp_ieee_underflow 0
		.amdhsa_exception_fp_ieee_inexact 0
		.amdhsa_exception_int_div_zero 0
	.end_amdhsa_kernel
	.section	.text._ZN9rocsolver6v33100L18getf2_small_kernelILi56EdiiPKPdEEvT1_T3_lS5_lPS5_llPT2_S5_S5_S7_l,"axG",@progbits,_ZN9rocsolver6v33100L18getf2_small_kernelILi56EdiiPKPdEEvT1_T3_lS5_lPS5_llPT2_S5_S5_S7_l,comdat
.Lfunc_end110:
	.size	_ZN9rocsolver6v33100L18getf2_small_kernelILi56EdiiPKPdEEvT1_T3_lS5_lPS5_llPT2_S5_S5_S7_l, .Lfunc_end110-_ZN9rocsolver6v33100L18getf2_small_kernelILi56EdiiPKPdEEvT1_T3_lS5_lPS5_llPT2_S5_S5_S7_l
                                        ; -- End function
	.set _ZN9rocsolver6v33100L18getf2_small_kernelILi56EdiiPKPdEEvT1_T3_lS5_lPS5_llPT2_S5_S5_S7_l.num_vgpr, 232
	.set _ZN9rocsolver6v33100L18getf2_small_kernelILi56EdiiPKPdEEvT1_T3_lS5_lPS5_llPT2_S5_S5_S7_l.num_agpr, 0
	.set _ZN9rocsolver6v33100L18getf2_small_kernelILi56EdiiPKPdEEvT1_T3_lS5_lPS5_llPT2_S5_S5_S7_l.numbered_sgpr, 14
	.set _ZN9rocsolver6v33100L18getf2_small_kernelILi56EdiiPKPdEEvT1_T3_lS5_lPS5_llPT2_S5_S5_S7_l.num_named_barrier, 0
	.set _ZN9rocsolver6v33100L18getf2_small_kernelILi56EdiiPKPdEEvT1_T3_lS5_lPS5_llPT2_S5_S5_S7_l.private_seg_size, 0
	.set _ZN9rocsolver6v33100L18getf2_small_kernelILi56EdiiPKPdEEvT1_T3_lS5_lPS5_llPT2_S5_S5_S7_l.uses_vcc, 1
	.set _ZN9rocsolver6v33100L18getf2_small_kernelILi56EdiiPKPdEEvT1_T3_lS5_lPS5_llPT2_S5_S5_S7_l.uses_flat_scratch, 1
	.set _ZN9rocsolver6v33100L18getf2_small_kernelILi56EdiiPKPdEEvT1_T3_lS5_lPS5_llPT2_S5_S5_S7_l.has_dyn_sized_stack, 0
	.set _ZN9rocsolver6v33100L18getf2_small_kernelILi56EdiiPKPdEEvT1_T3_lS5_lPS5_llPT2_S5_S5_S7_l.has_recursion, 0
	.set _ZN9rocsolver6v33100L18getf2_small_kernelILi56EdiiPKPdEEvT1_T3_lS5_lPS5_llPT2_S5_S5_S7_l.has_indirect_call, 0
	.section	.AMDGPU.csdata,"",@progbits
; Kernel info:
; codeLenInByte = 64196
; TotalNumSgprs: 16
; NumVgprs: 232
; ScratchSize: 0
; MemoryBound: 0
; FloatMode: 240
; IeeeMode: 1
; LDSByteSize: 0 bytes/workgroup (compile time only)
; SGPRBlocks: 0
; VGPRBlocks: 28
; NumSGPRsForWavesPerEU: 16
; NumVGPRsForWavesPerEU: 232
; Occupancy: 4
; WaveLimiterHint : 1
; COMPUTE_PGM_RSRC2:SCRATCH_EN: 0
; COMPUTE_PGM_RSRC2:USER_SGPR: 6
; COMPUTE_PGM_RSRC2:TRAP_HANDLER: 0
; COMPUTE_PGM_RSRC2:TGID_X_EN: 1
; COMPUTE_PGM_RSRC2:TGID_Y_EN: 1
; COMPUTE_PGM_RSRC2:TGID_Z_EN: 0
; COMPUTE_PGM_RSRC2:TIDIG_COMP_CNT: 1
	.section	.text._ZN9rocsolver6v33100L23getf2_npvt_small_kernelILi56EdiiPKPdEEvT1_T3_lS5_lPT2_S5_S5_,"axG",@progbits,_ZN9rocsolver6v33100L23getf2_npvt_small_kernelILi56EdiiPKPdEEvT1_T3_lS5_lPT2_S5_S5_,comdat
	.globl	_ZN9rocsolver6v33100L23getf2_npvt_small_kernelILi56EdiiPKPdEEvT1_T3_lS5_lPT2_S5_S5_ ; -- Begin function _ZN9rocsolver6v33100L23getf2_npvt_small_kernelILi56EdiiPKPdEEvT1_T3_lS5_lPT2_S5_S5_
	.p2align	8
	.type	_ZN9rocsolver6v33100L23getf2_npvt_small_kernelILi56EdiiPKPdEEvT1_T3_lS5_lPT2_S5_S5_,@function
_ZN9rocsolver6v33100L23getf2_npvt_small_kernelILi56EdiiPKPdEEvT1_T3_lS5_lPT2_S5_S5_: ; @_ZN9rocsolver6v33100L23getf2_npvt_small_kernelILi56EdiiPKPdEEvT1_T3_lS5_lPT2_S5_S5_
; %bb.0:
	s_mov_b64 s[14:15], s[2:3]
	s_mov_b64 s[12:13], s[0:1]
	s_add_u32 s12, s12, s8
	s_clause 0x1
	s_load_dword s0, s[4:5], 0x44
	s_load_dwordx2 s[8:9], s[4:5], 0x30
	s_addc_u32 s13, s13, 0
	s_waitcnt lgkmcnt(0)
	s_lshr_b32 s10, s0, 16
	s_mov_b32 s0, exec_lo
	v_mad_u64_u32 v[2:3], null, s7, s10, v[1:2]
	v_cmpx_gt_i32_e64 s8, v2
	s_cbranch_execz .LBB111_283
; %bb.1:
	s_clause 0x1
	s_load_dwordx4 s[0:3], s[4:5], 0x8
	s_load_dword s6, s[4:5], 0x18
	v_ashrrev_i32_e32 v3, 31, v2
	s_mulk_i32 s10, 0x1c0
	v_lshlrev_b64 v[4:5], 3, v[2:3]
	s_waitcnt lgkmcnt(0)
	v_add_co_u32 v4, vcc_lo, s0, v4
	v_add_co_ci_u32_e64 v5, null, s1, v5, vcc_lo
	v_add3_u32 v6, s6, s6, v0
	s_lshl_b64 s[0:1], s[2:3], 3
	s_ashr_i32 s7, s6, 31
	global_load_dwordx2 v[4:5], v[4:5], off
	v_add_nc_u32_e32 v8, s6, v6
	v_ashrrev_i32_e32 v7, 31, v6
	v_add_nc_u32_e32 v10, s6, v8
	v_ashrrev_i32_e32 v9, 31, v8
	v_lshlrev_b64 v[6:7], 3, v[6:7]
	v_add_nc_u32_e32 v12, s6, v10
	v_ashrrev_i32_e32 v11, 31, v10
	v_lshlrev_b64 v[8:9], 3, v[8:9]
	;; [unrolled: 3-line block ×48, first 2 shown]
	v_ashrrev_i32_e32 v105, 31, v104
	v_lshlrev_b64 v[102:103], 3, v[102:103]
	s_waitcnt vmcnt(0)
	v_add_co_u32 v110, vcc_lo, v4, s0
	v_add_co_ci_u32_e64 v111, null, s1, v5, vcc_lo
	s_lshl_b64 s[0:1], s[6:7], 3
	v_add_co_u32 v4, vcc_lo, v110, v6
	v_add_co_ci_u32_e64 v5, null, v111, v7, vcc_lo
	v_add_co_u32 v6, vcc_lo, v110, v8
	v_add_co_ci_u32_e64 v7, null, v111, v9, vcc_lo
	v_add_co_u32 v8, vcc_lo, v110, v10
	v_add_co_ci_u32_e64 v9, null, v111, v11, vcc_lo
	v_add_co_u32 v10, vcc_lo, v110, v12
	v_add_co_ci_u32_e64 v11, null, v111, v13, vcc_lo
	v_add_co_u32 v12, vcc_lo, v110, v14
	v_add_co_ci_u32_e64 v13, null, v111, v15, vcc_lo
	v_add_co_u32 v14, vcc_lo, v110, v16
	v_add_co_ci_u32_e64 v15, null, v111, v17, vcc_lo
	v_add_co_u32 v16, vcc_lo, v110, v18
	v_add_co_ci_u32_e64 v17, null, v111, v19, vcc_lo
	v_add_co_u32 v18, vcc_lo, v110, v20
	v_add_co_ci_u32_e64 v19, null, v111, v21, vcc_lo
	v_add_co_u32 v20, vcc_lo, v110, v22
	v_add_co_ci_u32_e64 v21, null, v111, v23, vcc_lo
	v_add_co_u32 v22, vcc_lo, v110, v24
	v_add_co_ci_u32_e64 v23, null, v111, v25, vcc_lo
	v_add_co_u32 v24, vcc_lo, v110, v26
	v_add_co_ci_u32_e64 v25, null, v111, v27, vcc_lo
	v_add_co_u32 v26, vcc_lo, v110, v28
	v_add_co_ci_u32_e64 v27, null, v111, v29, vcc_lo
	v_add_co_u32 v28, vcc_lo, v110, v30
	v_add_co_ci_u32_e64 v29, null, v111, v31, vcc_lo
	v_add_co_u32 v30, vcc_lo, v110, v32
	v_add_co_ci_u32_e64 v31, null, v111, v33, vcc_lo
	v_add_co_u32 v32, vcc_lo, v110, v34
	v_add_co_ci_u32_e64 v33, null, v111, v35, vcc_lo
	v_add_co_u32 v34, vcc_lo, v110, v36
	v_add_co_ci_u32_e64 v35, null, v111, v37, vcc_lo
	v_add_co_u32 v38, vcc_lo, v110, v38
	v_add_co_ci_u32_e64 v39, null, v111, v39, vcc_lo
	v_add_co_u32 v36, vcc_lo, v110, v40
	v_add_co_ci_u32_e64 v37, null, v111, v41, vcc_lo
	v_add_co_u32 v40, vcc_lo, v110, v42
	v_add_co_ci_u32_e64 v41, null, v111, v43, vcc_lo
	v_add_co_u32 v42, vcc_lo, v110, v44
	v_add_co_ci_u32_e64 v43, null, v111, v45, vcc_lo
	v_add_co_u32 v44, vcc_lo, v110, v46
	v_add_co_ci_u32_e64 v45, null, v111, v47, vcc_lo
	v_add_co_u32 v46, vcc_lo, v110, v48
	v_mov_b32_e32 v113, v5
	v_add_co_ci_u32_e64 v47, null, v111, v49, vcc_lo
	v_mov_b32_e32 v112, v4
	v_add_co_u32 v4, vcc_lo, v110, v50
	v_mov_b32_e32 v49, v7
	v_add_co_ci_u32_e64 v5, null, v111, v51, vcc_lo
	v_mov_b32_e32 v48, v6
	;; [unrolled: 4-line block ×7, first 2 shown]
	v_add_co_u32 v16, vcc_lo, v110, v62
	v_add_co_ci_u32_e64 v17, null, v111, v63, vcc_lo
	v_add_co_u32 v106, vcc_lo, v110, v64
	v_add_co_ci_u32_e64 v107, null, v111, v65, vcc_lo
	v_add_co_u32 v108, vcc_lo, v110, v66
	v_mov_b32_e32 v62, v19
	v_mov_b32_e32 v61, v18
	v_add_co_ci_u32_e64 v109, null, v111, v67, vcc_lo
	v_add_co_u32 v18, vcc_lo, v110, v68
	v_add_co_ci_u32_e64 v19, null, v111, v69, vcc_lo
	v_add_co_u32 v114, vcc_lo, v110, v70
	;; [unrolled: 2-line block ×8, first 2 shown]
	v_mov_b32_e32 v64, v21
	v_mov_b32_e32 v63, v20
	v_add_co_ci_u32_e64 v129, null, v111, v83, vcc_lo
	v_add_co_u32 v20, vcc_lo, v110, v84
	v_mov_b32_e32 v66, v23
	v_mov_b32_e32 v65, v22
	v_add_co_ci_u32_e64 v21, null, v111, v85, vcc_lo
	v_add_co_u32 v22, vcc_lo, v110, v86
	v_mov_b32_e32 v68, v25
	v_mov_b32_e32 v67, v24
	v_add_co_ci_u32_e64 v23, null, v111, v87, vcc_lo
	v_add_co_u32 v24, vcc_lo, v110, v88
	v_mov_b32_e32 v84, v5
	v_mov_b32_e32 v70, v27
	;; [unrolled: 1-line block ×3, first 2 shown]
	v_add_nc_u32_e32 v4, s6, v104
	v_mov_b32_e32 v69, v26
	v_add_co_ci_u32_e64 v25, null, v111, v89, vcc_lo
	v_add_co_u32 v26, vcc_lo, v110, v90
	v_mov_b32_e32 v72, v29
	v_mov_b32_e32 v71, v28
	v_add_co_ci_u32_e64 v27, null, v111, v91, vcc_lo
	v_add_co_u32 v28, vcc_lo, v110, v92
	v_mov_b32_e32 v74, v31
	v_mov_b32_e32 v88, v9
	;; [unrolled: 1-line block ×3, first 2 shown]
	v_add_co_ci_u32_e64 v29, null, v111, v93, vcc_lo
	v_add_co_u32 v30, vcc_lo, v110, v94
	v_mov_b32_e32 v87, v8
	v_add_nc_u32_e32 v8, s6, v4
	v_mov_b32_e32 v76, v33
	v_mov_b32_e32 v75, v32
	v_add_co_ci_u32_e64 v31, null, v111, v95, vcc_lo
	v_add_co_u32 v32, vcc_lo, v110, v96
	v_ashrrev_i32_e32 v5, 31, v4
	v_mov_b32_e32 v78, v35
	v_mov_b32_e32 v86, v7
	;; [unrolled: 1-line block ×4, first 2 shown]
	v_add_co_ci_u32_e64 v33, null, v111, v97, vcc_lo
	v_add_co_u32 v34, vcc_lo, v110, v98
	v_mov_b32_e32 v90, v11
	v_lshlrev_b64 v[6:7], 3, v[104:105]
	v_mov_b32_e32 v80, v37
	v_mov_b32_e32 v89, v10
	v_add_nc_u32_e32 v10, s6, v8
	v_mov_b32_e32 v79, v36
	v_add_co_ci_u32_e64 v35, null, v111, v99, vcc_lo
	v_add_co_u32 v36, vcc_lo, v110, v100
	v_mov_b32_e32 v92, v13
	v_lshlrev_b64 v[4:5], 3, v[4:5]
	v_ashrrev_i32_e32 v9, 31, v8
	v_add_co_ci_u32_e64 v37, null, v111, v101, vcc_lo
	v_mov_b32_e32 v91, v12
	v_add_co_u32 v12, vcc_lo, v110, v102
	v_mov_b32_e32 v51, v15
	v_add_co_ci_u32_e64 v13, null, v111, v103, vcc_lo
	v_mov_b32_e32 v50, v14
	v_add_co_u32 v14, vcc_lo, v110, v6
	v_ashrrev_i32_e32 v11, 31, v10
	v_mov_b32_e32 v94, v17
	v_add_co_ci_u32_e64 v15, null, v111, v7, vcc_lo
	v_lshlrev_b64 v[6:7], 3, v[8:9]
	v_mov_b32_e32 v93, v16
	v_add_co_u32 v16, vcc_lo, v110, v4
	v_add_co_ci_u32_e64 v17, null, v111, v5, vcc_lo
	v_lshlrev_b64 v[4:5], 3, v[10:11]
	v_add_nc_u32_e32 v8, s6, v10
	v_add_co_u32 v10, vcc_lo, v110, v6
	v_lshlrev_b32_e32 v6, 3, v0
	v_mov_b32_e32 v82, v39
	v_mov_b32_e32 v81, v38
	v_add_co_ci_u32_e64 v11, null, v111, v7, vcc_lo
	v_add_co_u32 v38, vcc_lo, v110, v4
	v_ashrrev_i32_e32 v9, 31, v8
	v_add_co_ci_u32_e64 v39, null, v111, v5, vcc_lo
	v_add_co_u32 v6, vcc_lo, v110, v6
	v_add_co_ci_u32_e64 v7, null, 0, v111, vcc_lo
	v_lshlrev_b64 v[4:5], 3, v[8:9]
	v_add_co_u32 v8, vcc_lo, v6, s0
	v_add_co_ci_u32_e64 v9, null, s1, v7, vcc_lo
	buffer_store_dword v6, off, s[12:15], 0 offset:136 ; 4-byte Folded Spill
	buffer_store_dword v7, off, s[12:15], 0 offset:140 ; 4-byte Folded Spill
	v_add_co_u32 v4, vcc_lo, v110, v4
	v_add_co_ci_u32_e64 v5, null, v111, v5, vcc_lo
	v_cmp_ne_u32_e64 s1, 0, v0
	v_cmp_eq_u32_e64 s0, 0, v0
	flat_load_dwordx2 v[188:189], v[6:7]
	buffer_store_dword v8, off, s[12:15], 0 offset:144 ; 4-byte Folded Spill
	buffer_store_dword v9, off, s[12:15], 0 offset:148 ; 4-byte Folded Spill
	flat_load_dwordx2 v[206:207], v[8:9]
	buffer_store_dword v112, off, s[12:15], 0 ; 4-byte Folded Spill
	buffer_store_dword v113, off, s[12:15], 0 offset:4 ; 4-byte Folded Spill
	flat_load_dwordx2 v[224:225], v[112:113]
	buffer_store_dword v48, off, s[12:15], 0 offset:8 ; 4-byte Folded Spill
	buffer_store_dword v49, off, s[12:15], 0 offset:12 ; 4-byte Folded Spill
	flat_load_dwordx2 v[204:205], v[48:49]
	buffer_store_dword v116, off, s[12:15], 0 offset:16 ; 4-byte Folded Spill
	;; [unrolled: 3-line block ×8, first 2 shown]
	buffer_store_dword v64, off, s[12:15], 0 offset:68 ; 4-byte Folded Spill
	v_mov_b32_e32 v62, v33
	v_mov_b32_e32 v61, v32
	flat_load_dwordx2 v[216:217], v[63:64]
	buffer_store_dword v65, off, s[12:15], 0 offset:72 ; 4-byte Folded Spill
	buffer_store_dword v66, off, s[12:15], 0 offset:76 ; 4-byte Folded Spill
	v_mov_b32_e32 v64, v35
	v_mov_b32_e32 v63, v34
	flat_load_dwordx2 v[196:197], v[65:66]
	buffer_store_dword v67, off, s[12:15], 0 offset:80 ; 4-byte Folded Spill
	;; [unrolled: 5-line block ×9, first 2 shown]
	buffer_store_dword v80, off, s[12:15], 0 offset:132 ; 4-byte Folded Spill
	flat_load_dwordx2 v[150:151], v[79:80]
	buffer_store_dword v40, off, s[12:15], 0 offset:160 ; 4-byte Folded Spill
	buffer_store_dword v41, off, s[12:15], 0 offset:164 ; 4-byte Folded Spill
	flat_load_dwordx2 v[186:187], v[40:41]
	buffer_store_dword v42, off, s[12:15], 0 offset:168 ; 4-byte Folded Spill
	;; [unrolled: 3-line block ×3, first 2 shown]
	buffer_store_dword v45, off, s[12:15], 0 offset:180 ; 4-byte Folded Spill
	v_mad_u32_u24 v42, 0x1c0, v1, 0
	flat_load_dwordx2 v[184:185], v[44:45]
	buffer_store_dword v46, off, s[12:15], 0 offset:184 ; 4-byte Folded Spill
	buffer_store_dword v47, off, s[12:15], 0 offset:188 ; 4-byte Folded Spill
	flat_load_dwordx2 v[146:147], v[46:47]
	buffer_store_dword v83, off, s[12:15], 0 offset:192 ; 4-byte Folded Spill
	buffer_store_dword v84, off, s[12:15], 0 offset:196 ; 4-byte Folded Spill
	;; [unrolled: 3-line block ×24, first 2 shown]
	s_clause 0x9
	flat_load_dwordx2 v[160:161], v[30:31]
	flat_load_dwordx2 v[122:123], v[32:33]
	;; [unrolled: 1-line block ×10, first 2 shown]
	v_lshlrev_b32_e32 v4, 3, v1
	v_add3_u32 v1, 0, s10, v4
	s_and_saveexec_b32 s2, s0
	s_cbranch_execz .LBB111_4
; %bb.2:
	s_waitcnt vmcnt(55) lgkmcnt(55)
	ds_write_b64 v1, v[188:189]
	s_waitcnt vmcnt(53) lgkmcnt(54)
	ds_write2_b64 v42, v[206:207], v[224:225] offset0:1 offset1:2
	s_waitcnt vmcnt(51) lgkmcnt(53)
	ds_write2_b64 v42, v[204:205], v[222:223] offset0:3 offset1:4
	;; [unrolled: 2-line block ×27, first 2 shown]
	s_waitcnt vmcnt(0) lgkmcnt(28)
	ds_write_b64 v42, v[226:227] offset:440
	ds_read_b64 v[4:5], v1
	s_waitcnt lgkmcnt(0)
	v_cmp_neq_f64_e32 vcc_lo, 0, v[4:5]
	s_and_b32 exec_lo, exec_lo, vcc_lo
	s_cbranch_execz .LBB111_4
; %bb.3:
	v_div_scale_f64 v[6:7], null, v[4:5], v[4:5], 1.0
	v_rcp_f64_e32 v[8:9], v[6:7]
	v_fma_f64 v[10:11], -v[6:7], v[8:9], 1.0
	v_fma_f64 v[8:9], v[8:9], v[10:11], v[8:9]
	v_fma_f64 v[10:11], -v[6:7], v[8:9], 1.0
	v_fma_f64 v[8:9], v[8:9], v[10:11], v[8:9]
	v_div_scale_f64 v[10:11], vcc_lo, 1.0, v[4:5], 1.0
	v_mul_f64 v[12:13], v[10:11], v[8:9]
	v_fma_f64 v[6:7], -v[6:7], v[12:13], v[10:11]
	v_div_fmas_f64 v[6:7], v[6:7], v[8:9], v[12:13]
	v_div_fixup_f64 v[4:5], v[6:7], v[4:5], 1.0
	ds_write_b64 v1, v[4:5]
.LBB111_4:
	s_or_b32 exec_lo, exec_lo, s2
	s_waitcnt vmcnt(0) lgkmcnt(0)
	s_waitcnt_vscnt null, 0x0
	s_barrier
	buffer_gl0_inv
	ds_read_b64 v[79:80], v1
	s_and_saveexec_b32 s2, s1
	s_cbranch_execz .LBB111_6
; %bb.5:
	s_waitcnt lgkmcnt(0)
	v_mul_f64 v[188:189], v[79:80], v[188:189]
	ds_read2_b64 v[4:7], v42 offset0:1 offset1:2
	s_waitcnt lgkmcnt(0)
	v_fma_f64 v[206:207], -v[188:189], v[4:5], v[206:207]
	v_fma_f64 v[224:225], -v[188:189], v[6:7], v[224:225]
	ds_read2_b64 v[4:7], v42 offset0:3 offset1:4
	s_waitcnt lgkmcnt(0)
	v_fma_f64 v[204:205], -v[188:189], v[4:5], v[204:205]
	v_fma_f64 v[222:223], -v[188:189], v[6:7], v[222:223]
	ds_read2_b64 v[4:7], v42 offset0:5 offset1:6
	s_waitcnt lgkmcnt(0)
	v_fma_f64 v[202:203], -v[188:189], v[4:5], v[202:203]
	v_fma_f64 v[220:221], -v[188:189], v[6:7], v[220:221]
	ds_read2_b64 v[4:7], v42 offset0:7 offset1:8
	s_waitcnt lgkmcnt(0)
	v_fma_f64 v[200:201], -v[188:189], v[4:5], v[200:201]
	v_fma_f64 v[218:219], -v[188:189], v[6:7], v[218:219]
	ds_read2_b64 v[4:7], v42 offset0:9 offset1:10
	s_waitcnt lgkmcnt(0)
	v_fma_f64 v[198:199], -v[188:189], v[4:5], v[198:199]
	v_fma_f64 v[216:217], -v[188:189], v[6:7], v[216:217]
	ds_read2_b64 v[4:7], v42 offset0:11 offset1:12
	s_waitcnt lgkmcnt(0)
	v_fma_f64 v[196:197], -v[188:189], v[4:5], v[196:197]
	v_fma_f64 v[214:215], -v[188:189], v[6:7], v[214:215]
	ds_read2_b64 v[4:7], v42 offset0:13 offset1:14
	s_waitcnt lgkmcnt(0)
	v_fma_f64 v[194:195], -v[188:189], v[4:5], v[194:195]
	v_fma_f64 v[212:213], -v[188:189], v[6:7], v[212:213]
	ds_read2_b64 v[4:7], v42 offset0:15 offset1:16
	s_waitcnt lgkmcnt(0)
	v_fma_f64 v[192:193], -v[188:189], v[4:5], v[192:193]
	v_fma_f64 v[210:211], -v[188:189], v[6:7], v[210:211]
	ds_read2_b64 v[4:7], v42 offset0:17 offset1:18
	s_waitcnt lgkmcnt(0)
	v_fma_f64 v[190:191], -v[188:189], v[4:5], v[190:191]
	v_fma_f64 v[208:209], -v[188:189], v[6:7], v[208:209]
	ds_read2_b64 v[4:7], v42 offset0:19 offset1:20
	s_waitcnt lgkmcnt(0)
	v_fma_f64 v[150:151], -v[188:189], v[4:5], v[150:151]
	v_fma_f64 v[186:187], -v[188:189], v[6:7], v[186:187]
	ds_read2_b64 v[4:7], v42 offset0:21 offset1:22
	s_waitcnt lgkmcnt(0)
	v_fma_f64 v[148:149], -v[188:189], v[4:5], v[148:149]
	v_fma_f64 v[184:185], -v[188:189], v[6:7], v[184:185]
	ds_read2_b64 v[4:7], v42 offset0:23 offset1:24
	s_waitcnt lgkmcnt(0)
	v_fma_f64 v[146:147], -v[188:189], v[4:5], v[146:147]
	v_fma_f64 v[182:183], -v[188:189], v[6:7], v[182:183]
	ds_read2_b64 v[4:7], v42 offset0:25 offset1:26
	s_waitcnt lgkmcnt(0)
	v_fma_f64 v[144:145], -v[188:189], v[4:5], v[144:145]
	v_fma_f64 v[180:181], -v[188:189], v[6:7], v[180:181]
	ds_read2_b64 v[4:7], v42 offset0:27 offset1:28
	s_waitcnt lgkmcnt(0)
	v_fma_f64 v[142:143], -v[188:189], v[4:5], v[142:143]
	v_fma_f64 v[178:179], -v[188:189], v[6:7], v[178:179]
	ds_read2_b64 v[4:7], v42 offset0:29 offset1:30
	s_waitcnt lgkmcnt(0)
	v_fma_f64 v[140:141], -v[188:189], v[4:5], v[140:141]
	v_fma_f64 v[176:177], -v[188:189], v[6:7], v[176:177]
	ds_read2_b64 v[4:7], v42 offset0:31 offset1:32
	s_waitcnt lgkmcnt(0)
	v_fma_f64 v[138:139], -v[188:189], v[4:5], v[138:139]
	v_fma_f64 v[174:175], -v[188:189], v[6:7], v[174:175]
	ds_read2_b64 v[4:7], v42 offset0:33 offset1:34
	s_waitcnt lgkmcnt(0)
	v_fma_f64 v[136:137], -v[188:189], v[4:5], v[136:137]
	v_fma_f64 v[172:173], -v[188:189], v[6:7], v[172:173]
	ds_read2_b64 v[4:7], v42 offset0:35 offset1:36
	s_waitcnt lgkmcnt(0)
	v_fma_f64 v[134:135], -v[188:189], v[4:5], v[134:135]
	v_fma_f64 v[170:171], -v[188:189], v[6:7], v[170:171]
	ds_read2_b64 v[4:7], v42 offset0:37 offset1:38
	s_waitcnt lgkmcnt(0)
	v_fma_f64 v[132:133], -v[188:189], v[4:5], v[132:133]
	v_fma_f64 v[168:169], -v[188:189], v[6:7], v[168:169]
	ds_read2_b64 v[4:7], v42 offset0:39 offset1:40
	s_waitcnt lgkmcnt(0)
	v_fma_f64 v[130:131], -v[188:189], v[4:5], v[130:131]
	v_fma_f64 v[166:167], -v[188:189], v[6:7], v[166:167]
	ds_read2_b64 v[4:7], v42 offset0:41 offset1:42
	s_waitcnt lgkmcnt(0)
	v_fma_f64 v[128:129], -v[188:189], v[4:5], v[128:129]
	v_fma_f64 v[164:165], -v[188:189], v[6:7], v[164:165]
	ds_read2_b64 v[4:7], v42 offset0:43 offset1:44
	s_waitcnt lgkmcnt(0)
	v_fma_f64 v[126:127], -v[188:189], v[4:5], v[126:127]
	v_fma_f64 v[162:163], -v[188:189], v[6:7], v[162:163]
	ds_read2_b64 v[4:7], v42 offset0:45 offset1:46
	s_waitcnt lgkmcnt(0)
	v_fma_f64 v[124:125], -v[188:189], v[4:5], v[124:125]
	v_fma_f64 v[160:161], -v[188:189], v[6:7], v[160:161]
	ds_read2_b64 v[4:7], v42 offset0:47 offset1:48
	s_waitcnt lgkmcnt(0)
	v_fma_f64 v[122:123], -v[188:189], v[4:5], v[122:123]
	v_fma_f64 v[158:159], -v[188:189], v[6:7], v[158:159]
	ds_read2_b64 v[4:7], v42 offset0:49 offset1:50
	s_waitcnt lgkmcnt(0)
	v_fma_f64 v[120:121], -v[188:189], v[4:5], v[120:121]
	v_fma_f64 v[156:157], -v[188:189], v[6:7], v[156:157]
	ds_read2_b64 v[4:7], v42 offset0:51 offset1:52
	s_waitcnt lgkmcnt(0)
	v_fma_f64 v[118:119], -v[188:189], v[4:5], v[118:119]
	v_fma_f64 v[154:155], -v[188:189], v[6:7], v[154:155]
	ds_read2_b64 v[4:7], v42 offset0:53 offset1:54
	s_waitcnt lgkmcnt(0)
	v_fma_f64 v[116:117], -v[188:189], v[4:5], v[116:117]
	ds_read_b64 v[4:5], v42 offset:440
	v_fma_f64 v[152:153], -v[188:189], v[6:7], v[152:153]
	s_waitcnt lgkmcnt(0)
	v_fma_f64 v[226:227], -v[188:189], v[4:5], v[226:227]
.LBB111_6:
	s_or_b32 exec_lo, exec_lo, s2
	s_mov_b32 s1, exec_lo
	s_waitcnt lgkmcnt(0)
	s_barrier
	buffer_gl0_inv
	v_cmpx_eq_u32_e32 1, v0
	s_cbranch_execz .LBB111_9
; %bb.7:
	v_mov_b32_e32 v4, v224
	v_mov_b32_e32 v5, v225
	;; [unrolled: 1-line block ×8, first 2 shown]
	ds_write_b64 v1, v[206:207]
	ds_write2_b64 v42, v[4:5], v[6:7] offset0:2 offset1:3
	ds_write2_b64 v42, v[8:9], v[10:11] offset0:4 offset1:5
	v_mov_b32_e32 v4, v220
	v_mov_b32_e32 v5, v221
	v_mov_b32_e32 v6, v200
	v_mov_b32_e32 v7, v201
	v_mov_b32_e32 v8, v218
	v_mov_b32_e32 v9, v219
	v_mov_b32_e32 v10, v198
	v_mov_b32_e32 v11, v199
	v_mov_b32_e32 v12, v216
	v_mov_b32_e32 v13, v217
	v_mov_b32_e32 v14, v196
	v_mov_b32_e32 v15, v197
	v_mov_b32_e32 v16, v214
	v_mov_b32_e32 v17, v215
	v_mov_b32_e32 v18, v194
	v_mov_b32_e32 v19, v195
	v_mov_b32_e32 v20, v212
	v_mov_b32_e32 v21, v213
	v_mov_b32_e32 v22, v192
	v_mov_b32_e32 v23, v193
	ds_write2_b64 v42, v[4:5], v[6:7] offset0:6 offset1:7
	ds_write2_b64 v42, v[8:9], v[10:11] offset0:8 offset1:9
	ds_write2_b64 v42, v[12:13], v[14:15] offset0:10 offset1:11
	ds_write2_b64 v42, v[16:17], v[18:19] offset0:12 offset1:13
	ds_write2_b64 v42, v[20:21], v[22:23] offset0:14 offset1:15
	v_mov_b32_e32 v4, v210
	v_mov_b32_e32 v5, v211
	v_mov_b32_e32 v6, v190
	v_mov_b32_e32 v7, v191
	v_mov_b32_e32 v8, v208
	v_mov_b32_e32 v9, v209
	v_mov_b32_e32 v10, v150
	v_mov_b32_e32 v11, v151
	v_mov_b32_e32 v12, v186
	v_mov_b32_e32 v13, v187
	v_mov_b32_e32 v14, v148
	v_mov_b32_e32 v15, v149
	v_mov_b32_e32 v16, v184
	v_mov_b32_e32 v17, v185
	v_mov_b32_e32 v18, v146
	v_mov_b32_e32 v19, v147
	v_mov_b32_e32 v20, v182
	v_mov_b32_e32 v21, v183
	v_mov_b32_e32 v22, v144
	v_mov_b32_e32 v23, v145
	ds_write2_b64 v42, v[4:5], v[6:7] offset0:16 offset1:17
	ds_write2_b64 v42, v[8:9], v[10:11] offset0:18 offset1:19
	ds_write2_b64 v42, v[12:13], v[14:15] offset0:20 offset1:21
	;; [unrolled: 25-line block ×4, first 2 shown]
	ds_write2_b64 v42, v[16:17], v[18:19] offset0:42 offset1:43
	ds_write2_b64 v42, v[20:21], v[22:23] offset0:44 offset1:45
	v_mov_b32_e32 v4, v160
	v_mov_b32_e32 v5, v161
	;; [unrolled: 1-line block ×18, first 2 shown]
	ds_write2_b64 v42, v[4:5], v[6:7] offset0:46 offset1:47
	ds_write2_b64 v42, v[8:9], v[10:11] offset0:48 offset1:49
	;; [unrolled: 1-line block ×5, first 2 shown]
	ds_read_b64 v[4:5], v1
	s_waitcnt lgkmcnt(0)
	v_cmp_neq_f64_e32 vcc_lo, 0, v[4:5]
	s_and_b32 exec_lo, exec_lo, vcc_lo
	s_cbranch_execz .LBB111_9
; %bb.8:
	v_div_scale_f64 v[6:7], null, v[4:5], v[4:5], 1.0
	v_rcp_f64_e32 v[8:9], v[6:7]
	v_fma_f64 v[10:11], -v[6:7], v[8:9], 1.0
	v_fma_f64 v[8:9], v[8:9], v[10:11], v[8:9]
	v_fma_f64 v[10:11], -v[6:7], v[8:9], 1.0
	v_fma_f64 v[8:9], v[8:9], v[10:11], v[8:9]
	v_div_scale_f64 v[10:11], vcc_lo, 1.0, v[4:5], 1.0
	v_mul_f64 v[12:13], v[10:11], v[8:9]
	v_fma_f64 v[6:7], -v[6:7], v[12:13], v[10:11]
	v_div_fmas_f64 v[6:7], v[6:7], v[8:9], v[12:13]
	v_div_fixup_f64 v[4:5], v[6:7], v[4:5], 1.0
	ds_write_b64 v1, v[4:5]
.LBB111_9:
	s_or_b32 exec_lo, exec_lo, s1
	s_waitcnt lgkmcnt(0)
	s_barrier
	buffer_gl0_inv
	ds_read_b64 v[81:82], v1
	s_mov_b32 s1, exec_lo
	v_cmpx_lt_u32_e32 1, v0
	s_cbranch_execz .LBB111_11
; %bb.10:
	s_waitcnt lgkmcnt(0)
	v_mul_f64 v[206:207], v[81:82], v[206:207]
	ds_read2_b64 v[4:7], v42 offset0:2 offset1:3
	s_waitcnt lgkmcnt(0)
	v_fma_f64 v[224:225], -v[206:207], v[4:5], v[224:225]
	v_fma_f64 v[204:205], -v[206:207], v[6:7], v[204:205]
	ds_read2_b64 v[4:7], v42 offset0:4 offset1:5
	s_waitcnt lgkmcnt(0)
	v_fma_f64 v[222:223], -v[206:207], v[4:5], v[222:223]
	v_fma_f64 v[202:203], -v[206:207], v[6:7], v[202:203]
	;; [unrolled: 4-line block ×27, first 2 shown]
.LBB111_11:
	s_or_b32 exec_lo, exec_lo, s1
	s_mov_b32 s1, exec_lo
	s_waitcnt lgkmcnt(0)
	s_barrier
	buffer_gl0_inv
	v_cmpx_eq_u32_e32 2, v0
	s_cbranch_execz .LBB111_14
; %bb.12:
	ds_write_b64 v1, v[224:225]
	ds_write2_b64 v42, v[204:205], v[222:223] offset0:3 offset1:4
	ds_write2_b64 v42, v[202:203], v[220:221] offset0:5 offset1:6
	;; [unrolled: 1-line block ×26, first 2 shown]
	ds_write_b64 v42, v[226:227] offset:440
	ds_read_b64 v[4:5], v1
	s_waitcnt lgkmcnt(0)
	v_cmp_neq_f64_e32 vcc_lo, 0, v[4:5]
	s_and_b32 exec_lo, exec_lo, vcc_lo
	s_cbranch_execz .LBB111_14
; %bb.13:
	v_div_scale_f64 v[6:7], null, v[4:5], v[4:5], 1.0
	v_rcp_f64_e32 v[8:9], v[6:7]
	v_fma_f64 v[10:11], -v[6:7], v[8:9], 1.0
	v_fma_f64 v[8:9], v[8:9], v[10:11], v[8:9]
	v_fma_f64 v[10:11], -v[6:7], v[8:9], 1.0
	v_fma_f64 v[8:9], v[8:9], v[10:11], v[8:9]
	v_div_scale_f64 v[10:11], vcc_lo, 1.0, v[4:5], 1.0
	v_mul_f64 v[12:13], v[10:11], v[8:9]
	v_fma_f64 v[6:7], -v[6:7], v[12:13], v[10:11]
	v_div_fmas_f64 v[6:7], v[6:7], v[8:9], v[12:13]
	v_div_fixup_f64 v[4:5], v[6:7], v[4:5], 1.0
	ds_write_b64 v1, v[4:5]
.LBB111_14:
	s_or_b32 exec_lo, exec_lo, s1
	s_waitcnt lgkmcnt(0)
	s_barrier
	buffer_gl0_inv
	ds_read_b64 v[83:84], v1
	s_mov_b32 s1, exec_lo
	v_cmpx_lt_u32_e32 2, v0
	s_cbranch_execz .LBB111_16
; %bb.15:
	s_waitcnt lgkmcnt(0)
	v_mul_f64 v[224:225], v[83:84], v[224:225]
	ds_read2_b64 v[4:7], v42 offset0:3 offset1:4
	s_waitcnt lgkmcnt(0)
	v_fma_f64 v[204:205], -v[224:225], v[4:5], v[204:205]
	v_fma_f64 v[222:223], -v[224:225], v[6:7], v[222:223]
	ds_read2_b64 v[4:7], v42 offset0:5 offset1:6
	s_waitcnt lgkmcnt(0)
	v_fma_f64 v[202:203], -v[224:225], v[4:5], v[202:203]
	v_fma_f64 v[220:221], -v[224:225], v[6:7], v[220:221]
	;; [unrolled: 4-line block ×25, first 2 shown]
	ds_read2_b64 v[4:7], v42 offset0:53 offset1:54
	s_waitcnt lgkmcnt(0)
	v_fma_f64 v[116:117], -v[224:225], v[4:5], v[116:117]
	ds_read_b64 v[4:5], v42 offset:440
	v_fma_f64 v[152:153], -v[224:225], v[6:7], v[152:153]
	s_waitcnt lgkmcnt(0)
	v_fma_f64 v[226:227], -v[224:225], v[4:5], v[226:227]
.LBB111_16:
	s_or_b32 exec_lo, exec_lo, s1
	s_mov_b32 s1, exec_lo
	s_waitcnt lgkmcnt(0)
	s_barrier
	buffer_gl0_inv
	v_cmpx_eq_u32_e32 3, v0
	s_cbranch_execz .LBB111_19
; %bb.17:
	v_mov_b32_e32 v4, v222
	v_mov_b32_e32 v5, v223
	;; [unrolled: 1-line block ×4, first 2 shown]
	ds_write_b64 v1, v[204:205]
	ds_write2_b64 v42, v[4:5], v[6:7] offset0:4 offset1:5
	v_mov_b32_e32 v4, v220
	v_mov_b32_e32 v5, v221
	v_mov_b32_e32 v6, v200
	v_mov_b32_e32 v7, v201
	v_mov_b32_e32 v8, v218
	v_mov_b32_e32 v9, v219
	v_mov_b32_e32 v10, v198
	v_mov_b32_e32 v11, v199
	v_mov_b32_e32 v12, v216
	v_mov_b32_e32 v13, v217
	v_mov_b32_e32 v14, v196
	v_mov_b32_e32 v15, v197
	v_mov_b32_e32 v16, v214
	v_mov_b32_e32 v17, v215
	v_mov_b32_e32 v18, v194
	v_mov_b32_e32 v19, v195
	v_mov_b32_e32 v20, v212
	v_mov_b32_e32 v21, v213
	v_mov_b32_e32 v22, v192
	v_mov_b32_e32 v23, v193
	ds_write2_b64 v42, v[4:5], v[6:7] offset0:6 offset1:7
	ds_write2_b64 v42, v[8:9], v[10:11] offset0:8 offset1:9
	ds_write2_b64 v42, v[12:13], v[14:15] offset0:10 offset1:11
	ds_write2_b64 v42, v[16:17], v[18:19] offset0:12 offset1:13
	ds_write2_b64 v42, v[20:21], v[22:23] offset0:14 offset1:15
	v_mov_b32_e32 v4, v210
	v_mov_b32_e32 v5, v211
	v_mov_b32_e32 v6, v190
	v_mov_b32_e32 v7, v191
	v_mov_b32_e32 v8, v208
	v_mov_b32_e32 v9, v209
	v_mov_b32_e32 v10, v150
	v_mov_b32_e32 v11, v151
	v_mov_b32_e32 v12, v186
	v_mov_b32_e32 v13, v187
	v_mov_b32_e32 v14, v148
	v_mov_b32_e32 v15, v149
	v_mov_b32_e32 v16, v184
	v_mov_b32_e32 v17, v185
	v_mov_b32_e32 v18, v146
	v_mov_b32_e32 v19, v147
	v_mov_b32_e32 v20, v182
	v_mov_b32_e32 v21, v183
	v_mov_b32_e32 v22, v144
	v_mov_b32_e32 v23, v145
	ds_write2_b64 v42, v[4:5], v[6:7] offset0:16 offset1:17
	ds_write2_b64 v42, v[8:9], v[10:11] offset0:18 offset1:19
	ds_write2_b64 v42, v[12:13], v[14:15] offset0:20 offset1:21
	ds_write2_b64 v42, v[16:17], v[18:19] offset0:22 offset1:23
	;; [unrolled: 25-line block ×4, first 2 shown]
	ds_write2_b64 v42, v[20:21], v[22:23] offset0:44 offset1:45
	v_mov_b32_e32 v4, v160
	v_mov_b32_e32 v5, v161
	;; [unrolled: 1-line block ×18, first 2 shown]
	ds_write2_b64 v42, v[4:5], v[6:7] offset0:46 offset1:47
	ds_write2_b64 v42, v[8:9], v[10:11] offset0:48 offset1:49
	;; [unrolled: 1-line block ×5, first 2 shown]
	ds_read_b64 v[4:5], v1
	s_waitcnt lgkmcnt(0)
	v_cmp_neq_f64_e32 vcc_lo, 0, v[4:5]
	s_and_b32 exec_lo, exec_lo, vcc_lo
	s_cbranch_execz .LBB111_19
; %bb.18:
	v_div_scale_f64 v[6:7], null, v[4:5], v[4:5], 1.0
	v_rcp_f64_e32 v[8:9], v[6:7]
	v_fma_f64 v[10:11], -v[6:7], v[8:9], 1.0
	v_fma_f64 v[8:9], v[8:9], v[10:11], v[8:9]
	v_fma_f64 v[10:11], -v[6:7], v[8:9], 1.0
	v_fma_f64 v[8:9], v[8:9], v[10:11], v[8:9]
	v_div_scale_f64 v[10:11], vcc_lo, 1.0, v[4:5], 1.0
	v_mul_f64 v[12:13], v[10:11], v[8:9]
	v_fma_f64 v[6:7], -v[6:7], v[12:13], v[10:11]
	v_div_fmas_f64 v[6:7], v[6:7], v[8:9], v[12:13]
	v_div_fixup_f64 v[4:5], v[6:7], v[4:5], 1.0
	ds_write_b64 v1, v[4:5]
.LBB111_19:
	s_or_b32 exec_lo, exec_lo, s1
	s_waitcnt lgkmcnt(0)
	s_barrier
	buffer_gl0_inv
	ds_read_b64 v[85:86], v1
	s_mov_b32 s1, exec_lo
	v_cmpx_lt_u32_e32 3, v0
	s_cbranch_execz .LBB111_21
; %bb.20:
	s_waitcnt lgkmcnt(0)
	v_mul_f64 v[204:205], v[85:86], v[204:205]
	ds_read2_b64 v[4:7], v42 offset0:4 offset1:5
	s_waitcnt lgkmcnt(0)
	v_fma_f64 v[222:223], -v[204:205], v[4:5], v[222:223]
	v_fma_f64 v[202:203], -v[204:205], v[6:7], v[202:203]
	ds_read2_b64 v[4:7], v42 offset0:6 offset1:7
	s_waitcnt lgkmcnt(0)
	v_fma_f64 v[220:221], -v[204:205], v[4:5], v[220:221]
	v_fma_f64 v[200:201], -v[204:205], v[6:7], v[200:201]
	;; [unrolled: 4-line block ×26, first 2 shown]
.LBB111_21:
	s_or_b32 exec_lo, exec_lo, s1
	s_mov_b32 s1, exec_lo
	s_waitcnt lgkmcnt(0)
	s_barrier
	buffer_gl0_inv
	v_cmpx_eq_u32_e32 4, v0
	s_cbranch_execz .LBB111_24
; %bb.22:
	ds_write_b64 v1, v[222:223]
	ds_write2_b64 v42, v[202:203], v[220:221] offset0:5 offset1:6
	ds_write2_b64 v42, v[200:201], v[218:219] offset0:7 offset1:8
	;; [unrolled: 1-line block ×25, first 2 shown]
	ds_write_b64 v42, v[226:227] offset:440
	ds_read_b64 v[4:5], v1
	s_waitcnt lgkmcnt(0)
	v_cmp_neq_f64_e32 vcc_lo, 0, v[4:5]
	s_and_b32 exec_lo, exec_lo, vcc_lo
	s_cbranch_execz .LBB111_24
; %bb.23:
	v_div_scale_f64 v[6:7], null, v[4:5], v[4:5], 1.0
	v_rcp_f64_e32 v[8:9], v[6:7]
	v_fma_f64 v[10:11], -v[6:7], v[8:9], 1.0
	v_fma_f64 v[8:9], v[8:9], v[10:11], v[8:9]
	v_fma_f64 v[10:11], -v[6:7], v[8:9], 1.0
	v_fma_f64 v[8:9], v[8:9], v[10:11], v[8:9]
	v_div_scale_f64 v[10:11], vcc_lo, 1.0, v[4:5], 1.0
	v_mul_f64 v[12:13], v[10:11], v[8:9]
	v_fma_f64 v[6:7], -v[6:7], v[12:13], v[10:11]
	v_div_fmas_f64 v[6:7], v[6:7], v[8:9], v[12:13]
	v_div_fixup_f64 v[4:5], v[6:7], v[4:5], 1.0
	ds_write_b64 v1, v[4:5]
.LBB111_24:
	s_or_b32 exec_lo, exec_lo, s1
	s_waitcnt lgkmcnt(0)
	s_barrier
	buffer_gl0_inv
	ds_read_b64 v[87:88], v1
	s_mov_b32 s1, exec_lo
	v_cmpx_lt_u32_e32 4, v0
	s_cbranch_execz .LBB111_26
; %bb.25:
	s_waitcnt lgkmcnt(0)
	v_mul_f64 v[222:223], v[87:88], v[222:223]
	ds_read2_b64 v[4:7], v42 offset0:5 offset1:6
	s_waitcnt lgkmcnt(0)
	v_fma_f64 v[202:203], -v[222:223], v[4:5], v[202:203]
	v_fma_f64 v[220:221], -v[222:223], v[6:7], v[220:221]
	ds_read2_b64 v[4:7], v42 offset0:7 offset1:8
	s_waitcnt lgkmcnt(0)
	v_fma_f64 v[200:201], -v[222:223], v[4:5], v[200:201]
	v_fma_f64 v[218:219], -v[222:223], v[6:7], v[218:219]
	;; [unrolled: 4-line block ×24, first 2 shown]
	ds_read2_b64 v[4:7], v42 offset0:53 offset1:54
	s_waitcnt lgkmcnt(0)
	v_fma_f64 v[116:117], -v[222:223], v[4:5], v[116:117]
	ds_read_b64 v[4:5], v42 offset:440
	v_fma_f64 v[152:153], -v[222:223], v[6:7], v[152:153]
	s_waitcnt lgkmcnt(0)
	v_fma_f64 v[226:227], -v[222:223], v[4:5], v[226:227]
.LBB111_26:
	s_or_b32 exec_lo, exec_lo, s1
	s_mov_b32 s1, exec_lo
	s_waitcnt lgkmcnt(0)
	s_barrier
	buffer_gl0_inv
	v_cmpx_eq_u32_e32 5, v0
	s_cbranch_execz .LBB111_29
; %bb.27:
	v_mov_b32_e32 v4, v220
	v_mov_b32_e32 v5, v221
	;; [unrolled: 1-line block ×4, first 2 shown]
	ds_write_b64 v1, v[202:203]
	ds_write2_b64 v42, v[4:5], v[6:7] offset0:6 offset1:7
	v_mov_b32_e32 v4, v218
	v_mov_b32_e32 v5, v219
	v_mov_b32_e32 v6, v198
	v_mov_b32_e32 v7, v199
	ds_write2_b64 v42, v[4:5], v[6:7] offset0:8 offset1:9
	v_mov_b32_e32 v4, v216
	v_mov_b32_e32 v5, v217
	v_mov_b32_e32 v6, v196
	v_mov_b32_e32 v7, v197
	;; [unrolled: 5-line block ×23, first 2 shown]
	ds_write2_b64 v42, v[4:5], v[6:7] offset0:52 offset1:53
	v_mov_b32_e32 v4, v152
	v_mov_b32_e32 v5, v153
	ds_write2_b64 v42, v[4:5], v[226:227] offset0:54 offset1:55
	ds_read_b64 v[4:5], v1
	s_waitcnt lgkmcnt(0)
	v_cmp_neq_f64_e32 vcc_lo, 0, v[4:5]
	s_and_b32 exec_lo, exec_lo, vcc_lo
	s_cbranch_execz .LBB111_29
; %bb.28:
	v_div_scale_f64 v[6:7], null, v[4:5], v[4:5], 1.0
	v_rcp_f64_e32 v[8:9], v[6:7]
	v_fma_f64 v[10:11], -v[6:7], v[8:9], 1.0
	v_fma_f64 v[8:9], v[8:9], v[10:11], v[8:9]
	v_fma_f64 v[10:11], -v[6:7], v[8:9], 1.0
	v_fma_f64 v[8:9], v[8:9], v[10:11], v[8:9]
	v_div_scale_f64 v[10:11], vcc_lo, 1.0, v[4:5], 1.0
	v_mul_f64 v[12:13], v[10:11], v[8:9]
	v_fma_f64 v[6:7], -v[6:7], v[12:13], v[10:11]
	v_div_fmas_f64 v[6:7], v[6:7], v[8:9], v[12:13]
	v_div_fixup_f64 v[4:5], v[6:7], v[4:5], 1.0
	ds_write_b64 v1, v[4:5]
.LBB111_29:
	s_or_b32 exec_lo, exec_lo, s1
	s_waitcnt lgkmcnt(0)
	s_barrier
	buffer_gl0_inv
	ds_read_b64 v[89:90], v1
	s_mov_b32 s1, exec_lo
	v_cmpx_lt_u32_e32 5, v0
	s_cbranch_execz .LBB111_31
; %bb.30:
	s_waitcnt lgkmcnt(0)
	v_mul_f64 v[202:203], v[89:90], v[202:203]
	ds_read2_b64 v[4:7], v42 offset0:6 offset1:7
	s_waitcnt lgkmcnt(0)
	v_fma_f64 v[220:221], -v[202:203], v[4:5], v[220:221]
	v_fma_f64 v[200:201], -v[202:203], v[6:7], v[200:201]
	ds_read2_b64 v[4:7], v42 offset0:8 offset1:9
	s_waitcnt lgkmcnt(0)
	v_fma_f64 v[218:219], -v[202:203], v[4:5], v[218:219]
	v_fma_f64 v[198:199], -v[202:203], v[6:7], v[198:199]
	;; [unrolled: 4-line block ×25, first 2 shown]
.LBB111_31:
	s_or_b32 exec_lo, exec_lo, s1
	s_mov_b32 s1, exec_lo
	s_waitcnt lgkmcnt(0)
	s_barrier
	buffer_gl0_inv
	v_cmpx_eq_u32_e32 6, v0
	s_cbranch_execz .LBB111_34
; %bb.32:
	ds_write_b64 v1, v[220:221]
	ds_write2_b64 v42, v[200:201], v[218:219] offset0:7 offset1:8
	ds_write2_b64 v42, v[198:199], v[216:217] offset0:9 offset1:10
	;; [unrolled: 1-line block ×24, first 2 shown]
	ds_write_b64 v42, v[226:227] offset:440
	ds_read_b64 v[4:5], v1
	s_waitcnt lgkmcnt(0)
	v_cmp_neq_f64_e32 vcc_lo, 0, v[4:5]
	s_and_b32 exec_lo, exec_lo, vcc_lo
	s_cbranch_execz .LBB111_34
; %bb.33:
	v_div_scale_f64 v[6:7], null, v[4:5], v[4:5], 1.0
	v_rcp_f64_e32 v[8:9], v[6:7]
	v_fma_f64 v[10:11], -v[6:7], v[8:9], 1.0
	v_fma_f64 v[8:9], v[8:9], v[10:11], v[8:9]
	v_fma_f64 v[10:11], -v[6:7], v[8:9], 1.0
	v_fma_f64 v[8:9], v[8:9], v[10:11], v[8:9]
	v_div_scale_f64 v[10:11], vcc_lo, 1.0, v[4:5], 1.0
	v_mul_f64 v[12:13], v[10:11], v[8:9]
	v_fma_f64 v[6:7], -v[6:7], v[12:13], v[10:11]
	v_div_fmas_f64 v[6:7], v[6:7], v[8:9], v[12:13]
	v_div_fixup_f64 v[4:5], v[6:7], v[4:5], 1.0
	ds_write_b64 v1, v[4:5]
.LBB111_34:
	s_or_b32 exec_lo, exec_lo, s1
	s_waitcnt lgkmcnt(0)
	s_barrier
	buffer_gl0_inv
	ds_read_b64 v[91:92], v1
	s_mov_b32 s1, exec_lo
	v_cmpx_lt_u32_e32 6, v0
	s_cbranch_execz .LBB111_36
; %bb.35:
	s_waitcnt lgkmcnt(0)
	v_mul_f64 v[220:221], v[91:92], v[220:221]
	ds_read2_b64 v[4:7], v42 offset0:7 offset1:8
	s_waitcnt lgkmcnt(0)
	v_fma_f64 v[200:201], -v[220:221], v[4:5], v[200:201]
	v_fma_f64 v[218:219], -v[220:221], v[6:7], v[218:219]
	ds_read2_b64 v[4:7], v42 offset0:9 offset1:10
	s_waitcnt lgkmcnt(0)
	v_fma_f64 v[198:199], -v[220:221], v[4:5], v[198:199]
	v_fma_f64 v[216:217], -v[220:221], v[6:7], v[216:217]
	ds_read2_b64 v[4:7], v42 offset0:11 offset1:12
	s_waitcnt lgkmcnt(0)
	v_fma_f64 v[196:197], -v[220:221], v[4:5], v[196:197]
	v_fma_f64 v[214:215], -v[220:221], v[6:7], v[214:215]
	ds_read2_b64 v[4:7], v42 offset0:13 offset1:14
	s_waitcnt lgkmcnt(0)
	v_fma_f64 v[194:195], -v[220:221], v[4:5], v[194:195]
	v_fma_f64 v[212:213], -v[220:221], v[6:7], v[212:213]
	ds_read2_b64 v[4:7], v42 offset0:15 offset1:16
	s_waitcnt lgkmcnt(0)
	v_fma_f64 v[192:193], -v[220:221], v[4:5], v[192:193]
	v_fma_f64 v[210:211], -v[220:221], v[6:7], v[210:211]
	ds_read2_b64 v[4:7], v42 offset0:17 offset1:18
	s_waitcnt lgkmcnt(0)
	v_fma_f64 v[190:191], -v[220:221], v[4:5], v[190:191]
	v_fma_f64 v[208:209], -v[220:221], v[6:7], v[208:209]
	ds_read2_b64 v[4:7], v42 offset0:19 offset1:20
	s_waitcnt lgkmcnt(0)
	v_fma_f64 v[150:151], -v[220:221], v[4:5], v[150:151]
	v_fma_f64 v[186:187], -v[220:221], v[6:7], v[186:187]
	ds_read2_b64 v[4:7], v42 offset0:21 offset1:22
	s_waitcnt lgkmcnt(0)
	v_fma_f64 v[148:149], -v[220:221], v[4:5], v[148:149]
	v_fma_f64 v[184:185], -v[220:221], v[6:7], v[184:185]
	ds_read2_b64 v[4:7], v42 offset0:23 offset1:24
	s_waitcnt lgkmcnt(0)
	v_fma_f64 v[146:147], -v[220:221], v[4:5], v[146:147]
	v_fma_f64 v[182:183], -v[220:221], v[6:7], v[182:183]
	ds_read2_b64 v[4:7], v42 offset0:25 offset1:26
	s_waitcnt lgkmcnt(0)
	v_fma_f64 v[144:145], -v[220:221], v[4:5], v[144:145]
	v_fma_f64 v[180:181], -v[220:221], v[6:7], v[180:181]
	ds_read2_b64 v[4:7], v42 offset0:27 offset1:28
	s_waitcnt lgkmcnt(0)
	v_fma_f64 v[142:143], -v[220:221], v[4:5], v[142:143]
	v_fma_f64 v[178:179], -v[220:221], v[6:7], v[178:179]
	ds_read2_b64 v[4:7], v42 offset0:29 offset1:30
	s_waitcnt lgkmcnt(0)
	v_fma_f64 v[140:141], -v[220:221], v[4:5], v[140:141]
	v_fma_f64 v[176:177], -v[220:221], v[6:7], v[176:177]
	ds_read2_b64 v[4:7], v42 offset0:31 offset1:32
	s_waitcnt lgkmcnt(0)
	v_fma_f64 v[138:139], -v[220:221], v[4:5], v[138:139]
	v_fma_f64 v[174:175], -v[220:221], v[6:7], v[174:175]
	ds_read2_b64 v[4:7], v42 offset0:33 offset1:34
	s_waitcnt lgkmcnt(0)
	v_fma_f64 v[136:137], -v[220:221], v[4:5], v[136:137]
	v_fma_f64 v[172:173], -v[220:221], v[6:7], v[172:173]
	ds_read2_b64 v[4:7], v42 offset0:35 offset1:36
	s_waitcnt lgkmcnt(0)
	v_fma_f64 v[134:135], -v[220:221], v[4:5], v[134:135]
	v_fma_f64 v[170:171], -v[220:221], v[6:7], v[170:171]
	ds_read2_b64 v[4:7], v42 offset0:37 offset1:38
	s_waitcnt lgkmcnt(0)
	v_fma_f64 v[132:133], -v[220:221], v[4:5], v[132:133]
	v_fma_f64 v[168:169], -v[220:221], v[6:7], v[168:169]
	ds_read2_b64 v[4:7], v42 offset0:39 offset1:40
	s_waitcnt lgkmcnt(0)
	v_fma_f64 v[130:131], -v[220:221], v[4:5], v[130:131]
	v_fma_f64 v[166:167], -v[220:221], v[6:7], v[166:167]
	ds_read2_b64 v[4:7], v42 offset0:41 offset1:42
	s_waitcnt lgkmcnt(0)
	v_fma_f64 v[128:129], -v[220:221], v[4:5], v[128:129]
	v_fma_f64 v[164:165], -v[220:221], v[6:7], v[164:165]
	ds_read2_b64 v[4:7], v42 offset0:43 offset1:44
	s_waitcnt lgkmcnt(0)
	v_fma_f64 v[126:127], -v[220:221], v[4:5], v[126:127]
	v_fma_f64 v[162:163], -v[220:221], v[6:7], v[162:163]
	ds_read2_b64 v[4:7], v42 offset0:45 offset1:46
	s_waitcnt lgkmcnt(0)
	v_fma_f64 v[124:125], -v[220:221], v[4:5], v[124:125]
	v_fma_f64 v[160:161], -v[220:221], v[6:7], v[160:161]
	ds_read2_b64 v[4:7], v42 offset0:47 offset1:48
	s_waitcnt lgkmcnt(0)
	v_fma_f64 v[122:123], -v[220:221], v[4:5], v[122:123]
	v_fma_f64 v[158:159], -v[220:221], v[6:7], v[158:159]
	ds_read2_b64 v[4:7], v42 offset0:49 offset1:50
	s_waitcnt lgkmcnt(0)
	v_fma_f64 v[120:121], -v[220:221], v[4:5], v[120:121]
	v_fma_f64 v[156:157], -v[220:221], v[6:7], v[156:157]
	ds_read2_b64 v[4:7], v42 offset0:51 offset1:52
	s_waitcnt lgkmcnt(0)
	v_fma_f64 v[118:119], -v[220:221], v[4:5], v[118:119]
	v_fma_f64 v[154:155], -v[220:221], v[6:7], v[154:155]
	ds_read2_b64 v[4:7], v42 offset0:53 offset1:54
	s_waitcnt lgkmcnt(0)
	v_fma_f64 v[116:117], -v[220:221], v[4:5], v[116:117]
	ds_read_b64 v[4:5], v42 offset:440
	v_fma_f64 v[152:153], -v[220:221], v[6:7], v[152:153]
	s_waitcnt lgkmcnt(0)
	v_fma_f64 v[226:227], -v[220:221], v[4:5], v[226:227]
.LBB111_36:
	s_or_b32 exec_lo, exec_lo, s1
	s_mov_b32 s1, exec_lo
	s_waitcnt lgkmcnt(0)
	s_barrier
	buffer_gl0_inv
	v_cmpx_eq_u32_e32 7, v0
	s_cbranch_execz .LBB111_39
; %bb.37:
	v_mov_b32_e32 v4, v218
	v_mov_b32_e32 v5, v219
	;; [unrolled: 1-line block ×4, first 2 shown]
	ds_write_b64 v1, v[200:201]
	ds_write2_b64 v42, v[4:5], v[6:7] offset0:8 offset1:9
	v_mov_b32_e32 v4, v216
	v_mov_b32_e32 v5, v217
	v_mov_b32_e32 v6, v196
	v_mov_b32_e32 v7, v197
	ds_write2_b64 v42, v[4:5], v[6:7] offset0:10 offset1:11
	v_mov_b32_e32 v4, v214
	v_mov_b32_e32 v5, v215
	v_mov_b32_e32 v6, v194
	v_mov_b32_e32 v7, v195
	ds_write2_b64 v42, v[4:5], v[6:7] offset0:12 offset1:13
	v_mov_b32_e32 v4, v212
	v_mov_b32_e32 v5, v213
	v_mov_b32_e32 v6, v192
	v_mov_b32_e32 v7, v193
	ds_write2_b64 v42, v[4:5], v[6:7] offset0:14 offset1:15
	v_mov_b32_e32 v4, v210
	v_mov_b32_e32 v5, v211
	v_mov_b32_e32 v6, v190
	v_mov_b32_e32 v7, v191
	ds_write2_b64 v42, v[4:5], v[6:7] offset0:16 offset1:17
	v_mov_b32_e32 v4, v208
	v_mov_b32_e32 v5, v209
	v_mov_b32_e32 v6, v150
	v_mov_b32_e32 v7, v151
	ds_write2_b64 v42, v[4:5], v[6:7] offset0:18 offset1:19
	v_mov_b32_e32 v4, v186
	v_mov_b32_e32 v5, v187
	v_mov_b32_e32 v6, v148
	v_mov_b32_e32 v7, v149
	ds_write2_b64 v42, v[4:5], v[6:7] offset0:20 offset1:21
	v_mov_b32_e32 v4, v184
	v_mov_b32_e32 v5, v185
	v_mov_b32_e32 v6, v146
	v_mov_b32_e32 v7, v147
	ds_write2_b64 v42, v[4:5], v[6:7] offset0:22 offset1:23
	v_mov_b32_e32 v4, v182
	v_mov_b32_e32 v5, v183
	v_mov_b32_e32 v6, v144
	v_mov_b32_e32 v7, v145
	ds_write2_b64 v42, v[4:5], v[6:7] offset0:24 offset1:25
	v_mov_b32_e32 v4, v180
	v_mov_b32_e32 v5, v181
	v_mov_b32_e32 v6, v142
	v_mov_b32_e32 v7, v143
	ds_write2_b64 v42, v[4:5], v[6:7] offset0:26 offset1:27
	v_mov_b32_e32 v4, v178
	v_mov_b32_e32 v5, v179
	v_mov_b32_e32 v6, v140
	v_mov_b32_e32 v7, v141
	ds_write2_b64 v42, v[4:5], v[6:7] offset0:28 offset1:29
	v_mov_b32_e32 v4, v176
	v_mov_b32_e32 v5, v177
	v_mov_b32_e32 v6, v138
	v_mov_b32_e32 v7, v139
	ds_write2_b64 v42, v[4:5], v[6:7] offset0:30 offset1:31
	v_mov_b32_e32 v4, v174
	v_mov_b32_e32 v5, v175
	v_mov_b32_e32 v6, v136
	v_mov_b32_e32 v7, v137
	ds_write2_b64 v42, v[4:5], v[6:7] offset0:32 offset1:33
	v_mov_b32_e32 v4, v172
	v_mov_b32_e32 v5, v173
	v_mov_b32_e32 v6, v134
	v_mov_b32_e32 v7, v135
	ds_write2_b64 v42, v[4:5], v[6:7] offset0:34 offset1:35
	v_mov_b32_e32 v4, v170
	v_mov_b32_e32 v5, v171
	v_mov_b32_e32 v6, v132
	v_mov_b32_e32 v7, v133
	ds_write2_b64 v42, v[4:5], v[6:7] offset0:36 offset1:37
	v_mov_b32_e32 v4, v168
	v_mov_b32_e32 v5, v169
	v_mov_b32_e32 v6, v130
	v_mov_b32_e32 v7, v131
	ds_write2_b64 v42, v[4:5], v[6:7] offset0:38 offset1:39
	v_mov_b32_e32 v4, v166
	v_mov_b32_e32 v5, v167
	v_mov_b32_e32 v6, v128
	v_mov_b32_e32 v7, v129
	ds_write2_b64 v42, v[4:5], v[6:7] offset0:40 offset1:41
	v_mov_b32_e32 v4, v164
	v_mov_b32_e32 v5, v165
	v_mov_b32_e32 v6, v126
	v_mov_b32_e32 v7, v127
	ds_write2_b64 v42, v[4:5], v[6:7] offset0:42 offset1:43
	v_mov_b32_e32 v4, v162
	v_mov_b32_e32 v5, v163
	v_mov_b32_e32 v6, v124
	v_mov_b32_e32 v7, v125
	ds_write2_b64 v42, v[4:5], v[6:7] offset0:44 offset1:45
	v_mov_b32_e32 v4, v160
	v_mov_b32_e32 v5, v161
	v_mov_b32_e32 v6, v122
	v_mov_b32_e32 v7, v123
	ds_write2_b64 v42, v[4:5], v[6:7] offset0:46 offset1:47
	v_mov_b32_e32 v4, v158
	v_mov_b32_e32 v5, v159
	v_mov_b32_e32 v6, v120
	v_mov_b32_e32 v7, v121
	ds_write2_b64 v42, v[4:5], v[6:7] offset0:48 offset1:49
	v_mov_b32_e32 v4, v156
	v_mov_b32_e32 v5, v157
	v_mov_b32_e32 v6, v118
	v_mov_b32_e32 v7, v119
	ds_write2_b64 v42, v[4:5], v[6:7] offset0:50 offset1:51
	v_mov_b32_e32 v4, v154
	v_mov_b32_e32 v5, v155
	v_mov_b32_e32 v6, v116
	v_mov_b32_e32 v7, v117
	ds_write2_b64 v42, v[4:5], v[6:7] offset0:52 offset1:53
	v_mov_b32_e32 v4, v152
	v_mov_b32_e32 v5, v153
	ds_write2_b64 v42, v[4:5], v[226:227] offset0:54 offset1:55
	ds_read_b64 v[4:5], v1
	s_waitcnt lgkmcnt(0)
	v_cmp_neq_f64_e32 vcc_lo, 0, v[4:5]
	s_and_b32 exec_lo, exec_lo, vcc_lo
	s_cbranch_execz .LBB111_39
; %bb.38:
	v_div_scale_f64 v[6:7], null, v[4:5], v[4:5], 1.0
	v_rcp_f64_e32 v[8:9], v[6:7]
	v_fma_f64 v[10:11], -v[6:7], v[8:9], 1.0
	v_fma_f64 v[8:9], v[8:9], v[10:11], v[8:9]
	v_fma_f64 v[10:11], -v[6:7], v[8:9], 1.0
	v_fma_f64 v[8:9], v[8:9], v[10:11], v[8:9]
	v_div_scale_f64 v[10:11], vcc_lo, 1.0, v[4:5], 1.0
	v_mul_f64 v[12:13], v[10:11], v[8:9]
	v_fma_f64 v[6:7], -v[6:7], v[12:13], v[10:11]
	v_div_fmas_f64 v[6:7], v[6:7], v[8:9], v[12:13]
	v_div_fixup_f64 v[4:5], v[6:7], v[4:5], 1.0
	ds_write_b64 v1, v[4:5]
.LBB111_39:
	s_or_b32 exec_lo, exec_lo, s1
	s_waitcnt lgkmcnt(0)
	s_barrier
	buffer_gl0_inv
	ds_read_b64 v[93:94], v1
	s_mov_b32 s1, exec_lo
	v_cmpx_lt_u32_e32 7, v0
	s_cbranch_execz .LBB111_41
; %bb.40:
	s_waitcnt lgkmcnt(0)
	v_mul_f64 v[200:201], v[93:94], v[200:201]
	ds_read2_b64 v[4:7], v42 offset0:8 offset1:9
	s_waitcnt lgkmcnt(0)
	v_fma_f64 v[218:219], -v[200:201], v[4:5], v[218:219]
	v_fma_f64 v[198:199], -v[200:201], v[6:7], v[198:199]
	ds_read2_b64 v[4:7], v42 offset0:10 offset1:11
	s_waitcnt lgkmcnt(0)
	v_fma_f64 v[216:217], -v[200:201], v[4:5], v[216:217]
	v_fma_f64 v[196:197], -v[200:201], v[6:7], v[196:197]
	;; [unrolled: 4-line block ×24, first 2 shown]
.LBB111_41:
	s_or_b32 exec_lo, exec_lo, s1
	s_mov_b32 s1, exec_lo
	s_waitcnt lgkmcnt(0)
	s_barrier
	buffer_gl0_inv
	v_cmpx_eq_u32_e32 8, v0
	s_cbranch_execz .LBB111_44
; %bb.42:
	ds_write_b64 v1, v[218:219]
	ds_write2_b64 v42, v[198:199], v[216:217] offset0:9 offset1:10
	ds_write2_b64 v42, v[196:197], v[214:215] offset0:11 offset1:12
	;; [unrolled: 1-line block ×23, first 2 shown]
	ds_write_b64 v42, v[226:227] offset:440
	ds_read_b64 v[4:5], v1
	s_waitcnt lgkmcnt(0)
	v_cmp_neq_f64_e32 vcc_lo, 0, v[4:5]
	s_and_b32 exec_lo, exec_lo, vcc_lo
	s_cbranch_execz .LBB111_44
; %bb.43:
	v_div_scale_f64 v[6:7], null, v[4:5], v[4:5], 1.0
	v_rcp_f64_e32 v[8:9], v[6:7]
	v_fma_f64 v[10:11], -v[6:7], v[8:9], 1.0
	v_fma_f64 v[8:9], v[8:9], v[10:11], v[8:9]
	v_fma_f64 v[10:11], -v[6:7], v[8:9], 1.0
	v_fma_f64 v[8:9], v[8:9], v[10:11], v[8:9]
	v_div_scale_f64 v[10:11], vcc_lo, 1.0, v[4:5], 1.0
	v_mul_f64 v[12:13], v[10:11], v[8:9]
	v_fma_f64 v[6:7], -v[6:7], v[12:13], v[10:11]
	v_div_fmas_f64 v[6:7], v[6:7], v[8:9], v[12:13]
	v_div_fixup_f64 v[4:5], v[6:7], v[4:5], 1.0
	ds_write_b64 v1, v[4:5]
.LBB111_44:
	s_or_b32 exec_lo, exec_lo, s1
	s_waitcnt lgkmcnt(0)
	s_barrier
	buffer_gl0_inv
	ds_read_b64 v[95:96], v1
	s_mov_b32 s1, exec_lo
	v_cmpx_lt_u32_e32 8, v0
	s_cbranch_execz .LBB111_46
; %bb.45:
	s_waitcnt lgkmcnt(0)
	v_mul_f64 v[218:219], v[95:96], v[218:219]
	ds_read2_b64 v[4:7], v42 offset0:9 offset1:10
	s_waitcnt lgkmcnt(0)
	v_fma_f64 v[198:199], -v[218:219], v[4:5], v[198:199]
	v_fma_f64 v[216:217], -v[218:219], v[6:7], v[216:217]
	ds_read2_b64 v[4:7], v42 offset0:11 offset1:12
	s_waitcnt lgkmcnt(0)
	v_fma_f64 v[196:197], -v[218:219], v[4:5], v[196:197]
	v_fma_f64 v[214:215], -v[218:219], v[6:7], v[214:215]
	;; [unrolled: 4-line block ×22, first 2 shown]
	ds_read2_b64 v[4:7], v42 offset0:53 offset1:54
	s_waitcnt lgkmcnt(0)
	v_fma_f64 v[116:117], -v[218:219], v[4:5], v[116:117]
	ds_read_b64 v[4:5], v42 offset:440
	v_fma_f64 v[152:153], -v[218:219], v[6:7], v[152:153]
	s_waitcnt lgkmcnt(0)
	v_fma_f64 v[226:227], -v[218:219], v[4:5], v[226:227]
.LBB111_46:
	s_or_b32 exec_lo, exec_lo, s1
	s_mov_b32 s1, exec_lo
	s_waitcnt lgkmcnt(0)
	s_barrier
	buffer_gl0_inv
	v_cmpx_eq_u32_e32 9, v0
	s_cbranch_execz .LBB111_49
; %bb.47:
	v_mov_b32_e32 v4, v216
	v_mov_b32_e32 v5, v217
	;; [unrolled: 1-line block ×4, first 2 shown]
	ds_write_b64 v1, v[198:199]
	ds_write2_b64 v42, v[4:5], v[6:7] offset0:10 offset1:11
	v_mov_b32_e32 v4, v214
	v_mov_b32_e32 v5, v215
	v_mov_b32_e32 v6, v194
	v_mov_b32_e32 v7, v195
	ds_write2_b64 v42, v[4:5], v[6:7] offset0:12 offset1:13
	v_mov_b32_e32 v4, v212
	v_mov_b32_e32 v5, v213
	v_mov_b32_e32 v6, v192
	v_mov_b32_e32 v7, v193
	;; [unrolled: 5-line block ×21, first 2 shown]
	ds_write2_b64 v42, v[4:5], v[6:7] offset0:52 offset1:53
	v_mov_b32_e32 v4, v152
	v_mov_b32_e32 v5, v153
	ds_write2_b64 v42, v[4:5], v[226:227] offset0:54 offset1:55
	ds_read_b64 v[4:5], v1
	s_waitcnt lgkmcnt(0)
	v_cmp_neq_f64_e32 vcc_lo, 0, v[4:5]
	s_and_b32 exec_lo, exec_lo, vcc_lo
	s_cbranch_execz .LBB111_49
; %bb.48:
	v_div_scale_f64 v[6:7], null, v[4:5], v[4:5], 1.0
	v_rcp_f64_e32 v[8:9], v[6:7]
	v_fma_f64 v[10:11], -v[6:7], v[8:9], 1.0
	v_fma_f64 v[8:9], v[8:9], v[10:11], v[8:9]
	v_fma_f64 v[10:11], -v[6:7], v[8:9], 1.0
	v_fma_f64 v[8:9], v[8:9], v[10:11], v[8:9]
	v_div_scale_f64 v[10:11], vcc_lo, 1.0, v[4:5], 1.0
	v_mul_f64 v[12:13], v[10:11], v[8:9]
	v_fma_f64 v[6:7], -v[6:7], v[12:13], v[10:11]
	v_div_fmas_f64 v[6:7], v[6:7], v[8:9], v[12:13]
	v_div_fixup_f64 v[4:5], v[6:7], v[4:5], 1.0
	ds_write_b64 v1, v[4:5]
.LBB111_49:
	s_or_b32 exec_lo, exec_lo, s1
	s_waitcnt lgkmcnt(0)
	s_barrier
	buffer_gl0_inv
	ds_read_b64 v[97:98], v1
	s_mov_b32 s1, exec_lo
	v_cmpx_lt_u32_e32 9, v0
	s_cbranch_execz .LBB111_51
; %bb.50:
	s_waitcnt lgkmcnt(0)
	v_mul_f64 v[198:199], v[97:98], v[198:199]
	ds_read2_b64 v[4:7], v42 offset0:10 offset1:11
	s_waitcnt lgkmcnt(0)
	v_fma_f64 v[216:217], -v[198:199], v[4:5], v[216:217]
	v_fma_f64 v[196:197], -v[198:199], v[6:7], v[196:197]
	ds_read2_b64 v[4:7], v42 offset0:12 offset1:13
	s_waitcnt lgkmcnt(0)
	v_fma_f64 v[214:215], -v[198:199], v[4:5], v[214:215]
	v_fma_f64 v[194:195], -v[198:199], v[6:7], v[194:195]
	;; [unrolled: 4-line block ×23, first 2 shown]
.LBB111_51:
	s_or_b32 exec_lo, exec_lo, s1
	s_mov_b32 s1, exec_lo
	s_waitcnt lgkmcnt(0)
	s_barrier
	buffer_gl0_inv
	v_cmpx_eq_u32_e32 10, v0
	s_cbranch_execz .LBB111_54
; %bb.52:
	ds_write_b64 v1, v[216:217]
	ds_write2_b64 v42, v[196:197], v[214:215] offset0:11 offset1:12
	ds_write2_b64 v42, v[194:195], v[212:213] offset0:13 offset1:14
	;; [unrolled: 1-line block ×22, first 2 shown]
	ds_write_b64 v42, v[226:227] offset:440
	ds_read_b64 v[4:5], v1
	s_waitcnt lgkmcnt(0)
	v_cmp_neq_f64_e32 vcc_lo, 0, v[4:5]
	s_and_b32 exec_lo, exec_lo, vcc_lo
	s_cbranch_execz .LBB111_54
; %bb.53:
	v_div_scale_f64 v[6:7], null, v[4:5], v[4:5], 1.0
	v_rcp_f64_e32 v[8:9], v[6:7]
	v_fma_f64 v[10:11], -v[6:7], v[8:9], 1.0
	v_fma_f64 v[8:9], v[8:9], v[10:11], v[8:9]
	v_fma_f64 v[10:11], -v[6:7], v[8:9], 1.0
	v_fma_f64 v[8:9], v[8:9], v[10:11], v[8:9]
	v_div_scale_f64 v[10:11], vcc_lo, 1.0, v[4:5], 1.0
	v_mul_f64 v[12:13], v[10:11], v[8:9]
	v_fma_f64 v[6:7], -v[6:7], v[12:13], v[10:11]
	v_div_fmas_f64 v[6:7], v[6:7], v[8:9], v[12:13]
	v_div_fixup_f64 v[4:5], v[6:7], v[4:5], 1.0
	ds_write_b64 v1, v[4:5]
.LBB111_54:
	s_or_b32 exec_lo, exec_lo, s1
	s_waitcnt lgkmcnt(0)
	s_barrier
	buffer_gl0_inv
	ds_read_b64 v[99:100], v1
	s_mov_b32 s1, exec_lo
	v_cmpx_lt_u32_e32 10, v0
	s_cbranch_execz .LBB111_56
; %bb.55:
	s_waitcnt lgkmcnt(0)
	v_mul_f64 v[216:217], v[99:100], v[216:217]
	ds_read2_b64 v[4:7], v42 offset0:11 offset1:12
	s_waitcnt lgkmcnt(0)
	v_fma_f64 v[196:197], -v[216:217], v[4:5], v[196:197]
	v_fma_f64 v[214:215], -v[216:217], v[6:7], v[214:215]
	ds_read2_b64 v[4:7], v42 offset0:13 offset1:14
	s_waitcnt lgkmcnt(0)
	v_fma_f64 v[194:195], -v[216:217], v[4:5], v[194:195]
	v_fma_f64 v[212:213], -v[216:217], v[6:7], v[212:213]
	;; [unrolled: 4-line block ×21, first 2 shown]
	ds_read2_b64 v[4:7], v42 offset0:53 offset1:54
	s_waitcnt lgkmcnt(0)
	v_fma_f64 v[116:117], -v[216:217], v[4:5], v[116:117]
	ds_read_b64 v[4:5], v42 offset:440
	v_fma_f64 v[152:153], -v[216:217], v[6:7], v[152:153]
	s_waitcnt lgkmcnt(0)
	v_fma_f64 v[226:227], -v[216:217], v[4:5], v[226:227]
.LBB111_56:
	s_or_b32 exec_lo, exec_lo, s1
	s_mov_b32 s1, exec_lo
	s_waitcnt lgkmcnt(0)
	s_barrier
	buffer_gl0_inv
	v_cmpx_eq_u32_e32 11, v0
	s_cbranch_execz .LBB111_59
; %bb.57:
	v_mov_b32_e32 v4, v214
	v_mov_b32_e32 v5, v215
	;; [unrolled: 1-line block ×4, first 2 shown]
	ds_write_b64 v1, v[196:197]
	ds_write2_b64 v42, v[4:5], v[6:7] offset0:12 offset1:13
	v_mov_b32_e32 v4, v212
	v_mov_b32_e32 v5, v213
	v_mov_b32_e32 v6, v192
	v_mov_b32_e32 v7, v193
	ds_write2_b64 v42, v[4:5], v[6:7] offset0:14 offset1:15
	v_mov_b32_e32 v4, v210
	v_mov_b32_e32 v5, v211
	v_mov_b32_e32 v6, v190
	v_mov_b32_e32 v7, v191
	;; [unrolled: 5-line block ×20, first 2 shown]
	ds_write2_b64 v42, v[4:5], v[6:7] offset0:52 offset1:53
	v_mov_b32_e32 v4, v152
	v_mov_b32_e32 v5, v153
	ds_write2_b64 v42, v[4:5], v[226:227] offset0:54 offset1:55
	ds_read_b64 v[4:5], v1
	s_waitcnt lgkmcnt(0)
	v_cmp_neq_f64_e32 vcc_lo, 0, v[4:5]
	s_and_b32 exec_lo, exec_lo, vcc_lo
	s_cbranch_execz .LBB111_59
; %bb.58:
	v_div_scale_f64 v[6:7], null, v[4:5], v[4:5], 1.0
	v_rcp_f64_e32 v[8:9], v[6:7]
	v_fma_f64 v[10:11], -v[6:7], v[8:9], 1.0
	v_fma_f64 v[8:9], v[8:9], v[10:11], v[8:9]
	v_fma_f64 v[10:11], -v[6:7], v[8:9], 1.0
	v_fma_f64 v[8:9], v[8:9], v[10:11], v[8:9]
	v_div_scale_f64 v[10:11], vcc_lo, 1.0, v[4:5], 1.0
	v_mul_f64 v[12:13], v[10:11], v[8:9]
	v_fma_f64 v[6:7], -v[6:7], v[12:13], v[10:11]
	v_div_fmas_f64 v[6:7], v[6:7], v[8:9], v[12:13]
	v_div_fixup_f64 v[4:5], v[6:7], v[4:5], 1.0
	ds_write_b64 v1, v[4:5]
.LBB111_59:
	s_or_b32 exec_lo, exec_lo, s1
	s_waitcnt lgkmcnt(0)
	s_barrier
	buffer_gl0_inv
	ds_read_b64 v[101:102], v1
	s_mov_b32 s1, exec_lo
	v_cmpx_lt_u32_e32 11, v0
	s_cbranch_execz .LBB111_61
; %bb.60:
	s_waitcnt lgkmcnt(0)
	v_mul_f64 v[196:197], v[101:102], v[196:197]
	ds_read2_b64 v[4:7], v42 offset0:12 offset1:13
	s_waitcnt lgkmcnt(0)
	v_fma_f64 v[214:215], -v[196:197], v[4:5], v[214:215]
	v_fma_f64 v[194:195], -v[196:197], v[6:7], v[194:195]
	ds_read2_b64 v[4:7], v42 offset0:14 offset1:15
	s_waitcnt lgkmcnt(0)
	v_fma_f64 v[212:213], -v[196:197], v[4:5], v[212:213]
	v_fma_f64 v[192:193], -v[196:197], v[6:7], v[192:193]
	;; [unrolled: 4-line block ×22, first 2 shown]
.LBB111_61:
	s_or_b32 exec_lo, exec_lo, s1
	s_mov_b32 s1, exec_lo
	s_waitcnt lgkmcnt(0)
	s_barrier
	buffer_gl0_inv
	v_cmpx_eq_u32_e32 12, v0
	s_cbranch_execz .LBB111_64
; %bb.62:
	ds_write_b64 v1, v[214:215]
	ds_write2_b64 v42, v[194:195], v[212:213] offset0:13 offset1:14
	ds_write2_b64 v42, v[192:193], v[210:211] offset0:15 offset1:16
	;; [unrolled: 1-line block ×21, first 2 shown]
	ds_write_b64 v42, v[226:227] offset:440
	ds_read_b64 v[4:5], v1
	s_waitcnt lgkmcnt(0)
	v_cmp_neq_f64_e32 vcc_lo, 0, v[4:5]
	s_and_b32 exec_lo, exec_lo, vcc_lo
	s_cbranch_execz .LBB111_64
; %bb.63:
	v_div_scale_f64 v[6:7], null, v[4:5], v[4:5], 1.0
	v_rcp_f64_e32 v[8:9], v[6:7]
	v_fma_f64 v[10:11], -v[6:7], v[8:9], 1.0
	v_fma_f64 v[8:9], v[8:9], v[10:11], v[8:9]
	v_fma_f64 v[10:11], -v[6:7], v[8:9], 1.0
	v_fma_f64 v[8:9], v[8:9], v[10:11], v[8:9]
	v_div_scale_f64 v[10:11], vcc_lo, 1.0, v[4:5], 1.0
	v_mul_f64 v[12:13], v[10:11], v[8:9]
	v_fma_f64 v[6:7], -v[6:7], v[12:13], v[10:11]
	v_div_fmas_f64 v[6:7], v[6:7], v[8:9], v[12:13]
	v_div_fixup_f64 v[4:5], v[6:7], v[4:5], 1.0
	ds_write_b64 v1, v[4:5]
.LBB111_64:
	s_or_b32 exec_lo, exec_lo, s1
	s_waitcnt lgkmcnt(0)
	s_barrier
	buffer_gl0_inv
	ds_read_b64 v[51:52], v1
	s_mov_b32 s1, exec_lo
	v_cmpx_lt_u32_e32 12, v0
	s_cbranch_execz .LBB111_66
; %bb.65:
	s_waitcnt lgkmcnt(0)
	v_mul_f64 v[214:215], v[51:52], v[214:215]
	ds_read2_b64 v[4:7], v42 offset0:13 offset1:14
	s_waitcnt lgkmcnt(0)
	v_fma_f64 v[194:195], -v[214:215], v[4:5], v[194:195]
	v_fma_f64 v[212:213], -v[214:215], v[6:7], v[212:213]
	ds_read2_b64 v[4:7], v42 offset0:15 offset1:16
	s_waitcnt lgkmcnt(0)
	v_fma_f64 v[192:193], -v[214:215], v[4:5], v[192:193]
	v_fma_f64 v[210:211], -v[214:215], v[6:7], v[210:211]
	;; [unrolled: 4-line block ×20, first 2 shown]
	ds_read2_b64 v[4:7], v42 offset0:53 offset1:54
	s_waitcnt lgkmcnt(0)
	v_fma_f64 v[116:117], -v[214:215], v[4:5], v[116:117]
	ds_read_b64 v[4:5], v42 offset:440
	v_fma_f64 v[152:153], -v[214:215], v[6:7], v[152:153]
	s_waitcnt lgkmcnt(0)
	v_fma_f64 v[226:227], -v[214:215], v[4:5], v[226:227]
.LBB111_66:
	s_or_b32 exec_lo, exec_lo, s1
	s_mov_b32 s1, exec_lo
	s_waitcnt lgkmcnt(0)
	s_barrier
	buffer_gl0_inv
	v_cmpx_eq_u32_e32 13, v0
	s_cbranch_execz .LBB111_69
; %bb.67:
	v_mov_b32_e32 v4, v212
	v_mov_b32_e32 v5, v213
	;; [unrolled: 1-line block ×4, first 2 shown]
	ds_write_b64 v1, v[194:195]
	ds_write2_b64 v42, v[4:5], v[6:7] offset0:14 offset1:15
	v_mov_b32_e32 v4, v210
	v_mov_b32_e32 v5, v211
	v_mov_b32_e32 v6, v190
	v_mov_b32_e32 v7, v191
	ds_write2_b64 v42, v[4:5], v[6:7] offset0:16 offset1:17
	v_mov_b32_e32 v4, v208
	v_mov_b32_e32 v5, v209
	v_mov_b32_e32 v6, v150
	v_mov_b32_e32 v7, v151
	;; [unrolled: 5-line block ×19, first 2 shown]
	ds_write2_b64 v42, v[4:5], v[6:7] offset0:52 offset1:53
	v_mov_b32_e32 v4, v152
	v_mov_b32_e32 v5, v153
	ds_write2_b64 v42, v[4:5], v[226:227] offset0:54 offset1:55
	ds_read_b64 v[4:5], v1
	s_waitcnt lgkmcnt(0)
	v_cmp_neq_f64_e32 vcc_lo, 0, v[4:5]
	s_and_b32 exec_lo, exec_lo, vcc_lo
	s_cbranch_execz .LBB111_69
; %bb.68:
	v_div_scale_f64 v[6:7], null, v[4:5], v[4:5], 1.0
	v_rcp_f64_e32 v[8:9], v[6:7]
	v_fma_f64 v[10:11], -v[6:7], v[8:9], 1.0
	v_fma_f64 v[8:9], v[8:9], v[10:11], v[8:9]
	v_fma_f64 v[10:11], -v[6:7], v[8:9], 1.0
	v_fma_f64 v[8:9], v[8:9], v[10:11], v[8:9]
	v_div_scale_f64 v[10:11], vcc_lo, 1.0, v[4:5], 1.0
	v_mul_f64 v[12:13], v[10:11], v[8:9]
	v_fma_f64 v[6:7], -v[6:7], v[12:13], v[10:11]
	v_div_fmas_f64 v[6:7], v[6:7], v[8:9], v[12:13]
	v_div_fixup_f64 v[4:5], v[6:7], v[4:5], 1.0
	ds_write_b64 v1, v[4:5]
.LBB111_69:
	s_or_b32 exec_lo, exec_lo, s1
	s_waitcnt lgkmcnt(0)
	s_barrier
	buffer_gl0_inv
	ds_read_b64 v[103:104], v1
	s_mov_b32 s1, exec_lo
	v_cmpx_lt_u32_e32 13, v0
	s_cbranch_execz .LBB111_71
; %bb.70:
	s_waitcnt lgkmcnt(0)
	v_mul_f64 v[194:195], v[103:104], v[194:195]
	ds_read2_b64 v[4:7], v42 offset0:14 offset1:15
	s_waitcnt lgkmcnt(0)
	v_fma_f64 v[212:213], -v[194:195], v[4:5], v[212:213]
	v_fma_f64 v[192:193], -v[194:195], v[6:7], v[192:193]
	ds_read2_b64 v[4:7], v42 offset0:16 offset1:17
	s_waitcnt lgkmcnt(0)
	v_fma_f64 v[210:211], -v[194:195], v[4:5], v[210:211]
	v_fma_f64 v[190:191], -v[194:195], v[6:7], v[190:191]
	;; [unrolled: 4-line block ×21, first 2 shown]
.LBB111_71:
	s_or_b32 exec_lo, exec_lo, s1
	s_mov_b32 s1, exec_lo
	s_waitcnt lgkmcnt(0)
	s_barrier
	buffer_gl0_inv
	v_cmpx_eq_u32_e32 14, v0
	s_cbranch_execz .LBB111_74
; %bb.72:
	ds_write_b64 v1, v[212:213]
	ds_write2_b64 v42, v[192:193], v[210:211] offset0:15 offset1:16
	ds_write2_b64 v42, v[190:191], v[208:209] offset0:17 offset1:18
	ds_write2_b64 v42, v[150:151], v[186:187] offset0:19 offset1:20
	ds_write2_b64 v42, v[148:149], v[184:185] offset0:21 offset1:22
	ds_write2_b64 v42, v[146:147], v[182:183] offset0:23 offset1:24
	ds_write2_b64 v42, v[144:145], v[180:181] offset0:25 offset1:26
	ds_write2_b64 v42, v[142:143], v[178:179] offset0:27 offset1:28
	ds_write2_b64 v42, v[140:141], v[176:177] offset0:29 offset1:30
	ds_write2_b64 v42, v[138:139], v[174:175] offset0:31 offset1:32
	ds_write2_b64 v42, v[136:137], v[172:173] offset0:33 offset1:34
	ds_write2_b64 v42, v[134:135], v[170:171] offset0:35 offset1:36
	ds_write2_b64 v42, v[132:133], v[168:169] offset0:37 offset1:38
	ds_write2_b64 v42, v[130:131], v[166:167] offset0:39 offset1:40
	ds_write2_b64 v42, v[128:129], v[164:165] offset0:41 offset1:42
	ds_write2_b64 v42, v[126:127], v[162:163] offset0:43 offset1:44
	ds_write2_b64 v42, v[124:125], v[160:161] offset0:45 offset1:46
	ds_write2_b64 v42, v[122:123], v[158:159] offset0:47 offset1:48
	ds_write2_b64 v42, v[120:121], v[156:157] offset0:49 offset1:50
	ds_write2_b64 v42, v[118:119], v[154:155] offset0:51 offset1:52
	ds_write2_b64 v42, v[116:117], v[152:153] offset0:53 offset1:54
	ds_write_b64 v42, v[226:227] offset:440
	ds_read_b64 v[4:5], v1
	s_waitcnt lgkmcnt(0)
	v_cmp_neq_f64_e32 vcc_lo, 0, v[4:5]
	s_and_b32 exec_lo, exec_lo, vcc_lo
	s_cbranch_execz .LBB111_74
; %bb.73:
	v_div_scale_f64 v[6:7], null, v[4:5], v[4:5], 1.0
	v_rcp_f64_e32 v[8:9], v[6:7]
	v_fma_f64 v[10:11], -v[6:7], v[8:9], 1.0
	v_fma_f64 v[8:9], v[8:9], v[10:11], v[8:9]
	v_fma_f64 v[10:11], -v[6:7], v[8:9], 1.0
	v_fma_f64 v[8:9], v[8:9], v[10:11], v[8:9]
	v_div_scale_f64 v[10:11], vcc_lo, 1.0, v[4:5], 1.0
	v_mul_f64 v[12:13], v[10:11], v[8:9]
	v_fma_f64 v[6:7], -v[6:7], v[12:13], v[10:11]
	v_div_fmas_f64 v[6:7], v[6:7], v[8:9], v[12:13]
	v_div_fixup_f64 v[4:5], v[6:7], v[4:5], 1.0
	ds_write_b64 v1, v[4:5]
.LBB111_74:
	s_or_b32 exec_lo, exec_lo, s1
	s_waitcnt lgkmcnt(0)
	s_barrier
	buffer_gl0_inv
	ds_read_b64 v[105:106], v1
	s_mov_b32 s1, exec_lo
	v_cmpx_lt_u32_e32 14, v0
	s_cbranch_execz .LBB111_76
; %bb.75:
	s_waitcnt lgkmcnt(0)
	v_mul_f64 v[212:213], v[105:106], v[212:213]
	ds_read2_b64 v[4:7], v42 offset0:15 offset1:16
	s_waitcnt lgkmcnt(0)
	v_fma_f64 v[192:193], -v[212:213], v[4:5], v[192:193]
	v_fma_f64 v[210:211], -v[212:213], v[6:7], v[210:211]
	ds_read2_b64 v[4:7], v42 offset0:17 offset1:18
	s_waitcnt lgkmcnt(0)
	v_fma_f64 v[190:191], -v[212:213], v[4:5], v[190:191]
	v_fma_f64 v[208:209], -v[212:213], v[6:7], v[208:209]
	;; [unrolled: 4-line block ×19, first 2 shown]
	ds_read2_b64 v[4:7], v42 offset0:53 offset1:54
	s_waitcnt lgkmcnt(0)
	v_fma_f64 v[116:117], -v[212:213], v[4:5], v[116:117]
	ds_read_b64 v[4:5], v42 offset:440
	v_fma_f64 v[152:153], -v[212:213], v[6:7], v[152:153]
	s_waitcnt lgkmcnt(0)
	v_fma_f64 v[226:227], -v[212:213], v[4:5], v[226:227]
.LBB111_76:
	s_or_b32 exec_lo, exec_lo, s1
	s_mov_b32 s1, exec_lo
	s_waitcnt lgkmcnt(0)
	s_barrier
	buffer_gl0_inv
	v_cmpx_eq_u32_e32 15, v0
	s_cbranch_execz .LBB111_79
; %bb.77:
	v_mov_b32_e32 v4, v210
	v_mov_b32_e32 v5, v211
	;; [unrolled: 1-line block ×4, first 2 shown]
	ds_write_b64 v1, v[192:193]
	ds_write2_b64 v42, v[4:5], v[6:7] offset0:16 offset1:17
	v_mov_b32_e32 v4, v208
	v_mov_b32_e32 v5, v209
	v_mov_b32_e32 v6, v150
	v_mov_b32_e32 v7, v151
	ds_write2_b64 v42, v[4:5], v[6:7] offset0:18 offset1:19
	v_mov_b32_e32 v4, v186
	v_mov_b32_e32 v5, v187
	v_mov_b32_e32 v6, v148
	v_mov_b32_e32 v7, v149
	;; [unrolled: 5-line block ×18, first 2 shown]
	ds_write2_b64 v42, v[4:5], v[6:7] offset0:52 offset1:53
	v_mov_b32_e32 v4, v152
	v_mov_b32_e32 v5, v153
	ds_write2_b64 v42, v[4:5], v[226:227] offset0:54 offset1:55
	ds_read_b64 v[4:5], v1
	s_waitcnt lgkmcnt(0)
	v_cmp_neq_f64_e32 vcc_lo, 0, v[4:5]
	s_and_b32 exec_lo, exec_lo, vcc_lo
	s_cbranch_execz .LBB111_79
; %bb.78:
	v_div_scale_f64 v[6:7], null, v[4:5], v[4:5], 1.0
	v_rcp_f64_e32 v[8:9], v[6:7]
	v_fma_f64 v[10:11], -v[6:7], v[8:9], 1.0
	v_fma_f64 v[8:9], v[8:9], v[10:11], v[8:9]
	v_fma_f64 v[10:11], -v[6:7], v[8:9], 1.0
	v_fma_f64 v[8:9], v[8:9], v[10:11], v[8:9]
	v_div_scale_f64 v[10:11], vcc_lo, 1.0, v[4:5], 1.0
	v_mul_f64 v[12:13], v[10:11], v[8:9]
	v_fma_f64 v[6:7], -v[6:7], v[12:13], v[10:11]
	v_div_fmas_f64 v[6:7], v[6:7], v[8:9], v[12:13]
	v_div_fixup_f64 v[4:5], v[6:7], v[4:5], 1.0
	ds_write_b64 v1, v[4:5]
.LBB111_79:
	s_or_b32 exec_lo, exec_lo, s1
	s_waitcnt lgkmcnt(0)
	s_barrier
	buffer_gl0_inv
	ds_read_b64 v[107:108], v1
	s_mov_b32 s1, exec_lo
	v_cmpx_lt_u32_e32 15, v0
	s_cbranch_execz .LBB111_81
; %bb.80:
	s_waitcnt lgkmcnt(0)
	v_mul_f64 v[192:193], v[107:108], v[192:193]
	ds_read2_b64 v[4:7], v42 offset0:16 offset1:17
	s_waitcnt lgkmcnt(0)
	v_fma_f64 v[210:211], -v[192:193], v[4:5], v[210:211]
	v_fma_f64 v[190:191], -v[192:193], v[6:7], v[190:191]
	ds_read2_b64 v[4:7], v42 offset0:18 offset1:19
	s_waitcnt lgkmcnt(0)
	v_fma_f64 v[208:209], -v[192:193], v[4:5], v[208:209]
	v_fma_f64 v[150:151], -v[192:193], v[6:7], v[150:151]
	;; [unrolled: 4-line block ×20, first 2 shown]
.LBB111_81:
	s_or_b32 exec_lo, exec_lo, s1
	s_mov_b32 s1, exec_lo
	s_waitcnt lgkmcnt(0)
	s_barrier
	buffer_gl0_inv
	v_cmpx_eq_u32_e32 16, v0
	s_cbranch_execz .LBB111_84
; %bb.82:
	ds_write_b64 v1, v[210:211]
	ds_write2_b64 v42, v[190:191], v[208:209] offset0:17 offset1:18
	ds_write2_b64 v42, v[150:151], v[186:187] offset0:19 offset1:20
	;; [unrolled: 1-line block ×19, first 2 shown]
	ds_write_b64 v42, v[226:227] offset:440
	ds_read_b64 v[4:5], v1
	s_waitcnt lgkmcnt(0)
	v_cmp_neq_f64_e32 vcc_lo, 0, v[4:5]
	s_and_b32 exec_lo, exec_lo, vcc_lo
	s_cbranch_execz .LBB111_84
; %bb.83:
	v_div_scale_f64 v[6:7], null, v[4:5], v[4:5], 1.0
	v_rcp_f64_e32 v[8:9], v[6:7]
	v_fma_f64 v[10:11], -v[6:7], v[8:9], 1.0
	v_fma_f64 v[8:9], v[8:9], v[10:11], v[8:9]
	v_fma_f64 v[10:11], -v[6:7], v[8:9], 1.0
	v_fma_f64 v[8:9], v[8:9], v[10:11], v[8:9]
	v_div_scale_f64 v[10:11], vcc_lo, 1.0, v[4:5], 1.0
	v_mul_f64 v[12:13], v[10:11], v[8:9]
	v_fma_f64 v[6:7], -v[6:7], v[12:13], v[10:11]
	v_div_fmas_f64 v[6:7], v[6:7], v[8:9], v[12:13]
	v_div_fixup_f64 v[4:5], v[6:7], v[4:5], 1.0
	ds_write_b64 v1, v[4:5]
.LBB111_84:
	s_or_b32 exec_lo, exec_lo, s1
	s_waitcnt lgkmcnt(0)
	s_barrier
	buffer_gl0_inv
	ds_read_b64 v[109:110], v1
	s_mov_b32 s1, exec_lo
	v_cmpx_lt_u32_e32 16, v0
	s_cbranch_execz .LBB111_86
; %bb.85:
	s_waitcnt lgkmcnt(0)
	v_mul_f64 v[210:211], v[109:110], v[210:211]
	ds_read2_b64 v[4:7], v42 offset0:17 offset1:18
	s_waitcnt lgkmcnt(0)
	v_fma_f64 v[190:191], -v[210:211], v[4:5], v[190:191]
	v_fma_f64 v[208:209], -v[210:211], v[6:7], v[208:209]
	ds_read2_b64 v[4:7], v42 offset0:19 offset1:20
	s_waitcnt lgkmcnt(0)
	v_fma_f64 v[150:151], -v[210:211], v[4:5], v[150:151]
	v_fma_f64 v[186:187], -v[210:211], v[6:7], v[186:187]
	;; [unrolled: 4-line block ×18, first 2 shown]
	ds_read2_b64 v[4:7], v42 offset0:53 offset1:54
	s_waitcnt lgkmcnt(0)
	v_fma_f64 v[116:117], -v[210:211], v[4:5], v[116:117]
	ds_read_b64 v[4:5], v42 offset:440
	v_fma_f64 v[152:153], -v[210:211], v[6:7], v[152:153]
	s_waitcnt lgkmcnt(0)
	v_fma_f64 v[226:227], -v[210:211], v[4:5], v[226:227]
.LBB111_86:
	s_or_b32 exec_lo, exec_lo, s1
	s_mov_b32 s1, exec_lo
	s_waitcnt lgkmcnt(0)
	s_barrier
	buffer_gl0_inv
	v_cmpx_eq_u32_e32 17, v0
	s_cbranch_execz .LBB111_89
; %bb.87:
	v_mov_b32_e32 v4, v208
	v_mov_b32_e32 v5, v209
	;; [unrolled: 1-line block ×4, first 2 shown]
	ds_write_b64 v1, v[190:191]
	ds_write2_b64 v42, v[4:5], v[6:7] offset0:18 offset1:19
	v_mov_b32_e32 v4, v186
	v_mov_b32_e32 v5, v187
	v_mov_b32_e32 v6, v148
	v_mov_b32_e32 v7, v149
	ds_write2_b64 v42, v[4:5], v[6:7] offset0:20 offset1:21
	v_mov_b32_e32 v4, v184
	v_mov_b32_e32 v5, v185
	v_mov_b32_e32 v6, v146
	v_mov_b32_e32 v7, v147
	;; [unrolled: 5-line block ×17, first 2 shown]
	ds_write2_b64 v42, v[4:5], v[6:7] offset0:52 offset1:53
	v_mov_b32_e32 v4, v152
	v_mov_b32_e32 v5, v153
	ds_write2_b64 v42, v[4:5], v[226:227] offset0:54 offset1:55
	ds_read_b64 v[4:5], v1
	s_waitcnt lgkmcnt(0)
	v_cmp_neq_f64_e32 vcc_lo, 0, v[4:5]
	s_and_b32 exec_lo, exec_lo, vcc_lo
	s_cbranch_execz .LBB111_89
; %bb.88:
	v_div_scale_f64 v[6:7], null, v[4:5], v[4:5], 1.0
	v_rcp_f64_e32 v[8:9], v[6:7]
	v_fma_f64 v[10:11], -v[6:7], v[8:9], 1.0
	v_fma_f64 v[8:9], v[8:9], v[10:11], v[8:9]
	v_fma_f64 v[10:11], -v[6:7], v[8:9], 1.0
	v_fma_f64 v[8:9], v[8:9], v[10:11], v[8:9]
	v_div_scale_f64 v[10:11], vcc_lo, 1.0, v[4:5], 1.0
	v_mul_f64 v[12:13], v[10:11], v[8:9]
	v_fma_f64 v[6:7], -v[6:7], v[12:13], v[10:11]
	v_div_fmas_f64 v[6:7], v[6:7], v[8:9], v[12:13]
	v_div_fixup_f64 v[4:5], v[6:7], v[4:5], 1.0
	ds_write_b64 v1, v[4:5]
.LBB111_89:
	s_or_b32 exec_lo, exec_lo, s1
	s_waitcnt lgkmcnt(0)
	s_barrier
	buffer_gl0_inv
	ds_read_b64 v[113:114], v1
	s_mov_b32 s1, exec_lo
	v_cmpx_lt_u32_e32 17, v0
	s_cbranch_execz .LBB111_91
; %bb.90:
	s_waitcnt lgkmcnt(0)
	v_mul_f64 v[190:191], v[113:114], v[190:191]
	ds_read2_b64 v[4:7], v42 offset0:18 offset1:19
	s_waitcnt lgkmcnt(0)
	v_fma_f64 v[208:209], -v[190:191], v[4:5], v[208:209]
	v_fma_f64 v[150:151], -v[190:191], v[6:7], v[150:151]
	ds_read2_b64 v[4:7], v42 offset0:20 offset1:21
	s_waitcnt lgkmcnt(0)
	v_fma_f64 v[186:187], -v[190:191], v[4:5], v[186:187]
	v_fma_f64 v[148:149], -v[190:191], v[6:7], v[148:149]
	;; [unrolled: 4-line block ×19, first 2 shown]
.LBB111_91:
	s_or_b32 exec_lo, exec_lo, s1
	s_mov_b32 s1, exec_lo
	s_waitcnt lgkmcnt(0)
	s_barrier
	buffer_gl0_inv
	v_cmpx_eq_u32_e32 18, v0
	s_cbranch_execz .LBB111_94
; %bb.92:
	ds_write_b64 v1, v[208:209]
	ds_write2_b64 v42, v[150:151], v[186:187] offset0:19 offset1:20
	ds_write2_b64 v42, v[148:149], v[184:185] offset0:21 offset1:22
	;; [unrolled: 1-line block ×18, first 2 shown]
	ds_write_b64 v42, v[226:227] offset:440
	ds_read_b64 v[4:5], v1
	s_waitcnt lgkmcnt(0)
	v_cmp_neq_f64_e32 vcc_lo, 0, v[4:5]
	s_and_b32 exec_lo, exec_lo, vcc_lo
	s_cbranch_execz .LBB111_94
; %bb.93:
	v_div_scale_f64 v[6:7], null, v[4:5], v[4:5], 1.0
	v_rcp_f64_e32 v[8:9], v[6:7]
	v_fma_f64 v[10:11], -v[6:7], v[8:9], 1.0
	v_fma_f64 v[8:9], v[8:9], v[10:11], v[8:9]
	v_fma_f64 v[10:11], -v[6:7], v[8:9], 1.0
	v_fma_f64 v[8:9], v[8:9], v[10:11], v[8:9]
	v_div_scale_f64 v[10:11], vcc_lo, 1.0, v[4:5], 1.0
	v_mul_f64 v[12:13], v[10:11], v[8:9]
	v_fma_f64 v[6:7], -v[6:7], v[12:13], v[10:11]
	v_div_fmas_f64 v[6:7], v[6:7], v[8:9], v[12:13]
	v_div_fixup_f64 v[4:5], v[6:7], v[4:5], 1.0
	ds_write_b64 v1, v[4:5]
.LBB111_94:
	s_or_b32 exec_lo, exec_lo, s1
	s_waitcnt lgkmcnt(0)
	s_barrier
	buffer_gl0_inv
	ds_read_b64 v[246:247], v1
	s_mov_b32 s1, exec_lo
	v_cmpx_lt_u32_e32 18, v0
	s_cbranch_execz .LBB111_96
; %bb.95:
	s_waitcnt lgkmcnt(0)
	v_mul_f64 v[208:209], v[246:247], v[208:209]
	ds_read2_b64 v[4:7], v42 offset0:19 offset1:20
	s_waitcnt lgkmcnt(0)
	v_fma_f64 v[150:151], -v[208:209], v[4:5], v[150:151]
	v_fma_f64 v[186:187], -v[208:209], v[6:7], v[186:187]
	ds_read2_b64 v[4:7], v42 offset0:21 offset1:22
	s_waitcnt lgkmcnt(0)
	v_fma_f64 v[148:149], -v[208:209], v[4:5], v[148:149]
	v_fma_f64 v[184:185], -v[208:209], v[6:7], v[184:185]
	;; [unrolled: 4-line block ×17, first 2 shown]
	ds_read2_b64 v[4:7], v42 offset0:53 offset1:54
	s_waitcnt lgkmcnt(0)
	v_fma_f64 v[116:117], -v[208:209], v[4:5], v[116:117]
	ds_read_b64 v[4:5], v42 offset:440
	v_fma_f64 v[152:153], -v[208:209], v[6:7], v[152:153]
	s_waitcnt lgkmcnt(0)
	v_fma_f64 v[226:227], -v[208:209], v[4:5], v[226:227]
.LBB111_96:
	s_or_b32 exec_lo, exec_lo, s1
	s_mov_b32 s1, exec_lo
	s_waitcnt lgkmcnt(0)
	s_barrier
	buffer_gl0_inv
	v_cmpx_eq_u32_e32 19, v0
	s_cbranch_execz .LBB111_99
; %bb.97:
	v_mov_b32_e32 v4, v186
	v_mov_b32_e32 v5, v187
	;; [unrolled: 1-line block ×4, first 2 shown]
	ds_write_b64 v1, v[150:151]
	ds_write2_b64 v42, v[4:5], v[6:7] offset0:20 offset1:21
	v_mov_b32_e32 v4, v184
	v_mov_b32_e32 v5, v185
	v_mov_b32_e32 v6, v146
	v_mov_b32_e32 v7, v147
	ds_write2_b64 v42, v[4:5], v[6:7] offset0:22 offset1:23
	v_mov_b32_e32 v4, v182
	v_mov_b32_e32 v5, v183
	v_mov_b32_e32 v6, v144
	v_mov_b32_e32 v7, v145
	;; [unrolled: 5-line block ×16, first 2 shown]
	ds_write2_b64 v42, v[4:5], v[6:7] offset0:52 offset1:53
	v_mov_b32_e32 v4, v152
	v_mov_b32_e32 v5, v153
	ds_write2_b64 v42, v[4:5], v[226:227] offset0:54 offset1:55
	ds_read_b64 v[4:5], v1
	s_waitcnt lgkmcnt(0)
	v_cmp_neq_f64_e32 vcc_lo, 0, v[4:5]
	s_and_b32 exec_lo, exec_lo, vcc_lo
	s_cbranch_execz .LBB111_99
; %bb.98:
	v_div_scale_f64 v[6:7], null, v[4:5], v[4:5], 1.0
	v_rcp_f64_e32 v[8:9], v[6:7]
	v_fma_f64 v[10:11], -v[6:7], v[8:9], 1.0
	v_fma_f64 v[8:9], v[8:9], v[10:11], v[8:9]
	v_fma_f64 v[10:11], -v[6:7], v[8:9], 1.0
	v_fma_f64 v[8:9], v[8:9], v[10:11], v[8:9]
	v_div_scale_f64 v[10:11], vcc_lo, 1.0, v[4:5], 1.0
	v_mul_f64 v[12:13], v[10:11], v[8:9]
	v_fma_f64 v[6:7], -v[6:7], v[12:13], v[10:11]
	v_div_fmas_f64 v[6:7], v[6:7], v[8:9], v[12:13]
	v_div_fixup_f64 v[4:5], v[6:7], v[4:5], 1.0
	ds_write_b64 v1, v[4:5]
.LBB111_99:
	s_or_b32 exec_lo, exec_lo, s1
	s_waitcnt lgkmcnt(0)
	s_barrier
	buffer_gl0_inv
	ds_read_b64 v[248:249], v1
	s_mov_b32 s1, exec_lo
	v_cmpx_lt_u32_e32 19, v0
	s_cbranch_execz .LBB111_101
; %bb.100:
	s_waitcnt lgkmcnt(0)
	v_mul_f64 v[150:151], v[248:249], v[150:151]
	ds_read2_b64 v[4:7], v42 offset0:20 offset1:21
	s_waitcnt lgkmcnt(0)
	v_fma_f64 v[186:187], -v[150:151], v[4:5], v[186:187]
	v_fma_f64 v[148:149], -v[150:151], v[6:7], v[148:149]
	ds_read2_b64 v[4:7], v42 offset0:22 offset1:23
	s_waitcnt lgkmcnt(0)
	v_fma_f64 v[184:185], -v[150:151], v[4:5], v[184:185]
	v_fma_f64 v[146:147], -v[150:151], v[6:7], v[146:147]
	;; [unrolled: 4-line block ×18, first 2 shown]
.LBB111_101:
	s_or_b32 exec_lo, exec_lo, s1
	s_mov_b32 s1, exec_lo
	s_waitcnt lgkmcnt(0)
	s_barrier
	buffer_gl0_inv
	v_cmpx_eq_u32_e32 20, v0
	s_cbranch_execz .LBB111_104
; %bb.102:
	ds_write_b64 v1, v[186:187]
	ds_write2_b64 v42, v[148:149], v[184:185] offset0:21 offset1:22
	ds_write2_b64 v42, v[146:147], v[182:183] offset0:23 offset1:24
	;; [unrolled: 1-line block ×17, first 2 shown]
	ds_write_b64 v42, v[226:227] offset:440
	ds_read_b64 v[4:5], v1
	s_waitcnt lgkmcnt(0)
	v_cmp_neq_f64_e32 vcc_lo, 0, v[4:5]
	s_and_b32 exec_lo, exec_lo, vcc_lo
	s_cbranch_execz .LBB111_104
; %bb.103:
	v_div_scale_f64 v[6:7], null, v[4:5], v[4:5], 1.0
	v_rcp_f64_e32 v[8:9], v[6:7]
	v_fma_f64 v[10:11], -v[6:7], v[8:9], 1.0
	v_fma_f64 v[8:9], v[8:9], v[10:11], v[8:9]
	v_fma_f64 v[10:11], -v[6:7], v[8:9], 1.0
	v_fma_f64 v[8:9], v[8:9], v[10:11], v[8:9]
	v_div_scale_f64 v[10:11], vcc_lo, 1.0, v[4:5], 1.0
	v_mul_f64 v[12:13], v[10:11], v[8:9]
	v_fma_f64 v[6:7], -v[6:7], v[12:13], v[10:11]
	v_div_fmas_f64 v[6:7], v[6:7], v[8:9], v[12:13]
	v_div_fixup_f64 v[4:5], v[6:7], v[4:5], 1.0
	ds_write_b64 v1, v[4:5]
.LBB111_104:
	s_or_b32 exec_lo, exec_lo, s1
	s_waitcnt lgkmcnt(0)
	s_barrier
	buffer_gl0_inv
	ds_read_b64 v[250:251], v1
	s_mov_b32 s1, exec_lo
	v_cmpx_lt_u32_e32 20, v0
	s_cbranch_execz .LBB111_106
; %bb.105:
	s_waitcnt lgkmcnt(0)
	v_mul_f64 v[186:187], v[250:251], v[186:187]
	ds_read2_b64 v[4:7], v42 offset0:21 offset1:22
	s_waitcnt lgkmcnt(0)
	v_fma_f64 v[148:149], -v[186:187], v[4:5], v[148:149]
	v_fma_f64 v[184:185], -v[186:187], v[6:7], v[184:185]
	ds_read2_b64 v[4:7], v42 offset0:23 offset1:24
	s_waitcnt lgkmcnt(0)
	v_fma_f64 v[146:147], -v[186:187], v[4:5], v[146:147]
	v_fma_f64 v[182:183], -v[186:187], v[6:7], v[182:183]
	ds_read2_b64 v[4:7], v42 offset0:25 offset1:26
	s_waitcnt lgkmcnt(0)
	v_fma_f64 v[144:145], -v[186:187], v[4:5], v[144:145]
	v_fma_f64 v[180:181], -v[186:187], v[6:7], v[180:181]
	ds_read2_b64 v[4:7], v42 offset0:27 offset1:28
	s_waitcnt lgkmcnt(0)
	v_fma_f64 v[142:143], -v[186:187], v[4:5], v[142:143]
	v_fma_f64 v[178:179], -v[186:187], v[6:7], v[178:179]
	ds_read2_b64 v[4:7], v42 offset0:29 offset1:30
	s_waitcnt lgkmcnt(0)
	v_fma_f64 v[140:141], -v[186:187], v[4:5], v[140:141]
	v_fma_f64 v[176:177], -v[186:187], v[6:7], v[176:177]
	ds_read2_b64 v[4:7], v42 offset0:31 offset1:32
	s_waitcnt lgkmcnt(0)
	v_fma_f64 v[138:139], -v[186:187], v[4:5], v[138:139]
	v_fma_f64 v[174:175], -v[186:187], v[6:7], v[174:175]
	ds_read2_b64 v[4:7], v42 offset0:33 offset1:34
	s_waitcnt lgkmcnt(0)
	v_fma_f64 v[136:137], -v[186:187], v[4:5], v[136:137]
	v_fma_f64 v[172:173], -v[186:187], v[6:7], v[172:173]
	ds_read2_b64 v[4:7], v42 offset0:35 offset1:36
	s_waitcnt lgkmcnt(0)
	v_fma_f64 v[134:135], -v[186:187], v[4:5], v[134:135]
	v_fma_f64 v[170:171], -v[186:187], v[6:7], v[170:171]
	ds_read2_b64 v[4:7], v42 offset0:37 offset1:38
	s_waitcnt lgkmcnt(0)
	v_fma_f64 v[132:133], -v[186:187], v[4:5], v[132:133]
	v_fma_f64 v[168:169], -v[186:187], v[6:7], v[168:169]
	ds_read2_b64 v[4:7], v42 offset0:39 offset1:40
	s_waitcnt lgkmcnt(0)
	v_fma_f64 v[130:131], -v[186:187], v[4:5], v[130:131]
	v_fma_f64 v[166:167], -v[186:187], v[6:7], v[166:167]
	ds_read2_b64 v[4:7], v42 offset0:41 offset1:42
	s_waitcnt lgkmcnt(0)
	v_fma_f64 v[128:129], -v[186:187], v[4:5], v[128:129]
	v_fma_f64 v[164:165], -v[186:187], v[6:7], v[164:165]
	ds_read2_b64 v[4:7], v42 offset0:43 offset1:44
	s_waitcnt lgkmcnt(0)
	v_fma_f64 v[126:127], -v[186:187], v[4:5], v[126:127]
	v_fma_f64 v[162:163], -v[186:187], v[6:7], v[162:163]
	ds_read2_b64 v[4:7], v42 offset0:45 offset1:46
	s_waitcnt lgkmcnt(0)
	v_fma_f64 v[124:125], -v[186:187], v[4:5], v[124:125]
	v_fma_f64 v[160:161], -v[186:187], v[6:7], v[160:161]
	ds_read2_b64 v[4:7], v42 offset0:47 offset1:48
	s_waitcnt lgkmcnt(0)
	v_fma_f64 v[122:123], -v[186:187], v[4:5], v[122:123]
	v_fma_f64 v[158:159], -v[186:187], v[6:7], v[158:159]
	ds_read2_b64 v[4:7], v42 offset0:49 offset1:50
	s_waitcnt lgkmcnt(0)
	v_fma_f64 v[120:121], -v[186:187], v[4:5], v[120:121]
	v_fma_f64 v[156:157], -v[186:187], v[6:7], v[156:157]
	ds_read2_b64 v[4:7], v42 offset0:51 offset1:52
	s_waitcnt lgkmcnt(0)
	v_fma_f64 v[118:119], -v[186:187], v[4:5], v[118:119]
	v_fma_f64 v[154:155], -v[186:187], v[6:7], v[154:155]
	ds_read2_b64 v[4:7], v42 offset0:53 offset1:54
	s_waitcnt lgkmcnt(0)
	v_fma_f64 v[116:117], -v[186:187], v[4:5], v[116:117]
	ds_read_b64 v[4:5], v42 offset:440
	v_fma_f64 v[152:153], -v[186:187], v[6:7], v[152:153]
	s_waitcnt lgkmcnt(0)
	v_fma_f64 v[226:227], -v[186:187], v[4:5], v[226:227]
.LBB111_106:
	s_or_b32 exec_lo, exec_lo, s1
	s_mov_b32 s1, exec_lo
	s_waitcnt lgkmcnt(0)
	s_barrier
	buffer_gl0_inv
	v_cmpx_eq_u32_e32 21, v0
	s_cbranch_execz .LBB111_109
; %bb.107:
	v_mov_b32_e32 v4, v184
	v_mov_b32_e32 v5, v185
	;; [unrolled: 1-line block ×4, first 2 shown]
	ds_write_b64 v1, v[148:149]
	ds_write2_b64 v42, v[4:5], v[6:7] offset0:22 offset1:23
	v_mov_b32_e32 v4, v182
	v_mov_b32_e32 v5, v183
	v_mov_b32_e32 v6, v144
	v_mov_b32_e32 v7, v145
	ds_write2_b64 v42, v[4:5], v[6:7] offset0:24 offset1:25
	v_mov_b32_e32 v4, v180
	v_mov_b32_e32 v5, v181
	v_mov_b32_e32 v6, v142
	v_mov_b32_e32 v7, v143
	;; [unrolled: 5-line block ×15, first 2 shown]
	ds_write2_b64 v42, v[4:5], v[6:7] offset0:52 offset1:53
	v_mov_b32_e32 v4, v152
	v_mov_b32_e32 v5, v153
	ds_write2_b64 v42, v[4:5], v[226:227] offset0:54 offset1:55
	ds_read_b64 v[4:5], v1
	s_waitcnt lgkmcnt(0)
	v_cmp_neq_f64_e32 vcc_lo, 0, v[4:5]
	s_and_b32 exec_lo, exec_lo, vcc_lo
	s_cbranch_execz .LBB111_109
; %bb.108:
	v_div_scale_f64 v[6:7], null, v[4:5], v[4:5], 1.0
	v_rcp_f64_e32 v[8:9], v[6:7]
	v_fma_f64 v[10:11], -v[6:7], v[8:9], 1.0
	v_fma_f64 v[8:9], v[8:9], v[10:11], v[8:9]
	v_fma_f64 v[10:11], -v[6:7], v[8:9], 1.0
	v_fma_f64 v[8:9], v[8:9], v[10:11], v[8:9]
	v_div_scale_f64 v[10:11], vcc_lo, 1.0, v[4:5], 1.0
	v_mul_f64 v[12:13], v[10:11], v[8:9]
	v_fma_f64 v[6:7], -v[6:7], v[12:13], v[10:11]
	v_div_fmas_f64 v[6:7], v[6:7], v[8:9], v[12:13]
	v_div_fixup_f64 v[4:5], v[6:7], v[4:5], 1.0
	ds_write_b64 v1, v[4:5]
.LBB111_109:
	s_or_b32 exec_lo, exec_lo, s1
	s_waitcnt lgkmcnt(0)
	s_barrier
	buffer_gl0_inv
	ds_read_b64 v[252:253], v1
	s_mov_b32 s1, exec_lo
	v_cmpx_lt_u32_e32 21, v0
	s_cbranch_execz .LBB111_111
; %bb.110:
	s_waitcnt lgkmcnt(0)
	v_mul_f64 v[148:149], v[252:253], v[148:149]
	ds_read2_b64 v[4:7], v42 offset0:22 offset1:23
	s_waitcnt lgkmcnt(0)
	v_fma_f64 v[184:185], -v[148:149], v[4:5], v[184:185]
	v_fma_f64 v[146:147], -v[148:149], v[6:7], v[146:147]
	ds_read2_b64 v[4:7], v42 offset0:24 offset1:25
	s_waitcnt lgkmcnt(0)
	v_fma_f64 v[182:183], -v[148:149], v[4:5], v[182:183]
	v_fma_f64 v[144:145], -v[148:149], v[6:7], v[144:145]
	;; [unrolled: 4-line block ×17, first 2 shown]
.LBB111_111:
	s_or_b32 exec_lo, exec_lo, s1
	s_mov_b32 s1, exec_lo
	s_waitcnt lgkmcnt(0)
	s_barrier
	buffer_gl0_inv
	v_cmpx_eq_u32_e32 22, v0
	s_cbranch_execz .LBB111_114
; %bb.112:
	ds_write_b64 v1, v[184:185]
	ds_write2_b64 v42, v[146:147], v[182:183] offset0:23 offset1:24
	ds_write2_b64 v42, v[144:145], v[180:181] offset0:25 offset1:26
	ds_write2_b64 v42, v[142:143], v[178:179] offset0:27 offset1:28
	ds_write2_b64 v42, v[140:141], v[176:177] offset0:29 offset1:30
	ds_write2_b64 v42, v[138:139], v[174:175] offset0:31 offset1:32
	ds_write2_b64 v42, v[136:137], v[172:173] offset0:33 offset1:34
	ds_write2_b64 v42, v[134:135], v[170:171] offset0:35 offset1:36
	ds_write2_b64 v42, v[132:133], v[168:169] offset0:37 offset1:38
	ds_write2_b64 v42, v[130:131], v[166:167] offset0:39 offset1:40
	ds_write2_b64 v42, v[128:129], v[164:165] offset0:41 offset1:42
	ds_write2_b64 v42, v[126:127], v[162:163] offset0:43 offset1:44
	ds_write2_b64 v42, v[124:125], v[160:161] offset0:45 offset1:46
	ds_write2_b64 v42, v[122:123], v[158:159] offset0:47 offset1:48
	ds_write2_b64 v42, v[120:121], v[156:157] offset0:49 offset1:50
	ds_write2_b64 v42, v[118:119], v[154:155] offset0:51 offset1:52
	ds_write2_b64 v42, v[116:117], v[152:153] offset0:53 offset1:54
	ds_write_b64 v42, v[226:227] offset:440
	ds_read_b64 v[4:5], v1
	s_waitcnt lgkmcnt(0)
	v_cmp_neq_f64_e32 vcc_lo, 0, v[4:5]
	s_and_b32 exec_lo, exec_lo, vcc_lo
	s_cbranch_execz .LBB111_114
; %bb.113:
	v_div_scale_f64 v[6:7], null, v[4:5], v[4:5], 1.0
	v_rcp_f64_e32 v[8:9], v[6:7]
	v_fma_f64 v[10:11], -v[6:7], v[8:9], 1.0
	v_fma_f64 v[8:9], v[8:9], v[10:11], v[8:9]
	v_fma_f64 v[10:11], -v[6:7], v[8:9], 1.0
	v_fma_f64 v[8:9], v[8:9], v[10:11], v[8:9]
	v_div_scale_f64 v[10:11], vcc_lo, 1.0, v[4:5], 1.0
	v_mul_f64 v[12:13], v[10:11], v[8:9]
	v_fma_f64 v[6:7], -v[6:7], v[12:13], v[10:11]
	v_div_fmas_f64 v[6:7], v[6:7], v[8:9], v[12:13]
	v_div_fixup_f64 v[4:5], v[6:7], v[4:5], 1.0
	ds_write_b64 v1, v[4:5]
.LBB111_114:
	s_or_b32 exec_lo, exec_lo, s1
	s_waitcnt lgkmcnt(0)
	s_barrier
	buffer_gl0_inv
	ds_read_b64 v[254:255], v1
	s_mov_b32 s1, exec_lo
	v_cmpx_lt_u32_e32 22, v0
	s_cbranch_execz .LBB111_116
; %bb.115:
	s_waitcnt lgkmcnt(0)
	v_mul_f64 v[184:185], v[254:255], v[184:185]
	ds_read2_b64 v[4:7], v42 offset0:23 offset1:24
	s_waitcnt lgkmcnt(0)
	v_fma_f64 v[146:147], -v[184:185], v[4:5], v[146:147]
	v_fma_f64 v[182:183], -v[184:185], v[6:7], v[182:183]
	ds_read2_b64 v[4:7], v42 offset0:25 offset1:26
	s_waitcnt lgkmcnt(0)
	v_fma_f64 v[144:145], -v[184:185], v[4:5], v[144:145]
	v_fma_f64 v[180:181], -v[184:185], v[6:7], v[180:181]
	;; [unrolled: 4-line block ×15, first 2 shown]
	ds_read2_b64 v[4:7], v42 offset0:53 offset1:54
	s_waitcnt lgkmcnt(0)
	v_fma_f64 v[116:117], -v[184:185], v[4:5], v[116:117]
	ds_read_b64 v[4:5], v42 offset:440
	v_fma_f64 v[152:153], -v[184:185], v[6:7], v[152:153]
	s_waitcnt lgkmcnt(0)
	v_fma_f64 v[226:227], -v[184:185], v[4:5], v[226:227]
.LBB111_116:
	s_or_b32 exec_lo, exec_lo, s1
	s_mov_b32 s1, exec_lo
	s_waitcnt lgkmcnt(0)
	s_barrier
	buffer_gl0_inv
	v_cmpx_eq_u32_e32 23, v0
	s_cbranch_execz .LBB111_119
; %bb.117:
	v_mov_b32_e32 v4, v182
	v_mov_b32_e32 v5, v183
	;; [unrolled: 1-line block ×4, first 2 shown]
	ds_write_b64 v1, v[146:147]
	ds_write2_b64 v42, v[4:5], v[6:7] offset0:24 offset1:25
	v_mov_b32_e32 v4, v180
	v_mov_b32_e32 v5, v181
	v_mov_b32_e32 v6, v142
	v_mov_b32_e32 v7, v143
	ds_write2_b64 v42, v[4:5], v[6:7] offset0:26 offset1:27
	v_mov_b32_e32 v4, v178
	v_mov_b32_e32 v5, v179
	v_mov_b32_e32 v6, v140
	v_mov_b32_e32 v7, v141
	;; [unrolled: 5-line block ×14, first 2 shown]
	ds_write2_b64 v42, v[4:5], v[6:7] offset0:52 offset1:53
	v_mov_b32_e32 v4, v152
	v_mov_b32_e32 v5, v153
	ds_write2_b64 v42, v[4:5], v[226:227] offset0:54 offset1:55
	ds_read_b64 v[4:5], v1
	s_waitcnt lgkmcnt(0)
	v_cmp_neq_f64_e32 vcc_lo, 0, v[4:5]
	s_and_b32 exec_lo, exec_lo, vcc_lo
	s_cbranch_execz .LBB111_119
; %bb.118:
	v_div_scale_f64 v[6:7], null, v[4:5], v[4:5], 1.0
	v_rcp_f64_e32 v[8:9], v[6:7]
	v_fma_f64 v[10:11], -v[6:7], v[8:9], 1.0
	v_fma_f64 v[8:9], v[8:9], v[10:11], v[8:9]
	v_fma_f64 v[10:11], -v[6:7], v[8:9], 1.0
	v_fma_f64 v[8:9], v[8:9], v[10:11], v[8:9]
	v_div_scale_f64 v[10:11], vcc_lo, 1.0, v[4:5], 1.0
	v_mul_f64 v[12:13], v[10:11], v[8:9]
	v_fma_f64 v[6:7], -v[6:7], v[12:13], v[10:11]
	v_div_fmas_f64 v[6:7], v[6:7], v[8:9], v[12:13]
	v_div_fixup_f64 v[4:5], v[6:7], v[4:5], 1.0
	ds_write_b64 v1, v[4:5]
.LBB111_119:
	s_or_b32 exec_lo, exec_lo, s1
	s_waitcnt lgkmcnt(0)
	s_barrier
	buffer_gl0_inv
	ds_read_b64 v[228:229], v1
	s_mov_b32 s1, exec_lo
	v_cmpx_lt_u32_e32 23, v0
	s_cbranch_execz .LBB111_121
; %bb.120:
	s_waitcnt lgkmcnt(0)
	v_mul_f64 v[146:147], v[228:229], v[146:147]
	ds_read2_b64 v[4:7], v42 offset0:24 offset1:25
	s_waitcnt lgkmcnt(0)
	v_fma_f64 v[182:183], -v[146:147], v[4:5], v[182:183]
	v_fma_f64 v[144:145], -v[146:147], v[6:7], v[144:145]
	ds_read2_b64 v[4:7], v42 offset0:26 offset1:27
	s_waitcnt lgkmcnt(0)
	v_fma_f64 v[180:181], -v[146:147], v[4:5], v[180:181]
	v_fma_f64 v[142:143], -v[146:147], v[6:7], v[142:143]
	;; [unrolled: 4-line block ×16, first 2 shown]
.LBB111_121:
	s_or_b32 exec_lo, exec_lo, s1
	s_mov_b32 s1, exec_lo
	s_waitcnt lgkmcnt(0)
	s_barrier
	buffer_gl0_inv
	v_cmpx_eq_u32_e32 24, v0
	s_cbranch_execz .LBB111_124
; %bb.122:
	ds_write_b64 v1, v[182:183]
	ds_write2_b64 v42, v[144:145], v[180:181] offset0:25 offset1:26
	ds_write2_b64 v42, v[142:143], v[178:179] offset0:27 offset1:28
	;; [unrolled: 1-line block ×15, first 2 shown]
	ds_write_b64 v42, v[226:227] offset:440
	ds_read_b64 v[4:5], v1
	s_waitcnt lgkmcnt(0)
	v_cmp_neq_f64_e32 vcc_lo, 0, v[4:5]
	s_and_b32 exec_lo, exec_lo, vcc_lo
	s_cbranch_execz .LBB111_124
; %bb.123:
	v_div_scale_f64 v[6:7], null, v[4:5], v[4:5], 1.0
	v_rcp_f64_e32 v[8:9], v[6:7]
	v_fma_f64 v[10:11], -v[6:7], v[8:9], 1.0
	v_fma_f64 v[8:9], v[8:9], v[10:11], v[8:9]
	v_fma_f64 v[10:11], -v[6:7], v[8:9], 1.0
	v_fma_f64 v[8:9], v[8:9], v[10:11], v[8:9]
	v_div_scale_f64 v[10:11], vcc_lo, 1.0, v[4:5], 1.0
	v_mul_f64 v[12:13], v[10:11], v[8:9]
	v_fma_f64 v[6:7], -v[6:7], v[12:13], v[10:11]
	v_div_fmas_f64 v[6:7], v[6:7], v[8:9], v[12:13]
	v_div_fixup_f64 v[4:5], v[6:7], v[4:5], 1.0
	ds_write_b64 v1, v[4:5]
.LBB111_124:
	s_or_b32 exec_lo, exec_lo, s1
	s_waitcnt lgkmcnt(0)
	s_barrier
	buffer_gl0_inv
	ds_read_b64 v[111:112], v1
	s_mov_b32 s1, exec_lo
	v_cmpx_lt_u32_e32 24, v0
	s_cbranch_execz .LBB111_126
; %bb.125:
	s_waitcnt lgkmcnt(0)
	v_mul_f64 v[182:183], v[111:112], v[182:183]
	ds_read2_b64 v[4:7], v42 offset0:25 offset1:26
	s_waitcnt lgkmcnt(0)
	v_fma_f64 v[144:145], -v[182:183], v[4:5], v[144:145]
	v_fma_f64 v[180:181], -v[182:183], v[6:7], v[180:181]
	ds_read2_b64 v[4:7], v42 offset0:27 offset1:28
	s_waitcnt lgkmcnt(0)
	v_fma_f64 v[142:143], -v[182:183], v[4:5], v[142:143]
	v_fma_f64 v[178:179], -v[182:183], v[6:7], v[178:179]
	;; [unrolled: 4-line block ×14, first 2 shown]
	ds_read2_b64 v[4:7], v42 offset0:53 offset1:54
	s_waitcnt lgkmcnt(0)
	v_fma_f64 v[116:117], -v[182:183], v[4:5], v[116:117]
	ds_read_b64 v[4:5], v42 offset:440
	v_fma_f64 v[152:153], -v[182:183], v[6:7], v[152:153]
	s_waitcnt lgkmcnt(0)
	v_fma_f64 v[226:227], -v[182:183], v[4:5], v[226:227]
.LBB111_126:
	s_or_b32 exec_lo, exec_lo, s1
	s_mov_b32 s1, exec_lo
	s_waitcnt lgkmcnt(0)
	s_barrier
	buffer_gl0_inv
	v_cmpx_eq_u32_e32 25, v0
	s_cbranch_execz .LBB111_129
; %bb.127:
	v_mov_b32_e32 v4, v180
	v_mov_b32_e32 v5, v181
	;; [unrolled: 1-line block ×4, first 2 shown]
	ds_write_b64 v1, v[144:145]
	ds_write2_b64 v42, v[4:5], v[6:7] offset0:26 offset1:27
	v_mov_b32_e32 v4, v178
	v_mov_b32_e32 v5, v179
	v_mov_b32_e32 v6, v140
	v_mov_b32_e32 v7, v141
	ds_write2_b64 v42, v[4:5], v[6:7] offset0:28 offset1:29
	v_mov_b32_e32 v4, v176
	v_mov_b32_e32 v5, v177
	v_mov_b32_e32 v6, v138
	v_mov_b32_e32 v7, v139
	ds_write2_b64 v42, v[4:5], v[6:7] offset0:30 offset1:31
	v_mov_b32_e32 v4, v174
	v_mov_b32_e32 v5, v175
	v_mov_b32_e32 v6, v136
	v_mov_b32_e32 v7, v137
	ds_write2_b64 v42, v[4:5], v[6:7] offset0:32 offset1:33
	v_mov_b32_e32 v4, v172
	v_mov_b32_e32 v5, v173
	v_mov_b32_e32 v6, v134
	v_mov_b32_e32 v7, v135
	ds_write2_b64 v42, v[4:5], v[6:7] offset0:34 offset1:35
	v_mov_b32_e32 v4, v170
	v_mov_b32_e32 v5, v171
	v_mov_b32_e32 v6, v132
	v_mov_b32_e32 v7, v133
	ds_write2_b64 v42, v[4:5], v[6:7] offset0:36 offset1:37
	v_mov_b32_e32 v4, v168
	v_mov_b32_e32 v5, v169
	v_mov_b32_e32 v6, v130
	v_mov_b32_e32 v7, v131
	ds_write2_b64 v42, v[4:5], v[6:7] offset0:38 offset1:39
	v_mov_b32_e32 v4, v166
	v_mov_b32_e32 v5, v167
	v_mov_b32_e32 v6, v128
	v_mov_b32_e32 v7, v129
	ds_write2_b64 v42, v[4:5], v[6:7] offset0:40 offset1:41
	v_mov_b32_e32 v4, v164
	v_mov_b32_e32 v5, v165
	v_mov_b32_e32 v6, v126
	v_mov_b32_e32 v7, v127
	ds_write2_b64 v42, v[4:5], v[6:7] offset0:42 offset1:43
	v_mov_b32_e32 v4, v162
	v_mov_b32_e32 v5, v163
	v_mov_b32_e32 v6, v124
	v_mov_b32_e32 v7, v125
	ds_write2_b64 v42, v[4:5], v[6:7] offset0:44 offset1:45
	v_mov_b32_e32 v4, v160
	v_mov_b32_e32 v5, v161
	v_mov_b32_e32 v6, v122
	v_mov_b32_e32 v7, v123
	ds_write2_b64 v42, v[4:5], v[6:7] offset0:46 offset1:47
	v_mov_b32_e32 v4, v158
	v_mov_b32_e32 v5, v159
	v_mov_b32_e32 v6, v120
	v_mov_b32_e32 v7, v121
	ds_write2_b64 v42, v[4:5], v[6:7] offset0:48 offset1:49
	v_mov_b32_e32 v4, v156
	v_mov_b32_e32 v5, v157
	v_mov_b32_e32 v6, v118
	v_mov_b32_e32 v7, v119
	ds_write2_b64 v42, v[4:5], v[6:7] offset0:50 offset1:51
	v_mov_b32_e32 v4, v154
	v_mov_b32_e32 v5, v155
	v_mov_b32_e32 v6, v116
	v_mov_b32_e32 v7, v117
	ds_write2_b64 v42, v[4:5], v[6:7] offset0:52 offset1:53
	v_mov_b32_e32 v4, v152
	v_mov_b32_e32 v5, v153
	ds_write2_b64 v42, v[4:5], v[226:227] offset0:54 offset1:55
	ds_read_b64 v[4:5], v1
	s_waitcnt lgkmcnt(0)
	v_cmp_neq_f64_e32 vcc_lo, 0, v[4:5]
	s_and_b32 exec_lo, exec_lo, vcc_lo
	s_cbranch_execz .LBB111_129
; %bb.128:
	v_div_scale_f64 v[6:7], null, v[4:5], v[4:5], 1.0
	v_rcp_f64_e32 v[8:9], v[6:7]
	v_fma_f64 v[10:11], -v[6:7], v[8:9], 1.0
	v_fma_f64 v[8:9], v[8:9], v[10:11], v[8:9]
	v_fma_f64 v[10:11], -v[6:7], v[8:9], 1.0
	v_fma_f64 v[8:9], v[8:9], v[10:11], v[8:9]
	v_div_scale_f64 v[10:11], vcc_lo, 1.0, v[4:5], 1.0
	v_mul_f64 v[12:13], v[10:11], v[8:9]
	v_fma_f64 v[6:7], -v[6:7], v[12:13], v[10:11]
	v_div_fmas_f64 v[6:7], v[6:7], v[8:9], v[12:13]
	v_div_fixup_f64 v[4:5], v[6:7], v[4:5], 1.0
	ds_write_b64 v1, v[4:5]
.LBB111_129:
	s_or_b32 exec_lo, exec_lo, s1
	s_waitcnt lgkmcnt(0)
	s_barrier
	buffer_gl0_inv
	ds_read_b64 v[48:49], v1
	s_mov_b32 s1, exec_lo
	v_cmpx_lt_u32_e32 25, v0
	s_cbranch_execz .LBB111_131
; %bb.130:
	s_waitcnt lgkmcnt(0)
	v_mul_f64 v[144:145], v[48:49], v[144:145]
	ds_read2_b64 v[4:7], v42 offset0:26 offset1:27
	s_waitcnt lgkmcnt(0)
	v_fma_f64 v[180:181], -v[144:145], v[4:5], v[180:181]
	v_fma_f64 v[142:143], -v[144:145], v[6:7], v[142:143]
	ds_read2_b64 v[4:7], v42 offset0:28 offset1:29
	s_waitcnt lgkmcnt(0)
	v_fma_f64 v[178:179], -v[144:145], v[4:5], v[178:179]
	v_fma_f64 v[140:141], -v[144:145], v[6:7], v[140:141]
	;; [unrolled: 4-line block ×15, first 2 shown]
.LBB111_131:
	s_or_b32 exec_lo, exec_lo, s1
	s_mov_b32 s1, exec_lo
	s_waitcnt lgkmcnt(0)
	s_barrier
	buffer_gl0_inv
	v_cmpx_eq_u32_e32 26, v0
	s_cbranch_execz .LBB111_134
; %bb.132:
	ds_write_b64 v1, v[180:181]
	ds_write2_b64 v42, v[142:143], v[178:179] offset0:27 offset1:28
	ds_write2_b64 v42, v[140:141], v[176:177] offset0:29 offset1:30
	;; [unrolled: 1-line block ×14, first 2 shown]
	ds_write_b64 v42, v[226:227] offset:440
	ds_read_b64 v[4:5], v1
	s_waitcnt lgkmcnt(0)
	v_cmp_neq_f64_e32 vcc_lo, 0, v[4:5]
	s_and_b32 exec_lo, exec_lo, vcc_lo
	s_cbranch_execz .LBB111_134
; %bb.133:
	v_div_scale_f64 v[6:7], null, v[4:5], v[4:5], 1.0
	v_rcp_f64_e32 v[8:9], v[6:7]
	v_fma_f64 v[10:11], -v[6:7], v[8:9], 1.0
	v_fma_f64 v[8:9], v[8:9], v[10:11], v[8:9]
	v_fma_f64 v[10:11], -v[6:7], v[8:9], 1.0
	v_fma_f64 v[8:9], v[8:9], v[10:11], v[8:9]
	v_div_scale_f64 v[10:11], vcc_lo, 1.0, v[4:5], 1.0
	v_mul_f64 v[12:13], v[10:11], v[8:9]
	v_fma_f64 v[6:7], -v[6:7], v[12:13], v[10:11]
	v_div_fmas_f64 v[6:7], v[6:7], v[8:9], v[12:13]
	v_div_fixup_f64 v[4:5], v[6:7], v[4:5], 1.0
	ds_write_b64 v1, v[4:5]
.LBB111_134:
	s_or_b32 exec_lo, exec_lo, s1
	s_waitcnt lgkmcnt(0)
	s_barrier
	buffer_gl0_inv
	ds_read_b64 v[53:54], v1
	s_mov_b32 s1, exec_lo
	v_cmpx_lt_u32_e32 26, v0
	s_cbranch_execz .LBB111_136
; %bb.135:
	s_waitcnt lgkmcnt(0)
	v_mul_f64 v[180:181], v[53:54], v[180:181]
	ds_read2_b64 v[4:7], v42 offset0:27 offset1:28
	s_waitcnt lgkmcnt(0)
	v_fma_f64 v[142:143], -v[180:181], v[4:5], v[142:143]
	v_fma_f64 v[178:179], -v[180:181], v[6:7], v[178:179]
	ds_read2_b64 v[4:7], v42 offset0:29 offset1:30
	s_waitcnt lgkmcnt(0)
	v_fma_f64 v[140:141], -v[180:181], v[4:5], v[140:141]
	v_fma_f64 v[176:177], -v[180:181], v[6:7], v[176:177]
	;; [unrolled: 4-line block ×13, first 2 shown]
	ds_read2_b64 v[4:7], v42 offset0:53 offset1:54
	s_waitcnt lgkmcnt(0)
	v_fma_f64 v[116:117], -v[180:181], v[4:5], v[116:117]
	ds_read_b64 v[4:5], v42 offset:440
	v_fma_f64 v[152:153], -v[180:181], v[6:7], v[152:153]
	s_waitcnt lgkmcnt(0)
	v_fma_f64 v[226:227], -v[180:181], v[4:5], v[226:227]
.LBB111_136:
	s_or_b32 exec_lo, exec_lo, s1
	s_mov_b32 s1, exec_lo
	s_waitcnt lgkmcnt(0)
	s_barrier
	buffer_gl0_inv
	v_cmpx_eq_u32_e32 27, v0
	s_cbranch_execz .LBB111_139
; %bb.137:
	v_mov_b32_e32 v4, v178
	v_mov_b32_e32 v5, v179
	;; [unrolled: 1-line block ×4, first 2 shown]
	ds_write_b64 v1, v[142:143]
	ds_write2_b64 v42, v[4:5], v[6:7] offset0:28 offset1:29
	v_mov_b32_e32 v4, v176
	v_mov_b32_e32 v5, v177
	v_mov_b32_e32 v6, v138
	v_mov_b32_e32 v7, v139
	ds_write2_b64 v42, v[4:5], v[6:7] offset0:30 offset1:31
	v_mov_b32_e32 v4, v174
	v_mov_b32_e32 v5, v175
	v_mov_b32_e32 v6, v136
	v_mov_b32_e32 v7, v137
	;; [unrolled: 5-line block ×12, first 2 shown]
	ds_write2_b64 v42, v[4:5], v[6:7] offset0:52 offset1:53
	v_mov_b32_e32 v4, v152
	v_mov_b32_e32 v5, v153
	ds_write2_b64 v42, v[4:5], v[226:227] offset0:54 offset1:55
	ds_read_b64 v[4:5], v1
	s_waitcnt lgkmcnt(0)
	v_cmp_neq_f64_e32 vcc_lo, 0, v[4:5]
	s_and_b32 exec_lo, exec_lo, vcc_lo
	s_cbranch_execz .LBB111_139
; %bb.138:
	v_div_scale_f64 v[6:7], null, v[4:5], v[4:5], 1.0
	v_rcp_f64_e32 v[8:9], v[6:7]
	v_fma_f64 v[10:11], -v[6:7], v[8:9], 1.0
	v_fma_f64 v[8:9], v[8:9], v[10:11], v[8:9]
	v_fma_f64 v[10:11], -v[6:7], v[8:9], 1.0
	v_fma_f64 v[8:9], v[8:9], v[10:11], v[8:9]
	v_div_scale_f64 v[10:11], vcc_lo, 1.0, v[4:5], 1.0
	v_mul_f64 v[12:13], v[10:11], v[8:9]
	v_fma_f64 v[6:7], -v[6:7], v[12:13], v[10:11]
	v_div_fmas_f64 v[6:7], v[6:7], v[8:9], v[12:13]
	v_div_fixup_f64 v[4:5], v[6:7], v[4:5], 1.0
	ds_write_b64 v1, v[4:5]
.LBB111_139:
	s_or_b32 exec_lo, exec_lo, s1
	s_waitcnt lgkmcnt(0)
	s_barrier
	buffer_gl0_inv
	ds_read_b64 v[55:56], v1
	s_mov_b32 s1, exec_lo
	v_cmpx_lt_u32_e32 27, v0
	s_cbranch_execz .LBB111_141
; %bb.140:
	s_waitcnt lgkmcnt(0)
	v_mul_f64 v[142:143], v[55:56], v[142:143]
	ds_read2_b64 v[4:7], v42 offset0:28 offset1:29
	s_waitcnt lgkmcnt(0)
	v_fma_f64 v[178:179], -v[142:143], v[4:5], v[178:179]
	v_fma_f64 v[140:141], -v[142:143], v[6:7], v[140:141]
	ds_read2_b64 v[4:7], v42 offset0:30 offset1:31
	s_waitcnt lgkmcnt(0)
	v_fma_f64 v[176:177], -v[142:143], v[4:5], v[176:177]
	v_fma_f64 v[138:139], -v[142:143], v[6:7], v[138:139]
	;; [unrolled: 4-line block ×14, first 2 shown]
.LBB111_141:
	s_or_b32 exec_lo, exec_lo, s1
	s_mov_b32 s1, exec_lo
	s_waitcnt lgkmcnt(0)
	s_barrier
	buffer_gl0_inv
	v_cmpx_eq_u32_e32 28, v0
	s_cbranch_execz .LBB111_144
; %bb.142:
	ds_write_b64 v1, v[178:179]
	ds_write2_b64 v42, v[140:141], v[176:177] offset0:29 offset1:30
	ds_write2_b64 v42, v[138:139], v[174:175] offset0:31 offset1:32
	;; [unrolled: 1-line block ×13, first 2 shown]
	ds_write_b64 v42, v[226:227] offset:440
	ds_read_b64 v[4:5], v1
	s_waitcnt lgkmcnt(0)
	v_cmp_neq_f64_e32 vcc_lo, 0, v[4:5]
	s_and_b32 exec_lo, exec_lo, vcc_lo
	s_cbranch_execz .LBB111_144
; %bb.143:
	v_div_scale_f64 v[6:7], null, v[4:5], v[4:5], 1.0
	v_rcp_f64_e32 v[8:9], v[6:7]
	v_fma_f64 v[10:11], -v[6:7], v[8:9], 1.0
	v_fma_f64 v[8:9], v[8:9], v[10:11], v[8:9]
	v_fma_f64 v[10:11], -v[6:7], v[8:9], 1.0
	v_fma_f64 v[8:9], v[8:9], v[10:11], v[8:9]
	v_div_scale_f64 v[10:11], vcc_lo, 1.0, v[4:5], 1.0
	v_mul_f64 v[12:13], v[10:11], v[8:9]
	v_fma_f64 v[6:7], -v[6:7], v[12:13], v[10:11]
	v_div_fmas_f64 v[6:7], v[6:7], v[8:9], v[12:13]
	v_div_fixup_f64 v[4:5], v[6:7], v[4:5], 1.0
	ds_write_b64 v1, v[4:5]
.LBB111_144:
	s_or_b32 exec_lo, exec_lo, s1
	s_waitcnt lgkmcnt(0)
	s_barrier
	buffer_gl0_inv
	ds_read_b64 v[59:60], v1
	s_mov_b32 s1, exec_lo
	v_cmpx_lt_u32_e32 28, v0
	s_cbranch_execz .LBB111_146
; %bb.145:
	s_waitcnt lgkmcnt(0)
	v_mul_f64 v[178:179], v[59:60], v[178:179]
	ds_read2_b64 v[4:7], v42 offset0:29 offset1:30
	s_waitcnt lgkmcnt(0)
	v_fma_f64 v[140:141], -v[178:179], v[4:5], v[140:141]
	v_fma_f64 v[176:177], -v[178:179], v[6:7], v[176:177]
	ds_read2_b64 v[4:7], v42 offset0:31 offset1:32
	s_waitcnt lgkmcnt(0)
	v_fma_f64 v[138:139], -v[178:179], v[4:5], v[138:139]
	v_fma_f64 v[174:175], -v[178:179], v[6:7], v[174:175]
	;; [unrolled: 4-line block ×12, first 2 shown]
	ds_read2_b64 v[4:7], v42 offset0:53 offset1:54
	s_waitcnt lgkmcnt(0)
	v_fma_f64 v[116:117], -v[178:179], v[4:5], v[116:117]
	ds_read_b64 v[4:5], v42 offset:440
	v_fma_f64 v[152:153], -v[178:179], v[6:7], v[152:153]
	s_waitcnt lgkmcnt(0)
	v_fma_f64 v[226:227], -v[178:179], v[4:5], v[226:227]
.LBB111_146:
	s_or_b32 exec_lo, exec_lo, s1
	s_mov_b32 s1, exec_lo
	s_waitcnt lgkmcnt(0)
	s_barrier
	buffer_gl0_inv
	v_cmpx_eq_u32_e32 29, v0
	s_cbranch_execz .LBB111_149
; %bb.147:
	v_mov_b32_e32 v4, v176
	v_mov_b32_e32 v5, v177
	;; [unrolled: 1-line block ×4, first 2 shown]
	ds_write_b64 v1, v[140:141]
	ds_write2_b64 v42, v[4:5], v[6:7] offset0:30 offset1:31
	v_mov_b32_e32 v4, v174
	v_mov_b32_e32 v5, v175
	v_mov_b32_e32 v6, v136
	v_mov_b32_e32 v7, v137
	ds_write2_b64 v42, v[4:5], v[6:7] offset0:32 offset1:33
	v_mov_b32_e32 v4, v172
	v_mov_b32_e32 v5, v173
	v_mov_b32_e32 v6, v134
	v_mov_b32_e32 v7, v135
	;; [unrolled: 5-line block ×11, first 2 shown]
	ds_write2_b64 v42, v[4:5], v[6:7] offset0:52 offset1:53
	v_mov_b32_e32 v4, v152
	v_mov_b32_e32 v5, v153
	ds_write2_b64 v42, v[4:5], v[226:227] offset0:54 offset1:55
	ds_read_b64 v[4:5], v1
	s_waitcnt lgkmcnt(0)
	v_cmp_neq_f64_e32 vcc_lo, 0, v[4:5]
	s_and_b32 exec_lo, exec_lo, vcc_lo
	s_cbranch_execz .LBB111_149
; %bb.148:
	v_div_scale_f64 v[6:7], null, v[4:5], v[4:5], 1.0
	v_rcp_f64_e32 v[8:9], v[6:7]
	v_fma_f64 v[10:11], -v[6:7], v[8:9], 1.0
	v_fma_f64 v[8:9], v[8:9], v[10:11], v[8:9]
	v_fma_f64 v[10:11], -v[6:7], v[8:9], 1.0
	v_fma_f64 v[8:9], v[8:9], v[10:11], v[8:9]
	v_div_scale_f64 v[10:11], vcc_lo, 1.0, v[4:5], 1.0
	v_mul_f64 v[12:13], v[10:11], v[8:9]
	v_fma_f64 v[6:7], -v[6:7], v[12:13], v[10:11]
	v_div_fmas_f64 v[6:7], v[6:7], v[8:9], v[12:13]
	v_div_fixup_f64 v[4:5], v[6:7], v[4:5], 1.0
	ds_write_b64 v1, v[4:5]
.LBB111_149:
	s_or_b32 exec_lo, exec_lo, s1
	s_waitcnt lgkmcnt(0)
	s_barrier
	buffer_gl0_inv
	ds_read_b64 v[230:231], v1
	s_mov_b32 s1, exec_lo
	v_cmpx_lt_u32_e32 29, v0
	s_cbranch_execz .LBB111_151
; %bb.150:
	s_waitcnt lgkmcnt(0)
	v_mul_f64 v[140:141], v[230:231], v[140:141]
	ds_read2_b64 v[4:7], v42 offset0:30 offset1:31
	s_waitcnt lgkmcnt(0)
	v_fma_f64 v[176:177], -v[140:141], v[4:5], v[176:177]
	v_fma_f64 v[138:139], -v[140:141], v[6:7], v[138:139]
	ds_read2_b64 v[4:7], v42 offset0:32 offset1:33
	s_waitcnt lgkmcnt(0)
	v_fma_f64 v[174:175], -v[140:141], v[4:5], v[174:175]
	v_fma_f64 v[136:137], -v[140:141], v[6:7], v[136:137]
	;; [unrolled: 4-line block ×13, first 2 shown]
.LBB111_151:
	s_or_b32 exec_lo, exec_lo, s1
	s_mov_b32 s1, exec_lo
	s_waitcnt lgkmcnt(0)
	s_barrier
	buffer_gl0_inv
	v_cmpx_eq_u32_e32 30, v0
	s_cbranch_execz .LBB111_154
; %bb.152:
	ds_write_b64 v1, v[176:177]
	ds_write2_b64 v42, v[138:139], v[174:175] offset0:31 offset1:32
	ds_write2_b64 v42, v[136:137], v[172:173] offset0:33 offset1:34
	;; [unrolled: 1-line block ×12, first 2 shown]
	ds_write_b64 v42, v[226:227] offset:440
	ds_read_b64 v[4:5], v1
	s_waitcnt lgkmcnt(0)
	v_cmp_neq_f64_e32 vcc_lo, 0, v[4:5]
	s_and_b32 exec_lo, exec_lo, vcc_lo
	s_cbranch_execz .LBB111_154
; %bb.153:
	v_div_scale_f64 v[6:7], null, v[4:5], v[4:5], 1.0
	v_rcp_f64_e32 v[8:9], v[6:7]
	v_fma_f64 v[10:11], -v[6:7], v[8:9], 1.0
	v_fma_f64 v[8:9], v[8:9], v[10:11], v[8:9]
	v_fma_f64 v[10:11], -v[6:7], v[8:9], 1.0
	v_fma_f64 v[8:9], v[8:9], v[10:11], v[8:9]
	v_div_scale_f64 v[10:11], vcc_lo, 1.0, v[4:5], 1.0
	v_mul_f64 v[12:13], v[10:11], v[8:9]
	v_fma_f64 v[6:7], -v[6:7], v[12:13], v[10:11]
	v_div_fmas_f64 v[6:7], v[6:7], v[8:9], v[12:13]
	v_div_fixup_f64 v[4:5], v[6:7], v[4:5], 1.0
	ds_write_b64 v1, v[4:5]
.LBB111_154:
	s_or_b32 exec_lo, exec_lo, s1
	s_waitcnt lgkmcnt(0)
	s_barrier
	buffer_gl0_inv
	ds_read_b64 v[232:233], v1
	s_mov_b32 s1, exec_lo
	v_cmpx_lt_u32_e32 30, v0
	s_cbranch_execz .LBB111_156
; %bb.155:
	s_waitcnt lgkmcnt(0)
	v_mul_f64 v[176:177], v[232:233], v[176:177]
	ds_read2_b64 v[4:7], v42 offset0:31 offset1:32
	s_waitcnt lgkmcnt(0)
	v_fma_f64 v[138:139], -v[176:177], v[4:5], v[138:139]
	v_fma_f64 v[174:175], -v[176:177], v[6:7], v[174:175]
	ds_read2_b64 v[4:7], v42 offset0:33 offset1:34
	s_waitcnt lgkmcnt(0)
	v_fma_f64 v[136:137], -v[176:177], v[4:5], v[136:137]
	v_fma_f64 v[172:173], -v[176:177], v[6:7], v[172:173]
	ds_read2_b64 v[4:7], v42 offset0:35 offset1:36
	s_waitcnt lgkmcnt(0)
	v_fma_f64 v[134:135], -v[176:177], v[4:5], v[134:135]
	v_fma_f64 v[170:171], -v[176:177], v[6:7], v[170:171]
	ds_read2_b64 v[4:7], v42 offset0:37 offset1:38
	s_waitcnt lgkmcnt(0)
	v_fma_f64 v[132:133], -v[176:177], v[4:5], v[132:133]
	v_fma_f64 v[168:169], -v[176:177], v[6:7], v[168:169]
	ds_read2_b64 v[4:7], v42 offset0:39 offset1:40
	s_waitcnt lgkmcnt(0)
	v_fma_f64 v[130:131], -v[176:177], v[4:5], v[130:131]
	v_fma_f64 v[166:167], -v[176:177], v[6:7], v[166:167]
	ds_read2_b64 v[4:7], v42 offset0:41 offset1:42
	s_waitcnt lgkmcnt(0)
	v_fma_f64 v[128:129], -v[176:177], v[4:5], v[128:129]
	v_fma_f64 v[164:165], -v[176:177], v[6:7], v[164:165]
	ds_read2_b64 v[4:7], v42 offset0:43 offset1:44
	s_waitcnt lgkmcnt(0)
	v_fma_f64 v[126:127], -v[176:177], v[4:5], v[126:127]
	v_fma_f64 v[162:163], -v[176:177], v[6:7], v[162:163]
	ds_read2_b64 v[4:7], v42 offset0:45 offset1:46
	s_waitcnt lgkmcnt(0)
	v_fma_f64 v[124:125], -v[176:177], v[4:5], v[124:125]
	v_fma_f64 v[160:161], -v[176:177], v[6:7], v[160:161]
	ds_read2_b64 v[4:7], v42 offset0:47 offset1:48
	s_waitcnt lgkmcnt(0)
	v_fma_f64 v[122:123], -v[176:177], v[4:5], v[122:123]
	v_fma_f64 v[158:159], -v[176:177], v[6:7], v[158:159]
	ds_read2_b64 v[4:7], v42 offset0:49 offset1:50
	s_waitcnt lgkmcnt(0)
	v_fma_f64 v[120:121], -v[176:177], v[4:5], v[120:121]
	v_fma_f64 v[156:157], -v[176:177], v[6:7], v[156:157]
	ds_read2_b64 v[4:7], v42 offset0:51 offset1:52
	s_waitcnt lgkmcnt(0)
	v_fma_f64 v[118:119], -v[176:177], v[4:5], v[118:119]
	v_fma_f64 v[154:155], -v[176:177], v[6:7], v[154:155]
	ds_read2_b64 v[4:7], v42 offset0:53 offset1:54
	s_waitcnt lgkmcnt(0)
	v_fma_f64 v[116:117], -v[176:177], v[4:5], v[116:117]
	ds_read_b64 v[4:5], v42 offset:440
	v_fma_f64 v[152:153], -v[176:177], v[6:7], v[152:153]
	s_waitcnt lgkmcnt(0)
	v_fma_f64 v[226:227], -v[176:177], v[4:5], v[226:227]
.LBB111_156:
	s_or_b32 exec_lo, exec_lo, s1
	s_mov_b32 s1, exec_lo
	s_waitcnt lgkmcnt(0)
	s_barrier
	buffer_gl0_inv
	v_cmpx_eq_u32_e32 31, v0
	s_cbranch_execz .LBB111_159
; %bb.157:
	v_mov_b32_e32 v4, v174
	v_mov_b32_e32 v5, v175
	;; [unrolled: 1-line block ×4, first 2 shown]
	ds_write_b64 v1, v[138:139]
	ds_write2_b64 v42, v[4:5], v[6:7] offset0:32 offset1:33
	v_mov_b32_e32 v4, v172
	v_mov_b32_e32 v5, v173
	v_mov_b32_e32 v6, v134
	v_mov_b32_e32 v7, v135
	ds_write2_b64 v42, v[4:5], v[6:7] offset0:34 offset1:35
	v_mov_b32_e32 v4, v170
	v_mov_b32_e32 v5, v171
	v_mov_b32_e32 v6, v132
	v_mov_b32_e32 v7, v133
	;; [unrolled: 5-line block ×10, first 2 shown]
	ds_write2_b64 v42, v[4:5], v[6:7] offset0:52 offset1:53
	v_mov_b32_e32 v4, v152
	v_mov_b32_e32 v5, v153
	ds_write2_b64 v42, v[4:5], v[226:227] offset0:54 offset1:55
	ds_read_b64 v[4:5], v1
	s_waitcnt lgkmcnt(0)
	v_cmp_neq_f64_e32 vcc_lo, 0, v[4:5]
	s_and_b32 exec_lo, exec_lo, vcc_lo
	s_cbranch_execz .LBB111_159
; %bb.158:
	v_div_scale_f64 v[6:7], null, v[4:5], v[4:5], 1.0
	v_rcp_f64_e32 v[8:9], v[6:7]
	v_fma_f64 v[10:11], -v[6:7], v[8:9], 1.0
	v_fma_f64 v[8:9], v[8:9], v[10:11], v[8:9]
	v_fma_f64 v[10:11], -v[6:7], v[8:9], 1.0
	v_fma_f64 v[8:9], v[8:9], v[10:11], v[8:9]
	v_div_scale_f64 v[10:11], vcc_lo, 1.0, v[4:5], 1.0
	v_mul_f64 v[12:13], v[10:11], v[8:9]
	v_fma_f64 v[6:7], -v[6:7], v[12:13], v[10:11]
	v_div_fmas_f64 v[6:7], v[6:7], v[8:9], v[12:13]
	v_div_fixup_f64 v[4:5], v[6:7], v[4:5], 1.0
	ds_write_b64 v1, v[4:5]
.LBB111_159:
	s_or_b32 exec_lo, exec_lo, s1
	s_waitcnt lgkmcnt(0)
	s_barrier
	buffer_gl0_inv
	ds_read_b64 v[234:235], v1
	s_mov_b32 s1, exec_lo
	v_cmpx_lt_u32_e32 31, v0
	s_cbranch_execz .LBB111_161
; %bb.160:
	s_waitcnt lgkmcnt(0)
	v_mul_f64 v[138:139], v[234:235], v[138:139]
	ds_read2_b64 v[4:7], v42 offset0:32 offset1:33
	s_waitcnt lgkmcnt(0)
	v_fma_f64 v[174:175], -v[138:139], v[4:5], v[174:175]
	v_fma_f64 v[136:137], -v[138:139], v[6:7], v[136:137]
	ds_read2_b64 v[4:7], v42 offset0:34 offset1:35
	s_waitcnt lgkmcnt(0)
	v_fma_f64 v[172:173], -v[138:139], v[4:5], v[172:173]
	v_fma_f64 v[134:135], -v[138:139], v[6:7], v[134:135]
	;; [unrolled: 4-line block ×12, first 2 shown]
.LBB111_161:
	s_or_b32 exec_lo, exec_lo, s1
	s_mov_b32 s1, exec_lo
	s_waitcnt lgkmcnt(0)
	s_barrier
	buffer_gl0_inv
	v_cmpx_eq_u32_e32 32, v0
	s_cbranch_execz .LBB111_164
; %bb.162:
	ds_write_b64 v1, v[174:175]
	ds_write2_b64 v42, v[136:137], v[172:173] offset0:33 offset1:34
	ds_write2_b64 v42, v[134:135], v[170:171] offset0:35 offset1:36
	ds_write2_b64 v42, v[132:133], v[168:169] offset0:37 offset1:38
	ds_write2_b64 v42, v[130:131], v[166:167] offset0:39 offset1:40
	ds_write2_b64 v42, v[128:129], v[164:165] offset0:41 offset1:42
	ds_write2_b64 v42, v[126:127], v[162:163] offset0:43 offset1:44
	ds_write2_b64 v42, v[124:125], v[160:161] offset0:45 offset1:46
	ds_write2_b64 v42, v[122:123], v[158:159] offset0:47 offset1:48
	ds_write2_b64 v42, v[120:121], v[156:157] offset0:49 offset1:50
	ds_write2_b64 v42, v[118:119], v[154:155] offset0:51 offset1:52
	ds_write2_b64 v42, v[116:117], v[152:153] offset0:53 offset1:54
	ds_write_b64 v42, v[226:227] offset:440
	ds_read_b64 v[4:5], v1
	s_waitcnt lgkmcnt(0)
	v_cmp_neq_f64_e32 vcc_lo, 0, v[4:5]
	s_and_b32 exec_lo, exec_lo, vcc_lo
	s_cbranch_execz .LBB111_164
; %bb.163:
	v_div_scale_f64 v[6:7], null, v[4:5], v[4:5], 1.0
	v_rcp_f64_e32 v[8:9], v[6:7]
	v_fma_f64 v[10:11], -v[6:7], v[8:9], 1.0
	v_fma_f64 v[8:9], v[8:9], v[10:11], v[8:9]
	v_fma_f64 v[10:11], -v[6:7], v[8:9], 1.0
	v_fma_f64 v[8:9], v[8:9], v[10:11], v[8:9]
	v_div_scale_f64 v[10:11], vcc_lo, 1.0, v[4:5], 1.0
	v_mul_f64 v[12:13], v[10:11], v[8:9]
	v_fma_f64 v[6:7], -v[6:7], v[12:13], v[10:11]
	v_div_fmas_f64 v[6:7], v[6:7], v[8:9], v[12:13]
	v_div_fixup_f64 v[4:5], v[6:7], v[4:5], 1.0
	ds_write_b64 v1, v[4:5]
.LBB111_164:
	s_or_b32 exec_lo, exec_lo, s1
	s_waitcnt lgkmcnt(0)
	s_barrier
	buffer_gl0_inv
	ds_read_b64 v[236:237], v1
	s_mov_b32 s1, exec_lo
	v_cmpx_lt_u32_e32 32, v0
	s_cbranch_execz .LBB111_166
; %bb.165:
	s_waitcnt lgkmcnt(0)
	v_mul_f64 v[174:175], v[236:237], v[174:175]
	ds_read2_b64 v[4:7], v42 offset0:33 offset1:34
	s_waitcnt lgkmcnt(0)
	v_fma_f64 v[136:137], -v[174:175], v[4:5], v[136:137]
	v_fma_f64 v[172:173], -v[174:175], v[6:7], v[172:173]
	ds_read2_b64 v[4:7], v42 offset0:35 offset1:36
	s_waitcnt lgkmcnt(0)
	v_fma_f64 v[134:135], -v[174:175], v[4:5], v[134:135]
	v_fma_f64 v[170:171], -v[174:175], v[6:7], v[170:171]
	;; [unrolled: 4-line block ×10, first 2 shown]
	ds_read2_b64 v[4:7], v42 offset0:53 offset1:54
	s_waitcnt lgkmcnt(0)
	v_fma_f64 v[116:117], -v[174:175], v[4:5], v[116:117]
	ds_read_b64 v[4:5], v42 offset:440
	v_fma_f64 v[152:153], -v[174:175], v[6:7], v[152:153]
	s_waitcnt lgkmcnt(0)
	v_fma_f64 v[226:227], -v[174:175], v[4:5], v[226:227]
.LBB111_166:
	s_or_b32 exec_lo, exec_lo, s1
	s_mov_b32 s1, exec_lo
	s_waitcnt lgkmcnt(0)
	s_barrier
	buffer_gl0_inv
	v_cmpx_eq_u32_e32 33, v0
	s_cbranch_execz .LBB111_169
; %bb.167:
	v_mov_b32_e32 v4, v172
	v_mov_b32_e32 v5, v173
	;; [unrolled: 1-line block ×4, first 2 shown]
	ds_write_b64 v1, v[136:137]
	ds_write2_b64 v42, v[4:5], v[6:7] offset0:34 offset1:35
	v_mov_b32_e32 v4, v170
	v_mov_b32_e32 v5, v171
	v_mov_b32_e32 v6, v132
	v_mov_b32_e32 v7, v133
	ds_write2_b64 v42, v[4:5], v[6:7] offset0:36 offset1:37
	v_mov_b32_e32 v4, v168
	v_mov_b32_e32 v5, v169
	v_mov_b32_e32 v6, v130
	v_mov_b32_e32 v7, v131
	;; [unrolled: 5-line block ×9, first 2 shown]
	ds_write2_b64 v42, v[4:5], v[6:7] offset0:52 offset1:53
	v_mov_b32_e32 v4, v152
	v_mov_b32_e32 v5, v153
	ds_write2_b64 v42, v[4:5], v[226:227] offset0:54 offset1:55
	ds_read_b64 v[4:5], v1
	s_waitcnt lgkmcnt(0)
	v_cmp_neq_f64_e32 vcc_lo, 0, v[4:5]
	s_and_b32 exec_lo, exec_lo, vcc_lo
	s_cbranch_execz .LBB111_169
; %bb.168:
	v_div_scale_f64 v[6:7], null, v[4:5], v[4:5], 1.0
	v_rcp_f64_e32 v[8:9], v[6:7]
	v_fma_f64 v[10:11], -v[6:7], v[8:9], 1.0
	v_fma_f64 v[8:9], v[8:9], v[10:11], v[8:9]
	v_fma_f64 v[10:11], -v[6:7], v[8:9], 1.0
	v_fma_f64 v[8:9], v[8:9], v[10:11], v[8:9]
	v_div_scale_f64 v[10:11], vcc_lo, 1.0, v[4:5], 1.0
	v_mul_f64 v[12:13], v[10:11], v[8:9]
	v_fma_f64 v[6:7], -v[6:7], v[12:13], v[10:11]
	v_div_fmas_f64 v[6:7], v[6:7], v[8:9], v[12:13]
	v_div_fixup_f64 v[4:5], v[6:7], v[4:5], 1.0
	ds_write_b64 v1, v[4:5]
.LBB111_169:
	s_or_b32 exec_lo, exec_lo, s1
	s_waitcnt lgkmcnt(0)
	s_barrier
	buffer_gl0_inv
	ds_read_b64 v[238:239], v1
	s_mov_b32 s1, exec_lo
	v_cmpx_lt_u32_e32 33, v0
	s_cbranch_execz .LBB111_171
; %bb.170:
	s_waitcnt lgkmcnt(0)
	v_mul_f64 v[136:137], v[238:239], v[136:137]
	ds_read2_b64 v[4:7], v42 offset0:34 offset1:35
	s_waitcnt lgkmcnt(0)
	v_fma_f64 v[172:173], -v[136:137], v[4:5], v[172:173]
	v_fma_f64 v[134:135], -v[136:137], v[6:7], v[134:135]
	ds_read2_b64 v[4:7], v42 offset0:36 offset1:37
	s_waitcnt lgkmcnt(0)
	v_fma_f64 v[170:171], -v[136:137], v[4:5], v[170:171]
	v_fma_f64 v[132:133], -v[136:137], v[6:7], v[132:133]
	ds_read2_b64 v[4:7], v42 offset0:38 offset1:39
	s_waitcnt lgkmcnt(0)
	v_fma_f64 v[168:169], -v[136:137], v[4:5], v[168:169]
	v_fma_f64 v[130:131], -v[136:137], v[6:7], v[130:131]
	ds_read2_b64 v[4:7], v42 offset0:40 offset1:41
	s_waitcnt lgkmcnt(0)
	v_fma_f64 v[166:167], -v[136:137], v[4:5], v[166:167]
	v_fma_f64 v[128:129], -v[136:137], v[6:7], v[128:129]
	ds_read2_b64 v[4:7], v42 offset0:42 offset1:43
	s_waitcnt lgkmcnt(0)
	v_fma_f64 v[164:165], -v[136:137], v[4:5], v[164:165]
	v_fma_f64 v[126:127], -v[136:137], v[6:7], v[126:127]
	ds_read2_b64 v[4:7], v42 offset0:44 offset1:45
	s_waitcnt lgkmcnt(0)
	v_fma_f64 v[162:163], -v[136:137], v[4:5], v[162:163]
	v_fma_f64 v[124:125], -v[136:137], v[6:7], v[124:125]
	ds_read2_b64 v[4:7], v42 offset0:46 offset1:47
	s_waitcnt lgkmcnt(0)
	v_fma_f64 v[160:161], -v[136:137], v[4:5], v[160:161]
	v_fma_f64 v[122:123], -v[136:137], v[6:7], v[122:123]
	ds_read2_b64 v[4:7], v42 offset0:48 offset1:49
	s_waitcnt lgkmcnt(0)
	v_fma_f64 v[158:159], -v[136:137], v[4:5], v[158:159]
	v_fma_f64 v[120:121], -v[136:137], v[6:7], v[120:121]
	ds_read2_b64 v[4:7], v42 offset0:50 offset1:51
	s_waitcnt lgkmcnt(0)
	v_fma_f64 v[156:157], -v[136:137], v[4:5], v[156:157]
	v_fma_f64 v[118:119], -v[136:137], v[6:7], v[118:119]
	ds_read2_b64 v[4:7], v42 offset0:52 offset1:53
	s_waitcnt lgkmcnt(0)
	v_fma_f64 v[154:155], -v[136:137], v[4:5], v[154:155]
	v_fma_f64 v[116:117], -v[136:137], v[6:7], v[116:117]
	ds_read2_b64 v[4:7], v42 offset0:54 offset1:55
	s_waitcnt lgkmcnt(0)
	v_fma_f64 v[152:153], -v[136:137], v[4:5], v[152:153]
	v_fma_f64 v[226:227], -v[136:137], v[6:7], v[226:227]
.LBB111_171:
	s_or_b32 exec_lo, exec_lo, s1
	s_mov_b32 s1, exec_lo
	s_waitcnt lgkmcnt(0)
	s_barrier
	buffer_gl0_inv
	v_cmpx_eq_u32_e32 34, v0
	s_cbranch_execz .LBB111_174
; %bb.172:
	ds_write_b64 v1, v[172:173]
	ds_write2_b64 v42, v[134:135], v[170:171] offset0:35 offset1:36
	ds_write2_b64 v42, v[132:133], v[168:169] offset0:37 offset1:38
	;; [unrolled: 1-line block ×10, first 2 shown]
	ds_write_b64 v42, v[226:227] offset:440
	ds_read_b64 v[4:5], v1
	s_waitcnt lgkmcnt(0)
	v_cmp_neq_f64_e32 vcc_lo, 0, v[4:5]
	s_and_b32 exec_lo, exec_lo, vcc_lo
	s_cbranch_execz .LBB111_174
; %bb.173:
	v_div_scale_f64 v[6:7], null, v[4:5], v[4:5], 1.0
	v_rcp_f64_e32 v[8:9], v[6:7]
	v_fma_f64 v[10:11], -v[6:7], v[8:9], 1.0
	v_fma_f64 v[8:9], v[8:9], v[10:11], v[8:9]
	v_fma_f64 v[10:11], -v[6:7], v[8:9], 1.0
	v_fma_f64 v[8:9], v[8:9], v[10:11], v[8:9]
	v_div_scale_f64 v[10:11], vcc_lo, 1.0, v[4:5], 1.0
	v_mul_f64 v[12:13], v[10:11], v[8:9]
	v_fma_f64 v[6:7], -v[6:7], v[12:13], v[10:11]
	v_div_fmas_f64 v[6:7], v[6:7], v[8:9], v[12:13]
	v_div_fixup_f64 v[4:5], v[6:7], v[4:5], 1.0
	ds_write_b64 v1, v[4:5]
.LBB111_174:
	s_or_b32 exec_lo, exec_lo, s1
	s_waitcnt lgkmcnt(0)
	s_barrier
	buffer_gl0_inv
	ds_read_b64 v[240:241], v1
	s_mov_b32 s1, exec_lo
	v_cmpx_lt_u32_e32 34, v0
	s_cbranch_execz .LBB111_176
; %bb.175:
	s_waitcnt lgkmcnt(0)
	v_mul_f64 v[172:173], v[240:241], v[172:173]
	ds_read2_b64 v[4:7], v42 offset0:35 offset1:36
	s_waitcnt lgkmcnt(0)
	v_fma_f64 v[134:135], -v[172:173], v[4:5], v[134:135]
	v_fma_f64 v[170:171], -v[172:173], v[6:7], v[170:171]
	ds_read2_b64 v[4:7], v42 offset0:37 offset1:38
	s_waitcnt lgkmcnt(0)
	v_fma_f64 v[132:133], -v[172:173], v[4:5], v[132:133]
	v_fma_f64 v[168:169], -v[172:173], v[6:7], v[168:169]
	;; [unrolled: 4-line block ×9, first 2 shown]
	ds_read2_b64 v[4:7], v42 offset0:53 offset1:54
	s_waitcnt lgkmcnt(0)
	v_fma_f64 v[116:117], -v[172:173], v[4:5], v[116:117]
	ds_read_b64 v[4:5], v42 offset:440
	v_fma_f64 v[152:153], -v[172:173], v[6:7], v[152:153]
	s_waitcnt lgkmcnt(0)
	v_fma_f64 v[226:227], -v[172:173], v[4:5], v[226:227]
.LBB111_176:
	s_or_b32 exec_lo, exec_lo, s1
	s_mov_b32 s1, exec_lo
	s_waitcnt lgkmcnt(0)
	s_barrier
	buffer_gl0_inv
	v_cmpx_eq_u32_e32 35, v0
	s_cbranch_execz .LBB111_179
; %bb.177:
	v_mov_b32_e32 v4, v170
	v_mov_b32_e32 v5, v171
	;; [unrolled: 1-line block ×4, first 2 shown]
	ds_write_b64 v1, v[134:135]
	ds_write2_b64 v42, v[4:5], v[6:7] offset0:36 offset1:37
	v_mov_b32_e32 v4, v168
	v_mov_b32_e32 v5, v169
	v_mov_b32_e32 v6, v130
	v_mov_b32_e32 v7, v131
	ds_write2_b64 v42, v[4:5], v[6:7] offset0:38 offset1:39
	v_mov_b32_e32 v4, v166
	v_mov_b32_e32 v5, v167
	v_mov_b32_e32 v6, v128
	v_mov_b32_e32 v7, v129
	;; [unrolled: 5-line block ×8, first 2 shown]
	ds_write2_b64 v42, v[4:5], v[6:7] offset0:52 offset1:53
	v_mov_b32_e32 v4, v152
	v_mov_b32_e32 v5, v153
	ds_write2_b64 v42, v[4:5], v[226:227] offset0:54 offset1:55
	ds_read_b64 v[4:5], v1
	s_waitcnt lgkmcnt(0)
	v_cmp_neq_f64_e32 vcc_lo, 0, v[4:5]
	s_and_b32 exec_lo, exec_lo, vcc_lo
	s_cbranch_execz .LBB111_179
; %bb.178:
	v_div_scale_f64 v[6:7], null, v[4:5], v[4:5], 1.0
	v_rcp_f64_e32 v[8:9], v[6:7]
	v_fma_f64 v[10:11], -v[6:7], v[8:9], 1.0
	v_fma_f64 v[8:9], v[8:9], v[10:11], v[8:9]
	v_fma_f64 v[10:11], -v[6:7], v[8:9], 1.0
	v_fma_f64 v[8:9], v[8:9], v[10:11], v[8:9]
	v_div_scale_f64 v[10:11], vcc_lo, 1.0, v[4:5], 1.0
	v_mul_f64 v[12:13], v[10:11], v[8:9]
	v_fma_f64 v[6:7], -v[6:7], v[12:13], v[10:11]
	v_div_fmas_f64 v[6:7], v[6:7], v[8:9], v[12:13]
	v_div_fixup_f64 v[4:5], v[6:7], v[4:5], 1.0
	ds_write_b64 v1, v[4:5]
.LBB111_179:
	s_or_b32 exec_lo, exec_lo, s1
	s_waitcnt lgkmcnt(0)
	s_barrier
	buffer_gl0_inv
	ds_read_b64 v[242:243], v1
	s_mov_b32 s1, exec_lo
	v_cmpx_lt_u32_e32 35, v0
	s_cbranch_execz .LBB111_181
; %bb.180:
	s_waitcnt lgkmcnt(0)
	v_mul_f64 v[134:135], v[242:243], v[134:135]
	ds_read2_b64 v[4:7], v42 offset0:36 offset1:37
	s_waitcnt lgkmcnt(0)
	v_fma_f64 v[170:171], -v[134:135], v[4:5], v[170:171]
	v_fma_f64 v[132:133], -v[134:135], v[6:7], v[132:133]
	ds_read2_b64 v[4:7], v42 offset0:38 offset1:39
	s_waitcnt lgkmcnt(0)
	v_fma_f64 v[168:169], -v[134:135], v[4:5], v[168:169]
	v_fma_f64 v[130:131], -v[134:135], v[6:7], v[130:131]
	;; [unrolled: 4-line block ×10, first 2 shown]
.LBB111_181:
	s_or_b32 exec_lo, exec_lo, s1
	s_mov_b32 s1, exec_lo
	s_waitcnt lgkmcnt(0)
	s_barrier
	buffer_gl0_inv
	v_cmpx_eq_u32_e32 36, v0
	s_cbranch_execz .LBB111_184
; %bb.182:
	ds_write_b64 v1, v[170:171]
	ds_write2_b64 v42, v[132:133], v[168:169] offset0:37 offset1:38
	ds_write2_b64 v42, v[130:131], v[166:167] offset0:39 offset1:40
	;; [unrolled: 1-line block ×9, first 2 shown]
	ds_write_b64 v42, v[226:227] offset:440
	ds_read_b64 v[4:5], v1
	s_waitcnt lgkmcnt(0)
	v_cmp_neq_f64_e32 vcc_lo, 0, v[4:5]
	s_and_b32 exec_lo, exec_lo, vcc_lo
	s_cbranch_execz .LBB111_184
; %bb.183:
	v_div_scale_f64 v[6:7], null, v[4:5], v[4:5], 1.0
	v_rcp_f64_e32 v[8:9], v[6:7]
	v_fma_f64 v[10:11], -v[6:7], v[8:9], 1.0
	v_fma_f64 v[8:9], v[8:9], v[10:11], v[8:9]
	v_fma_f64 v[10:11], -v[6:7], v[8:9], 1.0
	v_fma_f64 v[8:9], v[8:9], v[10:11], v[8:9]
	v_div_scale_f64 v[10:11], vcc_lo, 1.0, v[4:5], 1.0
	v_mul_f64 v[12:13], v[10:11], v[8:9]
	v_fma_f64 v[6:7], -v[6:7], v[12:13], v[10:11]
	v_div_fmas_f64 v[6:7], v[6:7], v[8:9], v[12:13]
	v_div_fixup_f64 v[4:5], v[6:7], v[4:5], 1.0
	ds_write_b64 v1, v[4:5]
.LBB111_184:
	s_or_b32 exec_lo, exec_lo, s1
	s_waitcnt lgkmcnt(0)
	s_barrier
	buffer_gl0_inv
	ds_read_b64 v[244:245], v1
	s_mov_b32 s1, exec_lo
	v_cmpx_lt_u32_e32 36, v0
	s_cbranch_execz .LBB111_186
; %bb.185:
	s_waitcnt lgkmcnt(0)
	v_mul_f64 v[170:171], v[244:245], v[170:171]
	ds_read2_b64 v[4:7], v42 offset0:37 offset1:38
	s_waitcnt lgkmcnt(0)
	v_fma_f64 v[132:133], -v[170:171], v[4:5], v[132:133]
	v_fma_f64 v[168:169], -v[170:171], v[6:7], v[168:169]
	ds_read2_b64 v[4:7], v42 offset0:39 offset1:40
	s_waitcnt lgkmcnt(0)
	v_fma_f64 v[130:131], -v[170:171], v[4:5], v[130:131]
	v_fma_f64 v[166:167], -v[170:171], v[6:7], v[166:167]
	;; [unrolled: 4-line block ×8, first 2 shown]
	ds_read2_b64 v[4:7], v42 offset0:53 offset1:54
	s_waitcnt lgkmcnt(0)
	v_fma_f64 v[116:117], -v[170:171], v[4:5], v[116:117]
	ds_read_b64 v[4:5], v42 offset:440
	v_fma_f64 v[152:153], -v[170:171], v[6:7], v[152:153]
	s_waitcnt lgkmcnt(0)
	v_fma_f64 v[226:227], -v[170:171], v[4:5], v[226:227]
.LBB111_186:
	s_or_b32 exec_lo, exec_lo, s1
	s_mov_b32 s1, exec_lo
	s_waitcnt lgkmcnt(0)
	s_barrier
	buffer_gl0_inv
	v_cmpx_eq_u32_e32 37, v0
	s_cbranch_execz .LBB111_189
; %bb.187:
	v_mov_b32_e32 v4, v168
	v_mov_b32_e32 v5, v169
	;; [unrolled: 1-line block ×4, first 2 shown]
	ds_write_b64 v1, v[132:133]
	ds_write2_b64 v42, v[4:5], v[6:7] offset0:38 offset1:39
	v_mov_b32_e32 v4, v166
	v_mov_b32_e32 v5, v167
	v_mov_b32_e32 v6, v128
	v_mov_b32_e32 v7, v129
	ds_write2_b64 v42, v[4:5], v[6:7] offset0:40 offset1:41
	v_mov_b32_e32 v4, v164
	v_mov_b32_e32 v5, v165
	v_mov_b32_e32 v6, v126
	v_mov_b32_e32 v7, v127
	ds_write2_b64 v42, v[4:5], v[6:7] offset0:42 offset1:43
	v_mov_b32_e32 v4, v162
	v_mov_b32_e32 v5, v163
	v_mov_b32_e32 v6, v124
	v_mov_b32_e32 v7, v125
	ds_write2_b64 v42, v[4:5], v[6:7] offset0:44 offset1:45
	v_mov_b32_e32 v4, v160
	v_mov_b32_e32 v5, v161
	v_mov_b32_e32 v6, v122
	v_mov_b32_e32 v7, v123
	ds_write2_b64 v42, v[4:5], v[6:7] offset0:46 offset1:47
	v_mov_b32_e32 v4, v158
	v_mov_b32_e32 v5, v159
	v_mov_b32_e32 v6, v120
	v_mov_b32_e32 v7, v121
	ds_write2_b64 v42, v[4:5], v[6:7] offset0:48 offset1:49
	v_mov_b32_e32 v4, v156
	v_mov_b32_e32 v5, v157
	v_mov_b32_e32 v6, v118
	v_mov_b32_e32 v7, v119
	ds_write2_b64 v42, v[4:5], v[6:7] offset0:50 offset1:51
	v_mov_b32_e32 v4, v154
	v_mov_b32_e32 v5, v155
	v_mov_b32_e32 v6, v116
	v_mov_b32_e32 v7, v117
	ds_write2_b64 v42, v[4:5], v[6:7] offset0:52 offset1:53
	v_mov_b32_e32 v4, v152
	v_mov_b32_e32 v5, v153
	ds_write2_b64 v42, v[4:5], v[226:227] offset0:54 offset1:55
	ds_read_b64 v[4:5], v1
	s_waitcnt lgkmcnt(0)
	v_cmp_neq_f64_e32 vcc_lo, 0, v[4:5]
	s_and_b32 exec_lo, exec_lo, vcc_lo
	s_cbranch_execz .LBB111_189
; %bb.188:
	v_div_scale_f64 v[6:7], null, v[4:5], v[4:5], 1.0
	v_rcp_f64_e32 v[8:9], v[6:7]
	v_fma_f64 v[10:11], -v[6:7], v[8:9], 1.0
	v_fma_f64 v[8:9], v[8:9], v[10:11], v[8:9]
	v_fma_f64 v[10:11], -v[6:7], v[8:9], 1.0
	v_fma_f64 v[8:9], v[8:9], v[10:11], v[8:9]
	v_div_scale_f64 v[10:11], vcc_lo, 1.0, v[4:5], 1.0
	v_mul_f64 v[12:13], v[10:11], v[8:9]
	v_fma_f64 v[6:7], -v[6:7], v[12:13], v[10:11]
	v_div_fmas_f64 v[6:7], v[6:7], v[8:9], v[12:13]
	v_div_fixup_f64 v[4:5], v[6:7], v[4:5], 1.0
	ds_write_b64 v1, v[4:5]
.LBB111_189:
	s_or_b32 exec_lo, exec_lo, s1
	s_waitcnt lgkmcnt(0)
	s_barrier
	buffer_gl0_inv
	ds_read_b64 v[4:5], v1
	s_mov_b32 s1, exec_lo
	v_cmpx_lt_u32_e32 37, v0
	s_cbranch_execz .LBB111_191
; %bb.190:
	s_waitcnt lgkmcnt(0)
	v_mul_f64 v[132:133], v[4:5], v[132:133]
	ds_read2_b64 v[6:9], v42 offset0:38 offset1:39
	s_waitcnt lgkmcnt(0)
	v_fma_f64 v[168:169], -v[132:133], v[6:7], v[168:169]
	v_fma_f64 v[130:131], -v[132:133], v[8:9], v[130:131]
	ds_read2_b64 v[6:9], v42 offset0:40 offset1:41
	s_waitcnt lgkmcnt(0)
	v_fma_f64 v[166:167], -v[132:133], v[6:7], v[166:167]
	v_fma_f64 v[128:129], -v[132:133], v[8:9], v[128:129]
	ds_read2_b64 v[6:9], v42 offset0:42 offset1:43
	s_waitcnt lgkmcnt(0)
	v_fma_f64 v[164:165], -v[132:133], v[6:7], v[164:165]
	v_fma_f64 v[126:127], -v[132:133], v[8:9], v[126:127]
	ds_read2_b64 v[6:9], v42 offset0:44 offset1:45
	s_waitcnt lgkmcnt(0)
	v_fma_f64 v[162:163], -v[132:133], v[6:7], v[162:163]
	v_fma_f64 v[124:125], -v[132:133], v[8:9], v[124:125]
	ds_read2_b64 v[6:9], v42 offset0:46 offset1:47
	s_waitcnt lgkmcnt(0)
	v_fma_f64 v[160:161], -v[132:133], v[6:7], v[160:161]
	v_fma_f64 v[122:123], -v[132:133], v[8:9], v[122:123]
	ds_read2_b64 v[6:9], v42 offset0:48 offset1:49
	s_waitcnt lgkmcnt(0)
	v_fma_f64 v[158:159], -v[132:133], v[6:7], v[158:159]
	v_fma_f64 v[120:121], -v[132:133], v[8:9], v[120:121]
	ds_read2_b64 v[6:9], v42 offset0:50 offset1:51
	s_waitcnt lgkmcnt(0)
	v_fma_f64 v[156:157], -v[132:133], v[6:7], v[156:157]
	v_fma_f64 v[118:119], -v[132:133], v[8:9], v[118:119]
	ds_read2_b64 v[6:9], v42 offset0:52 offset1:53
	s_waitcnt lgkmcnt(0)
	v_fma_f64 v[154:155], -v[132:133], v[6:7], v[154:155]
	v_fma_f64 v[116:117], -v[132:133], v[8:9], v[116:117]
	ds_read2_b64 v[6:9], v42 offset0:54 offset1:55
	s_waitcnt lgkmcnt(0)
	v_fma_f64 v[152:153], -v[132:133], v[6:7], v[152:153]
	v_fma_f64 v[226:227], -v[132:133], v[8:9], v[226:227]
.LBB111_191:
	s_or_b32 exec_lo, exec_lo, s1
	s_mov_b32 s1, exec_lo
	s_waitcnt lgkmcnt(0)
	s_barrier
	buffer_gl0_inv
	v_cmpx_eq_u32_e32 38, v0
	s_cbranch_execz .LBB111_194
; %bb.192:
	ds_write_b64 v1, v[168:169]
	ds_write2_b64 v42, v[130:131], v[166:167] offset0:39 offset1:40
	ds_write2_b64 v42, v[128:129], v[164:165] offset0:41 offset1:42
	;; [unrolled: 1-line block ×8, first 2 shown]
	ds_write_b64 v42, v[226:227] offset:440
	ds_read_b64 v[6:7], v1
	s_waitcnt lgkmcnt(0)
	v_cmp_neq_f64_e32 vcc_lo, 0, v[6:7]
	s_and_b32 exec_lo, exec_lo, vcc_lo
	s_cbranch_execz .LBB111_194
; %bb.193:
	v_div_scale_f64 v[8:9], null, v[6:7], v[6:7], 1.0
	v_rcp_f64_e32 v[10:11], v[8:9]
	v_fma_f64 v[12:13], -v[8:9], v[10:11], 1.0
	v_fma_f64 v[10:11], v[10:11], v[12:13], v[10:11]
	v_fma_f64 v[12:13], -v[8:9], v[10:11], 1.0
	v_fma_f64 v[10:11], v[10:11], v[12:13], v[10:11]
	v_div_scale_f64 v[12:13], vcc_lo, 1.0, v[6:7], 1.0
	v_mul_f64 v[14:15], v[12:13], v[10:11]
	v_fma_f64 v[8:9], -v[8:9], v[14:15], v[12:13]
	v_div_fmas_f64 v[8:9], v[8:9], v[10:11], v[14:15]
	v_div_fixup_f64 v[6:7], v[8:9], v[6:7], 1.0
	ds_write_b64 v1, v[6:7]
.LBB111_194:
	s_or_b32 exec_lo, exec_lo, s1
	s_waitcnt lgkmcnt(0)
	s_barrier
	buffer_gl0_inv
	ds_read_b64 v[6:7], v1
	s_mov_b32 s1, exec_lo
	v_cmpx_lt_u32_e32 38, v0
	s_cbranch_execz .LBB111_196
; %bb.195:
	s_waitcnt lgkmcnt(0)
	v_mul_f64 v[168:169], v[6:7], v[168:169]
	ds_read2_b64 v[8:11], v42 offset0:39 offset1:40
	s_waitcnt lgkmcnt(0)
	v_fma_f64 v[130:131], -v[168:169], v[8:9], v[130:131]
	v_fma_f64 v[166:167], -v[168:169], v[10:11], v[166:167]
	ds_read2_b64 v[8:11], v42 offset0:41 offset1:42
	s_waitcnt lgkmcnt(0)
	v_fma_f64 v[128:129], -v[168:169], v[8:9], v[128:129]
	v_fma_f64 v[164:165], -v[168:169], v[10:11], v[164:165]
	;; [unrolled: 4-line block ×7, first 2 shown]
	ds_read2_b64 v[8:11], v42 offset0:53 offset1:54
	s_waitcnt lgkmcnt(0)
	v_fma_f64 v[116:117], -v[168:169], v[8:9], v[116:117]
	ds_read_b64 v[8:9], v42 offset:440
	v_fma_f64 v[152:153], -v[168:169], v[10:11], v[152:153]
	s_waitcnt lgkmcnt(0)
	v_fma_f64 v[226:227], -v[168:169], v[8:9], v[226:227]
.LBB111_196:
	s_or_b32 exec_lo, exec_lo, s1
	s_mov_b32 s1, exec_lo
	s_waitcnt lgkmcnt(0)
	s_barrier
	buffer_gl0_inv
	v_cmpx_eq_u32_e32 39, v0
	s_cbranch_execz .LBB111_199
; %bb.197:
	v_mov_b32_e32 v8, v166
	v_mov_b32_e32 v9, v167
	;; [unrolled: 1-line block ×4, first 2 shown]
	ds_write_b64 v1, v[130:131]
	ds_write2_b64 v42, v[8:9], v[10:11] offset0:40 offset1:41
	v_mov_b32_e32 v8, v164
	v_mov_b32_e32 v9, v165
	v_mov_b32_e32 v10, v126
	v_mov_b32_e32 v11, v127
	ds_write2_b64 v42, v[8:9], v[10:11] offset0:42 offset1:43
	v_mov_b32_e32 v8, v162
	v_mov_b32_e32 v9, v163
	v_mov_b32_e32 v10, v124
	v_mov_b32_e32 v11, v125
	;; [unrolled: 5-line block ×6, first 2 shown]
	ds_write2_b64 v42, v[8:9], v[10:11] offset0:52 offset1:53
	v_mov_b32_e32 v8, v152
	v_mov_b32_e32 v9, v153
	ds_write2_b64 v42, v[8:9], v[226:227] offset0:54 offset1:55
	ds_read_b64 v[8:9], v1
	s_waitcnt lgkmcnt(0)
	v_cmp_neq_f64_e32 vcc_lo, 0, v[8:9]
	s_and_b32 exec_lo, exec_lo, vcc_lo
	s_cbranch_execz .LBB111_199
; %bb.198:
	v_div_scale_f64 v[10:11], null, v[8:9], v[8:9], 1.0
	v_rcp_f64_e32 v[12:13], v[10:11]
	v_fma_f64 v[14:15], -v[10:11], v[12:13], 1.0
	v_fma_f64 v[12:13], v[12:13], v[14:15], v[12:13]
	v_fma_f64 v[14:15], -v[10:11], v[12:13], 1.0
	v_fma_f64 v[12:13], v[12:13], v[14:15], v[12:13]
	v_div_scale_f64 v[14:15], vcc_lo, 1.0, v[8:9], 1.0
	v_mul_f64 v[16:17], v[14:15], v[12:13]
	v_fma_f64 v[10:11], -v[10:11], v[16:17], v[14:15]
	v_div_fmas_f64 v[10:11], v[10:11], v[12:13], v[16:17]
	v_div_fixup_f64 v[8:9], v[10:11], v[8:9], 1.0
	ds_write_b64 v1, v[8:9]
.LBB111_199:
	s_or_b32 exec_lo, exec_lo, s1
	s_waitcnt lgkmcnt(0)
	s_barrier
	buffer_gl0_inv
	ds_read_b64 v[8:9], v1
	s_mov_b32 s1, exec_lo
	v_cmpx_lt_u32_e32 39, v0
	s_cbranch_execz .LBB111_201
; %bb.200:
	s_waitcnt lgkmcnt(0)
	v_mul_f64 v[130:131], v[8:9], v[130:131]
	ds_read2_b64 v[10:13], v42 offset0:40 offset1:41
	s_waitcnt lgkmcnt(0)
	v_fma_f64 v[166:167], -v[130:131], v[10:11], v[166:167]
	v_fma_f64 v[128:129], -v[130:131], v[12:13], v[128:129]
	ds_read2_b64 v[10:13], v42 offset0:42 offset1:43
	s_waitcnt lgkmcnt(0)
	v_fma_f64 v[164:165], -v[130:131], v[10:11], v[164:165]
	v_fma_f64 v[126:127], -v[130:131], v[12:13], v[126:127]
	ds_read2_b64 v[10:13], v42 offset0:44 offset1:45
	s_waitcnt lgkmcnt(0)
	v_fma_f64 v[162:163], -v[130:131], v[10:11], v[162:163]
	v_fma_f64 v[124:125], -v[130:131], v[12:13], v[124:125]
	ds_read2_b64 v[10:13], v42 offset0:46 offset1:47
	s_waitcnt lgkmcnt(0)
	v_fma_f64 v[160:161], -v[130:131], v[10:11], v[160:161]
	v_fma_f64 v[122:123], -v[130:131], v[12:13], v[122:123]
	ds_read2_b64 v[10:13], v42 offset0:48 offset1:49
	s_waitcnt lgkmcnt(0)
	v_fma_f64 v[158:159], -v[130:131], v[10:11], v[158:159]
	v_fma_f64 v[120:121], -v[130:131], v[12:13], v[120:121]
	ds_read2_b64 v[10:13], v42 offset0:50 offset1:51
	s_waitcnt lgkmcnt(0)
	v_fma_f64 v[156:157], -v[130:131], v[10:11], v[156:157]
	v_fma_f64 v[118:119], -v[130:131], v[12:13], v[118:119]
	ds_read2_b64 v[10:13], v42 offset0:52 offset1:53
	s_waitcnt lgkmcnt(0)
	v_fma_f64 v[154:155], -v[130:131], v[10:11], v[154:155]
	v_fma_f64 v[116:117], -v[130:131], v[12:13], v[116:117]
	ds_read2_b64 v[10:13], v42 offset0:54 offset1:55
	s_waitcnt lgkmcnt(0)
	v_fma_f64 v[152:153], -v[130:131], v[10:11], v[152:153]
	v_fma_f64 v[226:227], -v[130:131], v[12:13], v[226:227]
.LBB111_201:
	s_or_b32 exec_lo, exec_lo, s1
	s_mov_b32 s1, exec_lo
	s_waitcnt lgkmcnt(0)
	s_barrier
	buffer_gl0_inv
	v_cmpx_eq_u32_e32 40, v0
	s_cbranch_execz .LBB111_204
; %bb.202:
	ds_write_b64 v1, v[166:167]
	ds_write2_b64 v42, v[128:129], v[164:165] offset0:41 offset1:42
	ds_write2_b64 v42, v[126:127], v[162:163] offset0:43 offset1:44
	;; [unrolled: 1-line block ×7, first 2 shown]
	ds_write_b64 v42, v[226:227] offset:440
	ds_read_b64 v[10:11], v1
	s_waitcnt lgkmcnt(0)
	v_cmp_neq_f64_e32 vcc_lo, 0, v[10:11]
	s_and_b32 exec_lo, exec_lo, vcc_lo
	s_cbranch_execz .LBB111_204
; %bb.203:
	v_div_scale_f64 v[12:13], null, v[10:11], v[10:11], 1.0
	v_rcp_f64_e32 v[14:15], v[12:13]
	v_fma_f64 v[16:17], -v[12:13], v[14:15], 1.0
	v_fma_f64 v[14:15], v[14:15], v[16:17], v[14:15]
	v_fma_f64 v[16:17], -v[12:13], v[14:15], 1.0
	v_fma_f64 v[14:15], v[14:15], v[16:17], v[14:15]
	v_div_scale_f64 v[16:17], vcc_lo, 1.0, v[10:11], 1.0
	v_mul_f64 v[18:19], v[16:17], v[14:15]
	v_fma_f64 v[12:13], -v[12:13], v[18:19], v[16:17]
	v_div_fmas_f64 v[12:13], v[12:13], v[14:15], v[18:19]
	v_div_fixup_f64 v[10:11], v[12:13], v[10:11], 1.0
	ds_write_b64 v1, v[10:11]
.LBB111_204:
	s_or_b32 exec_lo, exec_lo, s1
	s_waitcnt lgkmcnt(0)
	s_barrier
	buffer_gl0_inv
	ds_read_b64 v[10:11], v1
	s_mov_b32 s1, exec_lo
	v_cmpx_lt_u32_e32 40, v0
	s_cbranch_execz .LBB111_206
; %bb.205:
	s_waitcnt lgkmcnt(0)
	v_mul_f64 v[166:167], v[10:11], v[166:167]
	ds_read2_b64 v[12:15], v42 offset0:41 offset1:42
	s_waitcnt lgkmcnt(0)
	v_fma_f64 v[128:129], -v[166:167], v[12:13], v[128:129]
	v_fma_f64 v[164:165], -v[166:167], v[14:15], v[164:165]
	ds_read2_b64 v[12:15], v42 offset0:43 offset1:44
	s_waitcnt lgkmcnt(0)
	v_fma_f64 v[126:127], -v[166:167], v[12:13], v[126:127]
	v_fma_f64 v[162:163], -v[166:167], v[14:15], v[162:163]
	;; [unrolled: 4-line block ×6, first 2 shown]
	ds_read2_b64 v[12:15], v42 offset0:53 offset1:54
	s_waitcnt lgkmcnt(0)
	v_fma_f64 v[116:117], -v[166:167], v[12:13], v[116:117]
	ds_read_b64 v[12:13], v42 offset:440
	v_fma_f64 v[152:153], -v[166:167], v[14:15], v[152:153]
	s_waitcnt lgkmcnt(0)
	v_fma_f64 v[226:227], -v[166:167], v[12:13], v[226:227]
.LBB111_206:
	s_or_b32 exec_lo, exec_lo, s1
	s_mov_b32 s1, exec_lo
	s_waitcnt lgkmcnt(0)
	s_barrier
	buffer_gl0_inv
	v_cmpx_eq_u32_e32 41, v0
	s_cbranch_execz .LBB111_209
; %bb.207:
	v_mov_b32_e32 v12, v164
	v_mov_b32_e32 v13, v165
	;; [unrolled: 1-line block ×4, first 2 shown]
	ds_write_b64 v1, v[128:129]
	ds_write2_b64 v42, v[12:13], v[14:15] offset0:42 offset1:43
	v_mov_b32_e32 v12, v162
	v_mov_b32_e32 v13, v163
	v_mov_b32_e32 v14, v124
	v_mov_b32_e32 v15, v125
	ds_write2_b64 v42, v[12:13], v[14:15] offset0:44 offset1:45
	v_mov_b32_e32 v12, v160
	v_mov_b32_e32 v13, v161
	v_mov_b32_e32 v14, v122
	v_mov_b32_e32 v15, v123
	;; [unrolled: 5-line block ×5, first 2 shown]
	ds_write2_b64 v42, v[12:13], v[14:15] offset0:52 offset1:53
	v_mov_b32_e32 v12, v152
	v_mov_b32_e32 v13, v153
	ds_write2_b64 v42, v[12:13], v[226:227] offset0:54 offset1:55
	ds_read_b64 v[12:13], v1
	s_waitcnt lgkmcnt(0)
	v_cmp_neq_f64_e32 vcc_lo, 0, v[12:13]
	s_and_b32 exec_lo, exec_lo, vcc_lo
	s_cbranch_execz .LBB111_209
; %bb.208:
	v_div_scale_f64 v[14:15], null, v[12:13], v[12:13], 1.0
	v_rcp_f64_e32 v[16:17], v[14:15]
	v_fma_f64 v[18:19], -v[14:15], v[16:17], 1.0
	v_fma_f64 v[16:17], v[16:17], v[18:19], v[16:17]
	v_fma_f64 v[18:19], -v[14:15], v[16:17], 1.0
	v_fma_f64 v[16:17], v[16:17], v[18:19], v[16:17]
	v_div_scale_f64 v[18:19], vcc_lo, 1.0, v[12:13], 1.0
	v_mul_f64 v[20:21], v[18:19], v[16:17]
	v_fma_f64 v[14:15], -v[14:15], v[20:21], v[18:19]
	v_div_fmas_f64 v[14:15], v[14:15], v[16:17], v[20:21]
	v_div_fixup_f64 v[12:13], v[14:15], v[12:13], 1.0
	ds_write_b64 v1, v[12:13]
.LBB111_209:
	s_or_b32 exec_lo, exec_lo, s1
	s_waitcnt lgkmcnt(0)
	s_barrier
	buffer_gl0_inv
	ds_read_b64 v[12:13], v1
	s_mov_b32 s1, exec_lo
	v_cmpx_lt_u32_e32 41, v0
	s_cbranch_execz .LBB111_211
; %bb.210:
	s_waitcnt lgkmcnt(0)
	v_mul_f64 v[128:129], v[12:13], v[128:129]
	ds_read2_b64 v[14:17], v42 offset0:42 offset1:43
	s_waitcnt lgkmcnt(0)
	v_fma_f64 v[164:165], -v[128:129], v[14:15], v[164:165]
	v_fma_f64 v[126:127], -v[128:129], v[16:17], v[126:127]
	ds_read2_b64 v[14:17], v42 offset0:44 offset1:45
	s_waitcnt lgkmcnt(0)
	v_fma_f64 v[162:163], -v[128:129], v[14:15], v[162:163]
	v_fma_f64 v[124:125], -v[128:129], v[16:17], v[124:125]
	;; [unrolled: 4-line block ×7, first 2 shown]
.LBB111_211:
	s_or_b32 exec_lo, exec_lo, s1
	s_mov_b32 s1, exec_lo
	s_waitcnt lgkmcnt(0)
	s_barrier
	buffer_gl0_inv
	v_cmpx_eq_u32_e32 42, v0
	s_cbranch_execz .LBB111_214
; %bb.212:
	ds_write_b64 v1, v[164:165]
	ds_write2_b64 v42, v[126:127], v[162:163] offset0:43 offset1:44
	ds_write2_b64 v42, v[124:125], v[160:161] offset0:45 offset1:46
	;; [unrolled: 1-line block ×6, first 2 shown]
	ds_write_b64 v42, v[226:227] offset:440
	ds_read_b64 v[14:15], v1
	s_waitcnt lgkmcnt(0)
	v_cmp_neq_f64_e32 vcc_lo, 0, v[14:15]
	s_and_b32 exec_lo, exec_lo, vcc_lo
	s_cbranch_execz .LBB111_214
; %bb.213:
	v_div_scale_f64 v[16:17], null, v[14:15], v[14:15], 1.0
	v_rcp_f64_e32 v[18:19], v[16:17]
	v_fma_f64 v[20:21], -v[16:17], v[18:19], 1.0
	v_fma_f64 v[18:19], v[18:19], v[20:21], v[18:19]
	v_fma_f64 v[20:21], -v[16:17], v[18:19], 1.0
	v_fma_f64 v[18:19], v[18:19], v[20:21], v[18:19]
	v_div_scale_f64 v[20:21], vcc_lo, 1.0, v[14:15], 1.0
	v_mul_f64 v[22:23], v[20:21], v[18:19]
	v_fma_f64 v[16:17], -v[16:17], v[22:23], v[20:21]
	v_div_fmas_f64 v[16:17], v[16:17], v[18:19], v[22:23]
	v_div_fixup_f64 v[14:15], v[16:17], v[14:15], 1.0
	ds_write_b64 v1, v[14:15]
.LBB111_214:
	s_or_b32 exec_lo, exec_lo, s1
	s_waitcnt lgkmcnt(0)
	s_barrier
	buffer_gl0_inv
	ds_read_b64 v[14:15], v1
	s_mov_b32 s1, exec_lo
	v_cmpx_lt_u32_e32 42, v0
	s_cbranch_execz .LBB111_216
; %bb.215:
	s_waitcnt lgkmcnt(0)
	v_mul_f64 v[164:165], v[14:15], v[164:165]
	ds_read2_b64 v[16:19], v42 offset0:43 offset1:44
	s_waitcnt lgkmcnt(0)
	v_fma_f64 v[126:127], -v[164:165], v[16:17], v[126:127]
	v_fma_f64 v[162:163], -v[164:165], v[18:19], v[162:163]
	ds_read2_b64 v[16:19], v42 offset0:45 offset1:46
	s_waitcnt lgkmcnt(0)
	v_fma_f64 v[124:125], -v[164:165], v[16:17], v[124:125]
	v_fma_f64 v[160:161], -v[164:165], v[18:19], v[160:161]
	;; [unrolled: 4-line block ×5, first 2 shown]
	ds_read2_b64 v[16:19], v42 offset0:53 offset1:54
	s_waitcnt lgkmcnt(0)
	v_fma_f64 v[116:117], -v[164:165], v[16:17], v[116:117]
	ds_read_b64 v[16:17], v42 offset:440
	v_fma_f64 v[152:153], -v[164:165], v[18:19], v[152:153]
	s_waitcnt lgkmcnt(0)
	v_fma_f64 v[226:227], -v[164:165], v[16:17], v[226:227]
.LBB111_216:
	s_or_b32 exec_lo, exec_lo, s1
	s_mov_b32 s1, exec_lo
	s_waitcnt lgkmcnt(0)
	s_barrier
	buffer_gl0_inv
	v_cmpx_eq_u32_e32 43, v0
	s_cbranch_execz .LBB111_219
; %bb.217:
	v_mov_b32_e32 v16, v162
	v_mov_b32_e32 v17, v163
	;; [unrolled: 1-line block ×4, first 2 shown]
	ds_write_b64 v1, v[126:127]
	ds_write2_b64 v42, v[16:17], v[18:19] offset0:44 offset1:45
	v_mov_b32_e32 v16, v160
	v_mov_b32_e32 v17, v161
	v_mov_b32_e32 v18, v122
	v_mov_b32_e32 v19, v123
	ds_write2_b64 v42, v[16:17], v[18:19] offset0:46 offset1:47
	v_mov_b32_e32 v16, v158
	v_mov_b32_e32 v17, v159
	v_mov_b32_e32 v18, v120
	v_mov_b32_e32 v19, v121
	;; [unrolled: 5-line block ×4, first 2 shown]
	ds_write2_b64 v42, v[16:17], v[18:19] offset0:52 offset1:53
	v_mov_b32_e32 v16, v152
	v_mov_b32_e32 v17, v153
	ds_write2_b64 v42, v[16:17], v[226:227] offset0:54 offset1:55
	ds_read_b64 v[16:17], v1
	s_waitcnt lgkmcnt(0)
	v_cmp_neq_f64_e32 vcc_lo, 0, v[16:17]
	s_and_b32 exec_lo, exec_lo, vcc_lo
	s_cbranch_execz .LBB111_219
; %bb.218:
	v_div_scale_f64 v[18:19], null, v[16:17], v[16:17], 1.0
	v_rcp_f64_e32 v[20:21], v[18:19]
	v_fma_f64 v[22:23], -v[18:19], v[20:21], 1.0
	v_fma_f64 v[20:21], v[20:21], v[22:23], v[20:21]
	v_fma_f64 v[22:23], -v[18:19], v[20:21], 1.0
	v_fma_f64 v[20:21], v[20:21], v[22:23], v[20:21]
	v_div_scale_f64 v[22:23], vcc_lo, 1.0, v[16:17], 1.0
	v_mul_f64 v[24:25], v[22:23], v[20:21]
	v_fma_f64 v[18:19], -v[18:19], v[24:25], v[22:23]
	v_div_fmas_f64 v[18:19], v[18:19], v[20:21], v[24:25]
	v_div_fixup_f64 v[16:17], v[18:19], v[16:17], 1.0
	ds_write_b64 v1, v[16:17]
.LBB111_219:
	s_or_b32 exec_lo, exec_lo, s1
	s_waitcnt lgkmcnt(0)
	s_barrier
	buffer_gl0_inv
	ds_read_b64 v[16:17], v1
	s_mov_b32 s1, exec_lo
	v_cmpx_lt_u32_e32 43, v0
	s_cbranch_execz .LBB111_221
; %bb.220:
	s_waitcnt lgkmcnt(0)
	v_mul_f64 v[126:127], v[16:17], v[126:127]
	ds_read2_b64 v[18:21], v42 offset0:44 offset1:45
	s_waitcnt lgkmcnt(0)
	v_fma_f64 v[162:163], -v[126:127], v[18:19], v[162:163]
	v_fma_f64 v[124:125], -v[126:127], v[20:21], v[124:125]
	ds_read2_b64 v[18:21], v42 offset0:46 offset1:47
	s_waitcnt lgkmcnt(0)
	v_fma_f64 v[160:161], -v[126:127], v[18:19], v[160:161]
	v_fma_f64 v[122:123], -v[126:127], v[20:21], v[122:123]
	;; [unrolled: 4-line block ×6, first 2 shown]
.LBB111_221:
	s_or_b32 exec_lo, exec_lo, s1
	s_mov_b32 s1, exec_lo
	s_waitcnt lgkmcnt(0)
	s_barrier
	buffer_gl0_inv
	v_cmpx_eq_u32_e32 44, v0
	s_cbranch_execz .LBB111_224
; %bb.222:
	ds_write_b64 v1, v[162:163]
	ds_write2_b64 v42, v[124:125], v[160:161] offset0:45 offset1:46
	ds_write2_b64 v42, v[122:123], v[158:159] offset0:47 offset1:48
	;; [unrolled: 1-line block ×5, first 2 shown]
	ds_write_b64 v42, v[226:227] offset:440
	ds_read_b64 v[18:19], v1
	s_waitcnt lgkmcnt(0)
	v_cmp_neq_f64_e32 vcc_lo, 0, v[18:19]
	s_and_b32 exec_lo, exec_lo, vcc_lo
	s_cbranch_execz .LBB111_224
; %bb.223:
	v_div_scale_f64 v[20:21], null, v[18:19], v[18:19], 1.0
	v_rcp_f64_e32 v[22:23], v[20:21]
	v_fma_f64 v[24:25], -v[20:21], v[22:23], 1.0
	v_fma_f64 v[22:23], v[22:23], v[24:25], v[22:23]
	v_fma_f64 v[24:25], -v[20:21], v[22:23], 1.0
	v_fma_f64 v[22:23], v[22:23], v[24:25], v[22:23]
	v_div_scale_f64 v[24:25], vcc_lo, 1.0, v[18:19], 1.0
	v_mul_f64 v[26:27], v[24:25], v[22:23]
	v_fma_f64 v[20:21], -v[20:21], v[26:27], v[24:25]
	v_div_fmas_f64 v[20:21], v[20:21], v[22:23], v[26:27]
	v_div_fixup_f64 v[18:19], v[20:21], v[18:19], 1.0
	ds_write_b64 v1, v[18:19]
.LBB111_224:
	s_or_b32 exec_lo, exec_lo, s1
	s_waitcnt lgkmcnt(0)
	s_barrier
	buffer_gl0_inv
	ds_read_b64 v[18:19], v1
	s_mov_b32 s1, exec_lo
	v_cmpx_lt_u32_e32 44, v0
	s_cbranch_execz .LBB111_226
; %bb.225:
	s_waitcnt lgkmcnt(0)
	v_mul_f64 v[162:163], v[18:19], v[162:163]
	ds_read2_b64 v[20:23], v42 offset0:45 offset1:46
	s_waitcnt lgkmcnt(0)
	v_fma_f64 v[124:125], -v[162:163], v[20:21], v[124:125]
	v_fma_f64 v[160:161], -v[162:163], v[22:23], v[160:161]
	ds_read2_b64 v[20:23], v42 offset0:47 offset1:48
	s_waitcnt lgkmcnt(0)
	v_fma_f64 v[122:123], -v[162:163], v[20:21], v[122:123]
	v_fma_f64 v[158:159], -v[162:163], v[22:23], v[158:159]
	;; [unrolled: 4-line block ×4, first 2 shown]
	ds_read2_b64 v[20:23], v42 offset0:53 offset1:54
	s_waitcnt lgkmcnt(0)
	v_fma_f64 v[116:117], -v[162:163], v[20:21], v[116:117]
	ds_read_b64 v[20:21], v42 offset:440
	v_fma_f64 v[152:153], -v[162:163], v[22:23], v[152:153]
	s_waitcnt lgkmcnt(0)
	v_fma_f64 v[226:227], -v[162:163], v[20:21], v[226:227]
.LBB111_226:
	s_or_b32 exec_lo, exec_lo, s1
	s_mov_b32 s1, exec_lo
	s_waitcnt lgkmcnt(0)
	s_barrier
	buffer_gl0_inv
	v_cmpx_eq_u32_e32 45, v0
	s_cbranch_execz .LBB111_229
; %bb.227:
	v_mov_b32_e32 v20, v160
	v_mov_b32_e32 v21, v161
	;; [unrolled: 1-line block ×4, first 2 shown]
	ds_write_b64 v1, v[124:125]
	ds_write2_b64 v42, v[20:21], v[22:23] offset0:46 offset1:47
	v_mov_b32_e32 v20, v158
	v_mov_b32_e32 v21, v159
	v_mov_b32_e32 v22, v120
	v_mov_b32_e32 v23, v121
	ds_write2_b64 v42, v[20:21], v[22:23] offset0:48 offset1:49
	v_mov_b32_e32 v20, v156
	v_mov_b32_e32 v21, v157
	v_mov_b32_e32 v22, v118
	v_mov_b32_e32 v23, v119
	;; [unrolled: 5-line block ×3, first 2 shown]
	ds_write2_b64 v42, v[20:21], v[22:23] offset0:52 offset1:53
	v_mov_b32_e32 v20, v152
	v_mov_b32_e32 v21, v153
	ds_write2_b64 v42, v[20:21], v[226:227] offset0:54 offset1:55
	ds_read_b64 v[20:21], v1
	s_waitcnt lgkmcnt(0)
	v_cmp_neq_f64_e32 vcc_lo, 0, v[20:21]
	s_and_b32 exec_lo, exec_lo, vcc_lo
	s_cbranch_execz .LBB111_229
; %bb.228:
	v_div_scale_f64 v[22:23], null, v[20:21], v[20:21], 1.0
	v_rcp_f64_e32 v[24:25], v[22:23]
	v_fma_f64 v[26:27], -v[22:23], v[24:25], 1.0
	v_fma_f64 v[24:25], v[24:25], v[26:27], v[24:25]
	v_fma_f64 v[26:27], -v[22:23], v[24:25], 1.0
	v_fma_f64 v[24:25], v[24:25], v[26:27], v[24:25]
	v_div_scale_f64 v[26:27], vcc_lo, 1.0, v[20:21], 1.0
	v_mul_f64 v[28:29], v[26:27], v[24:25]
	v_fma_f64 v[22:23], -v[22:23], v[28:29], v[26:27]
	v_div_fmas_f64 v[22:23], v[22:23], v[24:25], v[28:29]
	v_div_fixup_f64 v[20:21], v[22:23], v[20:21], 1.0
	ds_write_b64 v1, v[20:21]
.LBB111_229:
	s_or_b32 exec_lo, exec_lo, s1
	s_waitcnt lgkmcnt(0)
	s_barrier
	buffer_gl0_inv
	ds_read_b64 v[20:21], v1
	s_mov_b32 s1, exec_lo
	v_cmpx_lt_u32_e32 45, v0
	s_cbranch_execz .LBB111_231
; %bb.230:
	s_waitcnt lgkmcnt(0)
	v_mul_f64 v[124:125], v[20:21], v[124:125]
	ds_read2_b64 v[22:25], v42 offset0:46 offset1:47
	s_waitcnt lgkmcnt(0)
	v_fma_f64 v[160:161], -v[124:125], v[22:23], v[160:161]
	v_fma_f64 v[122:123], -v[124:125], v[24:25], v[122:123]
	ds_read2_b64 v[22:25], v42 offset0:48 offset1:49
	s_waitcnt lgkmcnt(0)
	v_fma_f64 v[158:159], -v[124:125], v[22:23], v[158:159]
	v_fma_f64 v[120:121], -v[124:125], v[24:25], v[120:121]
	;; [unrolled: 4-line block ×5, first 2 shown]
.LBB111_231:
	s_or_b32 exec_lo, exec_lo, s1
	s_mov_b32 s1, exec_lo
	s_waitcnt lgkmcnt(0)
	s_barrier
	buffer_gl0_inv
	v_cmpx_eq_u32_e32 46, v0
	s_cbranch_execz .LBB111_234
; %bb.232:
	ds_write_b64 v1, v[160:161]
	ds_write2_b64 v42, v[122:123], v[158:159] offset0:47 offset1:48
	ds_write2_b64 v42, v[120:121], v[156:157] offset0:49 offset1:50
	;; [unrolled: 1-line block ×4, first 2 shown]
	ds_write_b64 v42, v[226:227] offset:440
	ds_read_b64 v[22:23], v1
	s_waitcnt lgkmcnt(0)
	v_cmp_neq_f64_e32 vcc_lo, 0, v[22:23]
	s_and_b32 exec_lo, exec_lo, vcc_lo
	s_cbranch_execz .LBB111_234
; %bb.233:
	v_div_scale_f64 v[24:25], null, v[22:23], v[22:23], 1.0
	v_rcp_f64_e32 v[26:27], v[24:25]
	v_fma_f64 v[28:29], -v[24:25], v[26:27], 1.0
	v_fma_f64 v[26:27], v[26:27], v[28:29], v[26:27]
	v_fma_f64 v[28:29], -v[24:25], v[26:27], 1.0
	v_fma_f64 v[26:27], v[26:27], v[28:29], v[26:27]
	v_div_scale_f64 v[28:29], vcc_lo, 1.0, v[22:23], 1.0
	v_mul_f64 v[30:31], v[28:29], v[26:27]
	v_fma_f64 v[24:25], -v[24:25], v[30:31], v[28:29]
	v_div_fmas_f64 v[24:25], v[24:25], v[26:27], v[30:31]
	v_div_fixup_f64 v[22:23], v[24:25], v[22:23], 1.0
	ds_write_b64 v1, v[22:23]
.LBB111_234:
	s_or_b32 exec_lo, exec_lo, s1
	s_waitcnt lgkmcnt(0)
	s_barrier
	buffer_gl0_inv
	ds_read_b64 v[22:23], v1
	s_mov_b32 s1, exec_lo
	v_cmpx_lt_u32_e32 46, v0
	s_cbranch_execz .LBB111_236
; %bb.235:
	s_waitcnt lgkmcnt(0)
	v_mul_f64 v[160:161], v[22:23], v[160:161]
	ds_read2_b64 v[24:27], v42 offset0:47 offset1:48
	s_waitcnt lgkmcnt(0)
	v_fma_f64 v[122:123], -v[160:161], v[24:25], v[122:123]
	v_fma_f64 v[158:159], -v[160:161], v[26:27], v[158:159]
	ds_read2_b64 v[24:27], v42 offset0:49 offset1:50
	s_waitcnt lgkmcnt(0)
	v_fma_f64 v[120:121], -v[160:161], v[24:25], v[120:121]
	v_fma_f64 v[156:157], -v[160:161], v[26:27], v[156:157]
	;; [unrolled: 4-line block ×3, first 2 shown]
	ds_read2_b64 v[24:27], v42 offset0:53 offset1:54
	s_waitcnt lgkmcnt(0)
	v_fma_f64 v[116:117], -v[160:161], v[24:25], v[116:117]
	ds_read_b64 v[24:25], v42 offset:440
	v_fma_f64 v[152:153], -v[160:161], v[26:27], v[152:153]
	s_waitcnt lgkmcnt(0)
	v_fma_f64 v[226:227], -v[160:161], v[24:25], v[226:227]
.LBB111_236:
	s_or_b32 exec_lo, exec_lo, s1
	s_mov_b32 s1, exec_lo
	s_waitcnt lgkmcnt(0)
	s_barrier
	buffer_gl0_inv
	v_cmpx_eq_u32_e32 47, v0
	s_cbranch_execz .LBB111_239
; %bb.237:
	v_mov_b32_e32 v24, v158
	v_mov_b32_e32 v25, v159
	;; [unrolled: 1-line block ×4, first 2 shown]
	ds_write_b64 v1, v[122:123]
	ds_write2_b64 v42, v[24:25], v[26:27] offset0:48 offset1:49
	v_mov_b32_e32 v24, v156
	v_mov_b32_e32 v25, v157
	;; [unrolled: 1-line block ×4, first 2 shown]
	ds_write2_b64 v42, v[24:25], v[26:27] offset0:50 offset1:51
	v_mov_b32_e32 v24, v154
	v_mov_b32_e32 v25, v155
	;; [unrolled: 1-line block ×4, first 2 shown]
	ds_write2_b64 v42, v[24:25], v[26:27] offset0:52 offset1:53
	v_mov_b32_e32 v24, v152
	v_mov_b32_e32 v25, v153
	ds_write2_b64 v42, v[24:25], v[226:227] offset0:54 offset1:55
	ds_read_b64 v[24:25], v1
	s_waitcnt lgkmcnt(0)
	v_cmp_neq_f64_e32 vcc_lo, 0, v[24:25]
	s_and_b32 exec_lo, exec_lo, vcc_lo
	s_cbranch_execz .LBB111_239
; %bb.238:
	v_div_scale_f64 v[26:27], null, v[24:25], v[24:25], 1.0
	v_rcp_f64_e32 v[28:29], v[26:27]
	v_fma_f64 v[30:31], -v[26:27], v[28:29], 1.0
	v_fma_f64 v[28:29], v[28:29], v[30:31], v[28:29]
	v_fma_f64 v[30:31], -v[26:27], v[28:29], 1.0
	v_fma_f64 v[28:29], v[28:29], v[30:31], v[28:29]
	v_div_scale_f64 v[30:31], vcc_lo, 1.0, v[24:25], 1.0
	v_mul_f64 v[32:33], v[30:31], v[28:29]
	v_fma_f64 v[26:27], -v[26:27], v[32:33], v[30:31]
	v_div_fmas_f64 v[26:27], v[26:27], v[28:29], v[32:33]
	v_div_fixup_f64 v[24:25], v[26:27], v[24:25], 1.0
	ds_write_b64 v1, v[24:25]
.LBB111_239:
	s_or_b32 exec_lo, exec_lo, s1
	s_waitcnt lgkmcnt(0)
	s_barrier
	buffer_gl0_inv
	ds_read_b64 v[24:25], v1
	s_mov_b32 s1, exec_lo
	v_cmpx_lt_u32_e32 47, v0
	s_cbranch_execz .LBB111_241
; %bb.240:
	s_waitcnt lgkmcnt(0)
	v_mul_f64 v[122:123], v[24:25], v[122:123]
	ds_read2_b64 v[26:29], v42 offset0:48 offset1:49
	s_waitcnt lgkmcnt(0)
	v_fma_f64 v[158:159], -v[122:123], v[26:27], v[158:159]
	v_fma_f64 v[120:121], -v[122:123], v[28:29], v[120:121]
	ds_read2_b64 v[26:29], v42 offset0:50 offset1:51
	s_waitcnt lgkmcnt(0)
	v_fma_f64 v[156:157], -v[122:123], v[26:27], v[156:157]
	v_fma_f64 v[118:119], -v[122:123], v[28:29], v[118:119]
	;; [unrolled: 4-line block ×4, first 2 shown]
.LBB111_241:
	s_or_b32 exec_lo, exec_lo, s1
	s_mov_b32 s1, exec_lo
	s_waitcnt lgkmcnt(0)
	s_barrier
	buffer_gl0_inv
	v_cmpx_eq_u32_e32 48, v0
	s_cbranch_execz .LBB111_244
; %bb.242:
	ds_write_b64 v1, v[158:159]
	ds_write2_b64 v42, v[120:121], v[156:157] offset0:49 offset1:50
	ds_write2_b64 v42, v[118:119], v[154:155] offset0:51 offset1:52
	;; [unrolled: 1-line block ×3, first 2 shown]
	ds_write_b64 v42, v[226:227] offset:440
	ds_read_b64 v[26:27], v1
	s_waitcnt lgkmcnt(0)
	v_cmp_neq_f64_e32 vcc_lo, 0, v[26:27]
	s_and_b32 exec_lo, exec_lo, vcc_lo
	s_cbranch_execz .LBB111_244
; %bb.243:
	v_div_scale_f64 v[28:29], null, v[26:27], v[26:27], 1.0
	v_rcp_f64_e32 v[30:31], v[28:29]
	v_fma_f64 v[32:33], -v[28:29], v[30:31], 1.0
	v_fma_f64 v[30:31], v[30:31], v[32:33], v[30:31]
	v_fma_f64 v[32:33], -v[28:29], v[30:31], 1.0
	v_fma_f64 v[30:31], v[30:31], v[32:33], v[30:31]
	v_div_scale_f64 v[32:33], vcc_lo, 1.0, v[26:27], 1.0
	v_mul_f64 v[34:35], v[32:33], v[30:31]
	v_fma_f64 v[28:29], -v[28:29], v[34:35], v[32:33]
	v_div_fmas_f64 v[28:29], v[28:29], v[30:31], v[34:35]
	v_div_fixup_f64 v[26:27], v[28:29], v[26:27], 1.0
	ds_write_b64 v1, v[26:27]
.LBB111_244:
	s_or_b32 exec_lo, exec_lo, s1
	s_waitcnt lgkmcnt(0)
	s_barrier
	buffer_gl0_inv
	ds_read_b64 v[28:29], v1
	s_mov_b32 s1, exec_lo
	v_cmpx_lt_u32_e32 48, v0
	s_cbranch_execz .LBB111_246
; %bb.245:
	s_waitcnt lgkmcnt(0)
	v_mul_f64 v[158:159], v[28:29], v[158:159]
	ds_read2_b64 v[30:33], v42 offset0:49 offset1:50
	ds_read_b64 v[26:27], v42 offset:440
	s_waitcnt lgkmcnt(1)
	v_fma_f64 v[120:121], -v[158:159], v[30:31], v[120:121]
	v_fma_f64 v[156:157], -v[158:159], v[32:33], v[156:157]
	ds_read2_b64 v[30:33], v42 offset0:51 offset1:52
	s_waitcnt lgkmcnt(1)
	v_fma_f64 v[226:227], -v[158:159], v[26:27], v[226:227]
	s_waitcnt lgkmcnt(0)
	v_fma_f64 v[118:119], -v[158:159], v[30:31], v[118:119]
	v_fma_f64 v[154:155], -v[158:159], v[32:33], v[154:155]
	ds_read2_b64 v[30:33], v42 offset0:53 offset1:54
	s_waitcnt lgkmcnt(0)
	v_fma_f64 v[116:117], -v[158:159], v[30:31], v[116:117]
	v_fma_f64 v[152:153], -v[158:159], v[32:33], v[152:153]
.LBB111_246:
	s_or_b32 exec_lo, exec_lo, s1
	s_mov_b32 s1, exec_lo
	s_waitcnt lgkmcnt(0)
	s_barrier
	buffer_gl0_inv
	v_cmpx_eq_u32_e32 49, v0
	s_cbranch_execz .LBB111_249
; %bb.247:
	v_mov_b32_e32 v26, v156
	v_mov_b32_e32 v27, v157
	;; [unrolled: 1-line block ×4, first 2 shown]
	ds_write_b64 v1, v[120:121]
	ds_write2_b64 v42, v[26:27], v[30:31] offset0:50 offset1:51
	v_mov_b32_e32 v26, v154
	v_mov_b32_e32 v27, v155
	;; [unrolled: 1-line block ×4, first 2 shown]
	ds_write2_b64 v42, v[26:27], v[30:31] offset0:52 offset1:53
	v_mov_b32_e32 v26, v152
	v_mov_b32_e32 v27, v153
	ds_write2_b64 v42, v[26:27], v[226:227] offset0:54 offset1:55
	ds_read_b64 v[26:27], v1
	s_waitcnt lgkmcnt(0)
	v_cmp_neq_f64_e32 vcc_lo, 0, v[26:27]
	s_and_b32 exec_lo, exec_lo, vcc_lo
	s_cbranch_execz .LBB111_249
; %bb.248:
	v_div_scale_f64 v[30:31], null, v[26:27], v[26:27], 1.0
	v_rcp_f64_e32 v[32:33], v[30:31]
	v_fma_f64 v[34:35], -v[30:31], v[32:33], 1.0
	v_fma_f64 v[32:33], v[32:33], v[34:35], v[32:33]
	v_fma_f64 v[34:35], -v[30:31], v[32:33], 1.0
	v_fma_f64 v[32:33], v[32:33], v[34:35], v[32:33]
	v_div_scale_f64 v[34:35], vcc_lo, 1.0, v[26:27], 1.0
	v_mul_f64 v[36:37], v[34:35], v[32:33]
	v_fma_f64 v[30:31], -v[30:31], v[36:37], v[34:35]
	v_div_fmas_f64 v[30:31], v[30:31], v[32:33], v[36:37]
	v_div_fixup_f64 v[26:27], v[30:31], v[26:27], 1.0
	ds_write_b64 v1, v[26:27]
.LBB111_249:
	s_or_b32 exec_lo, exec_lo, s1
	s_waitcnt lgkmcnt(0)
	s_barrier
	buffer_gl0_inv
	ds_read_b64 v[30:31], v1
	s_mov_b32 s1, exec_lo
	v_cmpx_lt_u32_e32 49, v0
	s_cbranch_execz .LBB111_251
; %bb.250:
	s_waitcnt lgkmcnt(0)
	v_mul_f64 v[120:121], v[30:31], v[120:121]
	ds_read2_b64 v[32:35], v42 offset0:50 offset1:51
	s_waitcnt lgkmcnt(0)
	v_fma_f64 v[156:157], -v[120:121], v[32:33], v[156:157]
	v_fma_f64 v[118:119], -v[120:121], v[34:35], v[118:119]
	ds_read2_b64 v[32:35], v42 offset0:52 offset1:53
	s_waitcnt lgkmcnt(0)
	v_fma_f64 v[154:155], -v[120:121], v[32:33], v[154:155]
	v_fma_f64 v[116:117], -v[120:121], v[34:35], v[116:117]
	;; [unrolled: 4-line block ×3, first 2 shown]
.LBB111_251:
	s_or_b32 exec_lo, exec_lo, s1
	s_mov_b32 s1, exec_lo
	s_waitcnt lgkmcnt(0)
	s_barrier
	buffer_gl0_inv
	v_cmpx_eq_u32_e32 50, v0
	s_cbranch_execz .LBB111_254
; %bb.252:
	ds_write_b64 v1, v[156:157]
	ds_write2_b64 v42, v[118:119], v[154:155] offset0:51 offset1:52
	ds_write2_b64 v42, v[116:117], v[152:153] offset0:53 offset1:54
	ds_write_b64 v42, v[226:227] offset:440
	ds_read_b64 v[26:27], v1
	s_waitcnt lgkmcnt(0)
	v_cmp_neq_f64_e32 vcc_lo, 0, v[26:27]
	s_and_b32 exec_lo, exec_lo, vcc_lo
	s_cbranch_execz .LBB111_254
; %bb.253:
	v_div_scale_f64 v[32:33], null, v[26:27], v[26:27], 1.0
	v_rcp_f64_e32 v[34:35], v[32:33]
	v_fma_f64 v[36:37], -v[32:33], v[34:35], 1.0
	v_fma_f64 v[34:35], v[34:35], v[36:37], v[34:35]
	v_fma_f64 v[36:37], -v[32:33], v[34:35], 1.0
	v_fma_f64 v[34:35], v[34:35], v[36:37], v[34:35]
	v_div_scale_f64 v[36:37], vcc_lo, 1.0, v[26:27], 1.0
	v_mul_f64 v[38:39], v[36:37], v[34:35]
	v_fma_f64 v[32:33], -v[32:33], v[38:39], v[36:37]
	v_div_fmas_f64 v[32:33], v[32:33], v[34:35], v[38:39]
	v_div_fixup_f64 v[26:27], v[32:33], v[26:27], 1.0
	ds_write_b64 v1, v[26:27]
.LBB111_254:
	s_or_b32 exec_lo, exec_lo, s1
	s_waitcnt lgkmcnt(0)
	s_barrier
	buffer_gl0_inv
	ds_read_b64 v[32:33], v1
	s_mov_b32 s1, exec_lo
	v_cmpx_lt_u32_e32 50, v0
	s_cbranch_execz .LBB111_256
; %bb.255:
	s_waitcnt lgkmcnt(0)
	v_mul_f64 v[156:157], v[32:33], v[156:157]
	ds_read2_b64 v[34:37], v42 offset0:51 offset1:52
	ds_read_b64 v[26:27], v42 offset:440
	s_waitcnt lgkmcnt(1)
	v_fma_f64 v[118:119], -v[156:157], v[34:35], v[118:119]
	v_fma_f64 v[154:155], -v[156:157], v[36:37], v[154:155]
	ds_read2_b64 v[34:37], v42 offset0:53 offset1:54
	s_waitcnt lgkmcnt(1)
	v_fma_f64 v[226:227], -v[156:157], v[26:27], v[226:227]
	s_waitcnt lgkmcnt(0)
	v_fma_f64 v[116:117], -v[156:157], v[34:35], v[116:117]
	v_fma_f64 v[152:153], -v[156:157], v[36:37], v[152:153]
.LBB111_256:
	s_or_b32 exec_lo, exec_lo, s1
	s_mov_b32 s1, exec_lo
	s_waitcnt lgkmcnt(0)
	s_barrier
	buffer_gl0_inv
	v_cmpx_eq_u32_e32 51, v0
	s_cbranch_execz .LBB111_259
; %bb.257:
	v_mov_b32_e32 v26, v154
	v_mov_b32_e32 v27, v155
	v_mov_b32_e32 v34, v116
	v_mov_b32_e32 v35, v117
	ds_write_b64 v1, v[118:119]
	ds_write2_b64 v42, v[26:27], v[34:35] offset0:52 offset1:53
	v_mov_b32_e32 v26, v152
	v_mov_b32_e32 v27, v153
	ds_write2_b64 v42, v[26:27], v[226:227] offset0:54 offset1:55
	ds_read_b64 v[26:27], v1
	s_waitcnt lgkmcnt(0)
	v_cmp_neq_f64_e32 vcc_lo, 0, v[26:27]
	s_and_b32 exec_lo, exec_lo, vcc_lo
	s_cbranch_execz .LBB111_259
; %bb.258:
	v_div_scale_f64 v[34:35], null, v[26:27], v[26:27], 1.0
	v_rcp_f64_e32 v[36:37], v[34:35]
	v_fma_f64 v[38:39], -v[34:35], v[36:37], 1.0
	v_fma_f64 v[36:37], v[36:37], v[38:39], v[36:37]
	v_fma_f64 v[38:39], -v[34:35], v[36:37], 1.0
	v_fma_f64 v[36:37], v[36:37], v[38:39], v[36:37]
	v_div_scale_f64 v[38:39], vcc_lo, 1.0, v[26:27], 1.0
	v_mul_f64 v[40:41], v[38:39], v[36:37]
	v_fma_f64 v[34:35], -v[34:35], v[40:41], v[38:39]
	v_div_fmas_f64 v[34:35], v[34:35], v[36:37], v[40:41]
	v_div_fixup_f64 v[26:27], v[34:35], v[26:27], 1.0
	ds_write_b64 v1, v[26:27]
.LBB111_259:
	s_or_b32 exec_lo, exec_lo, s1
	s_waitcnt lgkmcnt(0)
	s_barrier
	buffer_gl0_inv
	ds_read_b64 v[34:35], v1
	s_mov_b32 s1, exec_lo
	v_cmpx_lt_u32_e32 51, v0
	s_cbranch_execz .LBB111_261
; %bb.260:
	s_waitcnt lgkmcnt(0)
	v_mul_f64 v[118:119], v[34:35], v[118:119]
	ds_read2_b64 v[36:39], v42 offset0:52 offset1:53
	s_waitcnt lgkmcnt(0)
	v_fma_f64 v[154:155], -v[118:119], v[36:37], v[154:155]
	v_fma_f64 v[116:117], -v[118:119], v[38:39], v[116:117]
	ds_read2_b64 v[36:39], v42 offset0:54 offset1:55
	s_waitcnt lgkmcnt(0)
	v_fma_f64 v[152:153], -v[118:119], v[36:37], v[152:153]
	v_fma_f64 v[226:227], -v[118:119], v[38:39], v[226:227]
.LBB111_261:
	s_or_b32 exec_lo, exec_lo, s1
	s_mov_b32 s1, exec_lo
	s_waitcnt lgkmcnt(0)
	s_barrier
	buffer_gl0_inv
	v_cmpx_eq_u32_e32 52, v0
	s_cbranch_execz .LBB111_264
; %bb.262:
	ds_write_b64 v1, v[154:155]
	ds_write2_b64 v42, v[116:117], v[152:153] offset0:53 offset1:54
	ds_write_b64 v42, v[226:227] offset:440
	ds_read_b64 v[26:27], v1
	s_waitcnt lgkmcnt(0)
	v_cmp_neq_f64_e32 vcc_lo, 0, v[26:27]
	s_and_b32 exec_lo, exec_lo, vcc_lo
	s_cbranch_execz .LBB111_264
; %bb.263:
	v_div_scale_f64 v[36:37], null, v[26:27], v[26:27], 1.0
	v_rcp_f64_e32 v[38:39], v[36:37]
	v_fma_f64 v[40:41], -v[36:37], v[38:39], 1.0
	v_fma_f64 v[38:39], v[38:39], v[40:41], v[38:39]
	v_fma_f64 v[40:41], -v[36:37], v[38:39], 1.0
	v_fma_f64 v[38:39], v[38:39], v[40:41], v[38:39]
	v_div_scale_f64 v[40:41], vcc_lo, 1.0, v[26:27], 1.0
	v_mul_f64 v[43:44], v[40:41], v[38:39]
	v_fma_f64 v[36:37], -v[36:37], v[43:44], v[40:41]
	v_div_fmas_f64 v[36:37], v[36:37], v[38:39], v[43:44]
	v_div_fixup_f64 v[26:27], v[36:37], v[26:27], 1.0
	ds_write_b64 v1, v[26:27]
.LBB111_264:
	s_or_b32 exec_lo, exec_lo, s1
	s_waitcnt lgkmcnt(0)
	s_barrier
	buffer_gl0_inv
	ds_read_b64 v[36:37], v1
	s_mov_b32 s1, exec_lo
	v_cmpx_lt_u32_e32 52, v0
	s_cbranch_execz .LBB111_266
; %bb.265:
	s_waitcnt lgkmcnt(0)
	v_mul_f64 v[154:155], v[36:37], v[154:155]
	ds_read2_b64 v[38:41], v42 offset0:53 offset1:54
	ds_read_b64 v[26:27], v42 offset:440
	s_waitcnt lgkmcnt(1)
	v_fma_f64 v[116:117], -v[154:155], v[38:39], v[116:117]
	v_fma_f64 v[152:153], -v[154:155], v[40:41], v[152:153]
	s_waitcnt lgkmcnt(0)
	v_fma_f64 v[226:227], -v[154:155], v[26:27], v[226:227]
.LBB111_266:
	s_or_b32 exec_lo, exec_lo, s1
	s_mov_b32 s1, exec_lo
	s_waitcnt lgkmcnt(0)
	s_barrier
	buffer_gl0_inv
	v_cmpx_eq_u32_e32 53, v0
	s_cbranch_execz .LBB111_269
; %bb.267:
	v_mov_b32_e32 v26, v152
	v_mov_b32_e32 v27, v153
	ds_write_b64 v1, v[116:117]
	ds_write2_b64 v42, v[26:27], v[226:227] offset0:54 offset1:55
	ds_read_b64 v[26:27], v1
	s_waitcnt lgkmcnt(0)
	v_cmp_neq_f64_e32 vcc_lo, 0, v[26:27]
	s_and_b32 exec_lo, exec_lo, vcc_lo
	s_cbranch_execz .LBB111_269
; %bb.268:
	v_div_scale_f64 v[38:39], null, v[26:27], v[26:27], 1.0
	v_rcp_f64_e32 v[40:41], v[38:39]
	v_fma_f64 v[43:44], -v[38:39], v[40:41], 1.0
	v_fma_f64 v[40:41], v[40:41], v[43:44], v[40:41]
	v_fma_f64 v[43:44], -v[38:39], v[40:41], 1.0
	v_fma_f64 v[40:41], v[40:41], v[43:44], v[40:41]
	v_div_scale_f64 v[43:44], vcc_lo, 1.0, v[26:27], 1.0
	v_mul_f64 v[45:46], v[43:44], v[40:41]
	v_fma_f64 v[38:39], -v[38:39], v[45:46], v[43:44]
	v_div_fmas_f64 v[38:39], v[38:39], v[40:41], v[45:46]
	v_div_fixup_f64 v[26:27], v[38:39], v[26:27], 1.0
	ds_write_b64 v1, v[26:27]
.LBB111_269:
	s_or_b32 exec_lo, exec_lo, s1
	s_waitcnt lgkmcnt(0)
	s_barrier
	buffer_gl0_inv
	ds_read_b64 v[38:39], v1
	s_mov_b32 s1, exec_lo
	v_cmpx_lt_u32_e32 53, v0
	s_cbranch_execz .LBB111_271
; %bb.270:
	s_waitcnt lgkmcnt(0)
	v_mul_f64 v[116:117], v[38:39], v[116:117]
	ds_read2_b64 v[43:46], v42 offset0:54 offset1:55
	s_waitcnt lgkmcnt(0)
	v_fma_f64 v[152:153], -v[116:117], v[43:44], v[152:153]
	v_fma_f64 v[226:227], -v[116:117], v[45:46], v[226:227]
.LBB111_271:
	s_or_b32 exec_lo, exec_lo, s1
	s_mov_b32 s1, exec_lo
	s_waitcnt lgkmcnt(0)
	s_barrier
	buffer_gl0_inv
	v_cmpx_eq_u32_e32 54, v0
	s_cbranch_execz .LBB111_274
; %bb.272:
	ds_write_b64 v1, v[152:153]
	ds_write_b64 v42, v[226:227] offset:440
	ds_read_b64 v[26:27], v1
	s_waitcnt lgkmcnt(0)
	v_cmp_neq_f64_e32 vcc_lo, 0, v[26:27]
	s_and_b32 exec_lo, exec_lo, vcc_lo
	s_cbranch_execz .LBB111_274
; %bb.273:
	v_div_scale_f64 v[40:41], null, v[26:27], v[26:27], 1.0
	v_mov_b32_e32 v58, v56
	v_mov_b32_e32 v57, v55
	;; [unrolled: 1-line block ×20, first 2 shown]
	v_rcp_f64_e32 v[43:44], v[40:41]
	v_mov_b32_e32 v247, v114
	v_mov_b32_e32 v246, v113
	;; [unrolled: 1-line block ×23, first 2 shown]
	v_fma_f64 v[45:46], -v[40:41], v[43:44], 1.0
	v_mov_b32_e32 v93, v91
	v_mov_b32_e32 v92, v90
	;; [unrolled: 1-line block ×21, first 2 shown]
	v_fma_f64 v[43:44], v[43:44], v[45:46], v[43:44]
	v_mov_b32_e32 v72, v70
	v_mov_b32_e32 v71, v69
	;; [unrolled: 1-line block ×17, first 2 shown]
	v_fma_f64 v[45:46], -v[40:41], v[43:44], 1.0
	v_mov_b32_e32 v76, v78
	v_mov_b32_e32 v77, v79
	;; [unrolled: 1-line block ×21, first 2 shown]
	v_fma_f64 v[43:44], v[43:44], v[45:46], v[43:44]
	v_div_scale_f64 v[45:46], vcc_lo, 1.0, v[26:27], 1.0
	v_mov_b32_e32 v97, v99
	v_mov_b32_e32 v98, v100
	v_mov_b32_e32 v99, v101
	v_mov_b32_e32 v100, v102
	v_mov_b32_e32 v102, v52
	v_mov_b32_e32 v101, v51
	v_mov_b32_e32 v51, v103
	v_mov_b32_e32 v52, v104
	v_mov_b32_e32 v103, v105
	v_mov_b32_e32 v104, v106
	v_mov_b32_e32 v105, v107
	v_mov_b32_e32 v106, v108
	v_mov_b32_e32 v107, v109
	v_mov_b32_e32 v108, v110
	v_mov_b32_e32 v109, v113
	v_mov_b32_e32 v110, v114
	v_mov_b32_e32 v113, v246
	v_mov_b32_e32 v114, v247
	v_mov_b32_e32 v246, v248
	v_mov_b32_e32 v247, v249
	v_mul_f64 v[47:48], v[45:46], v[43:44]
	v_mov_b32_e32 v248, v250
	v_mov_b32_e32 v249, v251
	;; [unrolled: 1-line block ×12, first 2 shown]
	v_fma_f64 v[40:41], -v[40:41], v[47:48], v[45:46]
	v_div_fmas_f64 v[40:41], v[40:41], v[43:44], v[47:48]
	v_mov_b32_e32 v48, v53
	v_mov_b32_e32 v49, v54
	;; [unrolled: 1-line block ×6, first 2 shown]
	v_div_fixup_f64 v[26:27], v[40:41], v[26:27], 1.0
	ds_write_b64 v1, v[26:27]
.LBB111_274:
	s_or_b32 exec_lo, exec_lo, s1
	s_waitcnt lgkmcnt(0)
	s_barrier
	buffer_gl0_inv
	ds_read_b64 v[40:41], v1
	s_mov_b32 s1, exec_lo
	v_cmpx_lt_u32_e32 54, v0
	s_cbranch_execz .LBB111_276
; %bb.275:
	s_waitcnt lgkmcnt(0)
	v_mul_f64 v[152:153], v[40:41], v[152:153]
	ds_read_b64 v[26:27], v42 offset:440
	s_waitcnt lgkmcnt(0)
	v_fma_f64 v[226:227], -v[152:153], v[26:27], v[226:227]
.LBB111_276:
	s_or_b32 exec_lo, exec_lo, s1
	s_mov_b32 s1, exec_lo
	s_waitcnt lgkmcnt(0)
	s_barrier
	buffer_gl0_inv
	v_cmpx_eq_u32_e32 55, v0
	s_cbranch_execz .LBB111_279
; %bb.277:
	v_cmp_neq_f64_e32 vcc_lo, 0, v[226:227]
	ds_write_b64 v1, v[226:227]
	s_and_b32 exec_lo, exec_lo, vcc_lo
	s_cbranch_execz .LBB111_279
; %bb.278:
	v_div_scale_f64 v[26:27], null, v[226:227], v[226:227], 1.0
	v_rcp_f64_e32 v[42:43], v[26:27]
	v_fma_f64 v[44:45], -v[26:27], v[42:43], 1.0
	v_fma_f64 v[42:43], v[42:43], v[44:45], v[42:43]
	v_fma_f64 v[44:45], -v[26:27], v[42:43], 1.0
	v_fma_f64 v[42:43], v[42:43], v[44:45], v[42:43]
	v_div_scale_f64 v[44:45], vcc_lo, 1.0, v[226:227], 1.0
	v_mul_f64 v[46:47], v[44:45], v[42:43]
	v_fma_f64 v[26:27], -v[26:27], v[46:47], v[44:45]
	v_div_fmas_f64 v[26:27], v[26:27], v[42:43], v[46:47]
	v_div_fixup_f64 v[26:27], v[26:27], v[226:227], 1.0
	ds_write_b64 v1, v[26:27]
.LBB111_279:
	s_or_b32 exec_lo, exec_lo, s1
	s_waitcnt lgkmcnt(0)
	s_barrier
	buffer_gl0_inv
	ds_read_b64 v[26:27], v1
	s_waitcnt lgkmcnt(0)
	s_barrier
	buffer_gl0_inv
	s_and_saveexec_b32 s1, s0
	s_cbranch_execz .LBB111_282
; %bb.280:
	v_cmp_eq_f64_e32 vcc_lo, 0, v[79:80]
	v_cmp_neq_f64_e64 s0, 0, v[81:82]
	s_load_dwordx2 s[2:3], s[4:5], 0x28
	v_cndmask_b32_e64 v1, 0, 1, vcc_lo
	s_or_b32 vcc_lo, s0, vcc_lo
	v_cndmask_b32_e32 v1, 2, v1, vcc_lo
	v_cmp_eq_f64_e32 vcc_lo, 0, v[83:84]
	v_cmp_eq_u32_e64 s0, 0, v1
	s_and_b32 s0, vcc_lo, s0
	v_cmp_eq_f64_e32 vcc_lo, 0, v[85:86]
	v_cndmask_b32_e64 v1, v1, 3, s0
	v_cmp_eq_u32_e64 s0, 0, v1
	s_and_b32 s0, vcc_lo, s0
	v_cmp_eq_f64_e32 vcc_lo, 0, v[87:88]
	v_cndmask_b32_e64 v1, v1, 4, s0
	;; [unrolled: 4-line block ×53, first 2 shown]
	v_cmp_eq_u32_e64 s0, 0, v1
	s_and_b32 s0, vcc_lo, s0
	v_cndmask_b32_e64 v4, v1, 56, s0
	v_lshlrev_b64 v[1:2], 2, v[2:3]
	v_cmp_ne_u32_e64 s0, 0, v4
	s_waitcnt lgkmcnt(0)
	v_add_co_u32 v1, vcc_lo, s2, v1
	v_add_co_ci_u32_e64 v2, null, s3, v2, vcc_lo
	global_load_dword v3, v[1:2], off
	s_waitcnt vmcnt(0)
	v_cmp_eq_u32_e32 vcc_lo, 0, v3
	s_and_b32 s0, vcc_lo, s0
	s_and_b32 exec_lo, exec_lo, s0
	s_cbranch_execz .LBB111_282
; %bb.281:
	v_add_nc_u32_e32 v3, s9, v4
	global_store_dword v[1:2], v3, off
.LBB111_282:
	s_or_b32 exec_lo, exec_lo, s1
	s_clause 0x1
	buffer_load_dword v3, off, s[12:15], 0 offset:136
	buffer_load_dword v4, off, s[12:15], 0 offset:140
	v_mul_f64 v[1:2], v[26:27], v[226:227]
	v_cmp_lt_u32_e32 vcc_lo, 55, v0
	v_cndmask_b32_e32 v2, v227, v2, vcc_lo
	v_cndmask_b32_e32 v1, v226, v1, vcc_lo
	s_waitcnt vmcnt(0)
	flat_store_dwordx2 v[3:4], v[188:189]
	s_clause 0x1
	buffer_load_dword v3, off, s[12:15], 0 offset:144
	buffer_load_dword v4, off, s[12:15], 0 offset:148
	s_waitcnt vmcnt(0)
	flat_store_dwordx2 v[3:4], v[206:207]
	s_clause 0x1
	buffer_load_dword v3, off, s[12:15], 0
	buffer_load_dword v4, off, s[12:15], 0 offset:4
	s_waitcnt vmcnt(0)
	flat_store_dwordx2 v[3:4], v[224:225]
	s_clause 0x1
	buffer_load_dword v3, off, s[12:15], 0 offset:8
	buffer_load_dword v4, off, s[12:15], 0 offset:12
	s_waitcnt vmcnt(0)
	flat_store_dwordx2 v[3:4], v[204:205]
	s_clause 0x1
	buffer_load_dword v3, off, s[12:15], 0 offset:16
	;; [unrolled: 5-line block ×44, first 2 shown]
	buffer_load_dword v4, off, s[12:15], 0 offset:372
	s_waitcnt vmcnt(0)
	flat_store_dwordx2 v[3:4], v[160:161]
	flat_store_dwordx2 v[61:62], v[122:123]
	flat_store_dwordx2 v[63:64], v[158:159]
	flat_store_dwordx2 v[65:66], v[120:121]
	flat_store_dwordx2 v[67:68], v[156:157]
	flat_store_dwordx2 v[69:70], v[118:119]
	flat_store_dwordx2 v[71:72], v[154:155]
	flat_store_dwordx2 v[73:74], v[116:117]
	flat_store_dwordx2 v[75:76], v[152:153]
	flat_store_dwordx2 v[77:78], v[1:2]
.LBB111_283:
	s_endpgm
	.section	.rodata,"a",@progbits
	.p2align	6, 0x0
	.amdhsa_kernel _ZN9rocsolver6v33100L23getf2_npvt_small_kernelILi56EdiiPKPdEEvT1_T3_lS5_lPT2_S5_S5_
		.amdhsa_group_segment_fixed_size 0
		.amdhsa_private_segment_fixed_size 380
		.amdhsa_kernarg_size 312
		.amdhsa_user_sgpr_count 6
		.amdhsa_user_sgpr_private_segment_buffer 1
		.amdhsa_user_sgpr_dispatch_ptr 0
		.amdhsa_user_sgpr_queue_ptr 0
		.amdhsa_user_sgpr_kernarg_segment_ptr 1
		.amdhsa_user_sgpr_dispatch_id 0
		.amdhsa_user_sgpr_flat_scratch_init 0
		.amdhsa_user_sgpr_private_segment_size 0
		.amdhsa_wavefront_size32 1
		.amdhsa_uses_dynamic_stack 0
		.amdhsa_system_sgpr_private_segment_wavefront_offset 1
		.amdhsa_system_sgpr_workgroup_id_x 1
		.amdhsa_system_sgpr_workgroup_id_y 1
		.amdhsa_system_sgpr_workgroup_id_z 0
		.amdhsa_system_sgpr_workgroup_info 0
		.amdhsa_system_vgpr_workitem_id 1
		.amdhsa_next_free_vgpr 256
		.amdhsa_next_free_sgpr 16
		.amdhsa_reserve_vcc 1
		.amdhsa_reserve_flat_scratch 1
		.amdhsa_float_round_mode_32 0
		.amdhsa_float_round_mode_16_64 0
		.amdhsa_float_denorm_mode_32 3
		.amdhsa_float_denorm_mode_16_64 3
		.amdhsa_dx10_clamp 1
		.amdhsa_ieee_mode 1
		.amdhsa_fp16_overflow 0
		.amdhsa_workgroup_processor_mode 1
		.amdhsa_memory_ordered 1
		.amdhsa_forward_progress 1
		.amdhsa_shared_vgpr_count 0
		.amdhsa_exception_fp_ieee_invalid_op 0
		.amdhsa_exception_fp_denorm_src 0
		.amdhsa_exception_fp_ieee_div_zero 0
		.amdhsa_exception_fp_ieee_overflow 0
		.amdhsa_exception_fp_ieee_underflow 0
		.amdhsa_exception_fp_ieee_inexact 0
		.amdhsa_exception_int_div_zero 0
	.end_amdhsa_kernel
	.section	.text._ZN9rocsolver6v33100L23getf2_npvt_small_kernelILi56EdiiPKPdEEvT1_T3_lS5_lPT2_S5_S5_,"axG",@progbits,_ZN9rocsolver6v33100L23getf2_npvt_small_kernelILi56EdiiPKPdEEvT1_T3_lS5_lPT2_S5_S5_,comdat
.Lfunc_end111:
	.size	_ZN9rocsolver6v33100L23getf2_npvt_small_kernelILi56EdiiPKPdEEvT1_T3_lS5_lPT2_S5_S5_, .Lfunc_end111-_ZN9rocsolver6v33100L23getf2_npvt_small_kernelILi56EdiiPKPdEEvT1_T3_lS5_lPT2_S5_S5_
                                        ; -- End function
	.set _ZN9rocsolver6v33100L23getf2_npvt_small_kernelILi56EdiiPKPdEEvT1_T3_lS5_lPT2_S5_S5_.num_vgpr, 256
	.set _ZN9rocsolver6v33100L23getf2_npvt_small_kernelILi56EdiiPKPdEEvT1_T3_lS5_lPT2_S5_S5_.num_agpr, 0
	.set _ZN9rocsolver6v33100L23getf2_npvt_small_kernelILi56EdiiPKPdEEvT1_T3_lS5_lPT2_S5_S5_.numbered_sgpr, 16
	.set _ZN9rocsolver6v33100L23getf2_npvt_small_kernelILi56EdiiPKPdEEvT1_T3_lS5_lPT2_S5_S5_.num_named_barrier, 0
	.set _ZN9rocsolver6v33100L23getf2_npvt_small_kernelILi56EdiiPKPdEEvT1_T3_lS5_lPT2_S5_S5_.private_seg_size, 380
	.set _ZN9rocsolver6v33100L23getf2_npvt_small_kernelILi56EdiiPKPdEEvT1_T3_lS5_lPT2_S5_S5_.uses_vcc, 1
	.set _ZN9rocsolver6v33100L23getf2_npvt_small_kernelILi56EdiiPKPdEEvT1_T3_lS5_lPT2_S5_S5_.uses_flat_scratch, 1
	.set _ZN9rocsolver6v33100L23getf2_npvt_small_kernelILi56EdiiPKPdEEvT1_T3_lS5_lPT2_S5_S5_.has_dyn_sized_stack, 0
	.set _ZN9rocsolver6v33100L23getf2_npvt_small_kernelILi56EdiiPKPdEEvT1_T3_lS5_lPT2_S5_S5_.has_recursion, 0
	.set _ZN9rocsolver6v33100L23getf2_npvt_small_kernelILi56EdiiPKPdEEvT1_T3_lS5_lPT2_S5_S5_.has_indirect_call, 0
	.section	.AMDGPU.csdata,"",@progbits
; Kernel info:
; codeLenInByte = 52580
; TotalNumSgprs: 18
; NumVgprs: 256
; ScratchSize: 380
; MemoryBound: 0
; FloatMode: 240
; IeeeMode: 1
; LDSByteSize: 0 bytes/workgroup (compile time only)
; SGPRBlocks: 0
; VGPRBlocks: 31
; NumSGPRsForWavesPerEU: 18
; NumVGPRsForWavesPerEU: 256
; Occupancy: 4
; WaveLimiterHint : 1
; COMPUTE_PGM_RSRC2:SCRATCH_EN: 1
; COMPUTE_PGM_RSRC2:USER_SGPR: 6
; COMPUTE_PGM_RSRC2:TRAP_HANDLER: 0
; COMPUTE_PGM_RSRC2:TGID_X_EN: 1
; COMPUTE_PGM_RSRC2:TGID_Y_EN: 1
; COMPUTE_PGM_RSRC2:TGID_Z_EN: 0
; COMPUTE_PGM_RSRC2:TIDIG_COMP_CNT: 1
	.section	.text._ZN9rocsolver6v33100L18getf2_small_kernelILi57EdiiPKPdEEvT1_T3_lS5_lPS5_llPT2_S5_S5_S7_l,"axG",@progbits,_ZN9rocsolver6v33100L18getf2_small_kernelILi57EdiiPKPdEEvT1_T3_lS5_lPS5_llPT2_S5_S5_S7_l,comdat
	.globl	_ZN9rocsolver6v33100L18getf2_small_kernelILi57EdiiPKPdEEvT1_T3_lS5_lPS5_llPT2_S5_S5_S7_l ; -- Begin function _ZN9rocsolver6v33100L18getf2_small_kernelILi57EdiiPKPdEEvT1_T3_lS5_lPS5_llPT2_S5_S5_S7_l
	.p2align	8
	.type	_ZN9rocsolver6v33100L18getf2_small_kernelILi57EdiiPKPdEEvT1_T3_lS5_lPS5_llPT2_S5_S5_S7_l,@function
_ZN9rocsolver6v33100L18getf2_small_kernelILi57EdiiPKPdEEvT1_T3_lS5_lPS5_llPT2_S5_S5_S7_l: ; @_ZN9rocsolver6v33100L18getf2_small_kernelILi57EdiiPKPdEEvT1_T3_lS5_lPS5_llPT2_S5_S5_S7_l
; %bb.0:
	s_clause 0x1
	s_load_dword s0, s[4:5], 0x6c
	s_load_dwordx2 s[12:13], s[4:5], 0x48
	s_waitcnt lgkmcnt(0)
	s_lshr_b32 s0, s0, 16
	v_mad_u64_u32 v[2:3], null, s7, s0, v[1:2]
	s_mov_b32 s0, exec_lo
	v_cmpx_gt_i32_e64 s12, v2
	s_cbranch_execz .LBB112_966
; %bb.1:
	s_clause 0x1
	s_load_dwordx4 s[0:3], s[4:5], 0x8
	s_load_dwordx4 s[8:11], s[4:5], 0x50
	v_ashrrev_i32_e32 v3, 31, v2
	v_lshlrev_b64 v[4:5], 3, v[2:3]
	s_waitcnt lgkmcnt(0)
	v_add_co_u32 v4, vcc_lo, s0, v4
	v_add_co_ci_u32_e64 v5, null, s1, v5, vcc_lo
	s_cmp_eq_u64 s[8:9], 0
	s_cselect_b32 s6, -1, 0
	global_load_dwordx2 v[6:7], v[4:5], off
	v_mov_b32_e32 v4, 0
	v_mov_b32_e32 v5, 0
	s_and_b32 vcc_lo, exec_lo, s6
	s_cbranch_vccnz .LBB112_3
; %bb.2:
	v_mul_lo_u32 v8, s11, v2
	v_mul_lo_u32 v9, s10, v3
	v_mad_u64_u32 v[4:5], null, s10, v2, 0
	v_add3_u32 v5, v5, v9, v8
	v_lshlrev_b64 v[4:5], 2, v[4:5]
	v_add_co_u32 v4, vcc_lo, s8, v4
	v_add_co_ci_u32_e64 v5, null, s9, v5, vcc_lo
.LBB112_3:
	s_clause 0x1
	s_load_dword s8, s[4:5], 0x18
	s_load_dword s7, s[4:5], 0x0
	s_lshl_b64 s[0:1], s[2:3], 3
	v_lshlrev_b32_e32 v176, 3, v0
	s_waitcnt vmcnt(0)
	v_add_co_u32 v124, vcc_lo, v6, s0
	v_add_co_ci_u32_e64 v125, null, s1, v7, vcc_lo
	s_waitcnt lgkmcnt(0)
	v_add3_u32 v8, s8, s8, v0
	s_ashr_i32 s9, s8, 31
	s_max_i32 s0, s7, 57
	s_lshl_b64 s[10:11], s[8:9], 3
	v_mul_lo_u32 v1, s0, v1
	v_add_nc_u32_e32 v10, s8, v8
	v_ashrrev_i32_e32 v9, 31, v8
	s_cmp_lt_i32 s7, 2
	v_ashrrev_i32_e32 v11, 31, v10
	v_add_nc_u32_e32 v12, s8, v10
	v_lshlrev_b64 v[8:9], 3, v[8:9]
	v_lshlrev_b64 v[6:7], 3, v[10:11]
	v_add_nc_u32_e32 v10, s8, v12
	v_ashrrev_i32_e32 v13, 31, v12
	v_add_co_u32 v8, vcc_lo, v124, v8
	v_add_co_ci_u32_e64 v9, null, v125, v9, vcc_lo
	v_add_nc_u32_e32 v14, s8, v10
	v_ashrrev_i32_e32 v11, 31, v10
	v_lshlrev_b64 v[12:13], 3, v[12:13]
	v_add_co_u32 v6, vcc_lo, v124, v6
	v_add_nc_u32_e32 v16, s8, v14
	v_ashrrev_i32_e32 v15, 31, v14
	v_lshlrev_b64 v[10:11], 3, v[10:11]
	v_add_co_ci_u32_e64 v7, null, v125, v7, vcc_lo
	v_add_nc_u32_e32 v18, s8, v16
	v_ashrrev_i32_e32 v17, 31, v16
	v_lshlrev_b64 v[14:15], 3, v[14:15]
	v_add_co_u32 v12, vcc_lo, v124, v12
	v_add_nc_u32_e32 v20, s8, v18
	v_ashrrev_i32_e32 v19, 31, v18
	v_lshlrev_b64 v[16:17], 3, v[16:17]
	v_add_co_ci_u32_e64 v13, null, v125, v13, vcc_lo
	v_add_nc_u32_e32 v22, s8, v20
	v_ashrrev_i32_e32 v21, 31, v20
	v_add_co_u32 v10, vcc_lo, v124, v10
	v_lshlrev_b64 v[18:19], 3, v[18:19]
	v_add_nc_u32_e32 v24, s8, v22
	v_ashrrev_i32_e32 v23, 31, v22
	v_add_co_ci_u32_e64 v11, null, v125, v11, vcc_lo
	v_add_co_u32 v14, vcc_lo, v124, v14
	v_add_nc_u32_e32 v26, s8, v24
	v_ashrrev_i32_e32 v25, 31, v24
	v_lshlrev_b64 v[20:21], 3, v[20:21]
	v_add_co_ci_u32_e64 v15, null, v125, v15, vcc_lo
	v_add_nc_u32_e32 v28, s8, v26
	v_ashrrev_i32_e32 v27, 31, v26
	v_add_co_u32 v16, vcc_lo, v124, v16
	v_lshlrev_b64 v[22:23], 3, v[22:23]
	v_add_nc_u32_e32 v30, s8, v28
	v_ashrrev_i32_e32 v29, 31, v28
	v_add_co_ci_u32_e64 v17, null, v125, v17, vcc_lo
	v_add_co_u32 v18, vcc_lo, v124, v18
	v_add_nc_u32_e32 v32, s8, v30
	v_lshlrev_b64 v[24:25], 3, v[24:25]
	v_ashrrev_i32_e32 v31, 31, v30
	v_add_co_ci_u32_e64 v19, null, v125, v19, vcc_lo
	v_add_nc_u32_e32 v34, s8, v32
	v_add_co_u32 v20, vcc_lo, v124, v20
	v_lshlrev_b64 v[26:27], 3, v[26:27]
	v_ashrrev_i32_e32 v33, 31, v32
	v_add_nc_u32_e32 v36, s8, v34
	v_add_co_ci_u32_e64 v21, null, v125, v21, vcc_lo
	v_add_co_u32 v22, vcc_lo, v124, v22
	v_add_nc_u32_e32 v38, s8, v36
	v_lshlrev_b64 v[28:29], 3, v[28:29]
	v_ashrrev_i32_e32 v35, 31, v34
	v_add_co_ci_u32_e64 v23, null, v125, v23, vcc_lo
	v_add_nc_u32_e32 v40, s8, v38
	v_add_co_u32 v24, vcc_lo, v124, v24
	v_lshlrev_b64 v[30:31], 3, v[30:31]
	v_ashrrev_i32_e32 v37, 31, v36
	v_add_nc_u32_e32 v42, s8, v40
	;; [unrolled: 11-line block ×4, first 2 shown]
	v_add_co_ci_u32_e64 v33, null, v125, v33, vcc_lo
	v_add_co_u32 v34, vcc_lo, v124, v34
	v_add_nc_u32_e32 v56, s8, v54
	v_lshlrev_b64 v[40:41], 3, v[40:41]
	v_ashrrev_i32_e32 v47, 31, v46
	v_add_co_ci_u32_e64 v35, null, v125, v35, vcc_lo
	v_add_co_u32 v36, vcc_lo, v124, v36
	v_lshlrev_b64 v[42:43], 3, v[42:43]
	v_ashrrev_i32_e32 v49, 31, v48
	v_add_nc_u32_e32 v58, s8, v56
	v_add_co_ci_u32_e64 v37, null, v125, v37, vcc_lo
	v_add_co_u32 v38, vcc_lo, v124, v38
	v_lshlrev_b64 v[44:45], 3, v[44:45]
	v_ashrrev_i32_e32 v51, 31, v50
	v_add_co_ci_u32_e64 v39, null, v125, v39, vcc_lo
	v_add_co_u32 v40, vcc_lo, v124, v40
	v_lshlrev_b64 v[46:47], 3, v[46:47]
	v_ashrrev_i32_e32 v53, 31, v52
	v_add_co_ci_u32_e64 v41, null, v125, v41, vcc_lo
	v_add_co_u32 v42, vcc_lo, v124, v42
	v_lshlrev_b64 v[48:49], 3, v[48:49]
	v_add_nc_u32_e32 v60, s8, v58
	v_ashrrev_i32_e32 v55, 31, v54
	v_add_co_ci_u32_e64 v43, null, v125, v43, vcc_lo
	v_add_co_u32 v44, vcc_lo, v124, v44
	v_lshlrev_b64 v[50:51], 3, v[50:51]
	v_ashrrev_i32_e32 v57, 31, v56
	v_add_co_ci_u32_e64 v45, null, v125, v45, vcc_lo
	v_add_co_u32 v46, vcc_lo, v124, v46
	v_lshlrev_b64 v[52:53], 3, v[52:53]
	v_ashrrev_i32_e32 v59, 31, v58
	v_add_nc_u32_e32 v62, s8, v60
	v_add_co_ci_u32_e64 v47, null, v125, v47, vcc_lo
	v_add_co_u32 v48, vcc_lo, v124, v48
	v_lshlrev_b64 v[54:55], 3, v[54:55]
	v_ashrrev_i32_e32 v61, 31, v60
	v_add_co_ci_u32_e64 v49, null, v125, v49, vcc_lo
	v_add_co_u32 v50, vcc_lo, v124, v50
	v_lshlrev_b64 v[56:57], 3, v[56:57]
	v_add_co_ci_u32_e64 v51, null, v125, v51, vcc_lo
	v_add_co_u32 v52, vcc_lo, v124, v52
	v_lshlrev_b64 v[58:59], 3, v[58:59]
	v_add_nc_u32_e32 v64, s8, v62
	v_add_co_ci_u32_e64 v53, null, v125, v53, vcc_lo
	v_add_co_u32 v54, vcc_lo, v124, v54
	v_lshlrev_b64 v[60:61], 3, v[60:61]
	v_ashrrev_i32_e32 v63, 31, v62
	v_add_co_ci_u32_e64 v55, null, v125, v55, vcc_lo
	v_add_co_u32 v56, vcc_lo, v124, v56
	v_ashrrev_i32_e32 v65, 31, v64
	v_add_nc_u32_e32 v66, s8, v64
	v_add_co_ci_u32_e64 v57, null, v125, v57, vcc_lo
	v_add_co_u32 v58, vcc_lo, v124, v58
	v_lshlrev_b64 v[62:63], 3, v[62:63]
	v_add_co_ci_u32_e64 v59, null, v125, v59, vcc_lo
	v_add_co_u32 v118, vcc_lo, v124, v60
	v_add_co_ci_u32_e64 v119, null, v125, v61, vcc_lo
	v_lshlrev_b64 v[60:61], 3, v[64:65]
	v_ashrrev_i32_e32 v67, 31, v66
	v_add_nc_u32_e32 v64, s8, v66
	v_add_co_u32 v120, vcc_lo, v124, v62
	v_add_co_ci_u32_e64 v121, null, v125, v63, vcc_lo
	v_lshlrev_b64 v[62:63], 3, v[66:67]
	v_ashrrev_i32_e32 v65, 31, v64
	v_add_nc_u32_e32 v66, s8, v64
	;; [unrolled: 5-line block ×22, first 2 shown]
	v_add_co_u32 v164, vcc_lo, v124, v60
	v_add_co_ci_u32_e64 v165, null, v125, v61, vcc_lo
	v_lshlrev_b64 v[60:61], 3, v[64:65]
	v_add_nc_u32_e32 v64, s8, v66
	v_ashrrev_i32_e32 v67, 31, v66
	v_add_co_u32 v166, vcc_lo, v124, v62
	v_add_co_ci_u32_e64 v167, null, v125, v63, vcc_lo
	v_ashrrev_i32_e32 v65, 31, v64
	v_lshlrev_b64 v[62:63], 3, v[66:67]
	v_add_co_u32 v168, vcc_lo, v124, v60
	v_add_co_ci_u32_e64 v169, null, v125, v61, vcc_lo
	v_lshlrev_b64 v[60:61], 3, v[64:65]
	v_add_nc_u32_e32 v64, s8, v64
	v_add_co_u32 v170, vcc_lo, v124, v62
	v_add_co_ci_u32_e64 v171, null, v125, v63, vcc_lo
	v_ashrrev_i32_e32 v65, 31, v64
	v_add_co_u32 v172, vcc_lo, v124, v60
	v_add_co_ci_u32_e64 v173, null, v125, v61, vcc_lo
	v_add_co_u32 v62, vcc_lo, v124, v176
	v_add_co_ci_u32_e64 v63, null, 0, v125, vcc_lo
	v_lshlrev_b64 v[60:61], 3, v[64:65]
	v_add_co_u32 v64, vcc_lo, v62, s10
	v_add_co_ci_u32_e64 v65, null, s11, v63, vcc_lo
	v_add_co_u32 v174, vcc_lo, v124, v60
	v_add_co_ci_u32_e64 v175, null, v125, v61, vcc_lo
	s_clause 0x38
	flat_load_dwordx2 v[116:117], v[62:63]
	flat_load_dwordx2 v[114:115], v[64:65]
	;; [unrolled: 1-line block ×57, first 2 shown]
	v_lshl_add_u32 v126, v1, 3, 0
	v_lshlrev_b32_e32 v127, 3, v1
	v_mov_b32_e32 v122, 0
	v_add_nc_u32_e32 v120, v126, v176
	s_waitcnt vmcnt(56) lgkmcnt(56)
	ds_write_b64 v120, v[116:117]
	s_waitcnt vmcnt(0) lgkmcnt(0)
	s_barrier
	buffer_gl0_inv
	ds_read_b64 v[120:121], v126
	s_cbranch_scc1 .LBB112_6
; %bb.4:
	v_add3_u32 v1, v127, 0, 8
	v_mov_b32_e32 v122, 0
	s_mov_b32 s0, 1
.LBB112_5:                              ; =>This Inner Loop Header: Depth=1
	ds_read_b64 v[128:129], v1
	v_add_nc_u32_e32 v1, 8, v1
	s_waitcnt lgkmcnt(0)
	v_cmp_lt_f64_e64 vcc_lo, |v[120:121]|, |v[128:129]|
	v_cndmask_b32_e32 v121, v121, v129, vcc_lo
	v_cndmask_b32_e32 v120, v120, v128, vcc_lo
	v_cndmask_b32_e64 v122, v122, s0, vcc_lo
	s_add_i32 s0, s0, 1
	s_cmp_eq_u32 s7, s0
	s_cbranch_scc0 .LBB112_5
.LBB112_6:
	s_mov_b32 s0, exec_lo
                                        ; implicit-def: $vgpr129
	v_cmpx_ne_u32_e64 v0, v122
	s_xor_b32 s0, exec_lo, s0
	s_cbranch_execz .LBB112_12
; %bb.7:
	s_mov_b32 s1, exec_lo
	v_cmpx_eq_u32_e32 0, v0
	s_cbranch_execz .LBB112_11
; %bb.8:
	v_cmp_ne_u32_e32 vcc_lo, 0, v122
	s_xor_b32 s2, s6, -1
	s_and_b32 s3, s2, vcc_lo
	s_and_saveexec_b32 s2, s3
	s_cbranch_execz .LBB112_10
; %bb.9:
	v_ashrrev_i32_e32 v123, 31, v122
	v_lshlrev_b64 v[0:1], 2, v[122:123]
	v_add_co_u32 v0, vcc_lo, v4, v0
	v_add_co_ci_u32_e64 v1, null, v5, v1, vcc_lo
	s_clause 0x1
	global_load_dword v123, v[0:1], off
	global_load_dword v128, v[4:5], off
	s_waitcnt vmcnt(1)
	global_store_dword v[4:5], v123, off
	s_waitcnt vmcnt(0)
	global_store_dword v[0:1], v128, off
.LBB112_10:
	s_or_b32 exec_lo, exec_lo, s2
	v_mov_b32_e32 v0, v122
.LBB112_11:
	s_or_b32 exec_lo, exec_lo, s1
	v_mov_b32_e32 v129, v0
                                        ; implicit-def: $vgpr0
.LBB112_12:
	s_or_saveexec_b32 s0, s0
	v_mov_b32_e32 v128, v129
	s_xor_b32 exec_lo, exec_lo, s0
	s_cbranch_execz .LBB112_14
; %bb.13:
	v_mov_b32_e32 v129, 0
	v_mov_b32_e32 v128, v0
	ds_write2_b64 v126, v[114:115], v[112:113] offset0:1 offset1:2
	ds_write2_b64 v126, v[108:109], v[110:111] offset0:3 offset1:4
	;; [unrolled: 1-line block ×28, first 2 shown]
.LBB112_14:
	s_or_b32 exec_lo, exec_lo, s0
	s_waitcnt lgkmcnt(0)
	v_cmp_eq_f64_e64 s0, 0, v[120:121]
	s_mov_b32 s1, exec_lo
	s_waitcnt_vscnt null, 0x0
	s_barrier
	buffer_gl0_inv
	v_cmpx_lt_i32_e32 0, v129
	s_cbranch_execz .LBB112_16
; %bb.15:
	v_div_scale_f64 v[0:1], null, v[120:121], v[120:121], 1.0
	v_div_scale_f64 v[132:133], vcc_lo, 1.0, v[120:121], 1.0
	v_rcp_f64_e32 v[122:123], v[0:1]
	v_fma_f64 v[130:131], -v[0:1], v[122:123], 1.0
	v_fma_f64 v[122:123], v[122:123], v[130:131], v[122:123]
	v_fma_f64 v[130:131], -v[0:1], v[122:123], 1.0
	v_fma_f64 v[122:123], v[122:123], v[130:131], v[122:123]
	v_mul_f64 v[130:131], v[132:133], v[122:123]
	v_fma_f64 v[0:1], -v[0:1], v[130:131], v[132:133]
	v_div_fmas_f64 v[0:1], v[0:1], v[122:123], v[130:131]
	v_div_fixup_f64 v[0:1], v[0:1], v[120:121], 1.0
	v_cndmask_b32_e64 v1, v1, v121, s0
	v_cndmask_b32_e64 v0, v0, v120, s0
	ds_read2_b64 v[120:123], v126 offset0:1 offset1:2
	ds_read2_b64 v[130:133], v126 offset0:3 offset1:4
	;; [unrolled: 1-line block ×18, first 2 shown]
	v_mul_f64 v[116:117], v[0:1], v[116:117]
	s_waitcnt lgkmcnt(17)
	v_fma_f64 v[114:115], -v[116:117], v[120:121], v[114:115]
	v_fma_f64 v[112:113], -v[116:117], v[122:123], v[112:113]
	s_waitcnt lgkmcnt(16)
	v_fma_f64 v[108:109], -v[116:117], v[130:131], v[108:109]
	v_fma_f64 v[110:111], -v[116:117], v[132:133], v[110:111]
	ds_read2_b64 v[120:123], v126 offset0:37 offset1:38
	ds_read2_b64 v[130:133], v126 offset0:39 offset1:40
	s_waitcnt lgkmcnt(17)
	v_fma_f64 v[104:105], -v[116:117], v[134:135], v[104:105]
	v_fma_f64 v[106:107], -v[116:117], v[136:137], v[106:107]
	s_waitcnt lgkmcnt(16)
	v_fma_f64 v[102:103], -v[116:117], v[138:139], v[102:103]
	v_fma_f64 v[100:101], -v[116:117], v[140:141], v[100:101]
	ds_read2_b64 v[134:137], v126 offset0:41 offset1:42
	ds_read2_b64 v[138:141], v126 offset0:43 offset1:44
	;; [unrolled: 8-line block ×5, first 2 shown]
	s_waitcnt lgkmcnt(17)
	v_fma_f64 v[74:75], -v[116:117], v[166:167], v[74:75]
	v_fma_f64 v[72:73], -v[116:117], v[168:169], v[72:73]
	s_waitcnt lgkmcnt(16)
	v_fma_f64 v[68:69], -v[116:117], v[170:171], v[68:69]
	v_fma_f64 v[70:71], -v[116:117], v[172:173], v[70:71]
	;; [unrolled: 3-line block ×18, first 2 shown]
.LBB112_16:
	s_or_b32 exec_lo, exec_lo, s1
	v_lshl_add_u32 v0, v129, 3, v126
	s_barrier
	buffer_gl0_inv
	v_mov_b32_e32 v120, 1
	ds_write_b64 v0, v[114:115]
	s_waitcnt lgkmcnt(0)
	s_barrier
	buffer_gl0_inv
	ds_read_b64 v[0:1], v126 offset:8
	s_cmp_lt_i32 s7, 3
	s_cbranch_scc1 .LBB112_19
; %bb.17:
	v_add3_u32 v121, v127, 0, 16
	v_mov_b32_e32 v120, 1
	s_mov_b32 s1, 2
.LBB112_18:                             ; =>This Inner Loop Header: Depth=1
	ds_read_b64 v[122:123], v121
	v_add_nc_u32_e32 v121, 8, v121
	s_waitcnt lgkmcnt(0)
	v_cmp_lt_f64_e64 vcc_lo, |v[0:1]|, |v[122:123]|
	v_cndmask_b32_e32 v1, v1, v123, vcc_lo
	v_cndmask_b32_e32 v0, v0, v122, vcc_lo
	v_cndmask_b32_e64 v120, v120, s1, vcc_lo
	s_add_i32 s1, s1, 1
	s_cmp_lg_u32 s7, s1
	s_cbranch_scc1 .LBB112_18
.LBB112_19:
	s_mov_b32 s1, exec_lo
	v_cmpx_ne_u32_e64 v129, v120
	s_xor_b32 s1, exec_lo, s1
	s_cbranch_execz .LBB112_25
; %bb.20:
	s_mov_b32 s2, exec_lo
	v_cmpx_eq_u32_e32 1, v129
	s_cbranch_execz .LBB112_24
; %bb.21:
	v_cmp_ne_u32_e32 vcc_lo, 1, v120
	s_xor_b32 s3, s6, -1
	s_and_b32 s9, s3, vcc_lo
	s_and_saveexec_b32 s3, s9
	s_cbranch_execz .LBB112_23
; %bb.22:
	v_ashrrev_i32_e32 v121, 31, v120
	v_lshlrev_b64 v[121:122], 2, v[120:121]
	v_add_co_u32 v121, vcc_lo, v4, v121
	v_add_co_ci_u32_e64 v122, null, v5, v122, vcc_lo
	s_clause 0x1
	global_load_dword v123, v[121:122], off
	global_load_dword v128, v[4:5], off offset:4
	s_waitcnt vmcnt(1)
	global_store_dword v[4:5], v123, off offset:4
	s_waitcnt vmcnt(0)
	global_store_dword v[121:122], v128, off
.LBB112_23:
	s_or_b32 exec_lo, exec_lo, s3
	v_mov_b32_e32 v128, v120
	v_mov_b32_e32 v129, v120
.LBB112_24:
	s_or_b32 exec_lo, exec_lo, s2
.LBB112_25:
	s_andn2_saveexec_b32 s1, s1
	s_cbranch_execz .LBB112_27
; %bb.26:
	v_mov_b32_e32 v120, v112
	v_mov_b32_e32 v121, v113
	;; [unrolled: 1-line block ×12, first 2 shown]
	ds_write2_b64 v126, v[120:121], v[122:123] offset0:2 offset1:3
	ds_write2_b64 v126, v[129:130], v[131:132] offset0:4 offset1:5
	ds_write2_b64 v126, v[133:134], v[135:136] offset0:6 offset1:7
	v_mov_b32_e32 v120, v100
	v_mov_b32_e32 v121, v101
	v_mov_b32_e32 v122, v98
	v_mov_b32_e32 v123, v99
	v_mov_b32_e32 v129, v96
	v_mov_b32_e32 v130, v97
	v_mov_b32_e32 v131, v94
	v_mov_b32_e32 v132, v95
	v_mov_b32_e32 v133, v92
	v_mov_b32_e32 v134, v93
	v_mov_b32_e32 v135, v88
	v_mov_b32_e32 v136, v89
	v_mov_b32_e32 v137, v90
	v_mov_b32_e32 v138, v91
	v_mov_b32_e32 v139, v84
	v_mov_b32_e32 v140, v85
	v_mov_b32_e32 v141, v86
	v_mov_b32_e32 v142, v87
	v_mov_b32_e32 v143, v82
	v_mov_b32_e32 v144, v83
	ds_write2_b64 v126, v[120:121], v[122:123] offset0:8 offset1:9
	ds_write2_b64 v126, v[129:130], v[131:132] offset0:10 offset1:11
	ds_write2_b64 v126, v[133:134], v[135:136] offset0:12 offset1:13
	ds_write2_b64 v126, v[137:138], v[139:140] offset0:14 offset1:15
	ds_write2_b64 v126, v[141:142], v[143:144] offset0:16 offset1:17
	v_mov_b32_e32 v120, v80
	v_mov_b32_e32 v121, v81
	v_mov_b32_e32 v122, v78
	v_mov_b32_e32 v123, v79
	v_mov_b32_e32 v129, v76
	v_mov_b32_e32 v130, v77
	v_mov_b32_e32 v131, v74
	v_mov_b32_e32 v132, v75
	v_mov_b32_e32 v133, v72
	v_mov_b32_e32 v134, v73
	v_mov_b32_e32 v135, v68
	v_mov_b32_e32 v136, v69
	v_mov_b32_e32 v137, v70
	v_mov_b32_e32 v138, v71
	v_mov_b32_e32 v139, v64
	v_mov_b32_e32 v140, v65
	v_mov_b32_e32 v141, v66
	v_mov_b32_e32 v142, v67
	v_mov_b32_e32 v143, v62
	v_mov_b32_e32 v144, v63
	ds_write2_b64 v126, v[120:121], v[122:123] offset0:18 offset1:19
	ds_write2_b64 v126, v[129:130], v[131:132] offset0:20 offset1:21
	;; [unrolled: 25-line block ×4, first 2 shown]
	ds_write2_b64 v126, v[133:134], v[135:136] offset0:42 offset1:43
	ds_write2_b64 v126, v[137:138], v[139:140] offset0:44 offset1:45
	;; [unrolled: 1-line block ×3, first 2 shown]
	v_mov_b32_e32 v120, v20
	v_mov_b32_e32 v121, v21
	;; [unrolled: 1-line block ×17, first 2 shown]
	ds_write2_b64 v126, v[120:121], v[122:123] offset0:48 offset1:49
	ds_write2_b64 v126, v[130:131], v[132:133] offset0:50 offset1:51
	;; [unrolled: 1-line block ×4, first 2 shown]
	ds_write_b64 v126, v[118:119] offset:448
.LBB112_27:
	s_or_b32 exec_lo, exec_lo, s1
	s_waitcnt lgkmcnt(0)
	v_cmp_neq_f64_e64 s1, 0, v[0:1]
	s_mov_b32 s2, exec_lo
	s_waitcnt_vscnt null, 0x0
	s_barrier
	buffer_gl0_inv
	v_cmpx_lt_i32_e32 1, v129
	s_cbranch_execz .LBB112_29
; %bb.28:
	v_div_scale_f64 v[120:121], null, v[0:1], v[0:1], 1.0
	v_div_scale_f64 v[132:133], vcc_lo, 1.0, v[0:1], 1.0
	v_rcp_f64_e32 v[122:123], v[120:121]
	v_fma_f64 v[130:131], -v[120:121], v[122:123], 1.0
	v_fma_f64 v[122:123], v[122:123], v[130:131], v[122:123]
	v_fma_f64 v[130:131], -v[120:121], v[122:123], 1.0
	v_fma_f64 v[122:123], v[122:123], v[130:131], v[122:123]
	v_mul_f64 v[130:131], v[132:133], v[122:123]
	v_fma_f64 v[120:121], -v[120:121], v[130:131], v[132:133]
	v_div_fmas_f64 v[120:121], v[120:121], v[122:123], v[130:131]
	v_div_fixup_f64 v[134:135], v[120:121], v[0:1], 1.0
	ds_read2_b64 v[120:123], v126 offset0:2 offset1:3
	ds_read2_b64 v[130:133], v126 offset0:4 offset1:5
	v_cndmask_b32_e64 v1, v1, v135, s1
	v_cndmask_b32_e64 v0, v0, v134, s1
	ds_read2_b64 v[134:137], v126 offset0:6 offset1:7
	ds_read2_b64 v[138:141], v126 offset0:8 offset1:9
	;; [unrolled: 1-line block ×4, first 2 shown]
	v_mul_f64 v[114:115], v[0:1], v[114:115]
	ds_read2_b64 v[150:153], v126 offset0:14 offset1:15
	ds_read2_b64 v[154:157], v126 offset0:16 offset1:17
	;; [unrolled: 1-line block ×21, first 2 shown]
	ds_read_b64 v[0:1], v126 offset:448
	s_waitcnt lgkmcnt(27)
	v_fma_f64 v[112:113], -v[114:115], v[120:121], v[112:113]
	v_fma_f64 v[108:109], -v[114:115], v[122:123], v[108:109]
	s_waitcnt lgkmcnt(26)
	v_fma_f64 v[110:111], -v[114:115], v[130:131], v[110:111]
	v_fma_f64 v[104:105], -v[114:115], v[132:133], v[104:105]
	;; [unrolled: 3-line block ×27, first 2 shown]
	s_waitcnt lgkmcnt(0)
	v_fma_f64 v[118:119], -v[114:115], v[0:1], v[118:119]
.LBB112_29:
	s_or_b32 exec_lo, exec_lo, s2
	v_lshl_add_u32 v0, v129, 3, v126
	s_barrier
	buffer_gl0_inv
	v_mov_b32_e32 v120, 2
	ds_write_b64 v0, v[112:113]
	s_waitcnt lgkmcnt(0)
	s_barrier
	buffer_gl0_inv
	ds_read_b64 v[0:1], v126 offset:16
	s_cmp_lt_i32 s7, 4
	s_mov_b32 s2, 3
	s_cbranch_scc1 .LBB112_32
; %bb.30:
	v_add3_u32 v121, v127, 0, 24
	v_mov_b32_e32 v120, 2
.LBB112_31:                             ; =>This Inner Loop Header: Depth=1
	ds_read_b64 v[122:123], v121
	v_add_nc_u32_e32 v121, 8, v121
	s_waitcnt lgkmcnt(0)
	v_cmp_lt_f64_e64 vcc_lo, |v[0:1]|, |v[122:123]|
	v_cndmask_b32_e32 v1, v1, v123, vcc_lo
	v_cndmask_b32_e32 v0, v0, v122, vcc_lo
	v_cndmask_b32_e64 v120, v120, s2, vcc_lo
	s_add_i32 s2, s2, 1
	s_cmp_lg_u32 s7, s2
	s_cbranch_scc1 .LBB112_31
.LBB112_32:
	v_cndmask_b32_e64 v121, 2, 1, s0
	v_cndmask_b32_e64 v122, 0, 1, s0
	s_mov_b32 s0, exec_lo
	v_cndmask_b32_e64 v123, v121, v122, s1
	s_waitcnt lgkmcnt(0)
	v_cmpx_eq_f64_e32 0, v[0:1]
	s_xor_b32 s0, exec_lo, s0
; %bb.33:
	v_cmp_ne_u32_e32 vcc_lo, 0, v123
	v_cndmask_b32_e32 v123, 3, v123, vcc_lo
; %bb.34:
	s_andn2_saveexec_b32 s0, s0
	s_cbranch_execz .LBB112_36
; %bb.35:
	v_div_scale_f64 v[121:122], null, v[0:1], v[0:1], 1.0
	v_rcp_f64_e32 v[130:131], v[121:122]
	v_fma_f64 v[132:133], -v[121:122], v[130:131], 1.0
	v_fma_f64 v[130:131], v[130:131], v[132:133], v[130:131]
	v_fma_f64 v[132:133], -v[121:122], v[130:131], 1.0
	v_fma_f64 v[130:131], v[130:131], v[132:133], v[130:131]
	v_div_scale_f64 v[132:133], vcc_lo, 1.0, v[0:1], 1.0
	v_mul_f64 v[134:135], v[132:133], v[130:131]
	v_fma_f64 v[121:122], -v[121:122], v[134:135], v[132:133]
	v_div_fmas_f64 v[121:122], v[121:122], v[130:131], v[134:135]
	v_div_fixup_f64 v[0:1], v[121:122], v[0:1], 1.0
.LBB112_36:
	s_or_b32 exec_lo, exec_lo, s0
	s_mov_b32 s0, exec_lo
	v_cmpx_ne_u32_e64 v129, v120
	s_xor_b32 s0, exec_lo, s0
	s_cbranch_execz .LBB112_42
; %bb.37:
	s_mov_b32 s1, exec_lo
	v_cmpx_eq_u32_e32 2, v129
	s_cbranch_execz .LBB112_41
; %bb.38:
	v_cmp_ne_u32_e32 vcc_lo, 2, v120
	s_xor_b32 s2, s6, -1
	s_and_b32 s3, s2, vcc_lo
	s_and_saveexec_b32 s2, s3
	s_cbranch_execz .LBB112_40
; %bb.39:
	v_ashrrev_i32_e32 v121, 31, v120
	v_lshlrev_b64 v[121:122], 2, v[120:121]
	v_add_co_u32 v121, vcc_lo, v4, v121
	v_add_co_ci_u32_e64 v122, null, v5, v122, vcc_lo
	s_clause 0x1
	global_load_dword v128, v[121:122], off
	global_load_dword v129, v[4:5], off offset:8
	s_waitcnt vmcnt(1)
	global_store_dword v[4:5], v128, off offset:8
	s_waitcnt vmcnt(0)
	global_store_dword v[121:122], v129, off
.LBB112_40:
	s_or_b32 exec_lo, exec_lo, s2
	v_mov_b32_e32 v128, v120
	v_mov_b32_e32 v129, v120
.LBB112_41:
	s_or_b32 exec_lo, exec_lo, s1
.LBB112_42:
	s_andn2_saveexec_b32 s0, s0
	s_cbranch_execz .LBB112_44
; %bb.43:
	v_mov_b32_e32 v129, 2
	ds_write2_b64 v126, v[108:109], v[110:111] offset0:3 offset1:4
	ds_write2_b64 v126, v[104:105], v[106:107] offset0:5 offset1:6
	;; [unrolled: 1-line block ×27, first 2 shown]
.LBB112_44:
	s_or_b32 exec_lo, exec_lo, s0
	s_mov_b32 s0, exec_lo
	s_waitcnt lgkmcnt(0)
	s_waitcnt_vscnt null, 0x0
	s_barrier
	buffer_gl0_inv
	v_cmpx_lt_i32_e32 2, v129
	s_cbranch_execz .LBB112_46
; %bb.45:
	v_mul_f64 v[112:113], v[0:1], v[112:113]
	ds_read2_b64 v[130:133], v126 offset0:3 offset1:4
	ds_read2_b64 v[134:137], v126 offset0:5 offset1:6
	;; [unrolled: 1-line block ×12, first 2 shown]
	s_waitcnt lgkmcnt(11)
	v_fma_f64 v[108:109], -v[112:113], v[130:131], v[108:109]
	v_fma_f64 v[110:111], -v[112:113], v[132:133], v[110:111]
	s_waitcnt lgkmcnt(10)
	v_fma_f64 v[104:105], -v[112:113], v[134:135], v[104:105]
	v_fma_f64 v[106:107], -v[112:113], v[136:137], v[106:107]
	;; [unrolled: 3-line block ×4, first 2 shown]
	ds_read2_b64 v[130:133], v126 offset0:27 offset1:28
	ds_read2_b64 v[134:137], v126 offset0:29 offset1:30
	;; [unrolled: 1-line block ×4, first 2 shown]
	s_waitcnt lgkmcnt(11)
	v_fma_f64 v[94:95], -v[112:113], v[146:147], v[94:95]
	v_fma_f64 v[92:93], -v[112:113], v[148:149], v[92:93]
	s_waitcnt lgkmcnt(10)
	v_fma_f64 v[88:89], -v[112:113], v[150:151], v[88:89]
	v_fma_f64 v[90:91], -v[112:113], v[152:153], v[90:91]
	;; [unrolled: 3-line block ×6, first 2 shown]
	s_waitcnt lgkmcnt(5)
	v_fma_f64 v[68:69], -v[112:113], v[170:171], v[68:69]
	ds_read2_b64 v[146:149], v126 offset0:35 offset1:36
	ds_read2_b64 v[150:153], v126 offset0:37 offset1:38
	v_fma_f64 v[70:71], -v[112:113], v[172:173], v[70:71]
	s_waitcnt lgkmcnt(5)
	v_fma_f64 v[62:63], -v[112:113], v[130:131], v[62:63]
	ds_read2_b64 v[154:157], v126 offset0:39 offset1:40
	v_fma_f64 v[60:61], -v[112:113], v[132:133], v[60:61]
	ds_read2_b64 v[130:133], v126 offset0:41 offset1:42
	s_waitcnt lgkmcnt(6)
	v_fma_f64 v[58:59], -v[112:113], v[134:135], v[58:59]
	ds_read2_b64 v[158:161], v126 offset0:43 offset1:44
	v_fma_f64 v[56:57], -v[112:113], v[136:137], v[56:57]
	ds_read2_b64 v[134:137], v126 offset0:45 offset1:46
	;; [unrolled: 5-line block ×4, first 2 shown]
	ds_read2_b64 v[170:173], v126 offset0:55 offset1:56
	v_fma_f64 v[64:65], -v[112:113], v[174:175], v[64:65]
	v_fma_f64 v[66:67], -v[112:113], v[176:177], v[66:67]
	s_waitcnt lgkmcnt(10)
	v_fma_f64 v[44:45], -v[112:113], v[146:147], v[44:45]
	v_fma_f64 v[46:47], -v[112:113], v[148:149], v[46:47]
	s_waitcnt lgkmcnt(9)
	;; [unrolled: 3-line block ×11, first 2 shown]
	v_fma_f64 v[6:7], -v[112:113], v[170:171], v[6:7]
	v_fma_f64 v[118:119], -v[112:113], v[172:173], v[118:119]
.LBB112_46:
	s_or_b32 exec_lo, exec_lo, s0
	v_lshl_add_u32 v0, v129, 3, v126
	s_barrier
	buffer_gl0_inv
	v_mov_b32_e32 v120, 3
	ds_write_b64 v0, v[108:109]
	s_waitcnt lgkmcnt(0)
	s_barrier
	buffer_gl0_inv
	ds_read_b64 v[0:1], v126 offset:24
	s_cmp_lt_i32 s7, 5
	s_cbranch_scc1 .LBB112_49
; %bb.47:
	v_mov_b32_e32 v120, 3
	v_add3_u32 v121, v127, 0, 32
	s_mov_b32 s0, 4
.LBB112_48:                             ; =>This Inner Loop Header: Depth=1
	ds_read_b64 v[130:131], v121
	v_add_nc_u32_e32 v121, 8, v121
	s_waitcnt lgkmcnt(0)
	v_cmp_lt_f64_e64 vcc_lo, |v[0:1]|, |v[130:131]|
	v_cndmask_b32_e32 v1, v1, v131, vcc_lo
	v_cndmask_b32_e32 v0, v0, v130, vcc_lo
	v_cndmask_b32_e64 v120, v120, s0, vcc_lo
	s_add_i32 s0, s0, 1
	s_cmp_lg_u32 s7, s0
	s_cbranch_scc1 .LBB112_48
.LBB112_49:
	s_mov_b32 s0, exec_lo
	s_waitcnt lgkmcnt(0)
	v_cmpx_eq_f64_e32 0, v[0:1]
	s_xor_b32 s0, exec_lo, s0
; %bb.50:
	v_cmp_ne_u32_e32 vcc_lo, 0, v123
	v_cndmask_b32_e32 v123, 4, v123, vcc_lo
; %bb.51:
	s_andn2_saveexec_b32 s0, s0
	s_cbranch_execz .LBB112_53
; %bb.52:
	v_div_scale_f64 v[121:122], null, v[0:1], v[0:1], 1.0
	v_rcp_f64_e32 v[130:131], v[121:122]
	v_fma_f64 v[132:133], -v[121:122], v[130:131], 1.0
	v_fma_f64 v[130:131], v[130:131], v[132:133], v[130:131]
	v_fma_f64 v[132:133], -v[121:122], v[130:131], 1.0
	v_fma_f64 v[130:131], v[130:131], v[132:133], v[130:131]
	v_div_scale_f64 v[132:133], vcc_lo, 1.0, v[0:1], 1.0
	v_mul_f64 v[134:135], v[132:133], v[130:131]
	v_fma_f64 v[121:122], -v[121:122], v[134:135], v[132:133]
	v_div_fmas_f64 v[121:122], v[121:122], v[130:131], v[134:135]
	v_div_fixup_f64 v[0:1], v[121:122], v[0:1], 1.0
.LBB112_53:
	s_or_b32 exec_lo, exec_lo, s0
	s_mov_b32 s0, exec_lo
	v_cmpx_ne_u32_e64 v129, v120
	s_xor_b32 s0, exec_lo, s0
	s_cbranch_execz .LBB112_59
; %bb.54:
	s_mov_b32 s1, exec_lo
	v_cmpx_eq_u32_e32 3, v129
	s_cbranch_execz .LBB112_58
; %bb.55:
	v_cmp_ne_u32_e32 vcc_lo, 3, v120
	s_xor_b32 s2, s6, -1
	s_and_b32 s3, s2, vcc_lo
	s_and_saveexec_b32 s2, s3
	s_cbranch_execz .LBB112_57
; %bb.56:
	v_ashrrev_i32_e32 v121, 31, v120
	v_lshlrev_b64 v[121:122], 2, v[120:121]
	v_add_co_u32 v121, vcc_lo, v4, v121
	v_add_co_ci_u32_e64 v122, null, v5, v122, vcc_lo
	s_clause 0x1
	global_load_dword v128, v[121:122], off
	global_load_dword v129, v[4:5], off offset:12
	s_waitcnt vmcnt(1)
	global_store_dword v[4:5], v128, off offset:12
	s_waitcnt vmcnt(0)
	global_store_dword v[121:122], v129, off
.LBB112_57:
	s_or_b32 exec_lo, exec_lo, s2
	v_mov_b32_e32 v128, v120
	v_mov_b32_e32 v129, v120
.LBB112_58:
	s_or_b32 exec_lo, exec_lo, s1
.LBB112_59:
	s_andn2_saveexec_b32 s0, s0
	s_cbranch_execz .LBB112_61
; %bb.60:
	v_mov_b32_e32 v120, v110
	v_mov_b32_e32 v121, v111
	;; [unrolled: 1-line block ×8, first 2 shown]
	ds_write2_b64 v126, v[120:121], v[129:130] offset0:4 offset1:5
	ds_write2_b64 v126, v[131:132], v[133:134] offset0:6 offset1:7
	v_mov_b32_e32 v120, v100
	v_mov_b32_e32 v121, v101
	v_mov_b32_e32 v129, v98
	v_mov_b32_e32 v130, v99
	v_mov_b32_e32 v131, v96
	v_mov_b32_e32 v132, v97
	v_mov_b32_e32 v133, v94
	v_mov_b32_e32 v134, v95
	v_mov_b32_e32 v135, v92
	v_mov_b32_e32 v136, v93
	v_mov_b32_e32 v137, v88
	v_mov_b32_e32 v138, v89
	v_mov_b32_e32 v139, v90
	v_mov_b32_e32 v140, v91
	v_mov_b32_e32 v141, v84
	v_mov_b32_e32 v142, v85
	v_mov_b32_e32 v143, v86
	v_mov_b32_e32 v144, v87
	v_mov_b32_e32 v145, v82
	v_mov_b32_e32 v146, v83
	ds_write2_b64 v126, v[120:121], v[129:130] offset0:8 offset1:9
	ds_write2_b64 v126, v[131:132], v[133:134] offset0:10 offset1:11
	ds_write2_b64 v126, v[135:136], v[137:138] offset0:12 offset1:13
	ds_write2_b64 v126, v[139:140], v[141:142] offset0:14 offset1:15
	ds_write2_b64 v126, v[143:144], v[145:146] offset0:16 offset1:17
	v_mov_b32_e32 v120, v80
	v_mov_b32_e32 v121, v81
	v_mov_b32_e32 v129, v78
	v_mov_b32_e32 v130, v79
	v_mov_b32_e32 v131, v76
	v_mov_b32_e32 v132, v77
	v_mov_b32_e32 v133, v74
	v_mov_b32_e32 v134, v75
	v_mov_b32_e32 v135, v72
	v_mov_b32_e32 v136, v73
	v_mov_b32_e32 v137, v68
	v_mov_b32_e32 v138, v69
	v_mov_b32_e32 v139, v70
	v_mov_b32_e32 v140, v71
	v_mov_b32_e32 v141, v64
	v_mov_b32_e32 v142, v65
	v_mov_b32_e32 v143, v66
	v_mov_b32_e32 v144, v67
	v_mov_b32_e32 v145, v62
	v_mov_b32_e32 v146, v63
	ds_write2_b64 v126, v[120:121], v[129:130] offset0:18 offset1:19
	ds_write2_b64 v126, v[131:132], v[133:134] offset0:20 offset1:21
	ds_write2_b64 v126, v[135:136], v[137:138] offset0:22 offset1:23
	;; [unrolled: 25-line block ×4, first 2 shown]
	ds_write2_b64 v126, v[139:140], v[141:142] offset0:44 offset1:45
	ds_write2_b64 v126, v[143:144], v[145:146] offset0:46 offset1:47
	v_mov_b32_e32 v120, v20
	v_mov_b32_e32 v121, v21
	;; [unrolled: 1-line block ×8, first 2 shown]
	ds_write2_b64 v126, v[120:121], v[129:130] offset0:48 offset1:49
	v_mov_b32_e32 v129, 3
	v_mov_b32_e32 v135, v12
	v_mov_b32_e32 v136, v13
	v_mov_b32_e32 v137, v8
	v_mov_b32_e32 v138, v9
	v_mov_b32_e32 v139, v10
	v_mov_b32_e32 v140, v11
	v_mov_b32_e32 v141, v6
	v_mov_b32_e32 v142, v7
	ds_write2_b64 v126, v[131:132], v[133:134] offset0:50 offset1:51
	ds_write2_b64 v126, v[135:136], v[137:138] offset0:52 offset1:53
	ds_write2_b64 v126, v[139:140], v[141:142] offset0:54 offset1:55
	ds_write_b64 v126, v[118:119] offset:448
.LBB112_61:
	s_or_b32 exec_lo, exec_lo, s0
	s_mov_b32 s0, exec_lo
	s_waitcnt lgkmcnt(0)
	s_waitcnt_vscnt null, 0x0
	s_barrier
	buffer_gl0_inv
	v_cmpx_lt_i32_e32 3, v129
	s_cbranch_execz .LBB112_63
; %bb.62:
	v_mul_f64 v[108:109], v[0:1], v[108:109]
	ds_read2_b64 v[130:133], v126 offset0:4 offset1:5
	ds_read2_b64 v[134:137], v126 offset0:6 offset1:7
	ds_read2_b64 v[138:141], v126 offset0:8 offset1:9
	ds_read2_b64 v[142:145], v126 offset0:10 offset1:11
	ds_read2_b64 v[146:149], v126 offset0:12 offset1:13
	ds_read2_b64 v[150:153], v126 offset0:14 offset1:15
	ds_read2_b64 v[154:157], v126 offset0:16 offset1:17
	ds_read2_b64 v[158:161], v126 offset0:18 offset1:19
	ds_read2_b64 v[162:165], v126 offset0:20 offset1:21
	ds_read2_b64 v[166:169], v126 offset0:22 offset1:23
	ds_read2_b64 v[170:173], v126 offset0:24 offset1:25
	ds_read2_b64 v[174:177], v126 offset0:26 offset1:27
	ds_read_b64 v[0:1], v126 offset:448
	s_waitcnt lgkmcnt(12)
	v_fma_f64 v[110:111], -v[108:109], v[130:131], v[110:111]
	v_fma_f64 v[104:105], -v[108:109], v[132:133], v[104:105]
	s_waitcnt lgkmcnt(11)
	v_fma_f64 v[106:107], -v[108:109], v[134:135], v[106:107]
	v_fma_f64 v[102:103], -v[108:109], v[136:137], v[102:103]
	;; [unrolled: 3-line block ×4, first 2 shown]
	ds_read2_b64 v[130:133], v126 offset0:28 offset1:29
	ds_read2_b64 v[134:137], v126 offset0:30 offset1:31
	;; [unrolled: 1-line block ×4, first 2 shown]
	s_waitcnt lgkmcnt(12)
	v_fma_f64 v[92:93], -v[108:109], v[146:147], v[92:93]
	v_fma_f64 v[88:89], -v[108:109], v[148:149], v[88:89]
	s_waitcnt lgkmcnt(11)
	v_fma_f64 v[90:91], -v[108:109], v[150:151], v[90:91]
	v_fma_f64 v[84:85], -v[108:109], v[152:153], v[84:85]
	;; [unrolled: 3-line block ×6, first 2 shown]
	ds_read2_b64 v[146:149], v126 offset0:36 offset1:37
	ds_read2_b64 v[150:153], v126 offset0:38 offset1:39
	;; [unrolled: 1-line block ×4, first 2 shown]
	s_waitcnt lgkmcnt(7)
	v_fma_f64 v[60:61], -v[108:109], v[130:131], v[60:61]
	v_fma_f64 v[58:59], -v[108:109], v[132:133], v[58:59]
	ds_read2_b64 v[130:133], v126 offset0:42 offset1:43
	s_waitcnt lgkmcnt(7)
	v_fma_f64 v[56:57], -v[108:109], v[134:135], v[56:57]
	v_fma_f64 v[54:55], -v[108:109], v[136:137], v[54:55]
	ds_read2_b64 v[134:137], v126 offset0:46 offset1:47
	s_waitcnt lgkmcnt(7)
	v_fma_f64 v[52:53], -v[108:109], v[138:139], v[52:53]
	ds_read2_b64 v[162:165], v126 offset0:48 offset1:49
	v_fma_f64 v[48:49], -v[108:109], v[140:141], v[48:49]
	ds_read2_b64 v[138:141], v126 offset0:50 offset1:51
	s_waitcnt lgkmcnt(8)
	v_fma_f64 v[50:51], -v[108:109], v[142:143], v[50:51]
	ds_read2_b64 v[166:169], v126 offset0:52 offset1:53
	v_fma_f64 v[44:45], -v[108:109], v[144:145], v[44:45]
	ds_read2_b64 v[142:145], v126 offset0:54 offset1:55
	v_fma_f64 v[70:71], -v[108:109], v[170:171], v[70:71]
	v_fma_f64 v[64:65], -v[108:109], v[172:173], v[64:65]
	;; [unrolled: 1-line block ×4, first 2 shown]
	s_waitcnt lgkmcnt(9)
	v_fma_f64 v[46:47], -v[108:109], v[146:147], v[46:47]
	v_fma_f64 v[42:43], -v[108:109], v[148:149], v[42:43]
	s_waitcnt lgkmcnt(8)
	v_fma_f64 v[40:41], -v[108:109], v[150:151], v[40:41]
	v_fma_f64 v[38:39], -v[108:109], v[152:153], v[38:39]
	;; [unrolled: 3-line block ×4, first 2 shown]
	v_fma_f64 v[30:31], -v[108:109], v[158:159], v[30:31]
	v_fma_f64 v[24:25], -v[108:109], v[160:161], v[24:25]
	s_waitcnt lgkmcnt(4)
	v_fma_f64 v[26:27], -v[108:109], v[134:135], v[26:27]
	v_fma_f64 v[22:23], -v[108:109], v[136:137], v[22:23]
	s_waitcnt lgkmcnt(3)
	;; [unrolled: 3-line block ×5, first 2 shown]
	v_fma_f64 v[10:11], -v[108:109], v[142:143], v[10:11]
	v_fma_f64 v[6:7], -v[108:109], v[144:145], v[6:7]
	;; [unrolled: 1-line block ×3, first 2 shown]
.LBB112_63:
	s_or_b32 exec_lo, exec_lo, s0
	v_lshl_add_u32 v0, v129, 3, v126
	s_barrier
	buffer_gl0_inv
	v_mov_b32_e32 v120, 4
	ds_write_b64 v0, v[110:111]
	s_waitcnt lgkmcnt(0)
	s_barrier
	buffer_gl0_inv
	ds_read_b64 v[0:1], v126 offset:32
	s_cmp_lt_i32 s7, 6
	s_cbranch_scc1 .LBB112_66
; %bb.64:
	v_add3_u32 v121, v127, 0, 40
	v_mov_b32_e32 v120, 4
	s_mov_b32 s0, 5
.LBB112_65:                             ; =>This Inner Loop Header: Depth=1
	ds_read_b64 v[130:131], v121
	v_add_nc_u32_e32 v121, 8, v121
	s_waitcnt lgkmcnt(0)
	v_cmp_lt_f64_e64 vcc_lo, |v[0:1]|, |v[130:131]|
	v_cndmask_b32_e32 v1, v1, v131, vcc_lo
	v_cndmask_b32_e32 v0, v0, v130, vcc_lo
	v_cndmask_b32_e64 v120, v120, s0, vcc_lo
	s_add_i32 s0, s0, 1
	s_cmp_lg_u32 s7, s0
	s_cbranch_scc1 .LBB112_65
.LBB112_66:
	s_mov_b32 s0, exec_lo
	s_waitcnt lgkmcnt(0)
	v_cmpx_eq_f64_e32 0, v[0:1]
	s_xor_b32 s0, exec_lo, s0
; %bb.67:
	v_cmp_ne_u32_e32 vcc_lo, 0, v123
	v_cndmask_b32_e32 v123, 5, v123, vcc_lo
; %bb.68:
	s_andn2_saveexec_b32 s0, s0
	s_cbranch_execz .LBB112_70
; %bb.69:
	v_div_scale_f64 v[121:122], null, v[0:1], v[0:1], 1.0
	v_rcp_f64_e32 v[130:131], v[121:122]
	v_fma_f64 v[132:133], -v[121:122], v[130:131], 1.0
	v_fma_f64 v[130:131], v[130:131], v[132:133], v[130:131]
	v_fma_f64 v[132:133], -v[121:122], v[130:131], 1.0
	v_fma_f64 v[130:131], v[130:131], v[132:133], v[130:131]
	v_div_scale_f64 v[132:133], vcc_lo, 1.0, v[0:1], 1.0
	v_mul_f64 v[134:135], v[132:133], v[130:131]
	v_fma_f64 v[121:122], -v[121:122], v[134:135], v[132:133]
	v_div_fmas_f64 v[121:122], v[121:122], v[130:131], v[134:135]
	v_div_fixup_f64 v[0:1], v[121:122], v[0:1], 1.0
.LBB112_70:
	s_or_b32 exec_lo, exec_lo, s0
	s_mov_b32 s0, exec_lo
	v_cmpx_ne_u32_e64 v129, v120
	s_xor_b32 s0, exec_lo, s0
	s_cbranch_execz .LBB112_76
; %bb.71:
	s_mov_b32 s1, exec_lo
	v_cmpx_eq_u32_e32 4, v129
	s_cbranch_execz .LBB112_75
; %bb.72:
	v_cmp_ne_u32_e32 vcc_lo, 4, v120
	s_xor_b32 s2, s6, -1
	s_and_b32 s3, s2, vcc_lo
	s_and_saveexec_b32 s2, s3
	s_cbranch_execz .LBB112_74
; %bb.73:
	v_ashrrev_i32_e32 v121, 31, v120
	v_lshlrev_b64 v[121:122], 2, v[120:121]
	v_add_co_u32 v121, vcc_lo, v4, v121
	v_add_co_ci_u32_e64 v122, null, v5, v122, vcc_lo
	s_clause 0x1
	global_load_dword v128, v[121:122], off
	global_load_dword v129, v[4:5], off offset:16
	s_waitcnt vmcnt(1)
	global_store_dword v[4:5], v128, off offset:16
	s_waitcnt vmcnt(0)
	global_store_dword v[121:122], v129, off
.LBB112_74:
	s_or_b32 exec_lo, exec_lo, s2
	v_mov_b32_e32 v128, v120
	v_mov_b32_e32 v129, v120
.LBB112_75:
	s_or_b32 exec_lo, exec_lo, s1
.LBB112_76:
	s_andn2_saveexec_b32 s0, s0
	s_cbranch_execz .LBB112_78
; %bb.77:
	v_mov_b32_e32 v129, 4
	ds_write2_b64 v126, v[104:105], v[106:107] offset0:5 offset1:6
	ds_write2_b64 v126, v[102:103], v[100:101] offset0:7 offset1:8
	;; [unrolled: 1-line block ×26, first 2 shown]
.LBB112_78:
	s_or_b32 exec_lo, exec_lo, s0
	s_mov_b32 s0, exec_lo
	s_waitcnt lgkmcnt(0)
	s_waitcnt_vscnt null, 0x0
	s_barrier
	buffer_gl0_inv
	v_cmpx_lt_i32_e32 4, v129
	s_cbranch_execz .LBB112_80
; %bb.79:
	v_mul_f64 v[110:111], v[0:1], v[110:111]
	ds_read2_b64 v[130:133], v126 offset0:5 offset1:6
	ds_read2_b64 v[134:137], v126 offset0:7 offset1:8
	;; [unrolled: 1-line block ×12, first 2 shown]
	s_waitcnt lgkmcnt(11)
	v_fma_f64 v[104:105], -v[110:111], v[130:131], v[104:105]
	v_fma_f64 v[106:107], -v[110:111], v[132:133], v[106:107]
	s_waitcnt lgkmcnt(10)
	v_fma_f64 v[102:103], -v[110:111], v[134:135], v[102:103]
	v_fma_f64 v[100:101], -v[110:111], v[136:137], v[100:101]
	;; [unrolled: 3-line block ×3, first 2 shown]
	ds_read2_b64 v[130:133], v126 offset0:29 offset1:30
	ds_read2_b64 v[134:137], v126 offset0:31 offset1:32
	;; [unrolled: 1-line block ×3, first 2 shown]
	s_waitcnt lgkmcnt(11)
	v_fma_f64 v[94:95], -v[110:111], v[142:143], v[94:95]
	v_fma_f64 v[92:93], -v[110:111], v[144:145], v[92:93]
	s_waitcnt lgkmcnt(10)
	v_fma_f64 v[88:89], -v[110:111], v[146:147], v[88:89]
	v_fma_f64 v[90:91], -v[110:111], v[148:149], v[90:91]
	;; [unrolled: 3-line block ×7, first 2 shown]
	ds_read2_b64 v[142:145], v126 offset0:35 offset1:36
	s_waitcnt lgkmcnt(5)
	v_fma_f64 v[64:65], -v[110:111], v[170:171], v[64:65]
	v_fma_f64 v[66:67], -v[110:111], v[172:173], v[66:67]
	ds_read2_b64 v[146:149], v126 offset0:37 offset1:38
	ds_read2_b64 v[150:153], v126 offset0:39 offset1:40
	;; [unrolled: 1-line block ×4, first 2 shown]
	s_waitcnt lgkmcnt(7)
	v_fma_f64 v[58:59], -v[110:111], v[130:131], v[58:59]
	v_fma_f64 v[56:57], -v[110:111], v[132:133], v[56:57]
	ds_read2_b64 v[130:133], v126 offset0:45 offset1:46
	ds_read2_b64 v[162:165], v126 offset0:47 offset1:48
	s_waitcnt lgkmcnt(8)
	v_fma_f64 v[54:55], -v[110:111], v[134:135], v[54:55]
	v_fma_f64 v[52:53], -v[110:111], v[136:137], v[52:53]
	ds_read2_b64 v[134:137], v126 offset0:49 offset1:50
	ds_read2_b64 v[166:169], v126 offset0:51 offset1:52
	;; [unrolled: 5-line block ×3, first 2 shown]
	v_fma_f64 v[62:63], -v[110:111], v[174:175], v[62:63]
	v_fma_f64 v[60:61], -v[110:111], v[176:177], v[60:61]
	s_waitcnt lgkmcnt(10)
	v_fma_f64 v[44:45], -v[110:111], v[142:143], v[44:45]
	v_fma_f64 v[46:47], -v[110:111], v[144:145], v[46:47]
	s_waitcnt lgkmcnt(9)
	;; [unrolled: 3-line block ×11, first 2 shown]
	v_fma_f64 v[6:7], -v[110:111], v[170:171], v[6:7]
	v_fma_f64 v[118:119], -v[110:111], v[172:173], v[118:119]
.LBB112_80:
	s_or_b32 exec_lo, exec_lo, s0
	v_lshl_add_u32 v0, v129, 3, v126
	s_barrier
	buffer_gl0_inv
	v_mov_b32_e32 v120, 5
	ds_write_b64 v0, v[104:105]
	s_waitcnt lgkmcnt(0)
	s_barrier
	buffer_gl0_inv
	ds_read_b64 v[0:1], v126 offset:40
	s_cmp_lt_i32 s7, 7
	s_cbranch_scc1 .LBB112_83
; %bb.81:
	v_add3_u32 v121, v127, 0, 48
	v_mov_b32_e32 v120, 5
	s_mov_b32 s0, 6
.LBB112_82:                             ; =>This Inner Loop Header: Depth=1
	ds_read_b64 v[130:131], v121
	v_add_nc_u32_e32 v121, 8, v121
	s_waitcnt lgkmcnt(0)
	v_cmp_lt_f64_e64 vcc_lo, |v[0:1]|, |v[130:131]|
	v_cndmask_b32_e32 v1, v1, v131, vcc_lo
	v_cndmask_b32_e32 v0, v0, v130, vcc_lo
	v_cndmask_b32_e64 v120, v120, s0, vcc_lo
	s_add_i32 s0, s0, 1
	s_cmp_lg_u32 s7, s0
	s_cbranch_scc1 .LBB112_82
.LBB112_83:
	s_mov_b32 s0, exec_lo
	s_waitcnt lgkmcnt(0)
	v_cmpx_eq_f64_e32 0, v[0:1]
	s_xor_b32 s0, exec_lo, s0
; %bb.84:
	v_cmp_ne_u32_e32 vcc_lo, 0, v123
	v_cndmask_b32_e32 v123, 6, v123, vcc_lo
; %bb.85:
	s_andn2_saveexec_b32 s0, s0
	s_cbranch_execz .LBB112_87
; %bb.86:
	v_div_scale_f64 v[121:122], null, v[0:1], v[0:1], 1.0
	v_rcp_f64_e32 v[130:131], v[121:122]
	v_fma_f64 v[132:133], -v[121:122], v[130:131], 1.0
	v_fma_f64 v[130:131], v[130:131], v[132:133], v[130:131]
	v_fma_f64 v[132:133], -v[121:122], v[130:131], 1.0
	v_fma_f64 v[130:131], v[130:131], v[132:133], v[130:131]
	v_div_scale_f64 v[132:133], vcc_lo, 1.0, v[0:1], 1.0
	v_mul_f64 v[134:135], v[132:133], v[130:131]
	v_fma_f64 v[121:122], -v[121:122], v[134:135], v[132:133]
	v_div_fmas_f64 v[121:122], v[121:122], v[130:131], v[134:135]
	v_div_fixup_f64 v[0:1], v[121:122], v[0:1], 1.0
.LBB112_87:
	s_or_b32 exec_lo, exec_lo, s0
	s_mov_b32 s0, exec_lo
	v_cmpx_ne_u32_e64 v129, v120
	s_xor_b32 s0, exec_lo, s0
	s_cbranch_execz .LBB112_93
; %bb.88:
	s_mov_b32 s1, exec_lo
	v_cmpx_eq_u32_e32 5, v129
	s_cbranch_execz .LBB112_92
; %bb.89:
	v_cmp_ne_u32_e32 vcc_lo, 5, v120
	s_xor_b32 s2, s6, -1
	s_and_b32 s3, s2, vcc_lo
	s_and_saveexec_b32 s2, s3
	s_cbranch_execz .LBB112_91
; %bb.90:
	v_ashrrev_i32_e32 v121, 31, v120
	v_lshlrev_b64 v[121:122], 2, v[120:121]
	v_add_co_u32 v121, vcc_lo, v4, v121
	v_add_co_ci_u32_e64 v122, null, v5, v122, vcc_lo
	s_clause 0x1
	global_load_dword v128, v[121:122], off
	global_load_dword v129, v[4:5], off offset:20
	s_waitcnt vmcnt(1)
	global_store_dword v[4:5], v128, off offset:20
	s_waitcnt vmcnt(0)
	global_store_dword v[121:122], v129, off
.LBB112_91:
	s_or_b32 exec_lo, exec_lo, s2
	v_mov_b32_e32 v128, v120
	v_mov_b32_e32 v129, v120
.LBB112_92:
	s_or_b32 exec_lo, exec_lo, s1
.LBB112_93:
	s_andn2_saveexec_b32 s0, s0
	s_cbranch_execz .LBB112_95
; %bb.94:
	v_mov_b32_e32 v120, v106
	v_mov_b32_e32 v121, v107
	;; [unrolled: 1-line block ×8, first 2 shown]
	ds_write2_b64 v126, v[120:121], v[129:130] offset0:6 offset1:7
	v_mov_b32_e32 v120, v98
	v_mov_b32_e32 v121, v99
	v_mov_b32_e32 v129, v96
	v_mov_b32_e32 v130, v97
	v_mov_b32_e32 v135, v92
	v_mov_b32_e32 v136, v93
	v_mov_b32_e32 v137, v88
	v_mov_b32_e32 v138, v89
	v_mov_b32_e32 v139, v90
	v_mov_b32_e32 v140, v91
	v_mov_b32_e32 v141, v84
	v_mov_b32_e32 v142, v85
	v_mov_b32_e32 v143, v86
	v_mov_b32_e32 v144, v87
	v_mov_b32_e32 v145, v82
	v_mov_b32_e32 v146, v83
	ds_write2_b64 v126, v[131:132], v[120:121] offset0:8 offset1:9
	ds_write2_b64 v126, v[129:130], v[133:134] offset0:10 offset1:11
	ds_write2_b64 v126, v[135:136], v[137:138] offset0:12 offset1:13
	ds_write2_b64 v126, v[139:140], v[141:142] offset0:14 offset1:15
	ds_write2_b64 v126, v[143:144], v[145:146] offset0:16 offset1:17
	v_mov_b32_e32 v120, v80
	v_mov_b32_e32 v121, v81
	v_mov_b32_e32 v129, v78
	v_mov_b32_e32 v130, v79
	v_mov_b32_e32 v131, v76
	v_mov_b32_e32 v132, v77
	v_mov_b32_e32 v133, v74
	v_mov_b32_e32 v134, v75
	v_mov_b32_e32 v135, v72
	v_mov_b32_e32 v136, v73
	v_mov_b32_e32 v137, v68
	v_mov_b32_e32 v138, v69
	v_mov_b32_e32 v139, v70
	v_mov_b32_e32 v140, v71
	v_mov_b32_e32 v141, v64
	v_mov_b32_e32 v142, v65
	v_mov_b32_e32 v143, v66
	v_mov_b32_e32 v144, v67
	v_mov_b32_e32 v145, v62
	v_mov_b32_e32 v146, v63
	ds_write2_b64 v126, v[120:121], v[129:130] offset0:18 offset1:19
	ds_write2_b64 v126, v[131:132], v[133:134] offset0:20 offset1:21
	ds_write2_b64 v126, v[135:136], v[137:138] offset0:22 offset1:23
	ds_write2_b64 v126, v[139:140], v[141:142] offset0:24 offset1:25
	ds_write2_b64 v126, v[143:144], v[145:146] offset0:26 offset1:27
	v_mov_b32_e32 v120, v60
	v_mov_b32_e32 v121, v61
	v_mov_b32_e32 v129, v58
	v_mov_b32_e32 v130, v59
	;; [unrolled: 25-line block ×4, first 2 shown]
	v_mov_b32_e32 v131, v16
	v_mov_b32_e32 v132, v17
	;; [unrolled: 1-line block ×4, first 2 shown]
	ds_write2_b64 v126, v[120:121], v[129:130] offset0:48 offset1:49
	v_mov_b32_e32 v129, 5
	v_mov_b32_e32 v135, v12
	;; [unrolled: 1-line block ×9, first 2 shown]
	ds_write2_b64 v126, v[131:132], v[133:134] offset0:50 offset1:51
	ds_write2_b64 v126, v[135:136], v[137:138] offset0:52 offset1:53
	;; [unrolled: 1-line block ×3, first 2 shown]
	ds_write_b64 v126, v[118:119] offset:448
.LBB112_95:
	s_or_b32 exec_lo, exec_lo, s0
	s_mov_b32 s0, exec_lo
	s_waitcnt lgkmcnt(0)
	s_waitcnt_vscnt null, 0x0
	s_barrier
	buffer_gl0_inv
	v_cmpx_lt_i32_e32 5, v129
	s_cbranch_execz .LBB112_97
; %bb.96:
	v_mul_f64 v[104:105], v[0:1], v[104:105]
	ds_read2_b64 v[130:133], v126 offset0:6 offset1:7
	ds_read2_b64 v[134:137], v126 offset0:8 offset1:9
	;; [unrolled: 1-line block ×12, first 2 shown]
	ds_read_b64 v[0:1], v126 offset:448
	s_waitcnt lgkmcnt(12)
	v_fma_f64 v[106:107], -v[104:105], v[130:131], v[106:107]
	v_fma_f64 v[102:103], -v[104:105], v[132:133], v[102:103]
	s_waitcnt lgkmcnt(11)
	v_fma_f64 v[100:101], -v[104:105], v[134:135], v[100:101]
	v_fma_f64 v[98:99], -v[104:105], v[136:137], v[98:99]
	;; [unrolled: 3-line block ×3, first 2 shown]
	ds_read2_b64 v[130:133], v126 offset0:30 offset1:31
	ds_read2_b64 v[134:137], v126 offset0:32 offset1:33
	;; [unrolled: 1-line block ×3, first 2 shown]
	s_waitcnt lgkmcnt(12)
	v_fma_f64 v[92:93], -v[104:105], v[142:143], v[92:93]
	v_fma_f64 v[88:89], -v[104:105], v[144:145], v[88:89]
	s_waitcnt lgkmcnt(11)
	v_fma_f64 v[90:91], -v[104:105], v[146:147], v[90:91]
	v_fma_f64 v[84:85], -v[104:105], v[148:149], v[84:85]
	;; [unrolled: 3-line block ×7, first 2 shown]
	ds_read2_b64 v[142:145], v126 offset0:36 offset1:37
	ds_read2_b64 v[146:149], v126 offset0:38 offset1:39
	;; [unrolled: 1-line block ×5, first 2 shown]
	s_waitcnt lgkmcnt(7)
	v_fma_f64 v[56:57], -v[104:105], v[130:131], v[56:57]
	v_fma_f64 v[54:55], -v[104:105], v[132:133], v[54:55]
	ds_read2_b64 v[130:133], v126 offset0:46 offset1:47
	ds_read2_b64 v[162:165], v126 offset0:48 offset1:49
	s_waitcnt lgkmcnt(8)
	v_fma_f64 v[52:53], -v[104:105], v[134:135], v[52:53]
	v_fma_f64 v[48:49], -v[104:105], v[136:137], v[48:49]
	ds_read2_b64 v[134:137], v126 offset0:50 offset1:51
	ds_read2_b64 v[166:169], v126 offset0:52 offset1:53
	s_waitcnt lgkmcnt(9)
	v_fma_f64 v[50:51], -v[104:105], v[138:139], v[50:51]
	v_fma_f64 v[44:45], -v[104:105], v[140:141], v[44:45]
	ds_read2_b64 v[138:141], v126 offset0:54 offset1:55
	v_fma_f64 v[66:67], -v[104:105], v[170:171], v[66:67]
	v_fma_f64 v[62:63], -v[104:105], v[172:173], v[62:63]
	;; [unrolled: 1-line block ×4, first 2 shown]
	s_waitcnt lgkmcnt(9)
	v_fma_f64 v[46:47], -v[104:105], v[142:143], v[46:47]
	v_fma_f64 v[42:43], -v[104:105], v[144:145], v[42:43]
	s_waitcnt lgkmcnt(8)
	v_fma_f64 v[40:41], -v[104:105], v[146:147], v[40:41]
	v_fma_f64 v[38:39], -v[104:105], v[148:149], v[38:39]
	;; [unrolled: 3-line block ×10, first 2 shown]
	v_fma_f64 v[118:119], -v[104:105], v[0:1], v[118:119]
.LBB112_97:
	s_or_b32 exec_lo, exec_lo, s0
	v_lshl_add_u32 v0, v129, 3, v126
	s_barrier
	buffer_gl0_inv
	v_mov_b32_e32 v120, 6
	ds_write_b64 v0, v[106:107]
	s_waitcnt lgkmcnt(0)
	s_barrier
	buffer_gl0_inv
	ds_read_b64 v[0:1], v126 offset:48
	s_cmp_lt_i32 s7, 8
	s_cbranch_scc1 .LBB112_100
; %bb.98:
	v_add3_u32 v121, v127, 0, 56
	v_mov_b32_e32 v120, 6
	s_mov_b32 s0, 7
.LBB112_99:                             ; =>This Inner Loop Header: Depth=1
	ds_read_b64 v[130:131], v121
	v_add_nc_u32_e32 v121, 8, v121
	s_waitcnt lgkmcnt(0)
	v_cmp_lt_f64_e64 vcc_lo, |v[0:1]|, |v[130:131]|
	v_cndmask_b32_e32 v1, v1, v131, vcc_lo
	v_cndmask_b32_e32 v0, v0, v130, vcc_lo
	v_cndmask_b32_e64 v120, v120, s0, vcc_lo
	s_add_i32 s0, s0, 1
	s_cmp_lg_u32 s7, s0
	s_cbranch_scc1 .LBB112_99
.LBB112_100:
	s_mov_b32 s0, exec_lo
	s_waitcnt lgkmcnt(0)
	v_cmpx_eq_f64_e32 0, v[0:1]
	s_xor_b32 s0, exec_lo, s0
; %bb.101:
	v_cmp_ne_u32_e32 vcc_lo, 0, v123
	v_cndmask_b32_e32 v123, 7, v123, vcc_lo
; %bb.102:
	s_andn2_saveexec_b32 s0, s0
	s_cbranch_execz .LBB112_104
; %bb.103:
	v_div_scale_f64 v[121:122], null, v[0:1], v[0:1], 1.0
	v_rcp_f64_e32 v[130:131], v[121:122]
	v_fma_f64 v[132:133], -v[121:122], v[130:131], 1.0
	v_fma_f64 v[130:131], v[130:131], v[132:133], v[130:131]
	v_fma_f64 v[132:133], -v[121:122], v[130:131], 1.0
	v_fma_f64 v[130:131], v[130:131], v[132:133], v[130:131]
	v_div_scale_f64 v[132:133], vcc_lo, 1.0, v[0:1], 1.0
	v_mul_f64 v[134:135], v[132:133], v[130:131]
	v_fma_f64 v[121:122], -v[121:122], v[134:135], v[132:133]
	v_div_fmas_f64 v[121:122], v[121:122], v[130:131], v[134:135]
	v_div_fixup_f64 v[0:1], v[121:122], v[0:1], 1.0
.LBB112_104:
	s_or_b32 exec_lo, exec_lo, s0
	s_mov_b32 s0, exec_lo
	v_cmpx_ne_u32_e64 v129, v120
	s_xor_b32 s0, exec_lo, s0
	s_cbranch_execz .LBB112_110
; %bb.105:
	s_mov_b32 s1, exec_lo
	v_cmpx_eq_u32_e32 6, v129
	s_cbranch_execz .LBB112_109
; %bb.106:
	v_cmp_ne_u32_e32 vcc_lo, 6, v120
	s_xor_b32 s2, s6, -1
	s_and_b32 s3, s2, vcc_lo
	s_and_saveexec_b32 s2, s3
	s_cbranch_execz .LBB112_108
; %bb.107:
	v_ashrrev_i32_e32 v121, 31, v120
	v_lshlrev_b64 v[121:122], 2, v[120:121]
	v_add_co_u32 v121, vcc_lo, v4, v121
	v_add_co_ci_u32_e64 v122, null, v5, v122, vcc_lo
	s_clause 0x1
	global_load_dword v128, v[121:122], off
	global_load_dword v129, v[4:5], off offset:24
	s_waitcnt vmcnt(1)
	global_store_dword v[4:5], v128, off offset:24
	s_waitcnt vmcnt(0)
	global_store_dword v[121:122], v129, off
.LBB112_108:
	s_or_b32 exec_lo, exec_lo, s2
	v_mov_b32_e32 v128, v120
	v_mov_b32_e32 v129, v120
.LBB112_109:
	s_or_b32 exec_lo, exec_lo, s1
.LBB112_110:
	s_andn2_saveexec_b32 s0, s0
	s_cbranch_execz .LBB112_112
; %bb.111:
	v_mov_b32_e32 v129, 6
	ds_write2_b64 v126, v[102:103], v[100:101] offset0:7 offset1:8
	ds_write2_b64 v126, v[98:99], v[96:97] offset0:9 offset1:10
	;; [unrolled: 1-line block ×25, first 2 shown]
.LBB112_112:
	s_or_b32 exec_lo, exec_lo, s0
	s_mov_b32 s0, exec_lo
	s_waitcnt lgkmcnt(0)
	s_waitcnt_vscnt null, 0x0
	s_barrier
	buffer_gl0_inv
	v_cmpx_lt_i32_e32 6, v129
	s_cbranch_execz .LBB112_114
; %bb.113:
	v_mul_f64 v[106:107], v[0:1], v[106:107]
	ds_read2_b64 v[130:133], v126 offset0:7 offset1:8
	ds_read2_b64 v[134:137], v126 offset0:9 offset1:10
	;; [unrolled: 1-line block ×12, first 2 shown]
	s_waitcnt lgkmcnt(11)
	v_fma_f64 v[102:103], -v[106:107], v[130:131], v[102:103]
	v_fma_f64 v[100:101], -v[106:107], v[132:133], v[100:101]
	s_waitcnt lgkmcnt(10)
	v_fma_f64 v[98:99], -v[106:107], v[134:135], v[98:99]
	v_fma_f64 v[96:97], -v[106:107], v[136:137], v[96:97]
	ds_read2_b64 v[130:133], v126 offset0:31 offset1:32
	ds_read2_b64 v[134:137], v126 offset0:33 offset1:34
	s_waitcnt lgkmcnt(11)
	v_fma_f64 v[94:95], -v[106:107], v[138:139], v[94:95]
	v_fma_f64 v[92:93], -v[106:107], v[140:141], v[92:93]
	s_waitcnt lgkmcnt(10)
	v_fma_f64 v[88:89], -v[106:107], v[142:143], v[88:89]
	v_fma_f64 v[90:91], -v[106:107], v[144:145], v[90:91]
	s_waitcnt lgkmcnt(9)
	v_fma_f64 v[84:85], -v[106:107], v[146:147], v[84:85]
	v_fma_f64 v[86:87], -v[106:107], v[148:149], v[86:87]
	s_waitcnt lgkmcnt(8)
	v_fma_f64 v[82:83], -v[106:107], v[150:151], v[82:83]
	v_fma_f64 v[80:81], -v[106:107], v[152:153], v[80:81]
	s_waitcnt lgkmcnt(7)
	v_fma_f64 v[78:79], -v[106:107], v[154:155], v[78:79]
	v_fma_f64 v[76:77], -v[106:107], v[156:157], v[76:77]
	s_waitcnt lgkmcnt(6)
	v_fma_f64 v[74:75], -v[106:107], v[158:159], v[74:75]
	v_fma_f64 v[72:73], -v[106:107], v[160:161], v[72:73]
	s_waitcnt lgkmcnt(5)
	v_fma_f64 v[68:69], -v[106:107], v[162:163], v[68:69]
	v_fma_f64 v[70:71], -v[106:107], v[164:165], v[70:71]
	ds_read2_b64 v[138:141], v126 offset0:35 offset1:36
	ds_read2_b64 v[142:145], v126 offset0:37 offset1:38
	s_waitcnt lgkmcnt(6)
	v_fma_f64 v[64:65], -v[106:107], v[166:167], v[64:65]
	v_fma_f64 v[66:67], -v[106:107], v[168:169], v[66:67]
	s_waitcnt lgkmcnt(5)
	v_fma_f64 v[62:63], -v[106:107], v[170:171], v[62:63]
	ds_read2_b64 v[146:149], v126 offset0:39 offset1:40
	ds_read2_b64 v[150:153], v126 offset0:41 offset1:42
	v_fma_f64 v[60:61], -v[106:107], v[172:173], v[60:61]
	ds_read2_b64 v[154:157], v126 offset0:43 offset1:44
	ds_read2_b64 v[158:161], v126 offset0:45 offset1:46
	s_waitcnt lgkmcnt(7)
	v_fma_f64 v[54:55], -v[106:107], v[130:131], v[54:55]
	ds_read2_b64 v[162:165], v126 offset0:47 offset1:48
	v_fma_f64 v[52:53], -v[106:107], v[132:133], v[52:53]
	ds_read2_b64 v[130:133], v126 offset0:49 offset1:50
	s_waitcnt lgkmcnt(8)
	v_fma_f64 v[48:49], -v[106:107], v[134:135], v[48:49]
	ds_read2_b64 v[166:169], v126 offset0:51 offset1:52
	v_fma_f64 v[50:51], -v[106:107], v[136:137], v[50:51]
	ds_read2_b64 v[134:137], v126 offset0:53 offset1:54
	ds_read2_b64 v[170:173], v126 offset0:55 offset1:56
	v_fma_f64 v[58:59], -v[106:107], v[174:175], v[58:59]
	v_fma_f64 v[56:57], -v[106:107], v[176:177], v[56:57]
	s_waitcnt lgkmcnt(10)
	v_fma_f64 v[44:45], -v[106:107], v[138:139], v[44:45]
	v_fma_f64 v[46:47], -v[106:107], v[140:141], v[46:47]
	s_waitcnt lgkmcnt(9)
	;; [unrolled: 3-line block ×11, first 2 shown]
	v_fma_f64 v[6:7], -v[106:107], v[170:171], v[6:7]
	v_fma_f64 v[118:119], -v[106:107], v[172:173], v[118:119]
.LBB112_114:
	s_or_b32 exec_lo, exec_lo, s0
	v_lshl_add_u32 v0, v129, 3, v126
	s_barrier
	buffer_gl0_inv
	v_mov_b32_e32 v120, 7
	ds_write_b64 v0, v[102:103]
	s_waitcnt lgkmcnt(0)
	s_barrier
	buffer_gl0_inv
	ds_read_b64 v[0:1], v126 offset:56
	s_cmp_lt_i32 s7, 9
	s_cbranch_scc1 .LBB112_117
; %bb.115:
	v_add3_u32 v121, v127, 0, 64
	v_mov_b32_e32 v120, 7
	s_mov_b32 s0, 8
.LBB112_116:                            ; =>This Inner Loop Header: Depth=1
	ds_read_b64 v[130:131], v121
	v_add_nc_u32_e32 v121, 8, v121
	s_waitcnt lgkmcnt(0)
	v_cmp_lt_f64_e64 vcc_lo, |v[0:1]|, |v[130:131]|
	v_cndmask_b32_e32 v1, v1, v131, vcc_lo
	v_cndmask_b32_e32 v0, v0, v130, vcc_lo
	v_cndmask_b32_e64 v120, v120, s0, vcc_lo
	s_add_i32 s0, s0, 1
	s_cmp_lg_u32 s7, s0
	s_cbranch_scc1 .LBB112_116
.LBB112_117:
	s_mov_b32 s0, exec_lo
	s_waitcnt lgkmcnt(0)
	v_cmpx_eq_f64_e32 0, v[0:1]
	s_xor_b32 s0, exec_lo, s0
; %bb.118:
	v_cmp_ne_u32_e32 vcc_lo, 0, v123
	v_cndmask_b32_e32 v123, 8, v123, vcc_lo
; %bb.119:
	s_andn2_saveexec_b32 s0, s0
	s_cbranch_execz .LBB112_121
; %bb.120:
	v_div_scale_f64 v[121:122], null, v[0:1], v[0:1], 1.0
	v_rcp_f64_e32 v[130:131], v[121:122]
	v_fma_f64 v[132:133], -v[121:122], v[130:131], 1.0
	v_fma_f64 v[130:131], v[130:131], v[132:133], v[130:131]
	v_fma_f64 v[132:133], -v[121:122], v[130:131], 1.0
	v_fma_f64 v[130:131], v[130:131], v[132:133], v[130:131]
	v_div_scale_f64 v[132:133], vcc_lo, 1.0, v[0:1], 1.0
	v_mul_f64 v[134:135], v[132:133], v[130:131]
	v_fma_f64 v[121:122], -v[121:122], v[134:135], v[132:133]
	v_div_fmas_f64 v[121:122], v[121:122], v[130:131], v[134:135]
	v_div_fixup_f64 v[0:1], v[121:122], v[0:1], 1.0
.LBB112_121:
	s_or_b32 exec_lo, exec_lo, s0
	s_mov_b32 s0, exec_lo
	v_cmpx_ne_u32_e64 v129, v120
	s_xor_b32 s0, exec_lo, s0
	s_cbranch_execz .LBB112_127
; %bb.122:
	s_mov_b32 s1, exec_lo
	v_cmpx_eq_u32_e32 7, v129
	s_cbranch_execz .LBB112_126
; %bb.123:
	v_cmp_ne_u32_e32 vcc_lo, 7, v120
	s_xor_b32 s2, s6, -1
	s_and_b32 s3, s2, vcc_lo
	s_and_saveexec_b32 s2, s3
	s_cbranch_execz .LBB112_125
; %bb.124:
	v_ashrrev_i32_e32 v121, 31, v120
	v_lshlrev_b64 v[121:122], 2, v[120:121]
	v_add_co_u32 v121, vcc_lo, v4, v121
	v_add_co_ci_u32_e64 v122, null, v5, v122, vcc_lo
	s_clause 0x1
	global_load_dword v128, v[121:122], off
	global_load_dword v129, v[4:5], off offset:28
	s_waitcnt vmcnt(1)
	global_store_dword v[4:5], v128, off offset:28
	s_waitcnt vmcnt(0)
	global_store_dword v[121:122], v129, off
.LBB112_125:
	s_or_b32 exec_lo, exec_lo, s2
	v_mov_b32_e32 v128, v120
	v_mov_b32_e32 v129, v120
.LBB112_126:
	s_or_b32 exec_lo, exec_lo, s1
.LBB112_127:
	s_andn2_saveexec_b32 s0, s0
	s_cbranch_execz .LBB112_129
; %bb.128:
	v_mov_b32_e32 v120, v100
	v_mov_b32_e32 v121, v101
	v_mov_b32_e32 v129, v98
	v_mov_b32_e32 v130, v99
	v_mov_b32_e32 v131, v96
	v_mov_b32_e32 v132, v97
	v_mov_b32_e32 v133, v94
	v_mov_b32_e32 v134, v95
	v_mov_b32_e32 v135, v92
	v_mov_b32_e32 v136, v93
	v_mov_b32_e32 v137, v88
	v_mov_b32_e32 v138, v89
	v_mov_b32_e32 v139, v90
	v_mov_b32_e32 v140, v91
	v_mov_b32_e32 v141, v84
	v_mov_b32_e32 v142, v85
	v_mov_b32_e32 v143, v86
	v_mov_b32_e32 v144, v87
	v_mov_b32_e32 v145, v82
	v_mov_b32_e32 v146, v83
	ds_write2_b64 v126, v[120:121], v[129:130] offset0:8 offset1:9
	ds_write2_b64 v126, v[131:132], v[133:134] offset0:10 offset1:11
	ds_write2_b64 v126, v[135:136], v[137:138] offset0:12 offset1:13
	ds_write2_b64 v126, v[139:140], v[141:142] offset0:14 offset1:15
	ds_write2_b64 v126, v[143:144], v[145:146] offset0:16 offset1:17
	v_mov_b32_e32 v120, v80
	v_mov_b32_e32 v121, v81
	v_mov_b32_e32 v129, v78
	v_mov_b32_e32 v130, v79
	v_mov_b32_e32 v131, v76
	v_mov_b32_e32 v132, v77
	v_mov_b32_e32 v133, v74
	v_mov_b32_e32 v134, v75
	v_mov_b32_e32 v135, v72
	v_mov_b32_e32 v136, v73
	v_mov_b32_e32 v137, v68
	v_mov_b32_e32 v138, v69
	v_mov_b32_e32 v139, v70
	v_mov_b32_e32 v140, v71
	v_mov_b32_e32 v141, v64
	v_mov_b32_e32 v142, v65
	v_mov_b32_e32 v143, v66
	v_mov_b32_e32 v144, v67
	v_mov_b32_e32 v145, v62
	v_mov_b32_e32 v146, v63
	ds_write2_b64 v126, v[120:121], v[129:130] offset0:18 offset1:19
	ds_write2_b64 v126, v[131:132], v[133:134] offset0:20 offset1:21
	ds_write2_b64 v126, v[135:136], v[137:138] offset0:22 offset1:23
	ds_write2_b64 v126, v[139:140], v[141:142] offset0:24 offset1:25
	ds_write2_b64 v126, v[143:144], v[145:146] offset0:26 offset1:27
	;; [unrolled: 25-line block ×4, first 2 shown]
	v_mov_b32_e32 v120, v20
	v_mov_b32_e32 v121, v21
	;; [unrolled: 1-line block ×8, first 2 shown]
	ds_write2_b64 v126, v[120:121], v[129:130] offset0:48 offset1:49
	v_mov_b32_e32 v129, 7
	v_mov_b32_e32 v135, v12
	;; [unrolled: 1-line block ×9, first 2 shown]
	ds_write2_b64 v126, v[131:132], v[133:134] offset0:50 offset1:51
	ds_write2_b64 v126, v[135:136], v[137:138] offset0:52 offset1:53
	;; [unrolled: 1-line block ×3, first 2 shown]
	ds_write_b64 v126, v[118:119] offset:448
.LBB112_129:
	s_or_b32 exec_lo, exec_lo, s0
	s_mov_b32 s0, exec_lo
	s_waitcnt lgkmcnt(0)
	s_waitcnt_vscnt null, 0x0
	s_barrier
	buffer_gl0_inv
	v_cmpx_lt_i32_e32 7, v129
	s_cbranch_execz .LBB112_131
; %bb.130:
	v_mul_f64 v[102:103], v[0:1], v[102:103]
	ds_read2_b64 v[130:133], v126 offset0:8 offset1:9
	ds_read2_b64 v[134:137], v126 offset0:10 offset1:11
	;; [unrolled: 1-line block ×12, first 2 shown]
	ds_read_b64 v[0:1], v126 offset:448
	s_waitcnt lgkmcnt(12)
	v_fma_f64 v[100:101], -v[102:103], v[130:131], v[100:101]
	v_fma_f64 v[98:99], -v[102:103], v[132:133], v[98:99]
	s_waitcnt lgkmcnt(11)
	v_fma_f64 v[96:97], -v[102:103], v[134:135], v[96:97]
	v_fma_f64 v[94:95], -v[102:103], v[136:137], v[94:95]
	ds_read2_b64 v[130:133], v126 offset0:32 offset1:33
	ds_read2_b64 v[134:137], v126 offset0:34 offset1:35
	s_waitcnt lgkmcnt(12)
	v_fma_f64 v[92:93], -v[102:103], v[138:139], v[92:93]
	v_fma_f64 v[88:89], -v[102:103], v[140:141], v[88:89]
	s_waitcnt lgkmcnt(11)
	v_fma_f64 v[90:91], -v[102:103], v[142:143], v[90:91]
	v_fma_f64 v[84:85], -v[102:103], v[144:145], v[84:85]
	;; [unrolled: 3-line block ×7, first 2 shown]
	ds_read2_b64 v[138:141], v126 offset0:36 offset1:37
	ds_read2_b64 v[142:145], v126 offset0:38 offset1:39
	s_waitcnt lgkmcnt(7)
	v_fma_f64 v[66:67], -v[102:103], v[166:167], v[66:67]
	v_fma_f64 v[62:63], -v[102:103], v[168:169], v[62:63]
	ds_read2_b64 v[146:149], v126 offset0:40 offset1:41
	ds_read2_b64 v[150:153], v126 offset0:42 offset1:43
	;; [unrolled: 1-line block ×4, first 2 shown]
	s_waitcnt lgkmcnt(7)
	v_fma_f64 v[52:53], -v[102:103], v[130:131], v[52:53]
	ds_read2_b64 v[162:165], v126 offset0:48 offset1:49
	v_fma_f64 v[48:49], -v[102:103], v[132:133], v[48:49]
	ds_read2_b64 v[130:133], v126 offset0:50 offset1:51
	s_waitcnt lgkmcnt(8)
	v_fma_f64 v[50:51], -v[102:103], v[134:135], v[50:51]
	ds_read2_b64 v[166:169], v126 offset0:52 offset1:53
	v_fma_f64 v[44:45], -v[102:103], v[136:137], v[44:45]
	ds_read2_b64 v[134:137], v126 offset0:54 offset1:55
	v_fma_f64 v[60:61], -v[102:103], v[170:171], v[60:61]
	v_fma_f64 v[58:59], -v[102:103], v[172:173], v[58:59]
	;; [unrolled: 1-line block ×4, first 2 shown]
	s_waitcnt lgkmcnt(9)
	v_fma_f64 v[46:47], -v[102:103], v[138:139], v[46:47]
	v_fma_f64 v[42:43], -v[102:103], v[140:141], v[42:43]
	s_waitcnt lgkmcnt(8)
	v_fma_f64 v[40:41], -v[102:103], v[142:143], v[40:41]
	v_fma_f64 v[38:39], -v[102:103], v[144:145], v[38:39]
	;; [unrolled: 3-line block ×10, first 2 shown]
	v_fma_f64 v[118:119], -v[102:103], v[0:1], v[118:119]
.LBB112_131:
	s_or_b32 exec_lo, exec_lo, s0
	v_lshl_add_u32 v0, v129, 3, v126
	s_barrier
	buffer_gl0_inv
	v_mov_b32_e32 v120, 8
	ds_write_b64 v0, v[100:101]
	s_waitcnt lgkmcnt(0)
	s_barrier
	buffer_gl0_inv
	ds_read_b64 v[0:1], v126 offset:64
	s_cmp_lt_i32 s7, 10
	s_cbranch_scc1 .LBB112_134
; %bb.132:
	v_add3_u32 v121, v127, 0, 0x48
	v_mov_b32_e32 v120, 8
	s_mov_b32 s0, 9
.LBB112_133:                            ; =>This Inner Loop Header: Depth=1
	ds_read_b64 v[130:131], v121
	v_add_nc_u32_e32 v121, 8, v121
	s_waitcnt lgkmcnt(0)
	v_cmp_lt_f64_e64 vcc_lo, |v[0:1]|, |v[130:131]|
	v_cndmask_b32_e32 v1, v1, v131, vcc_lo
	v_cndmask_b32_e32 v0, v0, v130, vcc_lo
	v_cndmask_b32_e64 v120, v120, s0, vcc_lo
	s_add_i32 s0, s0, 1
	s_cmp_lg_u32 s7, s0
	s_cbranch_scc1 .LBB112_133
.LBB112_134:
	s_mov_b32 s0, exec_lo
	s_waitcnt lgkmcnt(0)
	v_cmpx_eq_f64_e32 0, v[0:1]
	s_xor_b32 s0, exec_lo, s0
; %bb.135:
	v_cmp_ne_u32_e32 vcc_lo, 0, v123
	v_cndmask_b32_e32 v123, 9, v123, vcc_lo
; %bb.136:
	s_andn2_saveexec_b32 s0, s0
	s_cbranch_execz .LBB112_138
; %bb.137:
	v_div_scale_f64 v[121:122], null, v[0:1], v[0:1], 1.0
	v_rcp_f64_e32 v[130:131], v[121:122]
	v_fma_f64 v[132:133], -v[121:122], v[130:131], 1.0
	v_fma_f64 v[130:131], v[130:131], v[132:133], v[130:131]
	v_fma_f64 v[132:133], -v[121:122], v[130:131], 1.0
	v_fma_f64 v[130:131], v[130:131], v[132:133], v[130:131]
	v_div_scale_f64 v[132:133], vcc_lo, 1.0, v[0:1], 1.0
	v_mul_f64 v[134:135], v[132:133], v[130:131]
	v_fma_f64 v[121:122], -v[121:122], v[134:135], v[132:133]
	v_div_fmas_f64 v[121:122], v[121:122], v[130:131], v[134:135]
	v_div_fixup_f64 v[0:1], v[121:122], v[0:1], 1.0
.LBB112_138:
	s_or_b32 exec_lo, exec_lo, s0
	s_mov_b32 s0, exec_lo
	v_cmpx_ne_u32_e64 v129, v120
	s_xor_b32 s0, exec_lo, s0
	s_cbranch_execz .LBB112_144
; %bb.139:
	s_mov_b32 s1, exec_lo
	v_cmpx_eq_u32_e32 8, v129
	s_cbranch_execz .LBB112_143
; %bb.140:
	v_cmp_ne_u32_e32 vcc_lo, 8, v120
	s_xor_b32 s2, s6, -1
	s_and_b32 s3, s2, vcc_lo
	s_and_saveexec_b32 s2, s3
	s_cbranch_execz .LBB112_142
; %bb.141:
	v_ashrrev_i32_e32 v121, 31, v120
	v_lshlrev_b64 v[121:122], 2, v[120:121]
	v_add_co_u32 v121, vcc_lo, v4, v121
	v_add_co_ci_u32_e64 v122, null, v5, v122, vcc_lo
	s_clause 0x1
	global_load_dword v128, v[121:122], off
	global_load_dword v129, v[4:5], off offset:32
	s_waitcnt vmcnt(1)
	global_store_dword v[4:5], v128, off offset:32
	s_waitcnt vmcnt(0)
	global_store_dword v[121:122], v129, off
.LBB112_142:
	s_or_b32 exec_lo, exec_lo, s2
	v_mov_b32_e32 v128, v120
	v_mov_b32_e32 v129, v120
.LBB112_143:
	s_or_b32 exec_lo, exec_lo, s1
.LBB112_144:
	s_andn2_saveexec_b32 s0, s0
	s_cbranch_execz .LBB112_146
; %bb.145:
	v_mov_b32_e32 v129, 8
	ds_write2_b64 v126, v[98:99], v[96:97] offset0:9 offset1:10
	ds_write2_b64 v126, v[94:95], v[92:93] offset0:11 offset1:12
	;; [unrolled: 1-line block ×24, first 2 shown]
.LBB112_146:
	s_or_b32 exec_lo, exec_lo, s0
	s_mov_b32 s0, exec_lo
	s_waitcnt lgkmcnt(0)
	s_waitcnt_vscnt null, 0x0
	s_barrier
	buffer_gl0_inv
	v_cmpx_lt_i32_e32 8, v129
	s_cbranch_execz .LBB112_148
; %bb.147:
	v_mul_f64 v[100:101], v[0:1], v[100:101]
	ds_read2_b64 v[130:133], v126 offset0:9 offset1:10
	ds_read2_b64 v[134:137], v126 offset0:11 offset1:12
	;; [unrolled: 1-line block ×12, first 2 shown]
	s_waitcnt lgkmcnt(11)
	v_fma_f64 v[98:99], -v[100:101], v[130:131], v[98:99]
	v_fma_f64 v[96:97], -v[100:101], v[132:133], v[96:97]
	ds_read2_b64 v[130:133], v126 offset0:33 offset1:34
	s_waitcnt lgkmcnt(11)
	v_fma_f64 v[94:95], -v[100:101], v[134:135], v[94:95]
	v_fma_f64 v[92:93], -v[100:101], v[136:137], v[92:93]
	s_waitcnt lgkmcnt(10)
	v_fma_f64 v[88:89], -v[100:101], v[138:139], v[88:89]
	v_fma_f64 v[90:91], -v[100:101], v[140:141], v[90:91]
	;; [unrolled: 3-line block ×7, first 2 shown]
	ds_read2_b64 v[134:137], v126 offset0:35 offset1:36
	s_waitcnt lgkmcnt(5)
	v_fma_f64 v[64:65], -v[100:101], v[162:163], v[64:65]
	v_fma_f64 v[66:67], -v[100:101], v[164:165], v[66:67]
	ds_read2_b64 v[138:141], v126 offset0:37 offset1:38
	ds_read2_b64 v[142:145], v126 offset0:39 offset1:40
	s_waitcnt lgkmcnt(6)
	v_fma_f64 v[62:63], -v[100:101], v[166:167], v[62:63]
	v_fma_f64 v[60:61], -v[100:101], v[168:169], v[60:61]
	ds_read2_b64 v[146:149], v126 offset0:41 offset1:42
	;; [unrolled: 5-line block ×3, first 2 shown]
	ds_read2_b64 v[158:161], v126 offset0:47 offset1:48
	ds_read2_b64 v[162:165], v126 offset0:49 offset1:50
	;; [unrolled: 1-line block ×3, first 2 shown]
	s_waitcnt lgkmcnt(9)
	v_fma_f64 v[48:49], -v[100:101], v[130:131], v[48:49]
	v_fma_f64 v[50:51], -v[100:101], v[132:133], v[50:51]
	ds_read2_b64 v[130:133], v126 offset0:53 offset1:54
	ds_read2_b64 v[170:173], v126 offset0:55 offset1:56
	v_fma_f64 v[54:55], -v[100:101], v[174:175], v[54:55]
	v_fma_f64 v[52:53], -v[100:101], v[176:177], v[52:53]
	s_waitcnt lgkmcnt(10)
	v_fma_f64 v[44:45], -v[100:101], v[134:135], v[44:45]
	v_fma_f64 v[46:47], -v[100:101], v[136:137], v[46:47]
	s_waitcnt lgkmcnt(9)
	;; [unrolled: 3-line block ×11, first 2 shown]
	v_fma_f64 v[6:7], -v[100:101], v[170:171], v[6:7]
	v_fma_f64 v[118:119], -v[100:101], v[172:173], v[118:119]
.LBB112_148:
	s_or_b32 exec_lo, exec_lo, s0
	v_lshl_add_u32 v0, v129, 3, v126
	s_barrier
	buffer_gl0_inv
	v_mov_b32_e32 v120, 9
	ds_write_b64 v0, v[98:99]
	s_waitcnt lgkmcnt(0)
	s_barrier
	buffer_gl0_inv
	ds_read_b64 v[0:1], v126 offset:72
	s_cmp_lt_i32 s7, 11
	s_cbranch_scc1 .LBB112_151
; %bb.149:
	v_add3_u32 v121, v127, 0, 0x50
	v_mov_b32_e32 v120, 9
	s_mov_b32 s0, 10
.LBB112_150:                            ; =>This Inner Loop Header: Depth=1
	ds_read_b64 v[130:131], v121
	v_add_nc_u32_e32 v121, 8, v121
	s_waitcnt lgkmcnt(0)
	v_cmp_lt_f64_e64 vcc_lo, |v[0:1]|, |v[130:131]|
	v_cndmask_b32_e32 v1, v1, v131, vcc_lo
	v_cndmask_b32_e32 v0, v0, v130, vcc_lo
	v_cndmask_b32_e64 v120, v120, s0, vcc_lo
	s_add_i32 s0, s0, 1
	s_cmp_lg_u32 s7, s0
	s_cbranch_scc1 .LBB112_150
.LBB112_151:
	s_mov_b32 s0, exec_lo
	s_waitcnt lgkmcnt(0)
	v_cmpx_eq_f64_e32 0, v[0:1]
	s_xor_b32 s0, exec_lo, s0
; %bb.152:
	v_cmp_ne_u32_e32 vcc_lo, 0, v123
	v_cndmask_b32_e32 v123, 10, v123, vcc_lo
; %bb.153:
	s_andn2_saveexec_b32 s0, s0
	s_cbranch_execz .LBB112_155
; %bb.154:
	v_div_scale_f64 v[121:122], null, v[0:1], v[0:1], 1.0
	v_rcp_f64_e32 v[130:131], v[121:122]
	v_fma_f64 v[132:133], -v[121:122], v[130:131], 1.0
	v_fma_f64 v[130:131], v[130:131], v[132:133], v[130:131]
	v_fma_f64 v[132:133], -v[121:122], v[130:131], 1.0
	v_fma_f64 v[130:131], v[130:131], v[132:133], v[130:131]
	v_div_scale_f64 v[132:133], vcc_lo, 1.0, v[0:1], 1.0
	v_mul_f64 v[134:135], v[132:133], v[130:131]
	v_fma_f64 v[121:122], -v[121:122], v[134:135], v[132:133]
	v_div_fmas_f64 v[121:122], v[121:122], v[130:131], v[134:135]
	v_div_fixup_f64 v[0:1], v[121:122], v[0:1], 1.0
.LBB112_155:
	s_or_b32 exec_lo, exec_lo, s0
	s_mov_b32 s0, exec_lo
	v_cmpx_ne_u32_e64 v129, v120
	s_xor_b32 s0, exec_lo, s0
	s_cbranch_execz .LBB112_161
; %bb.156:
	s_mov_b32 s1, exec_lo
	v_cmpx_eq_u32_e32 9, v129
	s_cbranch_execz .LBB112_160
; %bb.157:
	v_cmp_ne_u32_e32 vcc_lo, 9, v120
	s_xor_b32 s2, s6, -1
	s_and_b32 s3, s2, vcc_lo
	s_and_saveexec_b32 s2, s3
	s_cbranch_execz .LBB112_159
; %bb.158:
	v_ashrrev_i32_e32 v121, 31, v120
	v_lshlrev_b64 v[121:122], 2, v[120:121]
	v_add_co_u32 v121, vcc_lo, v4, v121
	v_add_co_ci_u32_e64 v122, null, v5, v122, vcc_lo
	s_clause 0x1
	global_load_dword v128, v[121:122], off
	global_load_dword v129, v[4:5], off offset:36
	s_waitcnt vmcnt(1)
	global_store_dword v[4:5], v128, off offset:36
	s_waitcnt vmcnt(0)
	global_store_dword v[121:122], v129, off
.LBB112_159:
	s_or_b32 exec_lo, exec_lo, s2
	v_mov_b32_e32 v128, v120
	v_mov_b32_e32 v129, v120
.LBB112_160:
	s_or_b32 exec_lo, exec_lo, s1
.LBB112_161:
	s_andn2_saveexec_b32 s0, s0
	s_cbranch_execz .LBB112_163
; %bb.162:
	v_mov_b32_e32 v120, v96
	v_mov_b32_e32 v121, v97
	v_mov_b32_e32 v129, v94
	v_mov_b32_e32 v130, v95
	v_mov_b32_e32 v131, v92
	v_mov_b32_e32 v132, v93
	v_mov_b32_e32 v133, v88
	v_mov_b32_e32 v134, v89
	v_mov_b32_e32 v135, v90
	v_mov_b32_e32 v136, v91
	v_mov_b32_e32 v137, v84
	v_mov_b32_e32 v138, v85
	v_mov_b32_e32 v139, v86
	v_mov_b32_e32 v140, v87
	v_mov_b32_e32 v141, v82
	v_mov_b32_e32 v142, v83
	ds_write2_b64 v126, v[120:121], v[129:130] offset0:10 offset1:11
	ds_write2_b64 v126, v[131:132], v[133:134] offset0:12 offset1:13
	ds_write2_b64 v126, v[135:136], v[137:138] offset0:14 offset1:15
	ds_write2_b64 v126, v[139:140], v[141:142] offset0:16 offset1:17
	v_mov_b32_e32 v120, v80
	v_mov_b32_e32 v121, v81
	v_mov_b32_e32 v129, v78
	v_mov_b32_e32 v130, v79
	v_mov_b32_e32 v131, v76
	v_mov_b32_e32 v132, v77
	v_mov_b32_e32 v133, v74
	v_mov_b32_e32 v134, v75
	v_mov_b32_e32 v135, v72
	v_mov_b32_e32 v136, v73
	v_mov_b32_e32 v137, v68
	v_mov_b32_e32 v138, v69
	v_mov_b32_e32 v139, v70
	v_mov_b32_e32 v140, v71
	v_mov_b32_e32 v141, v64
	v_mov_b32_e32 v142, v65
	v_mov_b32_e32 v143, v66
	v_mov_b32_e32 v144, v67
	v_mov_b32_e32 v145, v62
	v_mov_b32_e32 v146, v63
	ds_write2_b64 v126, v[120:121], v[129:130] offset0:18 offset1:19
	ds_write2_b64 v126, v[131:132], v[133:134] offset0:20 offset1:21
	ds_write2_b64 v126, v[135:136], v[137:138] offset0:22 offset1:23
	ds_write2_b64 v126, v[139:140], v[141:142] offset0:24 offset1:25
	ds_write2_b64 v126, v[143:144], v[145:146] offset0:26 offset1:27
	v_mov_b32_e32 v120, v60
	v_mov_b32_e32 v121, v61
	v_mov_b32_e32 v129, v58
	v_mov_b32_e32 v130, v59
	v_mov_b32_e32 v131, v56
	v_mov_b32_e32 v132, v57
	v_mov_b32_e32 v133, v54
	v_mov_b32_e32 v134, v55
	v_mov_b32_e32 v135, v52
	v_mov_b32_e32 v136, v53
	v_mov_b32_e32 v137, v48
	v_mov_b32_e32 v138, v49
	v_mov_b32_e32 v139, v50
	v_mov_b32_e32 v140, v51
	v_mov_b32_e32 v141, v44
	v_mov_b32_e32 v142, v45
	v_mov_b32_e32 v143, v46
	v_mov_b32_e32 v144, v47
	v_mov_b32_e32 v145, v42
	v_mov_b32_e32 v146, v43
	ds_write2_b64 v126, v[120:121], v[129:130] offset0:28 offset1:29
	;; [unrolled: 25-line block ×3, first 2 shown]
	ds_write2_b64 v126, v[131:132], v[133:134] offset0:40 offset1:41
	ds_write2_b64 v126, v[135:136], v[137:138] offset0:42 offset1:43
	;; [unrolled: 1-line block ×4, first 2 shown]
	v_mov_b32_e32 v120, v20
	v_mov_b32_e32 v121, v21
	;; [unrolled: 1-line block ×8, first 2 shown]
	ds_write2_b64 v126, v[120:121], v[129:130] offset0:48 offset1:49
	v_mov_b32_e32 v129, 9
	v_mov_b32_e32 v135, v12
	;; [unrolled: 1-line block ×9, first 2 shown]
	ds_write2_b64 v126, v[131:132], v[133:134] offset0:50 offset1:51
	ds_write2_b64 v126, v[135:136], v[137:138] offset0:52 offset1:53
	;; [unrolled: 1-line block ×3, first 2 shown]
	ds_write_b64 v126, v[118:119] offset:448
.LBB112_163:
	s_or_b32 exec_lo, exec_lo, s0
	s_mov_b32 s0, exec_lo
	s_waitcnt lgkmcnt(0)
	s_waitcnt_vscnt null, 0x0
	s_barrier
	buffer_gl0_inv
	v_cmpx_lt_i32_e32 9, v129
	s_cbranch_execz .LBB112_165
; %bb.164:
	v_mul_f64 v[98:99], v[0:1], v[98:99]
	ds_read2_b64 v[130:133], v126 offset0:10 offset1:11
	ds_read2_b64 v[134:137], v126 offset0:12 offset1:13
	;; [unrolled: 1-line block ×12, first 2 shown]
	ds_read_b64 v[0:1], v126 offset:448
	s_waitcnt lgkmcnt(12)
	v_fma_f64 v[96:97], -v[98:99], v[130:131], v[96:97]
	v_fma_f64 v[94:95], -v[98:99], v[132:133], v[94:95]
	ds_read2_b64 v[130:133], v126 offset0:34 offset1:35
	s_waitcnt lgkmcnt(12)
	v_fma_f64 v[92:93], -v[98:99], v[134:135], v[92:93]
	v_fma_f64 v[88:89], -v[98:99], v[136:137], v[88:89]
	s_waitcnt lgkmcnt(11)
	v_fma_f64 v[90:91], -v[98:99], v[138:139], v[90:91]
	v_fma_f64 v[84:85], -v[98:99], v[140:141], v[84:85]
	;; [unrolled: 3-line block ×7, first 2 shown]
	ds_read2_b64 v[134:137], v126 offset0:36 offset1:37
	s_waitcnt lgkmcnt(6)
	v_fma_f64 v[66:67], -v[98:99], v[162:163], v[66:67]
	v_fma_f64 v[62:63], -v[98:99], v[164:165], v[62:63]
	ds_read2_b64 v[138:141], v126 offset0:38 offset1:39
	ds_read2_b64 v[142:145], v126 offset0:40 offset1:41
	s_waitcnt lgkmcnt(7)
	v_fma_f64 v[60:61], -v[98:99], v[166:167], v[60:61]
	v_fma_f64 v[58:59], -v[98:99], v[168:169], v[58:59]
	ds_read2_b64 v[146:149], v126 offset0:42 offset1:43
	ds_read2_b64 v[150:153], v126 offset0:44 offset1:45
	;; [unrolled: 1-line block ×6, first 2 shown]
	s_waitcnt lgkmcnt(9)
	v_fma_f64 v[50:51], -v[98:99], v[130:131], v[50:51]
	v_fma_f64 v[44:45], -v[98:99], v[132:133], v[44:45]
	ds_read2_b64 v[130:133], v126 offset0:54 offset1:55
	v_fma_f64 v[56:57], -v[98:99], v[170:171], v[56:57]
	v_fma_f64 v[54:55], -v[98:99], v[172:173], v[54:55]
	;; [unrolled: 1-line block ×4, first 2 shown]
	s_waitcnt lgkmcnt(9)
	v_fma_f64 v[46:47], -v[98:99], v[134:135], v[46:47]
	v_fma_f64 v[42:43], -v[98:99], v[136:137], v[42:43]
	;; [unrolled: 1-line block ×3, first 2 shown]
	s_waitcnt lgkmcnt(8)
	v_fma_f64 v[40:41], -v[98:99], v[138:139], v[40:41]
	v_fma_f64 v[38:39], -v[98:99], v[140:141], v[38:39]
	s_waitcnt lgkmcnt(7)
	v_fma_f64 v[36:37], -v[98:99], v[142:143], v[36:37]
	v_fma_f64 v[34:35], -v[98:99], v[144:145], v[34:35]
	s_waitcnt lgkmcnt(6)
	v_fma_f64 v[32:33], -v[98:99], v[146:147], v[32:33]
	v_fma_f64 v[28:29], -v[98:99], v[148:149], v[28:29]
	s_waitcnt lgkmcnt(5)
	v_fma_f64 v[30:31], -v[98:99], v[150:151], v[30:31]
	v_fma_f64 v[24:25], -v[98:99], v[152:153], v[24:25]
	s_waitcnt lgkmcnt(4)
	v_fma_f64 v[26:27], -v[98:99], v[154:155], v[26:27]
	v_fma_f64 v[22:23], -v[98:99], v[156:157], v[22:23]
	s_waitcnt lgkmcnt(3)
	v_fma_f64 v[20:21], -v[98:99], v[158:159], v[20:21]
	v_fma_f64 v[18:19], -v[98:99], v[160:161], v[18:19]
	s_waitcnt lgkmcnt(2)
	v_fma_f64 v[16:17], -v[98:99], v[162:163], v[16:17]
	v_fma_f64 v[14:15], -v[98:99], v[164:165], v[14:15]
	s_waitcnt lgkmcnt(1)
	v_fma_f64 v[12:13], -v[98:99], v[166:167], v[12:13]
	v_fma_f64 v[8:9], -v[98:99], v[168:169], v[8:9]
	s_waitcnt lgkmcnt(0)
	v_fma_f64 v[10:11], -v[98:99], v[130:131], v[10:11]
	v_fma_f64 v[6:7], -v[98:99], v[132:133], v[6:7]
.LBB112_165:
	s_or_b32 exec_lo, exec_lo, s0
	v_lshl_add_u32 v0, v129, 3, v126
	s_barrier
	buffer_gl0_inv
	v_mov_b32_e32 v120, 10
	ds_write_b64 v0, v[96:97]
	s_waitcnt lgkmcnt(0)
	s_barrier
	buffer_gl0_inv
	ds_read_b64 v[0:1], v126 offset:80
	s_cmp_lt_i32 s7, 12
	s_cbranch_scc1 .LBB112_168
; %bb.166:
	v_add3_u32 v121, v127, 0, 0x58
	v_mov_b32_e32 v120, 10
	s_mov_b32 s0, 11
.LBB112_167:                            ; =>This Inner Loop Header: Depth=1
	ds_read_b64 v[130:131], v121
	v_add_nc_u32_e32 v121, 8, v121
	s_waitcnt lgkmcnt(0)
	v_cmp_lt_f64_e64 vcc_lo, |v[0:1]|, |v[130:131]|
	v_cndmask_b32_e32 v1, v1, v131, vcc_lo
	v_cndmask_b32_e32 v0, v0, v130, vcc_lo
	v_cndmask_b32_e64 v120, v120, s0, vcc_lo
	s_add_i32 s0, s0, 1
	s_cmp_lg_u32 s7, s0
	s_cbranch_scc1 .LBB112_167
.LBB112_168:
	s_mov_b32 s0, exec_lo
	s_waitcnt lgkmcnt(0)
	v_cmpx_eq_f64_e32 0, v[0:1]
	s_xor_b32 s0, exec_lo, s0
; %bb.169:
	v_cmp_ne_u32_e32 vcc_lo, 0, v123
	v_cndmask_b32_e32 v123, 11, v123, vcc_lo
; %bb.170:
	s_andn2_saveexec_b32 s0, s0
	s_cbranch_execz .LBB112_172
; %bb.171:
	v_div_scale_f64 v[121:122], null, v[0:1], v[0:1], 1.0
	v_rcp_f64_e32 v[130:131], v[121:122]
	v_fma_f64 v[132:133], -v[121:122], v[130:131], 1.0
	v_fma_f64 v[130:131], v[130:131], v[132:133], v[130:131]
	v_fma_f64 v[132:133], -v[121:122], v[130:131], 1.0
	v_fma_f64 v[130:131], v[130:131], v[132:133], v[130:131]
	v_div_scale_f64 v[132:133], vcc_lo, 1.0, v[0:1], 1.0
	v_mul_f64 v[134:135], v[132:133], v[130:131]
	v_fma_f64 v[121:122], -v[121:122], v[134:135], v[132:133]
	v_div_fmas_f64 v[121:122], v[121:122], v[130:131], v[134:135]
	v_div_fixup_f64 v[0:1], v[121:122], v[0:1], 1.0
.LBB112_172:
	s_or_b32 exec_lo, exec_lo, s0
	s_mov_b32 s0, exec_lo
	v_cmpx_ne_u32_e64 v129, v120
	s_xor_b32 s0, exec_lo, s0
	s_cbranch_execz .LBB112_178
; %bb.173:
	s_mov_b32 s1, exec_lo
	v_cmpx_eq_u32_e32 10, v129
	s_cbranch_execz .LBB112_177
; %bb.174:
	v_cmp_ne_u32_e32 vcc_lo, 10, v120
	s_xor_b32 s2, s6, -1
	s_and_b32 s3, s2, vcc_lo
	s_and_saveexec_b32 s2, s3
	s_cbranch_execz .LBB112_176
; %bb.175:
	v_ashrrev_i32_e32 v121, 31, v120
	v_lshlrev_b64 v[121:122], 2, v[120:121]
	v_add_co_u32 v121, vcc_lo, v4, v121
	v_add_co_ci_u32_e64 v122, null, v5, v122, vcc_lo
	s_clause 0x1
	global_load_dword v128, v[121:122], off
	global_load_dword v129, v[4:5], off offset:40
	s_waitcnt vmcnt(1)
	global_store_dword v[4:5], v128, off offset:40
	s_waitcnt vmcnt(0)
	global_store_dword v[121:122], v129, off
.LBB112_176:
	s_or_b32 exec_lo, exec_lo, s2
	v_mov_b32_e32 v128, v120
	v_mov_b32_e32 v129, v120
.LBB112_177:
	s_or_b32 exec_lo, exec_lo, s1
.LBB112_178:
	s_andn2_saveexec_b32 s0, s0
	s_cbranch_execz .LBB112_180
; %bb.179:
	v_mov_b32_e32 v129, 10
	ds_write2_b64 v126, v[94:95], v[92:93] offset0:11 offset1:12
	ds_write2_b64 v126, v[88:89], v[90:91] offset0:13 offset1:14
	;; [unrolled: 1-line block ×23, first 2 shown]
.LBB112_180:
	s_or_b32 exec_lo, exec_lo, s0
	s_mov_b32 s0, exec_lo
	s_waitcnt lgkmcnt(0)
	s_waitcnt_vscnt null, 0x0
	s_barrier
	buffer_gl0_inv
	v_cmpx_lt_i32_e32 10, v129
	s_cbranch_execz .LBB112_182
; %bb.181:
	v_mul_f64 v[96:97], v[0:1], v[96:97]
	ds_read2_b64 v[130:133], v126 offset0:11 offset1:12
	ds_read2_b64 v[134:137], v126 offset0:13 offset1:14
	;; [unrolled: 1-line block ×11, first 2 shown]
	s_waitcnt lgkmcnt(10)
	v_fma_f64 v[94:95], -v[96:97], v[130:131], v[94:95]
	v_fma_f64 v[92:93], -v[96:97], v[132:133], v[92:93]
	ds_read2_b64 v[130:133], v126 offset0:33 offset1:34
	s_waitcnt lgkmcnt(10)
	v_fma_f64 v[88:89], -v[96:97], v[134:135], v[88:89]
	v_fma_f64 v[90:91], -v[96:97], v[136:137], v[90:91]
	s_waitcnt lgkmcnt(9)
	v_fma_f64 v[84:85], -v[96:97], v[138:139], v[84:85]
	v_fma_f64 v[86:87], -v[96:97], v[140:141], v[86:87]
	s_waitcnt lgkmcnt(8)
	v_fma_f64 v[82:83], -v[96:97], v[142:143], v[82:83]
	v_fma_f64 v[80:81], -v[96:97], v[144:145], v[80:81]
	s_waitcnt lgkmcnt(7)
	v_fma_f64 v[78:79], -v[96:97], v[146:147], v[78:79]
	v_fma_f64 v[76:77], -v[96:97], v[148:149], v[76:77]
	s_waitcnt lgkmcnt(6)
	v_fma_f64 v[74:75], -v[96:97], v[150:151], v[74:75]
	v_fma_f64 v[72:73], -v[96:97], v[152:153], v[72:73]
	s_waitcnt lgkmcnt(5)
	v_fma_f64 v[68:69], -v[96:97], v[154:155], v[68:69]
	v_fma_f64 v[70:71], -v[96:97], v[156:157], v[70:71]
	ds_read2_b64 v[134:137], v126 offset0:35 offset1:36
	s_waitcnt lgkmcnt(5)
	v_fma_f64 v[64:65], -v[96:97], v[158:159], v[64:65]
	v_fma_f64 v[66:67], -v[96:97], v[160:161], v[66:67]
	ds_read2_b64 v[138:141], v126 offset0:37 offset1:38
	ds_read2_b64 v[142:145], v126 offset0:39 offset1:40
	s_waitcnt lgkmcnt(6)
	v_fma_f64 v[62:63], -v[96:97], v[162:163], v[62:63]
	v_fma_f64 v[60:61], -v[96:97], v[164:165], v[60:61]
	ds_read2_b64 v[146:149], v126 offset0:41 offset1:42
	;; [unrolled: 5-line block ×5, first 2 shown]
	ds_read2_b64 v[170:173], v126 offset0:55 offset1:56
	s_waitcnt lgkmcnt(10)
	v_fma_f64 v[44:45], -v[96:97], v[134:135], v[44:45]
	v_fma_f64 v[46:47], -v[96:97], v[136:137], v[46:47]
	s_waitcnt lgkmcnt(9)
	v_fma_f64 v[42:43], -v[96:97], v[138:139], v[42:43]
	v_fma_f64 v[40:41], -v[96:97], v[140:141], v[40:41]
	s_waitcnt lgkmcnt(8)
	v_fma_f64 v[38:39], -v[96:97], v[142:143], v[38:39]
	v_fma_f64 v[36:37], -v[96:97], v[144:145], v[36:37]
	s_waitcnt lgkmcnt(7)
	v_fma_f64 v[34:35], -v[96:97], v[146:147], v[34:35]
	v_fma_f64 v[32:33], -v[96:97], v[148:149], v[32:33]
	s_waitcnt lgkmcnt(6)
	v_fma_f64 v[28:29], -v[96:97], v[150:151], v[28:29]
	v_fma_f64 v[30:31], -v[96:97], v[152:153], v[30:31]
	s_waitcnt lgkmcnt(5)
	v_fma_f64 v[24:25], -v[96:97], v[154:155], v[24:25]
	v_fma_f64 v[26:27], -v[96:97], v[156:157], v[26:27]
	s_waitcnt lgkmcnt(4)
	v_fma_f64 v[22:23], -v[96:97], v[158:159], v[22:23]
	v_fma_f64 v[20:21], -v[96:97], v[160:161], v[20:21]
	s_waitcnt lgkmcnt(3)
	v_fma_f64 v[18:19], -v[96:97], v[162:163], v[18:19]
	v_fma_f64 v[16:17], -v[96:97], v[164:165], v[16:17]
	s_waitcnt lgkmcnt(2)
	v_fma_f64 v[14:15], -v[96:97], v[166:167], v[14:15]
	v_fma_f64 v[12:13], -v[96:97], v[168:169], v[12:13]
	s_waitcnt lgkmcnt(1)
	v_fma_f64 v[8:9], -v[96:97], v[130:131], v[8:9]
	v_fma_f64 v[10:11], -v[96:97], v[132:133], v[10:11]
	s_waitcnt lgkmcnt(0)
	v_fma_f64 v[6:7], -v[96:97], v[170:171], v[6:7]
	v_fma_f64 v[118:119], -v[96:97], v[172:173], v[118:119]
.LBB112_182:
	s_or_b32 exec_lo, exec_lo, s0
	v_lshl_add_u32 v0, v129, 3, v126
	s_barrier
	buffer_gl0_inv
	v_mov_b32_e32 v120, 11
	ds_write_b64 v0, v[94:95]
	s_waitcnt lgkmcnt(0)
	s_barrier
	buffer_gl0_inv
	ds_read_b64 v[0:1], v126 offset:88
	s_cmp_lt_i32 s7, 13
	s_cbranch_scc1 .LBB112_185
; %bb.183:
	v_add3_u32 v121, v127, 0, 0x60
	v_mov_b32_e32 v120, 11
	s_mov_b32 s0, 12
.LBB112_184:                            ; =>This Inner Loop Header: Depth=1
	ds_read_b64 v[130:131], v121
	v_add_nc_u32_e32 v121, 8, v121
	s_waitcnt lgkmcnt(0)
	v_cmp_lt_f64_e64 vcc_lo, |v[0:1]|, |v[130:131]|
	v_cndmask_b32_e32 v1, v1, v131, vcc_lo
	v_cndmask_b32_e32 v0, v0, v130, vcc_lo
	v_cndmask_b32_e64 v120, v120, s0, vcc_lo
	s_add_i32 s0, s0, 1
	s_cmp_lg_u32 s7, s0
	s_cbranch_scc1 .LBB112_184
.LBB112_185:
	s_mov_b32 s0, exec_lo
	s_waitcnt lgkmcnt(0)
	v_cmpx_eq_f64_e32 0, v[0:1]
	s_xor_b32 s0, exec_lo, s0
; %bb.186:
	v_cmp_ne_u32_e32 vcc_lo, 0, v123
	v_cndmask_b32_e32 v123, 12, v123, vcc_lo
; %bb.187:
	s_andn2_saveexec_b32 s0, s0
	s_cbranch_execz .LBB112_189
; %bb.188:
	v_div_scale_f64 v[121:122], null, v[0:1], v[0:1], 1.0
	v_rcp_f64_e32 v[130:131], v[121:122]
	v_fma_f64 v[132:133], -v[121:122], v[130:131], 1.0
	v_fma_f64 v[130:131], v[130:131], v[132:133], v[130:131]
	v_fma_f64 v[132:133], -v[121:122], v[130:131], 1.0
	v_fma_f64 v[130:131], v[130:131], v[132:133], v[130:131]
	v_div_scale_f64 v[132:133], vcc_lo, 1.0, v[0:1], 1.0
	v_mul_f64 v[134:135], v[132:133], v[130:131]
	v_fma_f64 v[121:122], -v[121:122], v[134:135], v[132:133]
	v_div_fmas_f64 v[121:122], v[121:122], v[130:131], v[134:135]
	v_div_fixup_f64 v[0:1], v[121:122], v[0:1], 1.0
.LBB112_189:
	s_or_b32 exec_lo, exec_lo, s0
	s_mov_b32 s0, exec_lo
	v_cmpx_ne_u32_e64 v129, v120
	s_xor_b32 s0, exec_lo, s0
	s_cbranch_execz .LBB112_195
; %bb.190:
	s_mov_b32 s1, exec_lo
	v_cmpx_eq_u32_e32 11, v129
	s_cbranch_execz .LBB112_194
; %bb.191:
	v_cmp_ne_u32_e32 vcc_lo, 11, v120
	s_xor_b32 s2, s6, -1
	s_and_b32 s3, s2, vcc_lo
	s_and_saveexec_b32 s2, s3
	s_cbranch_execz .LBB112_193
; %bb.192:
	v_ashrrev_i32_e32 v121, 31, v120
	v_lshlrev_b64 v[121:122], 2, v[120:121]
	v_add_co_u32 v121, vcc_lo, v4, v121
	v_add_co_ci_u32_e64 v122, null, v5, v122, vcc_lo
	s_clause 0x1
	global_load_dword v128, v[121:122], off
	global_load_dword v129, v[4:5], off offset:44
	s_waitcnt vmcnt(1)
	global_store_dword v[4:5], v128, off offset:44
	s_waitcnt vmcnt(0)
	global_store_dword v[121:122], v129, off
.LBB112_193:
	s_or_b32 exec_lo, exec_lo, s2
	v_mov_b32_e32 v128, v120
	v_mov_b32_e32 v129, v120
.LBB112_194:
	s_or_b32 exec_lo, exec_lo, s1
.LBB112_195:
	s_andn2_saveexec_b32 s0, s0
	s_cbranch_execz .LBB112_197
; %bb.196:
	v_mov_b32_e32 v120, v92
	v_mov_b32_e32 v121, v93
	;; [unrolled: 1-line block ×12, first 2 shown]
	ds_write2_b64 v126, v[120:121], v[129:130] offset0:12 offset1:13
	ds_write2_b64 v126, v[131:132], v[133:134] offset0:14 offset1:15
	ds_write2_b64 v126, v[135:136], v[137:138] offset0:16 offset1:17
	v_mov_b32_e32 v120, v80
	v_mov_b32_e32 v121, v81
	v_mov_b32_e32 v129, v78
	v_mov_b32_e32 v130, v79
	v_mov_b32_e32 v131, v76
	v_mov_b32_e32 v132, v77
	v_mov_b32_e32 v133, v74
	v_mov_b32_e32 v134, v75
	v_mov_b32_e32 v135, v72
	v_mov_b32_e32 v136, v73
	v_mov_b32_e32 v137, v68
	v_mov_b32_e32 v138, v69
	v_mov_b32_e32 v139, v70
	v_mov_b32_e32 v140, v71
	v_mov_b32_e32 v141, v64
	v_mov_b32_e32 v142, v65
	v_mov_b32_e32 v143, v66
	v_mov_b32_e32 v144, v67
	v_mov_b32_e32 v145, v62
	v_mov_b32_e32 v146, v63
	ds_write2_b64 v126, v[120:121], v[129:130] offset0:18 offset1:19
	ds_write2_b64 v126, v[131:132], v[133:134] offset0:20 offset1:21
	ds_write2_b64 v126, v[135:136], v[137:138] offset0:22 offset1:23
	ds_write2_b64 v126, v[139:140], v[141:142] offset0:24 offset1:25
	ds_write2_b64 v126, v[143:144], v[145:146] offset0:26 offset1:27
	v_mov_b32_e32 v120, v60
	v_mov_b32_e32 v121, v61
	v_mov_b32_e32 v129, v58
	v_mov_b32_e32 v130, v59
	v_mov_b32_e32 v131, v56
	v_mov_b32_e32 v132, v57
	v_mov_b32_e32 v133, v54
	v_mov_b32_e32 v134, v55
	v_mov_b32_e32 v135, v52
	v_mov_b32_e32 v136, v53
	v_mov_b32_e32 v137, v48
	v_mov_b32_e32 v138, v49
	v_mov_b32_e32 v139, v50
	v_mov_b32_e32 v140, v51
	v_mov_b32_e32 v141, v44
	v_mov_b32_e32 v142, v45
	v_mov_b32_e32 v143, v46
	v_mov_b32_e32 v144, v47
	v_mov_b32_e32 v145, v42
	v_mov_b32_e32 v146, v43
	ds_write2_b64 v126, v[120:121], v[129:130] offset0:28 offset1:29
	ds_write2_b64 v126, v[131:132], v[133:134] offset0:30 offset1:31
	;; [unrolled: 25-line block ×3, first 2 shown]
	ds_write2_b64 v126, v[135:136], v[137:138] offset0:42 offset1:43
	ds_write2_b64 v126, v[139:140], v[141:142] offset0:44 offset1:45
	;; [unrolled: 1-line block ×3, first 2 shown]
	v_mov_b32_e32 v120, v20
	v_mov_b32_e32 v121, v21
	;; [unrolled: 1-line block ×8, first 2 shown]
	ds_write2_b64 v126, v[120:121], v[129:130] offset0:48 offset1:49
	v_mov_b32_e32 v129, 11
	v_mov_b32_e32 v135, v12
	;; [unrolled: 1-line block ×9, first 2 shown]
	ds_write2_b64 v126, v[131:132], v[133:134] offset0:50 offset1:51
	ds_write2_b64 v126, v[135:136], v[137:138] offset0:52 offset1:53
	;; [unrolled: 1-line block ×3, first 2 shown]
	ds_write_b64 v126, v[118:119] offset:448
.LBB112_197:
	s_or_b32 exec_lo, exec_lo, s0
	s_mov_b32 s0, exec_lo
	s_waitcnt lgkmcnt(0)
	s_waitcnt_vscnt null, 0x0
	s_barrier
	buffer_gl0_inv
	v_cmpx_lt_i32_e32 11, v129
	s_cbranch_execz .LBB112_199
; %bb.198:
	v_mul_f64 v[94:95], v[0:1], v[94:95]
	ds_read2_b64 v[130:133], v126 offset0:12 offset1:13
	ds_read2_b64 v[134:137], v126 offset0:14 offset1:15
	;; [unrolled: 1-line block ×11, first 2 shown]
	ds_read_b64 v[0:1], v126 offset:448
	s_waitcnt lgkmcnt(11)
	v_fma_f64 v[92:93], -v[94:95], v[130:131], v[92:93]
	v_fma_f64 v[88:89], -v[94:95], v[132:133], v[88:89]
	ds_read2_b64 v[130:133], v126 offset0:34 offset1:35
	s_waitcnt lgkmcnt(11)
	v_fma_f64 v[90:91], -v[94:95], v[134:135], v[90:91]
	v_fma_f64 v[84:85], -v[94:95], v[136:137], v[84:85]
	s_waitcnt lgkmcnt(10)
	v_fma_f64 v[86:87], -v[94:95], v[138:139], v[86:87]
	v_fma_f64 v[82:83], -v[94:95], v[140:141], v[82:83]
	s_waitcnt lgkmcnt(9)
	v_fma_f64 v[80:81], -v[94:95], v[142:143], v[80:81]
	v_fma_f64 v[78:79], -v[94:95], v[144:145], v[78:79]
	s_waitcnt lgkmcnt(8)
	v_fma_f64 v[76:77], -v[94:95], v[146:147], v[76:77]
	v_fma_f64 v[74:75], -v[94:95], v[148:149], v[74:75]
	s_waitcnt lgkmcnt(7)
	v_fma_f64 v[72:73], -v[94:95], v[150:151], v[72:73]
	v_fma_f64 v[68:69], -v[94:95], v[152:153], v[68:69]
	s_waitcnt lgkmcnt(6)
	v_fma_f64 v[70:71], -v[94:95], v[154:155], v[70:71]
	v_fma_f64 v[64:65], -v[94:95], v[156:157], v[64:65]
	ds_read2_b64 v[134:137], v126 offset0:36 offset1:37
	s_waitcnt lgkmcnt(6)
	v_fma_f64 v[66:67], -v[94:95], v[158:159], v[66:67]
	v_fma_f64 v[62:63], -v[94:95], v[160:161], v[62:63]
	ds_read2_b64 v[138:141], v126 offset0:38 offset1:39
	ds_read2_b64 v[142:145], v126 offset0:40 offset1:41
	s_waitcnt lgkmcnt(7)
	v_fma_f64 v[60:61], -v[94:95], v[162:163], v[60:61]
	v_fma_f64 v[58:59], -v[94:95], v[164:165], v[58:59]
	ds_read2_b64 v[146:149], v126 offset0:42 offset1:43
	;; [unrolled: 5-line block ×3, first 2 shown]
	ds_read2_b64 v[158:161], v126 offset0:48 offset1:49
	ds_read2_b64 v[162:165], v126 offset0:50 offset1:51
	;; [unrolled: 1-line block ×3, first 2 shown]
	s_waitcnt lgkmcnt(9)
	v_fma_f64 v[50:51], -v[94:95], v[130:131], v[50:51]
	v_fma_f64 v[44:45], -v[94:95], v[132:133], v[44:45]
	ds_read2_b64 v[130:133], v126 offset0:54 offset1:55
	v_fma_f64 v[52:53], -v[94:95], v[170:171], v[52:53]
	v_fma_f64 v[48:49], -v[94:95], v[172:173], v[48:49]
	s_waitcnt lgkmcnt(9)
	v_fma_f64 v[46:47], -v[94:95], v[134:135], v[46:47]
	v_fma_f64 v[42:43], -v[94:95], v[136:137], v[42:43]
	v_fma_f64 v[118:119], -v[94:95], v[0:1], v[118:119]
	s_waitcnt lgkmcnt(8)
	v_fma_f64 v[40:41], -v[94:95], v[138:139], v[40:41]
	v_fma_f64 v[38:39], -v[94:95], v[140:141], v[38:39]
	s_waitcnt lgkmcnt(7)
	v_fma_f64 v[36:37], -v[94:95], v[142:143], v[36:37]
	v_fma_f64 v[34:35], -v[94:95], v[144:145], v[34:35]
	;; [unrolled: 3-line block ×9, first 2 shown]
.LBB112_199:
	s_or_b32 exec_lo, exec_lo, s0
	v_lshl_add_u32 v0, v129, 3, v126
	s_barrier
	buffer_gl0_inv
	v_mov_b32_e32 v120, 12
	ds_write_b64 v0, v[92:93]
	s_waitcnt lgkmcnt(0)
	s_barrier
	buffer_gl0_inv
	ds_read_b64 v[0:1], v126 offset:96
	s_cmp_lt_i32 s7, 14
	s_cbranch_scc1 .LBB112_202
; %bb.200:
	v_add3_u32 v121, v127, 0, 0x68
	v_mov_b32_e32 v120, 12
	s_mov_b32 s0, 13
.LBB112_201:                            ; =>This Inner Loop Header: Depth=1
	ds_read_b64 v[130:131], v121
	v_add_nc_u32_e32 v121, 8, v121
	s_waitcnt lgkmcnt(0)
	v_cmp_lt_f64_e64 vcc_lo, |v[0:1]|, |v[130:131]|
	v_cndmask_b32_e32 v1, v1, v131, vcc_lo
	v_cndmask_b32_e32 v0, v0, v130, vcc_lo
	v_cndmask_b32_e64 v120, v120, s0, vcc_lo
	s_add_i32 s0, s0, 1
	s_cmp_lg_u32 s7, s0
	s_cbranch_scc1 .LBB112_201
.LBB112_202:
	s_mov_b32 s0, exec_lo
	s_waitcnt lgkmcnt(0)
	v_cmpx_eq_f64_e32 0, v[0:1]
	s_xor_b32 s0, exec_lo, s0
; %bb.203:
	v_cmp_ne_u32_e32 vcc_lo, 0, v123
	v_cndmask_b32_e32 v123, 13, v123, vcc_lo
; %bb.204:
	s_andn2_saveexec_b32 s0, s0
	s_cbranch_execz .LBB112_206
; %bb.205:
	v_div_scale_f64 v[121:122], null, v[0:1], v[0:1], 1.0
	v_rcp_f64_e32 v[130:131], v[121:122]
	v_fma_f64 v[132:133], -v[121:122], v[130:131], 1.0
	v_fma_f64 v[130:131], v[130:131], v[132:133], v[130:131]
	v_fma_f64 v[132:133], -v[121:122], v[130:131], 1.0
	v_fma_f64 v[130:131], v[130:131], v[132:133], v[130:131]
	v_div_scale_f64 v[132:133], vcc_lo, 1.0, v[0:1], 1.0
	v_mul_f64 v[134:135], v[132:133], v[130:131]
	v_fma_f64 v[121:122], -v[121:122], v[134:135], v[132:133]
	v_div_fmas_f64 v[121:122], v[121:122], v[130:131], v[134:135]
	v_div_fixup_f64 v[0:1], v[121:122], v[0:1], 1.0
.LBB112_206:
	s_or_b32 exec_lo, exec_lo, s0
	s_mov_b32 s0, exec_lo
	v_cmpx_ne_u32_e64 v129, v120
	s_xor_b32 s0, exec_lo, s0
	s_cbranch_execz .LBB112_212
; %bb.207:
	s_mov_b32 s1, exec_lo
	v_cmpx_eq_u32_e32 12, v129
	s_cbranch_execz .LBB112_211
; %bb.208:
	v_cmp_ne_u32_e32 vcc_lo, 12, v120
	s_xor_b32 s2, s6, -1
	s_and_b32 s3, s2, vcc_lo
	s_and_saveexec_b32 s2, s3
	s_cbranch_execz .LBB112_210
; %bb.209:
	v_ashrrev_i32_e32 v121, 31, v120
	v_lshlrev_b64 v[121:122], 2, v[120:121]
	v_add_co_u32 v121, vcc_lo, v4, v121
	v_add_co_ci_u32_e64 v122, null, v5, v122, vcc_lo
	s_clause 0x1
	global_load_dword v128, v[121:122], off
	global_load_dword v129, v[4:5], off offset:48
	s_waitcnt vmcnt(1)
	global_store_dword v[4:5], v128, off offset:48
	s_waitcnt vmcnt(0)
	global_store_dword v[121:122], v129, off
.LBB112_210:
	s_or_b32 exec_lo, exec_lo, s2
	v_mov_b32_e32 v128, v120
	v_mov_b32_e32 v129, v120
.LBB112_211:
	s_or_b32 exec_lo, exec_lo, s1
.LBB112_212:
	s_andn2_saveexec_b32 s0, s0
	s_cbranch_execz .LBB112_214
; %bb.213:
	v_mov_b32_e32 v129, 12
	ds_write2_b64 v126, v[88:89], v[90:91] offset0:13 offset1:14
	ds_write2_b64 v126, v[84:85], v[86:87] offset0:15 offset1:16
	;; [unrolled: 1-line block ×22, first 2 shown]
.LBB112_214:
	s_or_b32 exec_lo, exec_lo, s0
	s_mov_b32 s0, exec_lo
	s_waitcnt lgkmcnt(0)
	s_waitcnt_vscnt null, 0x0
	s_barrier
	buffer_gl0_inv
	v_cmpx_lt_i32_e32 12, v129
	s_cbranch_execz .LBB112_216
; %bb.215:
	v_mul_f64 v[92:93], v[0:1], v[92:93]
	ds_read2_b64 v[130:133], v126 offset0:13 offset1:14
	ds_read2_b64 v[134:137], v126 offset0:15 offset1:16
	;; [unrolled: 1-line block ×11, first 2 shown]
	s_waitcnt lgkmcnt(10)
	v_fma_f64 v[88:89], -v[92:93], v[130:131], v[88:89]
	v_fma_f64 v[90:91], -v[92:93], v[132:133], v[90:91]
	s_waitcnt lgkmcnt(9)
	v_fma_f64 v[84:85], -v[92:93], v[134:135], v[84:85]
	v_fma_f64 v[86:87], -v[92:93], v[136:137], v[86:87]
	;; [unrolled: 3-line block ×6, first 2 shown]
	ds_read2_b64 v[130:133], v126 offset0:35 offset1:36
	ds_read2_b64 v[134:137], v126 offset0:37 offset1:38
	s_waitcnt lgkmcnt(6)
	v_fma_f64 v[64:65], -v[92:93], v[154:155], v[64:65]
	v_fma_f64 v[66:67], -v[92:93], v[156:157], v[66:67]
	s_waitcnt lgkmcnt(5)
	v_fma_f64 v[62:63], -v[92:93], v[158:159], v[62:63]
	ds_read2_b64 v[138:141], v126 offset0:39 offset1:40
	ds_read2_b64 v[142:145], v126 offset0:41 offset1:42
	v_fma_f64 v[60:61], -v[92:93], v[160:161], v[60:61]
	s_waitcnt lgkmcnt(6)
	v_fma_f64 v[58:59], -v[92:93], v[162:163], v[58:59]
	ds_read2_b64 v[146:149], v126 offset0:43 offset1:44
	ds_read2_b64 v[150:153], v126 offset0:45 offset1:46
	;; [unrolled: 5-line block ×4, first 2 shown]
	v_fma_f64 v[50:51], -v[92:93], v[172:173], v[50:51]
	ds_read2_b64 v[170:173], v126 offset0:55 offset1:56
	s_waitcnt lgkmcnt(10)
	v_fma_f64 v[44:45], -v[92:93], v[130:131], v[44:45]
	v_fma_f64 v[46:47], -v[92:93], v[132:133], v[46:47]
	s_waitcnt lgkmcnt(9)
	v_fma_f64 v[42:43], -v[92:93], v[134:135], v[42:43]
	v_fma_f64 v[40:41], -v[92:93], v[136:137], v[40:41]
	;; [unrolled: 3-line block ×11, first 2 shown]
.LBB112_216:
	s_or_b32 exec_lo, exec_lo, s0
	v_lshl_add_u32 v0, v129, 3, v126
	s_barrier
	buffer_gl0_inv
	v_mov_b32_e32 v120, 13
	ds_write_b64 v0, v[88:89]
	s_waitcnt lgkmcnt(0)
	s_barrier
	buffer_gl0_inv
	ds_read_b64 v[0:1], v126 offset:104
	s_cmp_lt_i32 s7, 15
	s_cbranch_scc1 .LBB112_219
; %bb.217:
	v_add3_u32 v121, v127, 0, 0x70
	v_mov_b32_e32 v120, 13
	s_mov_b32 s0, 14
.LBB112_218:                            ; =>This Inner Loop Header: Depth=1
	ds_read_b64 v[130:131], v121
	v_add_nc_u32_e32 v121, 8, v121
	s_waitcnt lgkmcnt(0)
	v_cmp_lt_f64_e64 vcc_lo, |v[0:1]|, |v[130:131]|
	v_cndmask_b32_e32 v1, v1, v131, vcc_lo
	v_cndmask_b32_e32 v0, v0, v130, vcc_lo
	v_cndmask_b32_e64 v120, v120, s0, vcc_lo
	s_add_i32 s0, s0, 1
	s_cmp_lg_u32 s7, s0
	s_cbranch_scc1 .LBB112_218
.LBB112_219:
	s_mov_b32 s0, exec_lo
	s_waitcnt lgkmcnt(0)
	v_cmpx_eq_f64_e32 0, v[0:1]
	s_xor_b32 s0, exec_lo, s0
; %bb.220:
	v_cmp_ne_u32_e32 vcc_lo, 0, v123
	v_cndmask_b32_e32 v123, 14, v123, vcc_lo
; %bb.221:
	s_andn2_saveexec_b32 s0, s0
	s_cbranch_execz .LBB112_223
; %bb.222:
	v_div_scale_f64 v[121:122], null, v[0:1], v[0:1], 1.0
	v_rcp_f64_e32 v[130:131], v[121:122]
	v_fma_f64 v[132:133], -v[121:122], v[130:131], 1.0
	v_fma_f64 v[130:131], v[130:131], v[132:133], v[130:131]
	v_fma_f64 v[132:133], -v[121:122], v[130:131], 1.0
	v_fma_f64 v[130:131], v[130:131], v[132:133], v[130:131]
	v_div_scale_f64 v[132:133], vcc_lo, 1.0, v[0:1], 1.0
	v_mul_f64 v[134:135], v[132:133], v[130:131]
	v_fma_f64 v[121:122], -v[121:122], v[134:135], v[132:133]
	v_div_fmas_f64 v[121:122], v[121:122], v[130:131], v[134:135]
	v_div_fixup_f64 v[0:1], v[121:122], v[0:1], 1.0
.LBB112_223:
	s_or_b32 exec_lo, exec_lo, s0
	s_mov_b32 s0, exec_lo
	v_cmpx_ne_u32_e64 v129, v120
	s_xor_b32 s0, exec_lo, s0
	s_cbranch_execz .LBB112_229
; %bb.224:
	s_mov_b32 s1, exec_lo
	v_cmpx_eq_u32_e32 13, v129
	s_cbranch_execz .LBB112_228
; %bb.225:
	v_cmp_ne_u32_e32 vcc_lo, 13, v120
	s_xor_b32 s2, s6, -1
	s_and_b32 s3, s2, vcc_lo
	s_and_saveexec_b32 s2, s3
	s_cbranch_execz .LBB112_227
; %bb.226:
	v_ashrrev_i32_e32 v121, 31, v120
	v_lshlrev_b64 v[121:122], 2, v[120:121]
	v_add_co_u32 v121, vcc_lo, v4, v121
	v_add_co_ci_u32_e64 v122, null, v5, v122, vcc_lo
	s_clause 0x1
	global_load_dword v128, v[121:122], off
	global_load_dword v129, v[4:5], off offset:52
	s_waitcnt vmcnt(1)
	global_store_dword v[4:5], v128, off offset:52
	s_waitcnt vmcnt(0)
	global_store_dword v[121:122], v129, off
.LBB112_227:
	s_or_b32 exec_lo, exec_lo, s2
	v_mov_b32_e32 v128, v120
	v_mov_b32_e32 v129, v120
.LBB112_228:
	s_or_b32 exec_lo, exec_lo, s1
.LBB112_229:
	s_andn2_saveexec_b32 s0, s0
	s_cbranch_execz .LBB112_231
; %bb.230:
	v_mov_b32_e32 v120, v90
	v_mov_b32_e32 v121, v91
	;; [unrolled: 1-line block ×8, first 2 shown]
	ds_write2_b64 v126, v[120:121], v[129:130] offset0:14 offset1:15
	ds_write2_b64 v126, v[131:132], v[133:134] offset0:16 offset1:17
	v_mov_b32_e32 v120, v80
	v_mov_b32_e32 v121, v81
	v_mov_b32_e32 v129, v78
	v_mov_b32_e32 v130, v79
	v_mov_b32_e32 v131, v76
	v_mov_b32_e32 v132, v77
	v_mov_b32_e32 v133, v74
	v_mov_b32_e32 v134, v75
	v_mov_b32_e32 v135, v72
	v_mov_b32_e32 v136, v73
	v_mov_b32_e32 v137, v68
	v_mov_b32_e32 v138, v69
	v_mov_b32_e32 v139, v70
	v_mov_b32_e32 v140, v71
	v_mov_b32_e32 v141, v64
	v_mov_b32_e32 v142, v65
	v_mov_b32_e32 v143, v66
	v_mov_b32_e32 v144, v67
	v_mov_b32_e32 v145, v62
	v_mov_b32_e32 v146, v63
	ds_write2_b64 v126, v[120:121], v[129:130] offset0:18 offset1:19
	ds_write2_b64 v126, v[131:132], v[133:134] offset0:20 offset1:21
	ds_write2_b64 v126, v[135:136], v[137:138] offset0:22 offset1:23
	ds_write2_b64 v126, v[139:140], v[141:142] offset0:24 offset1:25
	ds_write2_b64 v126, v[143:144], v[145:146] offset0:26 offset1:27
	v_mov_b32_e32 v120, v60
	v_mov_b32_e32 v121, v61
	v_mov_b32_e32 v129, v58
	v_mov_b32_e32 v130, v59
	v_mov_b32_e32 v131, v56
	v_mov_b32_e32 v132, v57
	v_mov_b32_e32 v133, v54
	v_mov_b32_e32 v134, v55
	v_mov_b32_e32 v135, v52
	v_mov_b32_e32 v136, v53
	v_mov_b32_e32 v137, v48
	v_mov_b32_e32 v138, v49
	v_mov_b32_e32 v139, v50
	v_mov_b32_e32 v140, v51
	v_mov_b32_e32 v141, v44
	v_mov_b32_e32 v142, v45
	v_mov_b32_e32 v143, v46
	v_mov_b32_e32 v144, v47
	v_mov_b32_e32 v145, v42
	v_mov_b32_e32 v146, v43
	ds_write2_b64 v126, v[120:121], v[129:130] offset0:28 offset1:29
	ds_write2_b64 v126, v[131:132], v[133:134] offset0:30 offset1:31
	ds_write2_b64 v126, v[135:136], v[137:138] offset0:32 offset1:33
	;; [unrolled: 25-line block ×3, first 2 shown]
	ds_write2_b64 v126, v[139:140], v[141:142] offset0:44 offset1:45
	ds_write2_b64 v126, v[143:144], v[145:146] offset0:46 offset1:47
	v_mov_b32_e32 v120, v20
	v_mov_b32_e32 v121, v21
	;; [unrolled: 1-line block ×8, first 2 shown]
	ds_write2_b64 v126, v[120:121], v[129:130] offset0:48 offset1:49
	v_mov_b32_e32 v129, 13
	v_mov_b32_e32 v135, v12
	;; [unrolled: 1-line block ×9, first 2 shown]
	ds_write2_b64 v126, v[131:132], v[133:134] offset0:50 offset1:51
	ds_write2_b64 v126, v[135:136], v[137:138] offset0:52 offset1:53
	;; [unrolled: 1-line block ×3, first 2 shown]
	ds_write_b64 v126, v[118:119] offset:448
.LBB112_231:
	s_or_b32 exec_lo, exec_lo, s0
	s_mov_b32 s0, exec_lo
	s_waitcnt lgkmcnt(0)
	s_waitcnt_vscnt null, 0x0
	s_barrier
	buffer_gl0_inv
	v_cmpx_lt_i32_e32 13, v129
	s_cbranch_execz .LBB112_233
; %bb.232:
	v_mul_f64 v[88:89], v[0:1], v[88:89]
	ds_read2_b64 v[130:133], v126 offset0:14 offset1:15
	ds_read2_b64 v[134:137], v126 offset0:16 offset1:17
	;; [unrolled: 1-line block ×11, first 2 shown]
	ds_read_b64 v[0:1], v126 offset:448
	s_waitcnt lgkmcnt(11)
	v_fma_f64 v[90:91], -v[88:89], v[130:131], v[90:91]
	v_fma_f64 v[84:85], -v[88:89], v[132:133], v[84:85]
	s_waitcnt lgkmcnt(10)
	v_fma_f64 v[86:87], -v[88:89], v[134:135], v[86:87]
	v_fma_f64 v[82:83], -v[88:89], v[136:137], v[82:83]
	;; [unrolled: 3-line block ×6, first 2 shown]
	ds_read2_b64 v[130:133], v126 offset0:36 offset1:37
	ds_read2_b64 v[134:137], v126 offset0:38 offset1:39
	s_waitcnt lgkmcnt(7)
	v_fma_f64 v[66:67], -v[88:89], v[154:155], v[66:67]
	v_fma_f64 v[62:63], -v[88:89], v[156:157], v[62:63]
	s_waitcnt lgkmcnt(6)
	v_fma_f64 v[60:61], -v[88:89], v[158:159], v[60:61]
	ds_read2_b64 v[138:141], v126 offset0:40 offset1:41
	ds_read2_b64 v[142:145], v126 offset0:42 offset1:43
	v_fma_f64 v[58:59], -v[88:89], v[160:161], v[58:59]
	s_waitcnt lgkmcnt(7)
	v_fma_f64 v[56:57], -v[88:89], v[162:163], v[56:57]
	ds_read2_b64 v[146:149], v126 offset0:44 offset1:45
	ds_read2_b64 v[150:153], v126 offset0:46 offset1:47
	v_fma_f64 v[54:55], -v[88:89], v[164:165], v[54:55]
	s_waitcnt lgkmcnt(8)
	v_fma_f64 v[52:53], -v[88:89], v[166:167], v[52:53]
	ds_read2_b64 v[154:157], v126 offset0:48 offset1:49
	ds_read2_b64 v[158:161], v126 offset0:50 offset1:51
	v_fma_f64 v[48:49], -v[88:89], v[168:169], v[48:49]
	ds_read2_b64 v[162:165], v126 offset0:52 offset1:53
	ds_read2_b64 v[166:169], v126 offset0:54 offset1:55
	s_waitcnt lgkmcnt(11)
	v_fma_f64 v[50:51], -v[88:89], v[170:171], v[50:51]
	v_fma_f64 v[44:45], -v[88:89], v[172:173], v[44:45]
	s_waitcnt lgkmcnt(9)
	v_fma_f64 v[46:47], -v[88:89], v[130:131], v[46:47]
	v_fma_f64 v[42:43], -v[88:89], v[132:133], v[42:43]
	;; [unrolled: 3-line block ×3, first 2 shown]
	v_fma_f64 v[118:119], -v[88:89], v[0:1], v[118:119]
	s_waitcnt lgkmcnt(7)
	v_fma_f64 v[36:37], -v[88:89], v[138:139], v[36:37]
	v_fma_f64 v[34:35], -v[88:89], v[140:141], v[34:35]
	s_waitcnt lgkmcnt(6)
	v_fma_f64 v[32:33], -v[88:89], v[142:143], v[32:33]
	;; [unrolled: 3-line block ×8, first 2 shown]
	v_fma_f64 v[6:7], -v[88:89], v[168:169], v[6:7]
.LBB112_233:
	s_or_b32 exec_lo, exec_lo, s0
	v_lshl_add_u32 v0, v129, 3, v126
	s_barrier
	buffer_gl0_inv
	v_mov_b32_e32 v120, 14
	ds_write_b64 v0, v[90:91]
	s_waitcnt lgkmcnt(0)
	s_barrier
	buffer_gl0_inv
	ds_read_b64 v[0:1], v126 offset:112
	s_cmp_lt_i32 s7, 16
	s_cbranch_scc1 .LBB112_236
; %bb.234:
	v_add3_u32 v121, v127, 0, 0x78
	v_mov_b32_e32 v120, 14
	s_mov_b32 s0, 15
.LBB112_235:                            ; =>This Inner Loop Header: Depth=1
	ds_read_b64 v[130:131], v121
	v_add_nc_u32_e32 v121, 8, v121
	s_waitcnt lgkmcnt(0)
	v_cmp_lt_f64_e64 vcc_lo, |v[0:1]|, |v[130:131]|
	v_cndmask_b32_e32 v1, v1, v131, vcc_lo
	v_cndmask_b32_e32 v0, v0, v130, vcc_lo
	v_cndmask_b32_e64 v120, v120, s0, vcc_lo
	s_add_i32 s0, s0, 1
	s_cmp_lg_u32 s7, s0
	s_cbranch_scc1 .LBB112_235
.LBB112_236:
	s_mov_b32 s0, exec_lo
	s_waitcnt lgkmcnt(0)
	v_cmpx_eq_f64_e32 0, v[0:1]
	s_xor_b32 s0, exec_lo, s0
; %bb.237:
	v_cmp_ne_u32_e32 vcc_lo, 0, v123
	v_cndmask_b32_e32 v123, 15, v123, vcc_lo
; %bb.238:
	s_andn2_saveexec_b32 s0, s0
	s_cbranch_execz .LBB112_240
; %bb.239:
	v_div_scale_f64 v[121:122], null, v[0:1], v[0:1], 1.0
	v_rcp_f64_e32 v[130:131], v[121:122]
	v_fma_f64 v[132:133], -v[121:122], v[130:131], 1.0
	v_fma_f64 v[130:131], v[130:131], v[132:133], v[130:131]
	v_fma_f64 v[132:133], -v[121:122], v[130:131], 1.0
	v_fma_f64 v[130:131], v[130:131], v[132:133], v[130:131]
	v_div_scale_f64 v[132:133], vcc_lo, 1.0, v[0:1], 1.0
	v_mul_f64 v[134:135], v[132:133], v[130:131]
	v_fma_f64 v[121:122], -v[121:122], v[134:135], v[132:133]
	v_div_fmas_f64 v[121:122], v[121:122], v[130:131], v[134:135]
	v_div_fixup_f64 v[0:1], v[121:122], v[0:1], 1.0
.LBB112_240:
	s_or_b32 exec_lo, exec_lo, s0
	s_mov_b32 s0, exec_lo
	v_cmpx_ne_u32_e64 v129, v120
	s_xor_b32 s0, exec_lo, s0
	s_cbranch_execz .LBB112_246
; %bb.241:
	s_mov_b32 s1, exec_lo
	v_cmpx_eq_u32_e32 14, v129
	s_cbranch_execz .LBB112_245
; %bb.242:
	v_cmp_ne_u32_e32 vcc_lo, 14, v120
	s_xor_b32 s2, s6, -1
	s_and_b32 s3, s2, vcc_lo
	s_and_saveexec_b32 s2, s3
	s_cbranch_execz .LBB112_244
; %bb.243:
	v_ashrrev_i32_e32 v121, 31, v120
	v_lshlrev_b64 v[121:122], 2, v[120:121]
	v_add_co_u32 v121, vcc_lo, v4, v121
	v_add_co_ci_u32_e64 v122, null, v5, v122, vcc_lo
	s_clause 0x1
	global_load_dword v128, v[121:122], off
	global_load_dword v129, v[4:5], off offset:56
	s_waitcnt vmcnt(1)
	global_store_dword v[4:5], v128, off offset:56
	s_waitcnt vmcnt(0)
	global_store_dword v[121:122], v129, off
.LBB112_244:
	s_or_b32 exec_lo, exec_lo, s2
	v_mov_b32_e32 v128, v120
	v_mov_b32_e32 v129, v120
.LBB112_245:
	s_or_b32 exec_lo, exec_lo, s1
.LBB112_246:
	s_andn2_saveexec_b32 s0, s0
	s_cbranch_execz .LBB112_248
; %bb.247:
	v_mov_b32_e32 v129, 14
	ds_write2_b64 v126, v[84:85], v[86:87] offset0:15 offset1:16
	ds_write2_b64 v126, v[82:83], v[80:81] offset0:17 offset1:18
	;; [unrolled: 1-line block ×21, first 2 shown]
.LBB112_248:
	s_or_b32 exec_lo, exec_lo, s0
	s_mov_b32 s0, exec_lo
	s_waitcnt lgkmcnt(0)
	s_waitcnt_vscnt null, 0x0
	s_barrier
	buffer_gl0_inv
	v_cmpx_lt_i32_e32 14, v129
	s_cbranch_execz .LBB112_250
; %bb.249:
	v_mul_f64 v[90:91], v[0:1], v[90:91]
	ds_read2_b64 v[130:133], v126 offset0:15 offset1:16
	ds_read2_b64 v[134:137], v126 offset0:17 offset1:18
	ds_read2_b64 v[138:141], v126 offset0:19 offset1:20
	ds_read2_b64 v[142:145], v126 offset0:21 offset1:22
	ds_read2_b64 v[146:149], v126 offset0:23 offset1:24
	ds_read2_b64 v[150:153], v126 offset0:25 offset1:26
	ds_read2_b64 v[154:157], v126 offset0:27 offset1:28
	ds_read2_b64 v[158:161], v126 offset0:29 offset1:30
	ds_read2_b64 v[162:165], v126 offset0:31 offset1:32
	ds_read2_b64 v[166:169], v126 offset0:33 offset1:34
	ds_read2_b64 v[170:173], v126 offset0:35 offset1:36
	s_waitcnt lgkmcnt(10)
	v_fma_f64 v[84:85], -v[90:91], v[130:131], v[84:85]
	v_fma_f64 v[86:87], -v[90:91], v[132:133], v[86:87]
	s_waitcnt lgkmcnt(9)
	v_fma_f64 v[82:83], -v[90:91], v[134:135], v[82:83]
	v_fma_f64 v[80:81], -v[90:91], v[136:137], v[80:81]
	;; [unrolled: 3-line block ×6, first 2 shown]
	ds_read2_b64 v[130:133], v126 offset0:37 offset1:38
	ds_read2_b64 v[134:137], v126 offset0:39 offset1:40
	s_waitcnt lgkmcnt(6)
	v_fma_f64 v[62:63], -v[90:91], v[154:155], v[62:63]
	v_fma_f64 v[60:61], -v[90:91], v[156:157], v[60:61]
	ds_read2_b64 v[138:141], v126 offset0:41 offset1:42
	ds_read2_b64 v[142:145], v126 offset0:43 offset1:44
	s_waitcnt lgkmcnt(7)
	v_fma_f64 v[58:59], -v[90:91], v[158:159], v[58:59]
	v_fma_f64 v[56:57], -v[90:91], v[160:161], v[56:57]
	;; [unrolled: 5-line block ×5, first 2 shown]
	s_waitcnt lgkmcnt(9)
	v_fma_f64 v[42:43], -v[90:91], v[130:131], v[42:43]
	v_fma_f64 v[40:41], -v[90:91], v[132:133], v[40:41]
	s_waitcnt lgkmcnt(8)
	v_fma_f64 v[38:39], -v[90:91], v[134:135], v[38:39]
	v_fma_f64 v[36:37], -v[90:91], v[136:137], v[36:37]
	;; [unrolled: 3-line block ×10, first 2 shown]
.LBB112_250:
	s_or_b32 exec_lo, exec_lo, s0
	v_lshl_add_u32 v0, v129, 3, v126
	s_barrier
	buffer_gl0_inv
	v_mov_b32_e32 v120, 15
	ds_write_b64 v0, v[84:85]
	s_waitcnt lgkmcnt(0)
	s_barrier
	buffer_gl0_inv
	ds_read_b64 v[0:1], v126 offset:120
	s_cmp_lt_i32 s7, 17
	s_cbranch_scc1 .LBB112_253
; %bb.251:
	v_add3_u32 v121, v127, 0, 0x80
	v_mov_b32_e32 v120, 15
	s_mov_b32 s0, 16
.LBB112_252:                            ; =>This Inner Loop Header: Depth=1
	ds_read_b64 v[130:131], v121
	v_add_nc_u32_e32 v121, 8, v121
	s_waitcnt lgkmcnt(0)
	v_cmp_lt_f64_e64 vcc_lo, |v[0:1]|, |v[130:131]|
	v_cndmask_b32_e32 v1, v1, v131, vcc_lo
	v_cndmask_b32_e32 v0, v0, v130, vcc_lo
	v_cndmask_b32_e64 v120, v120, s0, vcc_lo
	s_add_i32 s0, s0, 1
	s_cmp_lg_u32 s7, s0
	s_cbranch_scc1 .LBB112_252
.LBB112_253:
	s_mov_b32 s0, exec_lo
	s_waitcnt lgkmcnt(0)
	v_cmpx_eq_f64_e32 0, v[0:1]
	s_xor_b32 s0, exec_lo, s0
; %bb.254:
	v_cmp_ne_u32_e32 vcc_lo, 0, v123
	v_cndmask_b32_e32 v123, 16, v123, vcc_lo
; %bb.255:
	s_andn2_saveexec_b32 s0, s0
	s_cbranch_execz .LBB112_257
; %bb.256:
	v_div_scale_f64 v[121:122], null, v[0:1], v[0:1], 1.0
	v_rcp_f64_e32 v[130:131], v[121:122]
	v_fma_f64 v[132:133], -v[121:122], v[130:131], 1.0
	v_fma_f64 v[130:131], v[130:131], v[132:133], v[130:131]
	v_fma_f64 v[132:133], -v[121:122], v[130:131], 1.0
	v_fma_f64 v[130:131], v[130:131], v[132:133], v[130:131]
	v_div_scale_f64 v[132:133], vcc_lo, 1.0, v[0:1], 1.0
	v_mul_f64 v[134:135], v[132:133], v[130:131]
	v_fma_f64 v[121:122], -v[121:122], v[134:135], v[132:133]
	v_div_fmas_f64 v[121:122], v[121:122], v[130:131], v[134:135]
	v_div_fixup_f64 v[0:1], v[121:122], v[0:1], 1.0
.LBB112_257:
	s_or_b32 exec_lo, exec_lo, s0
	s_mov_b32 s0, exec_lo
	v_cmpx_ne_u32_e64 v129, v120
	s_xor_b32 s0, exec_lo, s0
	s_cbranch_execz .LBB112_263
; %bb.258:
	s_mov_b32 s1, exec_lo
	v_cmpx_eq_u32_e32 15, v129
	s_cbranch_execz .LBB112_262
; %bb.259:
	v_cmp_ne_u32_e32 vcc_lo, 15, v120
	s_xor_b32 s2, s6, -1
	s_and_b32 s3, s2, vcc_lo
	s_and_saveexec_b32 s2, s3
	s_cbranch_execz .LBB112_261
; %bb.260:
	v_ashrrev_i32_e32 v121, 31, v120
	v_lshlrev_b64 v[121:122], 2, v[120:121]
	v_add_co_u32 v121, vcc_lo, v4, v121
	v_add_co_ci_u32_e64 v122, null, v5, v122, vcc_lo
	s_clause 0x1
	global_load_dword v128, v[121:122], off
	global_load_dword v129, v[4:5], off offset:60
	s_waitcnt vmcnt(1)
	global_store_dword v[4:5], v128, off offset:60
	s_waitcnt vmcnt(0)
	global_store_dword v[121:122], v129, off
.LBB112_261:
	s_or_b32 exec_lo, exec_lo, s2
	v_mov_b32_e32 v128, v120
	v_mov_b32_e32 v129, v120
.LBB112_262:
	s_or_b32 exec_lo, exec_lo, s1
.LBB112_263:
	s_andn2_saveexec_b32 s0, s0
	s_cbranch_execz .LBB112_265
; %bb.264:
	v_mov_b32_e32 v120, v86
	v_mov_b32_e32 v121, v87
	;; [unrolled: 1-line block ×8, first 2 shown]
	ds_write2_b64 v126, v[120:121], v[129:130] offset0:16 offset1:17
	v_mov_b32_e32 v120, v78
	v_mov_b32_e32 v121, v79
	v_mov_b32_e32 v129, v76
	v_mov_b32_e32 v130, v77
	v_mov_b32_e32 v135, v72
	v_mov_b32_e32 v136, v73
	v_mov_b32_e32 v137, v68
	v_mov_b32_e32 v138, v69
	v_mov_b32_e32 v139, v70
	v_mov_b32_e32 v140, v71
	v_mov_b32_e32 v141, v64
	v_mov_b32_e32 v142, v65
	v_mov_b32_e32 v143, v66
	v_mov_b32_e32 v144, v67
	v_mov_b32_e32 v145, v62
	v_mov_b32_e32 v146, v63
	ds_write2_b64 v126, v[131:132], v[120:121] offset0:18 offset1:19
	ds_write2_b64 v126, v[129:130], v[133:134] offset0:20 offset1:21
	ds_write2_b64 v126, v[135:136], v[137:138] offset0:22 offset1:23
	ds_write2_b64 v126, v[139:140], v[141:142] offset0:24 offset1:25
	ds_write2_b64 v126, v[143:144], v[145:146] offset0:26 offset1:27
	v_mov_b32_e32 v120, v60
	v_mov_b32_e32 v121, v61
	v_mov_b32_e32 v129, v58
	v_mov_b32_e32 v130, v59
	v_mov_b32_e32 v131, v56
	v_mov_b32_e32 v132, v57
	v_mov_b32_e32 v133, v54
	v_mov_b32_e32 v134, v55
	v_mov_b32_e32 v135, v52
	v_mov_b32_e32 v136, v53
	v_mov_b32_e32 v137, v48
	v_mov_b32_e32 v138, v49
	v_mov_b32_e32 v139, v50
	v_mov_b32_e32 v140, v51
	v_mov_b32_e32 v141, v44
	v_mov_b32_e32 v142, v45
	v_mov_b32_e32 v143, v46
	v_mov_b32_e32 v144, v47
	v_mov_b32_e32 v145, v42
	v_mov_b32_e32 v146, v43
	ds_write2_b64 v126, v[120:121], v[129:130] offset0:28 offset1:29
	ds_write2_b64 v126, v[131:132], v[133:134] offset0:30 offset1:31
	ds_write2_b64 v126, v[135:136], v[137:138] offset0:32 offset1:33
	ds_write2_b64 v126, v[139:140], v[141:142] offset0:34 offset1:35
	ds_write2_b64 v126, v[143:144], v[145:146] offset0:36 offset1:37
	v_mov_b32_e32 v120, v40
	v_mov_b32_e32 v121, v41
	v_mov_b32_e32 v129, v38
	v_mov_b32_e32 v130, v39
	;; [unrolled: 25-line block ×3, first 2 shown]
	v_mov_b32_e32 v131, v16
	v_mov_b32_e32 v132, v17
	;; [unrolled: 1-line block ×4, first 2 shown]
	ds_write2_b64 v126, v[120:121], v[129:130] offset0:48 offset1:49
	v_mov_b32_e32 v129, 15
	v_mov_b32_e32 v135, v12
	;; [unrolled: 1-line block ×9, first 2 shown]
	ds_write2_b64 v126, v[131:132], v[133:134] offset0:50 offset1:51
	ds_write2_b64 v126, v[135:136], v[137:138] offset0:52 offset1:53
	;; [unrolled: 1-line block ×3, first 2 shown]
	ds_write_b64 v126, v[118:119] offset:448
.LBB112_265:
	s_or_b32 exec_lo, exec_lo, s0
	s_mov_b32 s0, exec_lo
	s_waitcnt lgkmcnt(0)
	s_waitcnt_vscnt null, 0x0
	s_barrier
	buffer_gl0_inv
	v_cmpx_lt_i32_e32 15, v129
	s_cbranch_execz .LBB112_267
; %bb.266:
	v_mul_f64 v[84:85], v[0:1], v[84:85]
	ds_read2_b64 v[130:133], v126 offset0:16 offset1:17
	ds_read2_b64 v[134:137], v126 offset0:18 offset1:19
	;; [unrolled: 1-line block ×11, first 2 shown]
	ds_read_b64 v[0:1], v126 offset:448
	s_waitcnt lgkmcnt(11)
	v_fma_f64 v[86:87], -v[84:85], v[130:131], v[86:87]
	v_fma_f64 v[82:83], -v[84:85], v[132:133], v[82:83]
	s_waitcnt lgkmcnt(10)
	v_fma_f64 v[80:81], -v[84:85], v[134:135], v[80:81]
	v_fma_f64 v[78:79], -v[84:85], v[136:137], v[78:79]
	;; [unrolled: 3-line block ×6, first 2 shown]
	ds_read2_b64 v[130:133], v126 offset0:38 offset1:39
	ds_read2_b64 v[134:137], v126 offset0:40 offset1:41
	s_waitcnt lgkmcnt(7)
	v_fma_f64 v[60:61], -v[84:85], v[154:155], v[60:61]
	v_fma_f64 v[58:59], -v[84:85], v[156:157], v[58:59]
	ds_read2_b64 v[138:141], v126 offset0:42 offset1:43
	ds_read2_b64 v[142:145], v126 offset0:44 offset1:45
	s_waitcnt lgkmcnt(8)
	v_fma_f64 v[56:57], -v[84:85], v[158:159], v[56:57]
	v_fma_f64 v[54:55], -v[84:85], v[160:161], v[54:55]
	;; [unrolled: 5-line block ×3, first 2 shown]
	ds_read2_b64 v[154:157], v126 offset0:50 offset1:51
	ds_read2_b64 v[158:161], v126 offset0:52 offset1:53
	;; [unrolled: 1-line block ×3, first 2 shown]
	s_waitcnt lgkmcnt(11)
	v_fma_f64 v[50:51], -v[84:85], v[166:167], v[50:51]
	v_fma_f64 v[44:45], -v[84:85], v[168:169], v[44:45]
	s_waitcnt lgkmcnt(10)
	v_fma_f64 v[46:47], -v[84:85], v[170:171], v[46:47]
	v_fma_f64 v[42:43], -v[84:85], v[172:173], v[42:43]
	s_waitcnt lgkmcnt(9)
	v_fma_f64 v[118:119], -v[84:85], v[0:1], v[118:119]
	s_waitcnt lgkmcnt(8)
	v_fma_f64 v[40:41], -v[84:85], v[130:131], v[40:41]
	v_fma_f64 v[38:39], -v[84:85], v[132:133], v[38:39]
	s_waitcnt lgkmcnt(7)
	v_fma_f64 v[36:37], -v[84:85], v[134:135], v[36:37]
	;; [unrolled: 3-line block ×9, first 2 shown]
	v_fma_f64 v[6:7], -v[84:85], v[164:165], v[6:7]
.LBB112_267:
	s_or_b32 exec_lo, exec_lo, s0
	v_lshl_add_u32 v0, v129, 3, v126
	s_barrier
	buffer_gl0_inv
	v_mov_b32_e32 v120, 16
	ds_write_b64 v0, v[86:87]
	s_waitcnt lgkmcnt(0)
	s_barrier
	buffer_gl0_inv
	ds_read_b64 v[0:1], v126 offset:128
	s_cmp_lt_i32 s7, 18
	s_cbranch_scc1 .LBB112_270
; %bb.268:
	v_add3_u32 v121, v127, 0, 0x88
	v_mov_b32_e32 v120, 16
	s_mov_b32 s0, 17
.LBB112_269:                            ; =>This Inner Loop Header: Depth=1
	ds_read_b64 v[130:131], v121
	v_add_nc_u32_e32 v121, 8, v121
	s_waitcnt lgkmcnt(0)
	v_cmp_lt_f64_e64 vcc_lo, |v[0:1]|, |v[130:131]|
	v_cndmask_b32_e32 v1, v1, v131, vcc_lo
	v_cndmask_b32_e32 v0, v0, v130, vcc_lo
	v_cndmask_b32_e64 v120, v120, s0, vcc_lo
	s_add_i32 s0, s0, 1
	s_cmp_lg_u32 s7, s0
	s_cbranch_scc1 .LBB112_269
.LBB112_270:
	s_mov_b32 s0, exec_lo
	s_waitcnt lgkmcnt(0)
	v_cmpx_eq_f64_e32 0, v[0:1]
	s_xor_b32 s0, exec_lo, s0
; %bb.271:
	v_cmp_ne_u32_e32 vcc_lo, 0, v123
	v_cndmask_b32_e32 v123, 17, v123, vcc_lo
; %bb.272:
	s_andn2_saveexec_b32 s0, s0
	s_cbranch_execz .LBB112_274
; %bb.273:
	v_div_scale_f64 v[121:122], null, v[0:1], v[0:1], 1.0
	v_rcp_f64_e32 v[130:131], v[121:122]
	v_fma_f64 v[132:133], -v[121:122], v[130:131], 1.0
	v_fma_f64 v[130:131], v[130:131], v[132:133], v[130:131]
	v_fma_f64 v[132:133], -v[121:122], v[130:131], 1.0
	v_fma_f64 v[130:131], v[130:131], v[132:133], v[130:131]
	v_div_scale_f64 v[132:133], vcc_lo, 1.0, v[0:1], 1.0
	v_mul_f64 v[134:135], v[132:133], v[130:131]
	v_fma_f64 v[121:122], -v[121:122], v[134:135], v[132:133]
	v_div_fmas_f64 v[121:122], v[121:122], v[130:131], v[134:135]
	v_div_fixup_f64 v[0:1], v[121:122], v[0:1], 1.0
.LBB112_274:
	s_or_b32 exec_lo, exec_lo, s0
	s_mov_b32 s0, exec_lo
	v_cmpx_ne_u32_e64 v129, v120
	s_xor_b32 s0, exec_lo, s0
	s_cbranch_execz .LBB112_280
; %bb.275:
	s_mov_b32 s1, exec_lo
	v_cmpx_eq_u32_e32 16, v129
	s_cbranch_execz .LBB112_279
; %bb.276:
	v_cmp_ne_u32_e32 vcc_lo, 16, v120
	s_xor_b32 s2, s6, -1
	s_and_b32 s3, s2, vcc_lo
	s_and_saveexec_b32 s2, s3
	s_cbranch_execz .LBB112_278
; %bb.277:
	v_ashrrev_i32_e32 v121, 31, v120
	v_lshlrev_b64 v[121:122], 2, v[120:121]
	v_add_co_u32 v121, vcc_lo, v4, v121
	v_add_co_ci_u32_e64 v122, null, v5, v122, vcc_lo
	s_clause 0x1
	global_load_dword v128, v[121:122], off
	global_load_dword v129, v[4:5], off offset:64
	s_waitcnt vmcnt(1)
	global_store_dword v[4:5], v128, off offset:64
	s_waitcnt vmcnt(0)
	global_store_dword v[121:122], v129, off
.LBB112_278:
	s_or_b32 exec_lo, exec_lo, s2
	v_mov_b32_e32 v128, v120
	v_mov_b32_e32 v129, v120
.LBB112_279:
	s_or_b32 exec_lo, exec_lo, s1
.LBB112_280:
	s_andn2_saveexec_b32 s0, s0
	s_cbranch_execz .LBB112_282
; %bb.281:
	v_mov_b32_e32 v129, 16
	ds_write2_b64 v126, v[82:83], v[80:81] offset0:17 offset1:18
	ds_write2_b64 v126, v[78:79], v[76:77] offset0:19 offset1:20
	;; [unrolled: 1-line block ×20, first 2 shown]
.LBB112_282:
	s_or_b32 exec_lo, exec_lo, s0
	s_mov_b32 s0, exec_lo
	s_waitcnt lgkmcnt(0)
	s_waitcnt_vscnt null, 0x0
	s_barrier
	buffer_gl0_inv
	v_cmpx_lt_i32_e32 16, v129
	s_cbranch_execz .LBB112_284
; %bb.283:
	v_mul_f64 v[86:87], v[0:1], v[86:87]
	ds_read2_b64 v[130:133], v126 offset0:17 offset1:18
	ds_read2_b64 v[134:137], v126 offset0:19 offset1:20
	;; [unrolled: 1-line block ×11, first 2 shown]
	s_waitcnt lgkmcnt(10)
	v_fma_f64 v[82:83], -v[86:87], v[130:131], v[82:83]
	v_fma_f64 v[80:81], -v[86:87], v[132:133], v[80:81]
	s_waitcnt lgkmcnt(9)
	v_fma_f64 v[78:79], -v[86:87], v[134:135], v[78:79]
	v_fma_f64 v[76:77], -v[86:87], v[136:137], v[76:77]
	;; [unrolled: 3-line block ×5, first 2 shown]
	s_waitcnt lgkmcnt(5)
	v_fma_f64 v[62:63], -v[86:87], v[150:151], v[62:63]
	ds_read2_b64 v[130:133], v126 offset0:39 offset1:40
	ds_read2_b64 v[134:137], v126 offset0:41 offset1:42
	v_fma_f64 v[60:61], -v[86:87], v[152:153], v[60:61]
	s_waitcnt lgkmcnt(6)
	v_fma_f64 v[58:59], -v[86:87], v[154:155], v[58:59]
	ds_read2_b64 v[138:141], v126 offset0:43 offset1:44
	ds_read2_b64 v[142:145], v126 offset0:45 offset1:46
	v_fma_f64 v[56:57], -v[86:87], v[156:157], v[56:57]
	;; [unrolled: 5-line block ×4, first 2 shown]
	ds_read2_b64 v[162:165], v126 offset0:55 offset1:56
	s_waitcnt lgkmcnt(10)
	v_fma_f64 v[44:45], -v[86:87], v[166:167], v[44:45]
	v_fma_f64 v[46:47], -v[86:87], v[168:169], v[46:47]
	s_waitcnt lgkmcnt(9)
	v_fma_f64 v[42:43], -v[86:87], v[170:171], v[42:43]
	v_fma_f64 v[40:41], -v[86:87], v[172:173], v[40:41]
	;; [unrolled: 3-line block ×11, first 2 shown]
.LBB112_284:
	s_or_b32 exec_lo, exec_lo, s0
	v_lshl_add_u32 v0, v129, 3, v126
	s_barrier
	buffer_gl0_inv
	v_mov_b32_e32 v120, 17
	ds_write_b64 v0, v[82:83]
	s_waitcnt lgkmcnt(0)
	s_barrier
	buffer_gl0_inv
	ds_read_b64 v[0:1], v126 offset:136
	s_cmp_lt_i32 s7, 19
	s_cbranch_scc1 .LBB112_287
; %bb.285:
	v_add3_u32 v121, v127, 0, 0x90
	v_mov_b32_e32 v120, 17
	s_mov_b32 s0, 18
.LBB112_286:                            ; =>This Inner Loop Header: Depth=1
	ds_read_b64 v[130:131], v121
	v_add_nc_u32_e32 v121, 8, v121
	s_waitcnt lgkmcnt(0)
	v_cmp_lt_f64_e64 vcc_lo, |v[0:1]|, |v[130:131]|
	v_cndmask_b32_e32 v1, v1, v131, vcc_lo
	v_cndmask_b32_e32 v0, v0, v130, vcc_lo
	v_cndmask_b32_e64 v120, v120, s0, vcc_lo
	s_add_i32 s0, s0, 1
	s_cmp_lg_u32 s7, s0
	s_cbranch_scc1 .LBB112_286
.LBB112_287:
	s_mov_b32 s0, exec_lo
	s_waitcnt lgkmcnt(0)
	v_cmpx_eq_f64_e32 0, v[0:1]
	s_xor_b32 s0, exec_lo, s0
; %bb.288:
	v_cmp_ne_u32_e32 vcc_lo, 0, v123
	v_cndmask_b32_e32 v123, 18, v123, vcc_lo
; %bb.289:
	s_andn2_saveexec_b32 s0, s0
	s_cbranch_execz .LBB112_291
; %bb.290:
	v_div_scale_f64 v[121:122], null, v[0:1], v[0:1], 1.0
	v_rcp_f64_e32 v[130:131], v[121:122]
	v_fma_f64 v[132:133], -v[121:122], v[130:131], 1.0
	v_fma_f64 v[130:131], v[130:131], v[132:133], v[130:131]
	v_fma_f64 v[132:133], -v[121:122], v[130:131], 1.0
	v_fma_f64 v[130:131], v[130:131], v[132:133], v[130:131]
	v_div_scale_f64 v[132:133], vcc_lo, 1.0, v[0:1], 1.0
	v_mul_f64 v[134:135], v[132:133], v[130:131]
	v_fma_f64 v[121:122], -v[121:122], v[134:135], v[132:133]
	v_div_fmas_f64 v[121:122], v[121:122], v[130:131], v[134:135]
	v_div_fixup_f64 v[0:1], v[121:122], v[0:1], 1.0
.LBB112_291:
	s_or_b32 exec_lo, exec_lo, s0
	s_mov_b32 s0, exec_lo
	v_cmpx_ne_u32_e64 v129, v120
	s_xor_b32 s0, exec_lo, s0
	s_cbranch_execz .LBB112_297
; %bb.292:
	s_mov_b32 s1, exec_lo
	v_cmpx_eq_u32_e32 17, v129
	s_cbranch_execz .LBB112_296
; %bb.293:
	v_cmp_ne_u32_e32 vcc_lo, 17, v120
	s_xor_b32 s2, s6, -1
	s_and_b32 s3, s2, vcc_lo
	s_and_saveexec_b32 s2, s3
	s_cbranch_execz .LBB112_295
; %bb.294:
	v_ashrrev_i32_e32 v121, 31, v120
	v_lshlrev_b64 v[121:122], 2, v[120:121]
	v_add_co_u32 v121, vcc_lo, v4, v121
	v_add_co_ci_u32_e64 v122, null, v5, v122, vcc_lo
	s_clause 0x1
	global_load_dword v128, v[121:122], off
	global_load_dword v129, v[4:5], off offset:68
	s_waitcnt vmcnt(1)
	global_store_dword v[4:5], v128, off offset:68
	s_waitcnt vmcnt(0)
	global_store_dword v[121:122], v129, off
.LBB112_295:
	s_or_b32 exec_lo, exec_lo, s2
	v_mov_b32_e32 v128, v120
	v_mov_b32_e32 v129, v120
.LBB112_296:
	s_or_b32 exec_lo, exec_lo, s1
.LBB112_297:
	s_andn2_saveexec_b32 s0, s0
	s_cbranch_execz .LBB112_299
; %bb.298:
	v_mov_b32_e32 v120, v80
	v_mov_b32_e32 v121, v81
	v_mov_b32_e32 v129, v78
	v_mov_b32_e32 v130, v79
	v_mov_b32_e32 v131, v76
	v_mov_b32_e32 v132, v77
	v_mov_b32_e32 v133, v74
	v_mov_b32_e32 v134, v75
	v_mov_b32_e32 v135, v72
	v_mov_b32_e32 v136, v73
	v_mov_b32_e32 v137, v68
	v_mov_b32_e32 v138, v69
	v_mov_b32_e32 v139, v70
	v_mov_b32_e32 v140, v71
	v_mov_b32_e32 v141, v64
	v_mov_b32_e32 v142, v65
	v_mov_b32_e32 v143, v66
	v_mov_b32_e32 v144, v67
	v_mov_b32_e32 v145, v62
	v_mov_b32_e32 v146, v63
	ds_write2_b64 v126, v[120:121], v[129:130] offset0:18 offset1:19
	ds_write2_b64 v126, v[131:132], v[133:134] offset0:20 offset1:21
	ds_write2_b64 v126, v[135:136], v[137:138] offset0:22 offset1:23
	ds_write2_b64 v126, v[139:140], v[141:142] offset0:24 offset1:25
	ds_write2_b64 v126, v[143:144], v[145:146] offset0:26 offset1:27
	v_mov_b32_e32 v120, v60
	v_mov_b32_e32 v121, v61
	v_mov_b32_e32 v129, v58
	v_mov_b32_e32 v130, v59
	v_mov_b32_e32 v131, v56
	v_mov_b32_e32 v132, v57
	v_mov_b32_e32 v133, v54
	v_mov_b32_e32 v134, v55
	v_mov_b32_e32 v135, v52
	v_mov_b32_e32 v136, v53
	v_mov_b32_e32 v137, v48
	v_mov_b32_e32 v138, v49
	v_mov_b32_e32 v139, v50
	v_mov_b32_e32 v140, v51
	v_mov_b32_e32 v141, v44
	v_mov_b32_e32 v142, v45
	v_mov_b32_e32 v143, v46
	v_mov_b32_e32 v144, v47
	v_mov_b32_e32 v145, v42
	v_mov_b32_e32 v146, v43
	ds_write2_b64 v126, v[120:121], v[129:130] offset0:28 offset1:29
	ds_write2_b64 v126, v[131:132], v[133:134] offset0:30 offset1:31
	ds_write2_b64 v126, v[135:136], v[137:138] offset0:32 offset1:33
	ds_write2_b64 v126, v[139:140], v[141:142] offset0:34 offset1:35
	ds_write2_b64 v126, v[143:144], v[145:146] offset0:36 offset1:37
	;; [unrolled: 25-line block ×3, first 2 shown]
	v_mov_b32_e32 v120, v20
	v_mov_b32_e32 v121, v21
	v_mov_b32_e32 v129, v18
	v_mov_b32_e32 v130, v19
	v_mov_b32_e32 v131, v16
	v_mov_b32_e32 v132, v17
	v_mov_b32_e32 v133, v14
	v_mov_b32_e32 v134, v15
	ds_write2_b64 v126, v[120:121], v[129:130] offset0:48 offset1:49
	v_mov_b32_e32 v129, 17
	v_mov_b32_e32 v135, v12
	;; [unrolled: 1-line block ×9, first 2 shown]
	ds_write2_b64 v126, v[131:132], v[133:134] offset0:50 offset1:51
	ds_write2_b64 v126, v[135:136], v[137:138] offset0:52 offset1:53
	;; [unrolled: 1-line block ×3, first 2 shown]
	ds_write_b64 v126, v[118:119] offset:448
.LBB112_299:
	s_or_b32 exec_lo, exec_lo, s0
	s_mov_b32 s0, exec_lo
	s_waitcnt lgkmcnt(0)
	s_waitcnt_vscnt null, 0x0
	s_barrier
	buffer_gl0_inv
	v_cmpx_lt_i32_e32 17, v129
	s_cbranch_execz .LBB112_301
; %bb.300:
	v_mul_f64 v[82:83], v[0:1], v[82:83]
	ds_read2_b64 v[130:133], v126 offset0:18 offset1:19
	ds_read2_b64 v[134:137], v126 offset0:20 offset1:21
	ds_read2_b64 v[138:141], v126 offset0:22 offset1:23
	ds_read2_b64 v[142:145], v126 offset0:24 offset1:25
	ds_read2_b64 v[146:149], v126 offset0:26 offset1:27
	ds_read2_b64 v[150:153], v126 offset0:28 offset1:29
	ds_read2_b64 v[154:157], v126 offset0:30 offset1:31
	ds_read2_b64 v[158:161], v126 offset0:32 offset1:33
	ds_read2_b64 v[162:165], v126 offset0:34 offset1:35
	ds_read2_b64 v[166:169], v126 offset0:36 offset1:37
	ds_read2_b64 v[170:173], v126 offset0:38 offset1:39
	ds_read_b64 v[0:1], v126 offset:448
	s_waitcnt lgkmcnt(11)
	v_fma_f64 v[80:81], -v[82:83], v[130:131], v[80:81]
	v_fma_f64 v[78:79], -v[82:83], v[132:133], v[78:79]
	s_waitcnt lgkmcnt(10)
	v_fma_f64 v[76:77], -v[82:83], v[134:135], v[76:77]
	v_fma_f64 v[74:75], -v[82:83], v[136:137], v[74:75]
	;; [unrolled: 3-line block ×5, first 2 shown]
	s_waitcnt lgkmcnt(6)
	v_fma_f64 v[60:61], -v[82:83], v[150:151], v[60:61]
	ds_read2_b64 v[130:133], v126 offset0:40 offset1:41
	ds_read2_b64 v[134:137], v126 offset0:42 offset1:43
	v_fma_f64 v[58:59], -v[82:83], v[152:153], v[58:59]
	s_waitcnt lgkmcnt(7)
	v_fma_f64 v[56:57], -v[82:83], v[154:155], v[56:57]
	ds_read2_b64 v[138:141], v126 offset0:44 offset1:45
	ds_read2_b64 v[142:145], v126 offset0:46 offset1:47
	v_fma_f64 v[54:55], -v[82:83], v[156:157], v[54:55]
	;; [unrolled: 5-line block ×3, first 2 shown]
	ds_read2_b64 v[154:157], v126 offset0:52 offset1:53
	ds_read2_b64 v[158:161], v126 offset0:54 offset1:55
	s_waitcnt lgkmcnt(11)
	v_fma_f64 v[50:51], -v[82:83], v[162:163], v[50:51]
	v_fma_f64 v[44:45], -v[82:83], v[164:165], v[44:45]
	s_waitcnt lgkmcnt(10)
	v_fma_f64 v[46:47], -v[82:83], v[166:167], v[46:47]
	v_fma_f64 v[42:43], -v[82:83], v[168:169], v[42:43]
	;; [unrolled: 3-line block ×3, first 2 shown]
	s_waitcnt lgkmcnt(8)
	v_fma_f64 v[118:119], -v[82:83], v[0:1], v[118:119]
	s_waitcnt lgkmcnt(7)
	v_fma_f64 v[36:37], -v[82:83], v[130:131], v[36:37]
	v_fma_f64 v[34:35], -v[82:83], v[132:133], v[34:35]
	s_waitcnt lgkmcnt(6)
	v_fma_f64 v[32:33], -v[82:83], v[134:135], v[32:33]
	;; [unrolled: 3-line block ×8, first 2 shown]
	v_fma_f64 v[6:7], -v[82:83], v[160:161], v[6:7]
.LBB112_301:
	s_or_b32 exec_lo, exec_lo, s0
	v_lshl_add_u32 v0, v129, 3, v126
	s_barrier
	buffer_gl0_inv
	v_mov_b32_e32 v120, 18
	ds_write_b64 v0, v[80:81]
	s_waitcnt lgkmcnt(0)
	s_barrier
	buffer_gl0_inv
	ds_read_b64 v[0:1], v126 offset:144
	s_cmp_lt_i32 s7, 20
	s_cbranch_scc1 .LBB112_304
; %bb.302:
	v_add3_u32 v121, v127, 0, 0x98
	v_mov_b32_e32 v120, 18
	s_mov_b32 s0, 19
.LBB112_303:                            ; =>This Inner Loop Header: Depth=1
	ds_read_b64 v[130:131], v121
	v_add_nc_u32_e32 v121, 8, v121
	s_waitcnt lgkmcnt(0)
	v_cmp_lt_f64_e64 vcc_lo, |v[0:1]|, |v[130:131]|
	v_cndmask_b32_e32 v1, v1, v131, vcc_lo
	v_cndmask_b32_e32 v0, v0, v130, vcc_lo
	v_cndmask_b32_e64 v120, v120, s0, vcc_lo
	s_add_i32 s0, s0, 1
	s_cmp_lg_u32 s7, s0
	s_cbranch_scc1 .LBB112_303
.LBB112_304:
	s_mov_b32 s0, exec_lo
	s_waitcnt lgkmcnt(0)
	v_cmpx_eq_f64_e32 0, v[0:1]
	s_xor_b32 s0, exec_lo, s0
; %bb.305:
	v_cmp_ne_u32_e32 vcc_lo, 0, v123
	v_cndmask_b32_e32 v123, 19, v123, vcc_lo
; %bb.306:
	s_andn2_saveexec_b32 s0, s0
	s_cbranch_execz .LBB112_308
; %bb.307:
	v_div_scale_f64 v[121:122], null, v[0:1], v[0:1], 1.0
	v_rcp_f64_e32 v[130:131], v[121:122]
	v_fma_f64 v[132:133], -v[121:122], v[130:131], 1.0
	v_fma_f64 v[130:131], v[130:131], v[132:133], v[130:131]
	v_fma_f64 v[132:133], -v[121:122], v[130:131], 1.0
	v_fma_f64 v[130:131], v[130:131], v[132:133], v[130:131]
	v_div_scale_f64 v[132:133], vcc_lo, 1.0, v[0:1], 1.0
	v_mul_f64 v[134:135], v[132:133], v[130:131]
	v_fma_f64 v[121:122], -v[121:122], v[134:135], v[132:133]
	v_div_fmas_f64 v[121:122], v[121:122], v[130:131], v[134:135]
	v_div_fixup_f64 v[0:1], v[121:122], v[0:1], 1.0
.LBB112_308:
	s_or_b32 exec_lo, exec_lo, s0
	s_mov_b32 s0, exec_lo
	v_cmpx_ne_u32_e64 v129, v120
	s_xor_b32 s0, exec_lo, s0
	s_cbranch_execz .LBB112_314
; %bb.309:
	s_mov_b32 s1, exec_lo
	v_cmpx_eq_u32_e32 18, v129
	s_cbranch_execz .LBB112_313
; %bb.310:
	v_cmp_ne_u32_e32 vcc_lo, 18, v120
	s_xor_b32 s2, s6, -1
	s_and_b32 s3, s2, vcc_lo
	s_and_saveexec_b32 s2, s3
	s_cbranch_execz .LBB112_312
; %bb.311:
	v_ashrrev_i32_e32 v121, 31, v120
	v_lshlrev_b64 v[121:122], 2, v[120:121]
	v_add_co_u32 v121, vcc_lo, v4, v121
	v_add_co_ci_u32_e64 v122, null, v5, v122, vcc_lo
	s_clause 0x1
	global_load_dword v128, v[121:122], off
	global_load_dword v129, v[4:5], off offset:72
	s_waitcnt vmcnt(1)
	global_store_dword v[4:5], v128, off offset:72
	s_waitcnt vmcnt(0)
	global_store_dword v[121:122], v129, off
.LBB112_312:
	s_or_b32 exec_lo, exec_lo, s2
	v_mov_b32_e32 v128, v120
	v_mov_b32_e32 v129, v120
.LBB112_313:
	s_or_b32 exec_lo, exec_lo, s1
.LBB112_314:
	s_andn2_saveexec_b32 s0, s0
	s_cbranch_execz .LBB112_316
; %bb.315:
	v_mov_b32_e32 v129, 18
	ds_write2_b64 v126, v[78:79], v[76:77] offset0:19 offset1:20
	ds_write2_b64 v126, v[74:75], v[72:73] offset0:21 offset1:22
	;; [unrolled: 1-line block ×19, first 2 shown]
.LBB112_316:
	s_or_b32 exec_lo, exec_lo, s0
	s_mov_b32 s0, exec_lo
	s_waitcnt lgkmcnt(0)
	s_waitcnt_vscnt null, 0x0
	s_barrier
	buffer_gl0_inv
	v_cmpx_lt_i32_e32 18, v129
	s_cbranch_execz .LBB112_318
; %bb.317:
	v_mul_f64 v[80:81], v[0:1], v[80:81]
	ds_read2_b64 v[130:133], v126 offset0:19 offset1:20
	ds_read2_b64 v[134:137], v126 offset0:21 offset1:22
	;; [unrolled: 1-line block ×12, first 2 shown]
	s_waitcnt lgkmcnt(11)
	v_fma_f64 v[78:79], -v[80:81], v[130:131], v[78:79]
	v_fma_f64 v[76:77], -v[80:81], v[132:133], v[76:77]
	s_waitcnt lgkmcnt(10)
	v_fma_f64 v[74:75], -v[80:81], v[134:135], v[74:75]
	v_fma_f64 v[72:73], -v[80:81], v[136:137], v[72:73]
	;; [unrolled: 3-line block ×5, first 2 shown]
	s_waitcnt lgkmcnt(6)
	v_fma_f64 v[58:59], -v[80:81], v[150:151], v[58:59]
	ds_read2_b64 v[130:133], v126 offset0:43 offset1:44
	ds_read2_b64 v[134:137], v126 offset0:45 offset1:46
	v_fma_f64 v[56:57], -v[80:81], v[152:153], v[56:57]
	s_waitcnt lgkmcnt(7)
	v_fma_f64 v[54:55], -v[80:81], v[154:155], v[54:55]
	ds_read2_b64 v[138:141], v126 offset0:47 offset1:48
	ds_read2_b64 v[142:145], v126 offset0:49 offset1:50
	v_fma_f64 v[52:53], -v[80:81], v[156:157], v[52:53]
	ds_read2_b64 v[146:149], v126 offset0:51 offset1:52
	ds_read2_b64 v[150:153], v126 offset0:53 offset1:54
	;; [unrolled: 1-line block ×3, first 2 shown]
	s_waitcnt lgkmcnt(11)
	v_fma_f64 v[48:49], -v[80:81], v[158:159], v[48:49]
	v_fma_f64 v[50:51], -v[80:81], v[160:161], v[50:51]
	s_waitcnt lgkmcnt(10)
	v_fma_f64 v[44:45], -v[80:81], v[162:163], v[44:45]
	v_fma_f64 v[46:47], -v[80:81], v[164:165], v[46:47]
	;; [unrolled: 3-line block ×12, first 2 shown]
.LBB112_318:
	s_or_b32 exec_lo, exec_lo, s0
	v_lshl_add_u32 v0, v129, 3, v126
	s_barrier
	buffer_gl0_inv
	v_mov_b32_e32 v120, 19
	ds_write_b64 v0, v[78:79]
	s_waitcnt lgkmcnt(0)
	s_barrier
	buffer_gl0_inv
	ds_read_b64 v[0:1], v126 offset:152
	s_cmp_lt_i32 s7, 21
	s_cbranch_scc1 .LBB112_321
; %bb.319:
	v_add3_u32 v121, v127, 0, 0xa0
	v_mov_b32_e32 v120, 19
	s_mov_b32 s0, 20
.LBB112_320:                            ; =>This Inner Loop Header: Depth=1
	ds_read_b64 v[130:131], v121
	v_add_nc_u32_e32 v121, 8, v121
	s_waitcnt lgkmcnt(0)
	v_cmp_lt_f64_e64 vcc_lo, |v[0:1]|, |v[130:131]|
	v_cndmask_b32_e32 v1, v1, v131, vcc_lo
	v_cndmask_b32_e32 v0, v0, v130, vcc_lo
	v_cndmask_b32_e64 v120, v120, s0, vcc_lo
	s_add_i32 s0, s0, 1
	s_cmp_lg_u32 s7, s0
	s_cbranch_scc1 .LBB112_320
.LBB112_321:
	s_mov_b32 s0, exec_lo
	s_waitcnt lgkmcnt(0)
	v_cmpx_eq_f64_e32 0, v[0:1]
	s_xor_b32 s0, exec_lo, s0
; %bb.322:
	v_cmp_ne_u32_e32 vcc_lo, 0, v123
	v_cndmask_b32_e32 v123, 20, v123, vcc_lo
; %bb.323:
	s_andn2_saveexec_b32 s0, s0
	s_cbranch_execz .LBB112_325
; %bb.324:
	v_div_scale_f64 v[121:122], null, v[0:1], v[0:1], 1.0
	v_rcp_f64_e32 v[130:131], v[121:122]
	v_fma_f64 v[132:133], -v[121:122], v[130:131], 1.0
	v_fma_f64 v[130:131], v[130:131], v[132:133], v[130:131]
	v_fma_f64 v[132:133], -v[121:122], v[130:131], 1.0
	v_fma_f64 v[130:131], v[130:131], v[132:133], v[130:131]
	v_div_scale_f64 v[132:133], vcc_lo, 1.0, v[0:1], 1.0
	v_mul_f64 v[134:135], v[132:133], v[130:131]
	v_fma_f64 v[121:122], -v[121:122], v[134:135], v[132:133]
	v_div_fmas_f64 v[121:122], v[121:122], v[130:131], v[134:135]
	v_div_fixup_f64 v[0:1], v[121:122], v[0:1], 1.0
.LBB112_325:
	s_or_b32 exec_lo, exec_lo, s0
	s_mov_b32 s0, exec_lo
	v_cmpx_ne_u32_e64 v129, v120
	s_xor_b32 s0, exec_lo, s0
	s_cbranch_execz .LBB112_331
; %bb.326:
	s_mov_b32 s1, exec_lo
	v_cmpx_eq_u32_e32 19, v129
	s_cbranch_execz .LBB112_330
; %bb.327:
	v_cmp_ne_u32_e32 vcc_lo, 19, v120
	s_xor_b32 s2, s6, -1
	s_and_b32 s3, s2, vcc_lo
	s_and_saveexec_b32 s2, s3
	s_cbranch_execz .LBB112_329
; %bb.328:
	v_ashrrev_i32_e32 v121, 31, v120
	v_lshlrev_b64 v[121:122], 2, v[120:121]
	v_add_co_u32 v121, vcc_lo, v4, v121
	v_add_co_ci_u32_e64 v122, null, v5, v122, vcc_lo
	s_clause 0x1
	global_load_dword v128, v[121:122], off
	global_load_dword v129, v[4:5], off offset:76
	s_waitcnt vmcnt(1)
	global_store_dword v[4:5], v128, off offset:76
	s_waitcnt vmcnt(0)
	global_store_dword v[121:122], v129, off
.LBB112_329:
	s_or_b32 exec_lo, exec_lo, s2
	v_mov_b32_e32 v128, v120
	v_mov_b32_e32 v129, v120
.LBB112_330:
	s_or_b32 exec_lo, exec_lo, s1
.LBB112_331:
	s_andn2_saveexec_b32 s0, s0
	s_cbranch_execz .LBB112_333
; %bb.332:
	v_mov_b32_e32 v120, v76
	v_mov_b32_e32 v121, v77
	;; [unrolled: 1-line block ×16, first 2 shown]
	ds_write2_b64 v126, v[120:121], v[129:130] offset0:20 offset1:21
	ds_write2_b64 v126, v[131:132], v[133:134] offset0:22 offset1:23
	;; [unrolled: 1-line block ×4, first 2 shown]
	v_mov_b32_e32 v120, v60
	v_mov_b32_e32 v121, v61
	;; [unrolled: 1-line block ×20, first 2 shown]
	ds_write2_b64 v126, v[120:121], v[129:130] offset0:28 offset1:29
	ds_write2_b64 v126, v[131:132], v[133:134] offset0:30 offset1:31
	ds_write2_b64 v126, v[135:136], v[137:138] offset0:32 offset1:33
	ds_write2_b64 v126, v[139:140], v[141:142] offset0:34 offset1:35
	ds_write2_b64 v126, v[143:144], v[145:146] offset0:36 offset1:37
	v_mov_b32_e32 v120, v40
	v_mov_b32_e32 v121, v41
	;; [unrolled: 1-line block ×20, first 2 shown]
	ds_write2_b64 v126, v[120:121], v[129:130] offset0:38 offset1:39
	ds_write2_b64 v126, v[131:132], v[133:134] offset0:40 offset1:41
	;; [unrolled: 1-line block ×5, first 2 shown]
	v_mov_b32_e32 v120, v20
	v_mov_b32_e32 v121, v21
	;; [unrolled: 1-line block ×8, first 2 shown]
	ds_write2_b64 v126, v[120:121], v[129:130] offset0:48 offset1:49
	v_mov_b32_e32 v129, 19
	v_mov_b32_e32 v135, v12
	;; [unrolled: 1-line block ×9, first 2 shown]
	ds_write2_b64 v126, v[131:132], v[133:134] offset0:50 offset1:51
	ds_write2_b64 v126, v[135:136], v[137:138] offset0:52 offset1:53
	;; [unrolled: 1-line block ×3, first 2 shown]
	ds_write_b64 v126, v[118:119] offset:448
.LBB112_333:
	s_or_b32 exec_lo, exec_lo, s0
	s_mov_b32 s0, exec_lo
	s_waitcnt lgkmcnt(0)
	s_waitcnt_vscnt null, 0x0
	s_barrier
	buffer_gl0_inv
	v_cmpx_lt_i32_e32 19, v129
	s_cbranch_execz .LBB112_335
; %bb.334:
	v_mul_f64 v[78:79], v[0:1], v[78:79]
	ds_read2_b64 v[130:133], v126 offset0:20 offset1:21
	ds_read2_b64 v[134:137], v126 offset0:22 offset1:23
	;; [unrolled: 1-line block ×12, first 2 shown]
	ds_read_b64 v[0:1], v126 offset:448
	s_waitcnt lgkmcnt(12)
	v_fma_f64 v[76:77], -v[78:79], v[130:131], v[76:77]
	v_fma_f64 v[74:75], -v[78:79], v[132:133], v[74:75]
	s_waitcnt lgkmcnt(11)
	v_fma_f64 v[72:73], -v[78:79], v[134:135], v[72:73]
	v_fma_f64 v[68:69], -v[78:79], v[136:137], v[68:69]
	s_waitcnt lgkmcnt(10)
	v_fma_f64 v[70:71], -v[78:79], v[138:139], v[70:71]
	v_fma_f64 v[64:65], -v[78:79], v[140:141], v[64:65]
	s_waitcnt lgkmcnt(9)
	v_fma_f64 v[66:67], -v[78:79], v[142:143], v[66:67]
	v_fma_f64 v[62:63], -v[78:79], v[144:145], v[62:63]
	s_waitcnt lgkmcnt(8)
	v_fma_f64 v[60:61], -v[78:79], v[146:147], v[60:61]
	v_fma_f64 v[58:59], -v[78:79], v[148:149], v[58:59]
	s_waitcnt lgkmcnt(7)
	v_fma_f64 v[56:57], -v[78:79], v[150:151], v[56:57]
	ds_read2_b64 v[130:133], v126 offset0:44 offset1:45
	ds_read2_b64 v[134:137], v126 offset0:46 offset1:47
	v_fma_f64 v[54:55], -v[78:79], v[152:153], v[54:55]
	ds_read2_b64 v[138:141], v126 offset0:48 offset1:49
	ds_read2_b64 v[142:145], v126 offset0:50 offset1:51
	;; [unrolled: 1-line block ×4, first 2 shown]
	s_waitcnt lgkmcnt(12)
	v_fma_f64 v[52:53], -v[78:79], v[154:155], v[52:53]
	v_fma_f64 v[48:49], -v[78:79], v[156:157], v[48:49]
	s_waitcnt lgkmcnt(11)
	v_fma_f64 v[50:51], -v[78:79], v[158:159], v[50:51]
	v_fma_f64 v[44:45], -v[78:79], v[160:161], v[44:45]
	;; [unrolled: 3-line block ×6, first 2 shown]
	s_waitcnt lgkmcnt(6)
	v_fma_f64 v[118:119], -v[78:79], v[0:1], v[118:119]
	s_waitcnt lgkmcnt(5)
	v_fma_f64 v[30:31], -v[78:79], v[130:131], v[30:31]
	v_fma_f64 v[24:25], -v[78:79], v[132:133], v[24:25]
	s_waitcnt lgkmcnt(4)
	v_fma_f64 v[26:27], -v[78:79], v[134:135], v[26:27]
	;; [unrolled: 3-line block ×6, first 2 shown]
	v_fma_f64 v[6:7], -v[78:79], v[152:153], v[6:7]
.LBB112_335:
	s_or_b32 exec_lo, exec_lo, s0
	v_lshl_add_u32 v0, v129, 3, v126
	s_barrier
	buffer_gl0_inv
	v_mov_b32_e32 v120, 20
	ds_write_b64 v0, v[76:77]
	s_waitcnt lgkmcnt(0)
	s_barrier
	buffer_gl0_inv
	ds_read_b64 v[0:1], v126 offset:160
	s_cmp_lt_i32 s7, 22
	s_cbranch_scc1 .LBB112_338
; %bb.336:
	v_add3_u32 v121, v127, 0, 0xa8
	v_mov_b32_e32 v120, 20
	s_mov_b32 s0, 21
.LBB112_337:                            ; =>This Inner Loop Header: Depth=1
	ds_read_b64 v[130:131], v121
	v_add_nc_u32_e32 v121, 8, v121
	s_waitcnt lgkmcnt(0)
	v_cmp_lt_f64_e64 vcc_lo, |v[0:1]|, |v[130:131]|
	v_cndmask_b32_e32 v1, v1, v131, vcc_lo
	v_cndmask_b32_e32 v0, v0, v130, vcc_lo
	v_cndmask_b32_e64 v120, v120, s0, vcc_lo
	s_add_i32 s0, s0, 1
	s_cmp_lg_u32 s7, s0
	s_cbranch_scc1 .LBB112_337
.LBB112_338:
	s_mov_b32 s0, exec_lo
	s_waitcnt lgkmcnt(0)
	v_cmpx_eq_f64_e32 0, v[0:1]
	s_xor_b32 s0, exec_lo, s0
; %bb.339:
	v_cmp_ne_u32_e32 vcc_lo, 0, v123
	v_cndmask_b32_e32 v123, 21, v123, vcc_lo
; %bb.340:
	s_andn2_saveexec_b32 s0, s0
	s_cbranch_execz .LBB112_342
; %bb.341:
	v_div_scale_f64 v[121:122], null, v[0:1], v[0:1], 1.0
	v_rcp_f64_e32 v[130:131], v[121:122]
	v_fma_f64 v[132:133], -v[121:122], v[130:131], 1.0
	v_fma_f64 v[130:131], v[130:131], v[132:133], v[130:131]
	v_fma_f64 v[132:133], -v[121:122], v[130:131], 1.0
	v_fma_f64 v[130:131], v[130:131], v[132:133], v[130:131]
	v_div_scale_f64 v[132:133], vcc_lo, 1.0, v[0:1], 1.0
	v_mul_f64 v[134:135], v[132:133], v[130:131]
	v_fma_f64 v[121:122], -v[121:122], v[134:135], v[132:133]
	v_div_fmas_f64 v[121:122], v[121:122], v[130:131], v[134:135]
	v_div_fixup_f64 v[0:1], v[121:122], v[0:1], 1.0
.LBB112_342:
	s_or_b32 exec_lo, exec_lo, s0
	s_mov_b32 s0, exec_lo
	v_cmpx_ne_u32_e64 v129, v120
	s_xor_b32 s0, exec_lo, s0
	s_cbranch_execz .LBB112_348
; %bb.343:
	s_mov_b32 s1, exec_lo
	v_cmpx_eq_u32_e32 20, v129
	s_cbranch_execz .LBB112_347
; %bb.344:
	v_cmp_ne_u32_e32 vcc_lo, 20, v120
	s_xor_b32 s2, s6, -1
	s_and_b32 s3, s2, vcc_lo
	s_and_saveexec_b32 s2, s3
	s_cbranch_execz .LBB112_346
; %bb.345:
	v_ashrrev_i32_e32 v121, 31, v120
	v_lshlrev_b64 v[121:122], 2, v[120:121]
	v_add_co_u32 v121, vcc_lo, v4, v121
	v_add_co_ci_u32_e64 v122, null, v5, v122, vcc_lo
	s_clause 0x1
	global_load_dword v128, v[121:122], off
	global_load_dword v129, v[4:5], off offset:80
	s_waitcnt vmcnt(1)
	global_store_dword v[4:5], v128, off offset:80
	s_waitcnt vmcnt(0)
	global_store_dword v[121:122], v129, off
.LBB112_346:
	s_or_b32 exec_lo, exec_lo, s2
	v_mov_b32_e32 v128, v120
	v_mov_b32_e32 v129, v120
.LBB112_347:
	s_or_b32 exec_lo, exec_lo, s1
.LBB112_348:
	s_andn2_saveexec_b32 s0, s0
	s_cbranch_execz .LBB112_350
; %bb.349:
	v_mov_b32_e32 v129, 20
	ds_write2_b64 v126, v[74:75], v[72:73] offset0:21 offset1:22
	ds_write2_b64 v126, v[68:69], v[70:71] offset0:23 offset1:24
	;; [unrolled: 1-line block ×18, first 2 shown]
.LBB112_350:
	s_or_b32 exec_lo, exec_lo, s0
	s_mov_b32 s0, exec_lo
	s_waitcnt lgkmcnt(0)
	s_waitcnt_vscnt null, 0x0
	s_barrier
	buffer_gl0_inv
	v_cmpx_lt_i32_e32 20, v129
	s_cbranch_execz .LBB112_352
; %bb.351:
	v_mul_f64 v[76:77], v[0:1], v[76:77]
	ds_read2_b64 v[130:133], v126 offset0:21 offset1:22
	ds_read2_b64 v[134:137], v126 offset0:23 offset1:24
	;; [unrolled: 1-line block ×12, first 2 shown]
	s_waitcnt lgkmcnt(11)
	v_fma_f64 v[74:75], -v[76:77], v[130:131], v[74:75]
	v_fma_f64 v[72:73], -v[76:77], v[132:133], v[72:73]
	s_waitcnt lgkmcnt(10)
	v_fma_f64 v[68:69], -v[76:77], v[134:135], v[68:69]
	v_fma_f64 v[70:71], -v[76:77], v[136:137], v[70:71]
	;; [unrolled: 3-line block ×5, first 2 shown]
	ds_read2_b64 v[130:133], v126 offset0:45 offset1:46
	ds_read2_b64 v[134:137], v126 offset0:47 offset1:48
	s_waitcnt lgkmcnt(8)
	v_fma_f64 v[54:55], -v[76:77], v[150:151], v[54:55]
	v_fma_f64 v[52:53], -v[76:77], v[152:153], v[52:53]
	ds_read2_b64 v[138:141], v126 offset0:49 offset1:50
	ds_read2_b64 v[142:145], v126 offset0:51 offset1:52
	;; [unrolled: 1-line block ×4, first 2 shown]
	s_waitcnt lgkmcnt(11)
	v_fma_f64 v[48:49], -v[76:77], v[154:155], v[48:49]
	v_fma_f64 v[50:51], -v[76:77], v[156:157], v[50:51]
	s_waitcnt lgkmcnt(10)
	v_fma_f64 v[44:45], -v[76:77], v[158:159], v[44:45]
	v_fma_f64 v[46:47], -v[76:77], v[160:161], v[46:47]
	;; [unrolled: 3-line block ×12, first 2 shown]
.LBB112_352:
	s_or_b32 exec_lo, exec_lo, s0
	v_lshl_add_u32 v0, v129, 3, v126
	s_barrier
	buffer_gl0_inv
	v_mov_b32_e32 v120, 21
	ds_write_b64 v0, v[74:75]
	s_waitcnt lgkmcnt(0)
	s_barrier
	buffer_gl0_inv
	ds_read_b64 v[0:1], v126 offset:168
	s_cmp_lt_i32 s7, 23
	s_cbranch_scc1 .LBB112_355
; %bb.353:
	v_add3_u32 v121, v127, 0, 0xb0
	v_mov_b32_e32 v120, 21
	s_mov_b32 s0, 22
.LBB112_354:                            ; =>This Inner Loop Header: Depth=1
	ds_read_b64 v[130:131], v121
	v_add_nc_u32_e32 v121, 8, v121
	s_waitcnt lgkmcnt(0)
	v_cmp_lt_f64_e64 vcc_lo, |v[0:1]|, |v[130:131]|
	v_cndmask_b32_e32 v1, v1, v131, vcc_lo
	v_cndmask_b32_e32 v0, v0, v130, vcc_lo
	v_cndmask_b32_e64 v120, v120, s0, vcc_lo
	s_add_i32 s0, s0, 1
	s_cmp_lg_u32 s7, s0
	s_cbranch_scc1 .LBB112_354
.LBB112_355:
	s_mov_b32 s0, exec_lo
	s_waitcnt lgkmcnt(0)
	v_cmpx_eq_f64_e32 0, v[0:1]
	s_xor_b32 s0, exec_lo, s0
; %bb.356:
	v_cmp_ne_u32_e32 vcc_lo, 0, v123
	v_cndmask_b32_e32 v123, 22, v123, vcc_lo
; %bb.357:
	s_andn2_saveexec_b32 s0, s0
	s_cbranch_execz .LBB112_359
; %bb.358:
	v_div_scale_f64 v[121:122], null, v[0:1], v[0:1], 1.0
	v_rcp_f64_e32 v[130:131], v[121:122]
	v_fma_f64 v[132:133], -v[121:122], v[130:131], 1.0
	v_fma_f64 v[130:131], v[130:131], v[132:133], v[130:131]
	v_fma_f64 v[132:133], -v[121:122], v[130:131], 1.0
	v_fma_f64 v[130:131], v[130:131], v[132:133], v[130:131]
	v_div_scale_f64 v[132:133], vcc_lo, 1.0, v[0:1], 1.0
	v_mul_f64 v[134:135], v[132:133], v[130:131]
	v_fma_f64 v[121:122], -v[121:122], v[134:135], v[132:133]
	v_div_fmas_f64 v[121:122], v[121:122], v[130:131], v[134:135]
	v_div_fixup_f64 v[0:1], v[121:122], v[0:1], 1.0
.LBB112_359:
	s_or_b32 exec_lo, exec_lo, s0
	s_mov_b32 s0, exec_lo
	v_cmpx_ne_u32_e64 v129, v120
	s_xor_b32 s0, exec_lo, s0
	s_cbranch_execz .LBB112_365
; %bb.360:
	s_mov_b32 s1, exec_lo
	v_cmpx_eq_u32_e32 21, v129
	s_cbranch_execz .LBB112_364
; %bb.361:
	v_cmp_ne_u32_e32 vcc_lo, 21, v120
	s_xor_b32 s2, s6, -1
	s_and_b32 s3, s2, vcc_lo
	s_and_saveexec_b32 s2, s3
	s_cbranch_execz .LBB112_363
; %bb.362:
	v_ashrrev_i32_e32 v121, 31, v120
	v_lshlrev_b64 v[121:122], 2, v[120:121]
	v_add_co_u32 v121, vcc_lo, v4, v121
	v_add_co_ci_u32_e64 v122, null, v5, v122, vcc_lo
	s_clause 0x1
	global_load_dword v128, v[121:122], off
	global_load_dword v129, v[4:5], off offset:84
	s_waitcnt vmcnt(1)
	global_store_dword v[4:5], v128, off offset:84
	s_waitcnt vmcnt(0)
	global_store_dword v[121:122], v129, off
.LBB112_363:
	s_or_b32 exec_lo, exec_lo, s2
	v_mov_b32_e32 v128, v120
	v_mov_b32_e32 v129, v120
.LBB112_364:
	s_or_b32 exec_lo, exec_lo, s1
.LBB112_365:
	s_andn2_saveexec_b32 s0, s0
	s_cbranch_execz .LBB112_367
; %bb.366:
	v_mov_b32_e32 v120, v72
	v_mov_b32_e32 v121, v73
	;; [unrolled: 1-line block ×12, first 2 shown]
	ds_write2_b64 v126, v[120:121], v[129:130] offset0:22 offset1:23
	ds_write2_b64 v126, v[131:132], v[133:134] offset0:24 offset1:25
	;; [unrolled: 1-line block ×3, first 2 shown]
	v_mov_b32_e32 v120, v60
	v_mov_b32_e32 v121, v61
	;; [unrolled: 1-line block ×20, first 2 shown]
	ds_write2_b64 v126, v[120:121], v[129:130] offset0:28 offset1:29
	ds_write2_b64 v126, v[131:132], v[133:134] offset0:30 offset1:31
	ds_write2_b64 v126, v[135:136], v[137:138] offset0:32 offset1:33
	ds_write2_b64 v126, v[139:140], v[141:142] offset0:34 offset1:35
	ds_write2_b64 v126, v[143:144], v[145:146] offset0:36 offset1:37
	v_mov_b32_e32 v120, v40
	v_mov_b32_e32 v121, v41
	;; [unrolled: 1-line block ×20, first 2 shown]
	ds_write2_b64 v126, v[120:121], v[129:130] offset0:38 offset1:39
	ds_write2_b64 v126, v[131:132], v[133:134] offset0:40 offset1:41
	;; [unrolled: 1-line block ×5, first 2 shown]
	v_mov_b32_e32 v120, v20
	v_mov_b32_e32 v121, v21
	;; [unrolled: 1-line block ×8, first 2 shown]
	ds_write2_b64 v126, v[120:121], v[129:130] offset0:48 offset1:49
	v_mov_b32_e32 v129, 21
	v_mov_b32_e32 v135, v12
	;; [unrolled: 1-line block ×9, first 2 shown]
	ds_write2_b64 v126, v[131:132], v[133:134] offset0:50 offset1:51
	ds_write2_b64 v126, v[135:136], v[137:138] offset0:52 offset1:53
	;; [unrolled: 1-line block ×3, first 2 shown]
	ds_write_b64 v126, v[118:119] offset:448
.LBB112_367:
	s_or_b32 exec_lo, exec_lo, s0
	s_mov_b32 s0, exec_lo
	s_waitcnt lgkmcnt(0)
	s_waitcnt_vscnt null, 0x0
	s_barrier
	buffer_gl0_inv
	v_cmpx_lt_i32_e32 21, v129
	s_cbranch_execz .LBB112_369
; %bb.368:
	v_mul_f64 v[74:75], v[0:1], v[74:75]
	ds_read2_b64 v[130:133], v126 offset0:22 offset1:23
	ds_read2_b64 v[134:137], v126 offset0:24 offset1:25
	;; [unrolled: 1-line block ×12, first 2 shown]
	ds_read_b64 v[0:1], v126 offset:448
	s_waitcnt lgkmcnt(12)
	v_fma_f64 v[72:73], -v[74:75], v[130:131], v[72:73]
	v_fma_f64 v[68:69], -v[74:75], v[132:133], v[68:69]
	s_waitcnt lgkmcnt(11)
	v_fma_f64 v[70:71], -v[74:75], v[134:135], v[70:71]
	v_fma_f64 v[64:65], -v[74:75], v[136:137], v[64:65]
	;; [unrolled: 3-line block ×5, first 2 shown]
	ds_read2_b64 v[130:133], v126 offset0:46 offset1:47
	ds_read2_b64 v[134:137], v126 offset0:48 offset1:49
	;; [unrolled: 1-line block ×5, first 2 shown]
	s_waitcnt lgkmcnt(12)
	v_fma_f64 v[52:53], -v[74:75], v[150:151], v[52:53]
	v_fma_f64 v[48:49], -v[74:75], v[152:153], v[48:49]
	s_waitcnt lgkmcnt(11)
	v_fma_f64 v[50:51], -v[74:75], v[154:155], v[50:51]
	v_fma_f64 v[44:45], -v[74:75], v[156:157], v[44:45]
	;; [unrolled: 3-line block ×7, first 2 shown]
	s_waitcnt lgkmcnt(5)
	v_fma_f64 v[118:119], -v[74:75], v[0:1], v[118:119]
	s_waitcnt lgkmcnt(4)
	v_fma_f64 v[26:27], -v[74:75], v[130:131], v[26:27]
	v_fma_f64 v[22:23], -v[74:75], v[132:133], v[22:23]
	s_waitcnt lgkmcnt(3)
	v_fma_f64 v[20:21], -v[74:75], v[134:135], v[20:21]
	;; [unrolled: 3-line block ×5, first 2 shown]
	v_fma_f64 v[6:7], -v[74:75], v[148:149], v[6:7]
.LBB112_369:
	s_or_b32 exec_lo, exec_lo, s0
	v_lshl_add_u32 v0, v129, 3, v126
	s_barrier
	buffer_gl0_inv
	v_mov_b32_e32 v120, 22
	ds_write_b64 v0, v[72:73]
	s_waitcnt lgkmcnt(0)
	s_barrier
	buffer_gl0_inv
	ds_read_b64 v[0:1], v126 offset:176
	s_cmp_lt_i32 s7, 24
	s_cbranch_scc1 .LBB112_372
; %bb.370:
	v_add3_u32 v121, v127, 0, 0xb8
	v_mov_b32_e32 v120, 22
	s_mov_b32 s0, 23
.LBB112_371:                            ; =>This Inner Loop Header: Depth=1
	ds_read_b64 v[130:131], v121
	v_add_nc_u32_e32 v121, 8, v121
	s_waitcnt lgkmcnt(0)
	v_cmp_lt_f64_e64 vcc_lo, |v[0:1]|, |v[130:131]|
	v_cndmask_b32_e32 v1, v1, v131, vcc_lo
	v_cndmask_b32_e32 v0, v0, v130, vcc_lo
	v_cndmask_b32_e64 v120, v120, s0, vcc_lo
	s_add_i32 s0, s0, 1
	s_cmp_lg_u32 s7, s0
	s_cbranch_scc1 .LBB112_371
.LBB112_372:
	s_mov_b32 s0, exec_lo
	s_waitcnt lgkmcnt(0)
	v_cmpx_eq_f64_e32 0, v[0:1]
	s_xor_b32 s0, exec_lo, s0
; %bb.373:
	v_cmp_ne_u32_e32 vcc_lo, 0, v123
	v_cndmask_b32_e32 v123, 23, v123, vcc_lo
; %bb.374:
	s_andn2_saveexec_b32 s0, s0
	s_cbranch_execz .LBB112_376
; %bb.375:
	v_div_scale_f64 v[121:122], null, v[0:1], v[0:1], 1.0
	v_rcp_f64_e32 v[130:131], v[121:122]
	v_fma_f64 v[132:133], -v[121:122], v[130:131], 1.0
	v_fma_f64 v[130:131], v[130:131], v[132:133], v[130:131]
	v_fma_f64 v[132:133], -v[121:122], v[130:131], 1.0
	v_fma_f64 v[130:131], v[130:131], v[132:133], v[130:131]
	v_div_scale_f64 v[132:133], vcc_lo, 1.0, v[0:1], 1.0
	v_mul_f64 v[134:135], v[132:133], v[130:131]
	v_fma_f64 v[121:122], -v[121:122], v[134:135], v[132:133]
	v_div_fmas_f64 v[121:122], v[121:122], v[130:131], v[134:135]
	v_div_fixup_f64 v[0:1], v[121:122], v[0:1], 1.0
.LBB112_376:
	s_or_b32 exec_lo, exec_lo, s0
	s_mov_b32 s0, exec_lo
	v_cmpx_ne_u32_e64 v129, v120
	s_xor_b32 s0, exec_lo, s0
	s_cbranch_execz .LBB112_382
; %bb.377:
	s_mov_b32 s1, exec_lo
	v_cmpx_eq_u32_e32 22, v129
	s_cbranch_execz .LBB112_381
; %bb.378:
	v_cmp_ne_u32_e32 vcc_lo, 22, v120
	s_xor_b32 s2, s6, -1
	s_and_b32 s3, s2, vcc_lo
	s_and_saveexec_b32 s2, s3
	s_cbranch_execz .LBB112_380
; %bb.379:
	v_ashrrev_i32_e32 v121, 31, v120
	v_lshlrev_b64 v[121:122], 2, v[120:121]
	v_add_co_u32 v121, vcc_lo, v4, v121
	v_add_co_ci_u32_e64 v122, null, v5, v122, vcc_lo
	s_clause 0x1
	global_load_dword v128, v[121:122], off
	global_load_dword v129, v[4:5], off offset:88
	s_waitcnt vmcnt(1)
	global_store_dword v[4:5], v128, off offset:88
	s_waitcnt vmcnt(0)
	global_store_dword v[121:122], v129, off
.LBB112_380:
	s_or_b32 exec_lo, exec_lo, s2
	v_mov_b32_e32 v128, v120
	v_mov_b32_e32 v129, v120
.LBB112_381:
	s_or_b32 exec_lo, exec_lo, s1
.LBB112_382:
	s_andn2_saveexec_b32 s0, s0
	s_cbranch_execz .LBB112_384
; %bb.383:
	v_mov_b32_e32 v129, 22
	ds_write2_b64 v126, v[68:69], v[70:71] offset0:23 offset1:24
	ds_write2_b64 v126, v[64:65], v[66:67] offset0:25 offset1:26
	;; [unrolled: 1-line block ×17, first 2 shown]
.LBB112_384:
	s_or_b32 exec_lo, exec_lo, s0
	s_mov_b32 s0, exec_lo
	s_waitcnt lgkmcnt(0)
	s_waitcnt_vscnt null, 0x0
	s_barrier
	buffer_gl0_inv
	v_cmpx_lt_i32_e32 22, v129
	s_cbranch_execz .LBB112_386
; %bb.385:
	v_mul_f64 v[72:73], v[0:1], v[72:73]
	ds_read2_b64 v[130:133], v126 offset0:23 offset1:24
	ds_read2_b64 v[134:137], v126 offset0:25 offset1:26
	;; [unrolled: 1-line block ×13, first 2 shown]
	s_waitcnt lgkmcnt(12)
	v_fma_f64 v[68:69], -v[72:73], v[130:131], v[68:69]
	v_fma_f64 v[70:71], -v[72:73], v[132:133], v[70:71]
	s_waitcnt lgkmcnt(11)
	v_fma_f64 v[64:65], -v[72:73], v[134:135], v[64:65]
	v_fma_f64 v[66:67], -v[72:73], v[136:137], v[66:67]
	;; [unrolled: 3-line block ×4, first 2 shown]
	ds_read2_b64 v[130:133], v126 offset0:49 offset1:50
	ds_read2_b64 v[134:137], v126 offset0:51 offset1:52
	;; [unrolled: 1-line block ×4, first 2 shown]
	s_waitcnt lgkmcnt(12)
	v_fma_f64 v[54:55], -v[72:73], v[146:147], v[54:55]
	v_fma_f64 v[52:53], -v[72:73], v[148:149], v[52:53]
	s_waitcnt lgkmcnt(11)
	v_fma_f64 v[48:49], -v[72:73], v[150:151], v[48:49]
	v_fma_f64 v[50:51], -v[72:73], v[152:153], v[50:51]
	;; [unrolled: 3-line block ×13, first 2 shown]
.LBB112_386:
	s_or_b32 exec_lo, exec_lo, s0
	v_lshl_add_u32 v0, v129, 3, v126
	s_barrier
	buffer_gl0_inv
	v_mov_b32_e32 v120, 23
	ds_write_b64 v0, v[68:69]
	s_waitcnt lgkmcnt(0)
	s_barrier
	buffer_gl0_inv
	ds_read_b64 v[0:1], v126 offset:184
	s_cmp_lt_i32 s7, 25
	s_cbranch_scc1 .LBB112_389
; %bb.387:
	v_add3_u32 v121, v127, 0, 0xc0
	v_mov_b32_e32 v120, 23
	s_mov_b32 s0, 24
.LBB112_388:                            ; =>This Inner Loop Header: Depth=1
	ds_read_b64 v[130:131], v121
	v_add_nc_u32_e32 v121, 8, v121
	s_waitcnt lgkmcnt(0)
	v_cmp_lt_f64_e64 vcc_lo, |v[0:1]|, |v[130:131]|
	v_cndmask_b32_e32 v1, v1, v131, vcc_lo
	v_cndmask_b32_e32 v0, v0, v130, vcc_lo
	v_cndmask_b32_e64 v120, v120, s0, vcc_lo
	s_add_i32 s0, s0, 1
	s_cmp_lg_u32 s7, s0
	s_cbranch_scc1 .LBB112_388
.LBB112_389:
	s_mov_b32 s0, exec_lo
	s_waitcnt lgkmcnt(0)
	v_cmpx_eq_f64_e32 0, v[0:1]
	s_xor_b32 s0, exec_lo, s0
; %bb.390:
	v_cmp_ne_u32_e32 vcc_lo, 0, v123
	v_cndmask_b32_e32 v123, 24, v123, vcc_lo
; %bb.391:
	s_andn2_saveexec_b32 s0, s0
	s_cbranch_execz .LBB112_393
; %bb.392:
	v_div_scale_f64 v[121:122], null, v[0:1], v[0:1], 1.0
	v_rcp_f64_e32 v[130:131], v[121:122]
	v_fma_f64 v[132:133], -v[121:122], v[130:131], 1.0
	v_fma_f64 v[130:131], v[130:131], v[132:133], v[130:131]
	v_fma_f64 v[132:133], -v[121:122], v[130:131], 1.0
	v_fma_f64 v[130:131], v[130:131], v[132:133], v[130:131]
	v_div_scale_f64 v[132:133], vcc_lo, 1.0, v[0:1], 1.0
	v_mul_f64 v[134:135], v[132:133], v[130:131]
	v_fma_f64 v[121:122], -v[121:122], v[134:135], v[132:133]
	v_div_fmas_f64 v[121:122], v[121:122], v[130:131], v[134:135]
	v_div_fixup_f64 v[0:1], v[121:122], v[0:1], 1.0
.LBB112_393:
	s_or_b32 exec_lo, exec_lo, s0
	s_mov_b32 s0, exec_lo
	v_cmpx_ne_u32_e64 v129, v120
	s_xor_b32 s0, exec_lo, s0
	s_cbranch_execz .LBB112_399
; %bb.394:
	s_mov_b32 s1, exec_lo
	v_cmpx_eq_u32_e32 23, v129
	s_cbranch_execz .LBB112_398
; %bb.395:
	v_cmp_ne_u32_e32 vcc_lo, 23, v120
	s_xor_b32 s2, s6, -1
	s_and_b32 s3, s2, vcc_lo
	s_and_saveexec_b32 s2, s3
	s_cbranch_execz .LBB112_397
; %bb.396:
	v_ashrrev_i32_e32 v121, 31, v120
	v_lshlrev_b64 v[121:122], 2, v[120:121]
	v_add_co_u32 v121, vcc_lo, v4, v121
	v_add_co_ci_u32_e64 v122, null, v5, v122, vcc_lo
	s_clause 0x1
	global_load_dword v128, v[121:122], off
	global_load_dword v129, v[4:5], off offset:92
	s_waitcnt vmcnt(1)
	global_store_dword v[4:5], v128, off offset:92
	s_waitcnt vmcnt(0)
	global_store_dword v[121:122], v129, off
.LBB112_397:
	s_or_b32 exec_lo, exec_lo, s2
	v_mov_b32_e32 v128, v120
	v_mov_b32_e32 v129, v120
.LBB112_398:
	s_or_b32 exec_lo, exec_lo, s1
.LBB112_399:
	s_andn2_saveexec_b32 s0, s0
	s_cbranch_execz .LBB112_401
; %bb.400:
	v_mov_b32_e32 v120, v70
	v_mov_b32_e32 v121, v71
	;; [unrolled: 1-line block ×8, first 2 shown]
	ds_write2_b64 v126, v[120:121], v[129:130] offset0:24 offset1:25
	ds_write2_b64 v126, v[131:132], v[133:134] offset0:26 offset1:27
	v_mov_b32_e32 v120, v60
	v_mov_b32_e32 v121, v61
	;; [unrolled: 1-line block ×20, first 2 shown]
	ds_write2_b64 v126, v[120:121], v[129:130] offset0:28 offset1:29
	ds_write2_b64 v126, v[131:132], v[133:134] offset0:30 offset1:31
	;; [unrolled: 1-line block ×5, first 2 shown]
	v_mov_b32_e32 v120, v40
	v_mov_b32_e32 v121, v41
	;; [unrolled: 1-line block ×20, first 2 shown]
	ds_write2_b64 v126, v[120:121], v[129:130] offset0:38 offset1:39
	ds_write2_b64 v126, v[131:132], v[133:134] offset0:40 offset1:41
	;; [unrolled: 1-line block ×5, first 2 shown]
	v_mov_b32_e32 v120, v20
	v_mov_b32_e32 v121, v21
	;; [unrolled: 1-line block ×8, first 2 shown]
	ds_write2_b64 v126, v[120:121], v[129:130] offset0:48 offset1:49
	v_mov_b32_e32 v129, 23
	v_mov_b32_e32 v135, v12
	;; [unrolled: 1-line block ×9, first 2 shown]
	ds_write2_b64 v126, v[131:132], v[133:134] offset0:50 offset1:51
	ds_write2_b64 v126, v[135:136], v[137:138] offset0:52 offset1:53
	;; [unrolled: 1-line block ×3, first 2 shown]
	ds_write_b64 v126, v[118:119] offset:448
.LBB112_401:
	s_or_b32 exec_lo, exec_lo, s0
	s_mov_b32 s0, exec_lo
	s_waitcnt lgkmcnt(0)
	s_waitcnt_vscnt null, 0x0
	s_barrier
	buffer_gl0_inv
	v_cmpx_lt_i32_e32 23, v129
	s_cbranch_execz .LBB112_403
; %bb.402:
	v_mul_f64 v[68:69], v[0:1], v[68:69]
	ds_read2_b64 v[130:133], v126 offset0:24 offset1:25
	ds_read2_b64 v[134:137], v126 offset0:26 offset1:27
	;; [unrolled: 1-line block ×13, first 2 shown]
	ds_read_b64 v[0:1], v126 offset:448
	s_waitcnt lgkmcnt(13)
	v_fma_f64 v[70:71], -v[68:69], v[130:131], v[70:71]
	v_fma_f64 v[64:65], -v[68:69], v[132:133], v[64:65]
	s_waitcnt lgkmcnt(12)
	v_fma_f64 v[66:67], -v[68:69], v[134:135], v[66:67]
	v_fma_f64 v[62:63], -v[68:69], v[136:137], v[62:63]
	;; [unrolled: 3-line block ×3, first 2 shown]
	ds_read2_b64 v[130:133], v126 offset0:50 offset1:51
	ds_read2_b64 v[134:137], v126 offset0:52 offset1:53
	;; [unrolled: 1-line block ×3, first 2 shown]
	s_waitcnt lgkmcnt(13)
	v_fma_f64 v[56:57], -v[68:69], v[142:143], v[56:57]
	v_fma_f64 v[54:55], -v[68:69], v[144:145], v[54:55]
	s_waitcnt lgkmcnt(12)
	v_fma_f64 v[52:53], -v[68:69], v[146:147], v[52:53]
	v_fma_f64 v[48:49], -v[68:69], v[148:149], v[48:49]
	;; [unrolled: 3-line block ×13, first 2 shown]
	v_fma_f64 v[118:119], -v[68:69], v[0:1], v[118:119]
.LBB112_403:
	s_or_b32 exec_lo, exec_lo, s0
	v_lshl_add_u32 v0, v129, 3, v126
	s_barrier
	buffer_gl0_inv
	v_mov_b32_e32 v120, 24
	ds_write_b64 v0, v[70:71]
	s_waitcnt lgkmcnt(0)
	s_barrier
	buffer_gl0_inv
	ds_read_b64 v[0:1], v126 offset:192
	s_cmp_lt_i32 s7, 26
	s_cbranch_scc1 .LBB112_406
; %bb.404:
	v_add3_u32 v121, v127, 0, 0xc8
	v_mov_b32_e32 v120, 24
	s_mov_b32 s0, 25
.LBB112_405:                            ; =>This Inner Loop Header: Depth=1
	ds_read_b64 v[130:131], v121
	v_add_nc_u32_e32 v121, 8, v121
	s_waitcnt lgkmcnt(0)
	v_cmp_lt_f64_e64 vcc_lo, |v[0:1]|, |v[130:131]|
	v_cndmask_b32_e32 v1, v1, v131, vcc_lo
	v_cndmask_b32_e32 v0, v0, v130, vcc_lo
	v_cndmask_b32_e64 v120, v120, s0, vcc_lo
	s_add_i32 s0, s0, 1
	s_cmp_lg_u32 s7, s0
	s_cbranch_scc1 .LBB112_405
.LBB112_406:
	s_mov_b32 s0, exec_lo
	s_waitcnt lgkmcnt(0)
	v_cmpx_eq_f64_e32 0, v[0:1]
	s_xor_b32 s0, exec_lo, s0
; %bb.407:
	v_cmp_ne_u32_e32 vcc_lo, 0, v123
	v_cndmask_b32_e32 v123, 25, v123, vcc_lo
; %bb.408:
	s_andn2_saveexec_b32 s0, s0
	s_cbranch_execz .LBB112_410
; %bb.409:
	v_div_scale_f64 v[121:122], null, v[0:1], v[0:1], 1.0
	v_rcp_f64_e32 v[130:131], v[121:122]
	v_fma_f64 v[132:133], -v[121:122], v[130:131], 1.0
	v_fma_f64 v[130:131], v[130:131], v[132:133], v[130:131]
	v_fma_f64 v[132:133], -v[121:122], v[130:131], 1.0
	v_fma_f64 v[130:131], v[130:131], v[132:133], v[130:131]
	v_div_scale_f64 v[132:133], vcc_lo, 1.0, v[0:1], 1.0
	v_mul_f64 v[134:135], v[132:133], v[130:131]
	v_fma_f64 v[121:122], -v[121:122], v[134:135], v[132:133]
	v_div_fmas_f64 v[121:122], v[121:122], v[130:131], v[134:135]
	v_div_fixup_f64 v[0:1], v[121:122], v[0:1], 1.0
.LBB112_410:
	s_or_b32 exec_lo, exec_lo, s0
	s_mov_b32 s0, exec_lo
	v_cmpx_ne_u32_e64 v129, v120
	s_xor_b32 s0, exec_lo, s0
	s_cbranch_execz .LBB112_416
; %bb.411:
	s_mov_b32 s1, exec_lo
	v_cmpx_eq_u32_e32 24, v129
	s_cbranch_execz .LBB112_415
; %bb.412:
	v_cmp_ne_u32_e32 vcc_lo, 24, v120
	s_xor_b32 s2, s6, -1
	s_and_b32 s3, s2, vcc_lo
	s_and_saveexec_b32 s2, s3
	s_cbranch_execz .LBB112_414
; %bb.413:
	v_ashrrev_i32_e32 v121, 31, v120
	v_lshlrev_b64 v[121:122], 2, v[120:121]
	v_add_co_u32 v121, vcc_lo, v4, v121
	v_add_co_ci_u32_e64 v122, null, v5, v122, vcc_lo
	s_clause 0x1
	global_load_dword v128, v[121:122], off
	global_load_dword v129, v[4:5], off offset:96
	s_waitcnt vmcnt(1)
	global_store_dword v[4:5], v128, off offset:96
	s_waitcnt vmcnt(0)
	global_store_dword v[121:122], v129, off
.LBB112_414:
	s_or_b32 exec_lo, exec_lo, s2
	v_mov_b32_e32 v128, v120
	v_mov_b32_e32 v129, v120
.LBB112_415:
	s_or_b32 exec_lo, exec_lo, s1
.LBB112_416:
	s_andn2_saveexec_b32 s0, s0
	s_cbranch_execz .LBB112_418
; %bb.417:
	v_mov_b32_e32 v129, 24
	ds_write2_b64 v126, v[64:65], v[66:67] offset0:25 offset1:26
	ds_write2_b64 v126, v[62:63], v[60:61] offset0:27 offset1:28
	ds_write2_b64 v126, v[58:59], v[56:57] offset0:29 offset1:30
	ds_write2_b64 v126, v[54:55], v[52:53] offset0:31 offset1:32
	ds_write2_b64 v126, v[48:49], v[50:51] offset0:33 offset1:34
	ds_write2_b64 v126, v[44:45], v[46:47] offset0:35 offset1:36
	ds_write2_b64 v126, v[42:43], v[40:41] offset0:37 offset1:38
	ds_write2_b64 v126, v[38:39], v[36:37] offset0:39 offset1:40
	ds_write2_b64 v126, v[34:35], v[32:33] offset0:41 offset1:42
	ds_write2_b64 v126, v[28:29], v[30:31] offset0:43 offset1:44
	ds_write2_b64 v126, v[24:25], v[26:27] offset0:45 offset1:46
	ds_write2_b64 v126, v[22:23], v[20:21] offset0:47 offset1:48
	ds_write2_b64 v126, v[18:19], v[16:17] offset0:49 offset1:50
	ds_write2_b64 v126, v[14:15], v[12:13] offset0:51 offset1:52
	ds_write2_b64 v126, v[8:9], v[10:11] offset0:53 offset1:54
	ds_write2_b64 v126, v[6:7], v[118:119] offset0:55 offset1:56
.LBB112_418:
	s_or_b32 exec_lo, exec_lo, s0
	s_mov_b32 s0, exec_lo
	s_waitcnt lgkmcnt(0)
	s_waitcnt_vscnt null, 0x0
	s_barrier
	buffer_gl0_inv
	v_cmpx_lt_i32_e32 24, v129
	s_cbranch_execz .LBB112_420
; %bb.419:
	v_mul_f64 v[70:71], v[0:1], v[70:71]
	ds_read2_b64 v[130:133], v126 offset0:25 offset1:26
	ds_read2_b64 v[134:137], v126 offset0:27 offset1:28
	;; [unrolled: 1-line block ×13, first 2 shown]
	s_waitcnt lgkmcnt(12)
	v_fma_f64 v[64:65], -v[70:71], v[130:131], v[64:65]
	v_fma_f64 v[66:67], -v[70:71], v[132:133], v[66:67]
	s_waitcnt lgkmcnt(11)
	v_fma_f64 v[62:63], -v[70:71], v[134:135], v[62:63]
	v_fma_f64 v[60:61], -v[70:71], v[136:137], v[60:61]
	;; [unrolled: 3-line block ×3, first 2 shown]
	ds_read2_b64 v[130:133], v126 offset0:51 offset1:52
	ds_read2_b64 v[134:137], v126 offset0:53 offset1:54
	;; [unrolled: 1-line block ×3, first 2 shown]
	s_waitcnt lgkmcnt(12)
	v_fma_f64 v[54:55], -v[70:71], v[142:143], v[54:55]
	v_fma_f64 v[52:53], -v[70:71], v[144:145], v[52:53]
	s_waitcnt lgkmcnt(11)
	v_fma_f64 v[48:49], -v[70:71], v[146:147], v[48:49]
	v_fma_f64 v[50:51], -v[70:71], v[148:149], v[50:51]
	;; [unrolled: 3-line block ×13, first 2 shown]
.LBB112_420:
	s_or_b32 exec_lo, exec_lo, s0
	v_lshl_add_u32 v0, v129, 3, v126
	s_barrier
	buffer_gl0_inv
	v_mov_b32_e32 v120, 25
	ds_write_b64 v0, v[64:65]
	s_waitcnt lgkmcnt(0)
	s_barrier
	buffer_gl0_inv
	ds_read_b64 v[0:1], v126 offset:200
	s_cmp_lt_i32 s7, 27
	s_cbranch_scc1 .LBB112_423
; %bb.421:
	v_add3_u32 v121, v127, 0, 0xd0
	v_mov_b32_e32 v120, 25
	s_mov_b32 s0, 26
.LBB112_422:                            ; =>This Inner Loop Header: Depth=1
	ds_read_b64 v[130:131], v121
	v_add_nc_u32_e32 v121, 8, v121
	s_waitcnt lgkmcnt(0)
	v_cmp_lt_f64_e64 vcc_lo, |v[0:1]|, |v[130:131]|
	v_cndmask_b32_e32 v1, v1, v131, vcc_lo
	v_cndmask_b32_e32 v0, v0, v130, vcc_lo
	v_cndmask_b32_e64 v120, v120, s0, vcc_lo
	s_add_i32 s0, s0, 1
	s_cmp_lg_u32 s7, s0
	s_cbranch_scc1 .LBB112_422
.LBB112_423:
	s_mov_b32 s0, exec_lo
	s_waitcnt lgkmcnt(0)
	v_cmpx_eq_f64_e32 0, v[0:1]
	s_xor_b32 s0, exec_lo, s0
; %bb.424:
	v_cmp_ne_u32_e32 vcc_lo, 0, v123
	v_cndmask_b32_e32 v123, 26, v123, vcc_lo
; %bb.425:
	s_andn2_saveexec_b32 s0, s0
	s_cbranch_execz .LBB112_427
; %bb.426:
	v_div_scale_f64 v[121:122], null, v[0:1], v[0:1], 1.0
	v_rcp_f64_e32 v[130:131], v[121:122]
	v_fma_f64 v[132:133], -v[121:122], v[130:131], 1.0
	v_fma_f64 v[130:131], v[130:131], v[132:133], v[130:131]
	v_fma_f64 v[132:133], -v[121:122], v[130:131], 1.0
	v_fma_f64 v[130:131], v[130:131], v[132:133], v[130:131]
	v_div_scale_f64 v[132:133], vcc_lo, 1.0, v[0:1], 1.0
	v_mul_f64 v[134:135], v[132:133], v[130:131]
	v_fma_f64 v[121:122], -v[121:122], v[134:135], v[132:133]
	v_div_fmas_f64 v[121:122], v[121:122], v[130:131], v[134:135]
	v_div_fixup_f64 v[0:1], v[121:122], v[0:1], 1.0
.LBB112_427:
	s_or_b32 exec_lo, exec_lo, s0
	s_mov_b32 s0, exec_lo
	v_cmpx_ne_u32_e64 v129, v120
	s_xor_b32 s0, exec_lo, s0
	s_cbranch_execz .LBB112_433
; %bb.428:
	s_mov_b32 s1, exec_lo
	v_cmpx_eq_u32_e32 25, v129
	s_cbranch_execz .LBB112_432
; %bb.429:
	v_cmp_ne_u32_e32 vcc_lo, 25, v120
	s_xor_b32 s2, s6, -1
	s_and_b32 s3, s2, vcc_lo
	s_and_saveexec_b32 s2, s3
	s_cbranch_execz .LBB112_431
; %bb.430:
	v_ashrrev_i32_e32 v121, 31, v120
	v_lshlrev_b64 v[121:122], 2, v[120:121]
	v_add_co_u32 v121, vcc_lo, v4, v121
	v_add_co_ci_u32_e64 v122, null, v5, v122, vcc_lo
	s_clause 0x1
	global_load_dword v128, v[121:122], off
	global_load_dword v129, v[4:5], off offset:100
	s_waitcnt vmcnt(1)
	global_store_dword v[4:5], v128, off offset:100
	s_waitcnt vmcnt(0)
	global_store_dword v[121:122], v129, off
.LBB112_431:
	s_or_b32 exec_lo, exec_lo, s2
	v_mov_b32_e32 v128, v120
	v_mov_b32_e32 v129, v120
.LBB112_432:
	s_or_b32 exec_lo, exec_lo, s1
.LBB112_433:
	s_andn2_saveexec_b32 s0, s0
	s_cbranch_execz .LBB112_435
; %bb.434:
	v_mov_b32_e32 v120, v66
	v_mov_b32_e32 v121, v67
	;; [unrolled: 1-line block ×8, first 2 shown]
	ds_write2_b64 v126, v[120:121], v[129:130] offset0:26 offset1:27
	v_mov_b32_e32 v120, v58
	v_mov_b32_e32 v121, v59
	v_mov_b32_e32 v129, v56
	v_mov_b32_e32 v130, v57
	v_mov_b32_e32 v135, v52
	v_mov_b32_e32 v136, v53
	v_mov_b32_e32 v137, v48
	v_mov_b32_e32 v138, v49
	v_mov_b32_e32 v139, v50
	v_mov_b32_e32 v140, v51
	v_mov_b32_e32 v141, v44
	v_mov_b32_e32 v142, v45
	v_mov_b32_e32 v143, v46
	v_mov_b32_e32 v144, v47
	v_mov_b32_e32 v145, v42
	v_mov_b32_e32 v146, v43
	ds_write2_b64 v126, v[131:132], v[120:121] offset0:28 offset1:29
	ds_write2_b64 v126, v[129:130], v[133:134] offset0:30 offset1:31
	;; [unrolled: 1-line block ×5, first 2 shown]
	v_mov_b32_e32 v120, v40
	v_mov_b32_e32 v121, v41
	v_mov_b32_e32 v129, v38
	v_mov_b32_e32 v130, v39
	v_mov_b32_e32 v131, v36
	v_mov_b32_e32 v132, v37
	v_mov_b32_e32 v133, v34
	v_mov_b32_e32 v134, v35
	v_mov_b32_e32 v135, v32
	v_mov_b32_e32 v136, v33
	v_mov_b32_e32 v137, v28
	v_mov_b32_e32 v138, v29
	v_mov_b32_e32 v139, v30
	v_mov_b32_e32 v140, v31
	v_mov_b32_e32 v141, v24
	v_mov_b32_e32 v142, v25
	v_mov_b32_e32 v143, v26
	v_mov_b32_e32 v144, v27
	v_mov_b32_e32 v145, v22
	v_mov_b32_e32 v146, v23
	ds_write2_b64 v126, v[120:121], v[129:130] offset0:38 offset1:39
	ds_write2_b64 v126, v[131:132], v[133:134] offset0:40 offset1:41
	;; [unrolled: 1-line block ×5, first 2 shown]
	v_mov_b32_e32 v120, v20
	v_mov_b32_e32 v121, v21
	;; [unrolled: 1-line block ×8, first 2 shown]
	ds_write2_b64 v126, v[120:121], v[129:130] offset0:48 offset1:49
	v_mov_b32_e32 v129, 25
	v_mov_b32_e32 v135, v12
	;; [unrolled: 1-line block ×9, first 2 shown]
	ds_write2_b64 v126, v[131:132], v[133:134] offset0:50 offset1:51
	ds_write2_b64 v126, v[135:136], v[137:138] offset0:52 offset1:53
	;; [unrolled: 1-line block ×3, first 2 shown]
	ds_write_b64 v126, v[118:119] offset:448
.LBB112_435:
	s_or_b32 exec_lo, exec_lo, s0
	s_mov_b32 s0, exec_lo
	s_waitcnt lgkmcnt(0)
	s_waitcnt_vscnt null, 0x0
	s_barrier
	buffer_gl0_inv
	v_cmpx_lt_i32_e32 25, v129
	s_cbranch_execz .LBB112_437
; %bb.436:
	v_mul_f64 v[64:65], v[0:1], v[64:65]
	ds_read2_b64 v[130:133], v126 offset0:26 offset1:27
	ds_read2_b64 v[134:137], v126 offset0:28 offset1:29
	;; [unrolled: 1-line block ×13, first 2 shown]
	ds_read_b64 v[0:1], v126 offset:448
	s_waitcnt lgkmcnt(13)
	v_fma_f64 v[66:67], -v[64:65], v[130:131], v[66:67]
	v_fma_f64 v[62:63], -v[64:65], v[132:133], v[62:63]
	s_waitcnt lgkmcnt(12)
	v_fma_f64 v[60:61], -v[64:65], v[134:135], v[60:61]
	v_fma_f64 v[58:59], -v[64:65], v[136:137], v[58:59]
	ds_read2_b64 v[130:133], v126 offset0:52 offset1:53
	ds_read2_b64 v[134:137], v126 offset0:54 offset1:55
	s_waitcnt lgkmcnt(13)
	v_fma_f64 v[56:57], -v[64:65], v[138:139], v[56:57]
	v_fma_f64 v[54:55], -v[64:65], v[140:141], v[54:55]
	s_waitcnt lgkmcnt(12)
	v_fma_f64 v[52:53], -v[64:65], v[142:143], v[52:53]
	v_fma_f64 v[48:49], -v[64:65], v[144:145], v[48:49]
	;; [unrolled: 3-line block ×13, first 2 shown]
	v_fma_f64 v[118:119], -v[64:65], v[0:1], v[118:119]
.LBB112_437:
	s_or_b32 exec_lo, exec_lo, s0
	v_lshl_add_u32 v0, v129, 3, v126
	s_barrier
	buffer_gl0_inv
	v_mov_b32_e32 v120, 26
	ds_write_b64 v0, v[66:67]
	s_waitcnt lgkmcnt(0)
	s_barrier
	buffer_gl0_inv
	ds_read_b64 v[0:1], v126 offset:208
	s_cmp_lt_i32 s7, 28
	s_cbranch_scc1 .LBB112_440
; %bb.438:
	v_add3_u32 v121, v127, 0, 0xd8
	v_mov_b32_e32 v120, 26
	s_mov_b32 s0, 27
.LBB112_439:                            ; =>This Inner Loop Header: Depth=1
	ds_read_b64 v[130:131], v121
	v_add_nc_u32_e32 v121, 8, v121
	s_waitcnt lgkmcnt(0)
	v_cmp_lt_f64_e64 vcc_lo, |v[0:1]|, |v[130:131]|
	v_cndmask_b32_e32 v1, v1, v131, vcc_lo
	v_cndmask_b32_e32 v0, v0, v130, vcc_lo
	v_cndmask_b32_e64 v120, v120, s0, vcc_lo
	s_add_i32 s0, s0, 1
	s_cmp_lg_u32 s7, s0
	s_cbranch_scc1 .LBB112_439
.LBB112_440:
	s_mov_b32 s0, exec_lo
	s_waitcnt lgkmcnt(0)
	v_cmpx_eq_f64_e32 0, v[0:1]
	s_xor_b32 s0, exec_lo, s0
; %bb.441:
	v_cmp_ne_u32_e32 vcc_lo, 0, v123
	v_cndmask_b32_e32 v123, 27, v123, vcc_lo
; %bb.442:
	s_andn2_saveexec_b32 s0, s0
	s_cbranch_execz .LBB112_444
; %bb.443:
	v_div_scale_f64 v[121:122], null, v[0:1], v[0:1], 1.0
	v_rcp_f64_e32 v[130:131], v[121:122]
	v_fma_f64 v[132:133], -v[121:122], v[130:131], 1.0
	v_fma_f64 v[130:131], v[130:131], v[132:133], v[130:131]
	v_fma_f64 v[132:133], -v[121:122], v[130:131], 1.0
	v_fma_f64 v[130:131], v[130:131], v[132:133], v[130:131]
	v_div_scale_f64 v[132:133], vcc_lo, 1.0, v[0:1], 1.0
	v_mul_f64 v[134:135], v[132:133], v[130:131]
	v_fma_f64 v[121:122], -v[121:122], v[134:135], v[132:133]
	v_div_fmas_f64 v[121:122], v[121:122], v[130:131], v[134:135]
	v_div_fixup_f64 v[0:1], v[121:122], v[0:1], 1.0
.LBB112_444:
	s_or_b32 exec_lo, exec_lo, s0
	s_mov_b32 s0, exec_lo
	v_cmpx_ne_u32_e64 v129, v120
	s_xor_b32 s0, exec_lo, s0
	s_cbranch_execz .LBB112_450
; %bb.445:
	s_mov_b32 s1, exec_lo
	v_cmpx_eq_u32_e32 26, v129
	s_cbranch_execz .LBB112_449
; %bb.446:
	v_cmp_ne_u32_e32 vcc_lo, 26, v120
	s_xor_b32 s2, s6, -1
	s_and_b32 s3, s2, vcc_lo
	s_and_saveexec_b32 s2, s3
	s_cbranch_execz .LBB112_448
; %bb.447:
	v_ashrrev_i32_e32 v121, 31, v120
	v_lshlrev_b64 v[121:122], 2, v[120:121]
	v_add_co_u32 v121, vcc_lo, v4, v121
	v_add_co_ci_u32_e64 v122, null, v5, v122, vcc_lo
	s_clause 0x1
	global_load_dword v128, v[121:122], off
	global_load_dword v129, v[4:5], off offset:104
	s_waitcnt vmcnt(1)
	global_store_dword v[4:5], v128, off offset:104
	s_waitcnt vmcnt(0)
	global_store_dword v[121:122], v129, off
.LBB112_448:
	s_or_b32 exec_lo, exec_lo, s2
	v_mov_b32_e32 v128, v120
	v_mov_b32_e32 v129, v120
.LBB112_449:
	s_or_b32 exec_lo, exec_lo, s1
.LBB112_450:
	s_andn2_saveexec_b32 s0, s0
	s_cbranch_execz .LBB112_452
; %bb.451:
	v_mov_b32_e32 v129, 26
	ds_write2_b64 v126, v[62:63], v[60:61] offset0:27 offset1:28
	ds_write2_b64 v126, v[58:59], v[56:57] offset0:29 offset1:30
	;; [unrolled: 1-line block ×15, first 2 shown]
.LBB112_452:
	s_or_b32 exec_lo, exec_lo, s0
	s_mov_b32 s0, exec_lo
	s_waitcnt lgkmcnt(0)
	s_waitcnt_vscnt null, 0x0
	s_barrier
	buffer_gl0_inv
	v_cmpx_lt_i32_e32 26, v129
	s_cbranch_execz .LBB112_454
; %bb.453:
	v_mul_f64 v[66:67], v[0:1], v[66:67]
	ds_read2_b64 v[130:133], v126 offset0:27 offset1:28
	ds_read2_b64 v[134:137], v126 offset0:29 offset1:30
	;; [unrolled: 1-line block ×14, first 2 shown]
	s_waitcnt lgkmcnt(13)
	v_fma_f64 v[62:63], -v[66:67], v[130:131], v[62:63]
	v_fma_f64 v[60:61], -v[66:67], v[132:133], v[60:61]
	ds_read2_b64 v[130:133], v126 offset0:55 offset1:56
	s_waitcnt lgkmcnt(13)
	v_fma_f64 v[58:59], -v[66:67], v[134:135], v[58:59]
	v_fma_f64 v[56:57], -v[66:67], v[136:137], v[56:57]
	s_waitcnt lgkmcnt(12)
	v_fma_f64 v[54:55], -v[66:67], v[138:139], v[54:55]
	v_fma_f64 v[52:53], -v[66:67], v[140:141], v[52:53]
	;; [unrolled: 3-line block ×14, first 2 shown]
.LBB112_454:
	s_or_b32 exec_lo, exec_lo, s0
	v_lshl_add_u32 v0, v129, 3, v126
	s_barrier
	buffer_gl0_inv
	v_mov_b32_e32 v120, 27
	ds_write_b64 v0, v[62:63]
	s_waitcnt lgkmcnt(0)
	s_barrier
	buffer_gl0_inv
	ds_read_b64 v[0:1], v126 offset:216
	s_cmp_lt_i32 s7, 29
	s_cbranch_scc1 .LBB112_457
; %bb.455:
	v_add3_u32 v121, v127, 0, 0xe0
	v_mov_b32_e32 v120, 27
	s_mov_b32 s0, 28
.LBB112_456:                            ; =>This Inner Loop Header: Depth=1
	ds_read_b64 v[130:131], v121
	v_add_nc_u32_e32 v121, 8, v121
	s_waitcnt lgkmcnt(0)
	v_cmp_lt_f64_e64 vcc_lo, |v[0:1]|, |v[130:131]|
	v_cndmask_b32_e32 v1, v1, v131, vcc_lo
	v_cndmask_b32_e32 v0, v0, v130, vcc_lo
	v_cndmask_b32_e64 v120, v120, s0, vcc_lo
	s_add_i32 s0, s0, 1
	s_cmp_lg_u32 s7, s0
	s_cbranch_scc1 .LBB112_456
.LBB112_457:
	s_mov_b32 s0, exec_lo
	s_waitcnt lgkmcnt(0)
	v_cmpx_eq_f64_e32 0, v[0:1]
	s_xor_b32 s0, exec_lo, s0
; %bb.458:
	v_cmp_ne_u32_e32 vcc_lo, 0, v123
	v_cndmask_b32_e32 v123, 28, v123, vcc_lo
; %bb.459:
	s_andn2_saveexec_b32 s0, s0
	s_cbranch_execz .LBB112_461
; %bb.460:
	v_div_scale_f64 v[121:122], null, v[0:1], v[0:1], 1.0
	v_rcp_f64_e32 v[130:131], v[121:122]
	v_fma_f64 v[132:133], -v[121:122], v[130:131], 1.0
	v_fma_f64 v[130:131], v[130:131], v[132:133], v[130:131]
	v_fma_f64 v[132:133], -v[121:122], v[130:131], 1.0
	v_fma_f64 v[130:131], v[130:131], v[132:133], v[130:131]
	v_div_scale_f64 v[132:133], vcc_lo, 1.0, v[0:1], 1.0
	v_mul_f64 v[134:135], v[132:133], v[130:131]
	v_fma_f64 v[121:122], -v[121:122], v[134:135], v[132:133]
	v_div_fmas_f64 v[121:122], v[121:122], v[130:131], v[134:135]
	v_div_fixup_f64 v[0:1], v[121:122], v[0:1], 1.0
.LBB112_461:
	s_or_b32 exec_lo, exec_lo, s0
	s_mov_b32 s0, exec_lo
	v_cmpx_ne_u32_e64 v129, v120
	s_xor_b32 s0, exec_lo, s0
	s_cbranch_execz .LBB112_467
; %bb.462:
	s_mov_b32 s1, exec_lo
	v_cmpx_eq_u32_e32 27, v129
	s_cbranch_execz .LBB112_466
; %bb.463:
	v_cmp_ne_u32_e32 vcc_lo, 27, v120
	s_xor_b32 s2, s6, -1
	s_and_b32 s3, s2, vcc_lo
	s_and_saveexec_b32 s2, s3
	s_cbranch_execz .LBB112_465
; %bb.464:
	v_ashrrev_i32_e32 v121, 31, v120
	v_lshlrev_b64 v[121:122], 2, v[120:121]
	v_add_co_u32 v121, vcc_lo, v4, v121
	v_add_co_ci_u32_e64 v122, null, v5, v122, vcc_lo
	s_clause 0x1
	global_load_dword v128, v[121:122], off
	global_load_dword v129, v[4:5], off offset:108
	s_waitcnt vmcnt(1)
	global_store_dword v[4:5], v128, off offset:108
	s_waitcnt vmcnt(0)
	global_store_dword v[121:122], v129, off
.LBB112_465:
	s_or_b32 exec_lo, exec_lo, s2
	v_mov_b32_e32 v128, v120
	v_mov_b32_e32 v129, v120
.LBB112_466:
	s_or_b32 exec_lo, exec_lo, s1
.LBB112_467:
	s_andn2_saveexec_b32 s0, s0
	s_cbranch_execz .LBB112_469
; %bb.468:
	v_mov_b32_e32 v120, v60
	v_mov_b32_e32 v121, v61
	v_mov_b32_e32 v129, v58
	v_mov_b32_e32 v130, v59
	v_mov_b32_e32 v131, v56
	v_mov_b32_e32 v132, v57
	v_mov_b32_e32 v133, v54
	v_mov_b32_e32 v134, v55
	v_mov_b32_e32 v135, v52
	v_mov_b32_e32 v136, v53
	v_mov_b32_e32 v137, v48
	v_mov_b32_e32 v138, v49
	v_mov_b32_e32 v139, v50
	v_mov_b32_e32 v140, v51
	v_mov_b32_e32 v141, v44
	v_mov_b32_e32 v142, v45
	v_mov_b32_e32 v143, v46
	v_mov_b32_e32 v144, v47
	v_mov_b32_e32 v145, v42
	v_mov_b32_e32 v146, v43
	ds_write2_b64 v126, v[120:121], v[129:130] offset0:28 offset1:29
	ds_write2_b64 v126, v[131:132], v[133:134] offset0:30 offset1:31
	;; [unrolled: 1-line block ×5, first 2 shown]
	v_mov_b32_e32 v120, v40
	v_mov_b32_e32 v121, v41
	;; [unrolled: 1-line block ×20, first 2 shown]
	ds_write2_b64 v126, v[120:121], v[129:130] offset0:38 offset1:39
	ds_write2_b64 v126, v[131:132], v[133:134] offset0:40 offset1:41
	;; [unrolled: 1-line block ×5, first 2 shown]
	v_mov_b32_e32 v120, v20
	v_mov_b32_e32 v121, v21
	;; [unrolled: 1-line block ×8, first 2 shown]
	ds_write2_b64 v126, v[120:121], v[129:130] offset0:48 offset1:49
	v_mov_b32_e32 v129, 27
	v_mov_b32_e32 v135, v12
	;; [unrolled: 1-line block ×9, first 2 shown]
	ds_write2_b64 v126, v[131:132], v[133:134] offset0:50 offset1:51
	ds_write2_b64 v126, v[135:136], v[137:138] offset0:52 offset1:53
	;; [unrolled: 1-line block ×3, first 2 shown]
	ds_write_b64 v126, v[118:119] offset:448
.LBB112_469:
	s_or_b32 exec_lo, exec_lo, s0
	s_mov_b32 s0, exec_lo
	s_waitcnt lgkmcnt(0)
	s_waitcnt_vscnt null, 0x0
	s_barrier
	buffer_gl0_inv
	v_cmpx_lt_i32_e32 27, v129
	s_cbranch_execz .LBB112_471
; %bb.470:
	v_mul_f64 v[62:63], v[0:1], v[62:63]
	ds_read2_b64 v[130:133], v126 offset0:28 offset1:29
	ds_read2_b64 v[134:137], v126 offset0:30 offset1:31
	;; [unrolled: 1-line block ×14, first 2 shown]
	ds_read_b64 v[0:1], v126 offset:448
	s_waitcnt lgkmcnt(14)
	v_fma_f64 v[60:61], -v[62:63], v[130:131], v[60:61]
	v_fma_f64 v[58:59], -v[62:63], v[132:133], v[58:59]
	s_waitcnt lgkmcnt(13)
	v_fma_f64 v[56:57], -v[62:63], v[134:135], v[56:57]
	v_fma_f64 v[54:55], -v[62:63], v[136:137], v[54:55]
	;; [unrolled: 3-line block ×14, first 2 shown]
	s_waitcnt lgkmcnt(0)
	v_fma_f64 v[118:119], -v[62:63], v[0:1], v[118:119]
.LBB112_471:
	s_or_b32 exec_lo, exec_lo, s0
	v_lshl_add_u32 v0, v129, 3, v126
	s_barrier
	buffer_gl0_inv
	v_mov_b32_e32 v120, 28
	ds_write_b64 v0, v[60:61]
	s_waitcnt lgkmcnt(0)
	s_barrier
	buffer_gl0_inv
	ds_read_b64 v[0:1], v126 offset:224
	s_cmp_lt_i32 s7, 30
	s_cbranch_scc1 .LBB112_474
; %bb.472:
	v_add3_u32 v121, v127, 0, 0xe8
	v_mov_b32_e32 v120, 28
	s_mov_b32 s0, 29
.LBB112_473:                            ; =>This Inner Loop Header: Depth=1
	ds_read_b64 v[130:131], v121
	v_add_nc_u32_e32 v121, 8, v121
	s_waitcnt lgkmcnt(0)
	v_cmp_lt_f64_e64 vcc_lo, |v[0:1]|, |v[130:131]|
	v_cndmask_b32_e32 v1, v1, v131, vcc_lo
	v_cndmask_b32_e32 v0, v0, v130, vcc_lo
	v_cndmask_b32_e64 v120, v120, s0, vcc_lo
	s_add_i32 s0, s0, 1
	s_cmp_lg_u32 s7, s0
	s_cbranch_scc1 .LBB112_473
.LBB112_474:
	s_mov_b32 s0, exec_lo
	s_waitcnt lgkmcnt(0)
	v_cmpx_eq_f64_e32 0, v[0:1]
	s_xor_b32 s0, exec_lo, s0
; %bb.475:
	v_cmp_ne_u32_e32 vcc_lo, 0, v123
	v_cndmask_b32_e32 v123, 29, v123, vcc_lo
; %bb.476:
	s_andn2_saveexec_b32 s0, s0
	s_cbranch_execz .LBB112_478
; %bb.477:
	v_div_scale_f64 v[121:122], null, v[0:1], v[0:1], 1.0
	v_rcp_f64_e32 v[130:131], v[121:122]
	v_fma_f64 v[132:133], -v[121:122], v[130:131], 1.0
	v_fma_f64 v[130:131], v[130:131], v[132:133], v[130:131]
	v_fma_f64 v[132:133], -v[121:122], v[130:131], 1.0
	v_fma_f64 v[130:131], v[130:131], v[132:133], v[130:131]
	v_div_scale_f64 v[132:133], vcc_lo, 1.0, v[0:1], 1.0
	v_mul_f64 v[134:135], v[132:133], v[130:131]
	v_fma_f64 v[121:122], -v[121:122], v[134:135], v[132:133]
	v_div_fmas_f64 v[121:122], v[121:122], v[130:131], v[134:135]
	v_div_fixup_f64 v[0:1], v[121:122], v[0:1], 1.0
.LBB112_478:
	s_or_b32 exec_lo, exec_lo, s0
	s_mov_b32 s0, exec_lo
	v_cmpx_ne_u32_e64 v129, v120
	s_xor_b32 s0, exec_lo, s0
	s_cbranch_execz .LBB112_484
; %bb.479:
	s_mov_b32 s1, exec_lo
	v_cmpx_eq_u32_e32 28, v129
	s_cbranch_execz .LBB112_483
; %bb.480:
	v_cmp_ne_u32_e32 vcc_lo, 28, v120
	s_xor_b32 s2, s6, -1
	s_and_b32 s3, s2, vcc_lo
	s_and_saveexec_b32 s2, s3
	s_cbranch_execz .LBB112_482
; %bb.481:
	v_ashrrev_i32_e32 v121, 31, v120
	v_lshlrev_b64 v[121:122], 2, v[120:121]
	v_add_co_u32 v121, vcc_lo, v4, v121
	v_add_co_ci_u32_e64 v122, null, v5, v122, vcc_lo
	s_clause 0x1
	global_load_dword v128, v[121:122], off
	global_load_dword v129, v[4:5], off offset:112
	s_waitcnt vmcnt(1)
	global_store_dword v[4:5], v128, off offset:112
	s_waitcnt vmcnt(0)
	global_store_dword v[121:122], v129, off
.LBB112_482:
	s_or_b32 exec_lo, exec_lo, s2
	v_mov_b32_e32 v128, v120
	v_mov_b32_e32 v129, v120
.LBB112_483:
	s_or_b32 exec_lo, exec_lo, s1
.LBB112_484:
	s_andn2_saveexec_b32 s0, s0
	s_cbranch_execz .LBB112_486
; %bb.485:
	v_mov_b32_e32 v129, 28
	ds_write2_b64 v126, v[58:59], v[56:57] offset0:29 offset1:30
	ds_write2_b64 v126, v[54:55], v[52:53] offset0:31 offset1:32
	;; [unrolled: 1-line block ×14, first 2 shown]
.LBB112_486:
	s_or_b32 exec_lo, exec_lo, s0
	s_mov_b32 s0, exec_lo
	s_waitcnt lgkmcnt(0)
	s_waitcnt_vscnt null, 0x0
	s_barrier
	buffer_gl0_inv
	v_cmpx_lt_i32_e32 28, v129
	s_cbranch_execz .LBB112_488
; %bb.487:
	v_mul_f64 v[60:61], v[0:1], v[60:61]
	ds_read2_b64 v[130:133], v126 offset0:29 offset1:30
	ds_read2_b64 v[134:137], v126 offset0:31 offset1:32
	;; [unrolled: 1-line block ×14, first 2 shown]
	s_waitcnt lgkmcnt(13)
	v_fma_f64 v[58:59], -v[60:61], v[130:131], v[58:59]
	v_fma_f64 v[56:57], -v[60:61], v[132:133], v[56:57]
	s_waitcnt lgkmcnt(12)
	v_fma_f64 v[54:55], -v[60:61], v[134:135], v[54:55]
	v_fma_f64 v[52:53], -v[60:61], v[136:137], v[52:53]
	;; [unrolled: 3-line block ×14, first 2 shown]
.LBB112_488:
	s_or_b32 exec_lo, exec_lo, s0
	v_lshl_add_u32 v0, v129, 3, v126
	s_barrier
	buffer_gl0_inv
	v_mov_b32_e32 v120, 29
	ds_write_b64 v0, v[58:59]
	s_waitcnt lgkmcnt(0)
	s_barrier
	buffer_gl0_inv
	ds_read_b64 v[0:1], v126 offset:232
	s_cmp_lt_i32 s7, 31
	s_cbranch_scc1 .LBB112_491
; %bb.489:
	v_add3_u32 v121, v127, 0, 0xf0
	v_mov_b32_e32 v120, 29
	s_mov_b32 s0, 30
.LBB112_490:                            ; =>This Inner Loop Header: Depth=1
	ds_read_b64 v[130:131], v121
	v_add_nc_u32_e32 v121, 8, v121
	s_waitcnt lgkmcnt(0)
	v_cmp_lt_f64_e64 vcc_lo, |v[0:1]|, |v[130:131]|
	v_cndmask_b32_e32 v1, v1, v131, vcc_lo
	v_cndmask_b32_e32 v0, v0, v130, vcc_lo
	v_cndmask_b32_e64 v120, v120, s0, vcc_lo
	s_add_i32 s0, s0, 1
	s_cmp_lg_u32 s7, s0
	s_cbranch_scc1 .LBB112_490
.LBB112_491:
	s_mov_b32 s0, exec_lo
	s_waitcnt lgkmcnt(0)
	v_cmpx_eq_f64_e32 0, v[0:1]
	s_xor_b32 s0, exec_lo, s0
; %bb.492:
	v_cmp_ne_u32_e32 vcc_lo, 0, v123
	v_cndmask_b32_e32 v123, 30, v123, vcc_lo
; %bb.493:
	s_andn2_saveexec_b32 s0, s0
	s_cbranch_execz .LBB112_495
; %bb.494:
	v_div_scale_f64 v[121:122], null, v[0:1], v[0:1], 1.0
	v_rcp_f64_e32 v[130:131], v[121:122]
	v_fma_f64 v[132:133], -v[121:122], v[130:131], 1.0
	v_fma_f64 v[130:131], v[130:131], v[132:133], v[130:131]
	v_fma_f64 v[132:133], -v[121:122], v[130:131], 1.0
	v_fma_f64 v[130:131], v[130:131], v[132:133], v[130:131]
	v_div_scale_f64 v[132:133], vcc_lo, 1.0, v[0:1], 1.0
	v_mul_f64 v[134:135], v[132:133], v[130:131]
	v_fma_f64 v[121:122], -v[121:122], v[134:135], v[132:133]
	v_div_fmas_f64 v[121:122], v[121:122], v[130:131], v[134:135]
	v_div_fixup_f64 v[0:1], v[121:122], v[0:1], 1.0
.LBB112_495:
	s_or_b32 exec_lo, exec_lo, s0
	s_mov_b32 s0, exec_lo
	v_cmpx_ne_u32_e64 v129, v120
	s_xor_b32 s0, exec_lo, s0
	s_cbranch_execz .LBB112_501
; %bb.496:
	s_mov_b32 s1, exec_lo
	v_cmpx_eq_u32_e32 29, v129
	s_cbranch_execz .LBB112_500
; %bb.497:
	v_cmp_ne_u32_e32 vcc_lo, 29, v120
	s_xor_b32 s2, s6, -1
	s_and_b32 s3, s2, vcc_lo
	s_and_saveexec_b32 s2, s3
	s_cbranch_execz .LBB112_499
; %bb.498:
	v_ashrrev_i32_e32 v121, 31, v120
	v_lshlrev_b64 v[121:122], 2, v[120:121]
	v_add_co_u32 v121, vcc_lo, v4, v121
	v_add_co_ci_u32_e64 v122, null, v5, v122, vcc_lo
	s_clause 0x1
	global_load_dword v128, v[121:122], off
	global_load_dword v129, v[4:5], off offset:116
	s_waitcnt vmcnt(1)
	global_store_dword v[4:5], v128, off offset:116
	s_waitcnt vmcnt(0)
	global_store_dword v[121:122], v129, off
.LBB112_499:
	s_or_b32 exec_lo, exec_lo, s2
	v_mov_b32_e32 v128, v120
	v_mov_b32_e32 v129, v120
.LBB112_500:
	s_or_b32 exec_lo, exec_lo, s1
.LBB112_501:
	s_andn2_saveexec_b32 s0, s0
	s_cbranch_execz .LBB112_503
; %bb.502:
	v_mov_b32_e32 v120, v56
	v_mov_b32_e32 v121, v57
	;; [unrolled: 1-line block ×16, first 2 shown]
	ds_write2_b64 v126, v[120:121], v[129:130] offset0:30 offset1:31
	ds_write2_b64 v126, v[131:132], v[133:134] offset0:32 offset1:33
	;; [unrolled: 1-line block ×4, first 2 shown]
	v_mov_b32_e32 v120, v40
	v_mov_b32_e32 v121, v41
	;; [unrolled: 1-line block ×20, first 2 shown]
	ds_write2_b64 v126, v[120:121], v[129:130] offset0:38 offset1:39
	ds_write2_b64 v126, v[131:132], v[133:134] offset0:40 offset1:41
	;; [unrolled: 1-line block ×5, first 2 shown]
	v_mov_b32_e32 v120, v20
	v_mov_b32_e32 v121, v21
	;; [unrolled: 1-line block ×8, first 2 shown]
	ds_write2_b64 v126, v[120:121], v[129:130] offset0:48 offset1:49
	v_mov_b32_e32 v129, 29
	v_mov_b32_e32 v135, v12
	;; [unrolled: 1-line block ×9, first 2 shown]
	ds_write2_b64 v126, v[131:132], v[133:134] offset0:50 offset1:51
	ds_write2_b64 v126, v[135:136], v[137:138] offset0:52 offset1:53
	;; [unrolled: 1-line block ×3, first 2 shown]
	ds_write_b64 v126, v[118:119] offset:448
.LBB112_503:
	s_or_b32 exec_lo, exec_lo, s0
	s_mov_b32 s0, exec_lo
	s_waitcnt lgkmcnt(0)
	s_waitcnt_vscnt null, 0x0
	s_barrier
	buffer_gl0_inv
	v_cmpx_lt_i32_e32 29, v129
	s_cbranch_execz .LBB112_505
; %bb.504:
	v_mul_f64 v[58:59], v[0:1], v[58:59]
	ds_read2_b64 v[130:133], v126 offset0:30 offset1:31
	ds_read2_b64 v[134:137], v126 offset0:32 offset1:33
	;; [unrolled: 1-line block ×13, first 2 shown]
	ds_read_b64 v[0:1], v126 offset:448
	s_waitcnt lgkmcnt(13)
	v_fma_f64 v[56:57], -v[58:59], v[130:131], v[56:57]
	v_fma_f64 v[54:55], -v[58:59], v[132:133], v[54:55]
	s_waitcnt lgkmcnt(12)
	v_fma_f64 v[52:53], -v[58:59], v[134:135], v[52:53]
	v_fma_f64 v[48:49], -v[58:59], v[136:137], v[48:49]
	;; [unrolled: 3-line block ×13, first 2 shown]
	s_waitcnt lgkmcnt(0)
	v_fma_f64 v[118:119], -v[58:59], v[0:1], v[118:119]
.LBB112_505:
	s_or_b32 exec_lo, exec_lo, s0
	v_lshl_add_u32 v0, v129, 3, v126
	s_barrier
	buffer_gl0_inv
	v_mov_b32_e32 v120, 30
	ds_write_b64 v0, v[56:57]
	s_waitcnt lgkmcnt(0)
	s_barrier
	buffer_gl0_inv
	ds_read_b64 v[0:1], v126 offset:240
	s_cmp_lt_i32 s7, 32
	s_cbranch_scc1 .LBB112_508
; %bb.506:
	v_add3_u32 v121, v127, 0, 0xf8
	v_mov_b32_e32 v120, 30
	s_mov_b32 s0, 31
.LBB112_507:                            ; =>This Inner Loop Header: Depth=1
	ds_read_b64 v[130:131], v121
	v_add_nc_u32_e32 v121, 8, v121
	s_waitcnt lgkmcnt(0)
	v_cmp_lt_f64_e64 vcc_lo, |v[0:1]|, |v[130:131]|
	v_cndmask_b32_e32 v1, v1, v131, vcc_lo
	v_cndmask_b32_e32 v0, v0, v130, vcc_lo
	v_cndmask_b32_e64 v120, v120, s0, vcc_lo
	s_add_i32 s0, s0, 1
	s_cmp_lg_u32 s7, s0
	s_cbranch_scc1 .LBB112_507
.LBB112_508:
	s_mov_b32 s0, exec_lo
	s_waitcnt lgkmcnt(0)
	v_cmpx_eq_f64_e32 0, v[0:1]
	s_xor_b32 s0, exec_lo, s0
; %bb.509:
	v_cmp_ne_u32_e32 vcc_lo, 0, v123
	v_cndmask_b32_e32 v123, 31, v123, vcc_lo
; %bb.510:
	s_andn2_saveexec_b32 s0, s0
	s_cbranch_execz .LBB112_512
; %bb.511:
	v_div_scale_f64 v[121:122], null, v[0:1], v[0:1], 1.0
	v_rcp_f64_e32 v[130:131], v[121:122]
	v_fma_f64 v[132:133], -v[121:122], v[130:131], 1.0
	v_fma_f64 v[130:131], v[130:131], v[132:133], v[130:131]
	v_fma_f64 v[132:133], -v[121:122], v[130:131], 1.0
	v_fma_f64 v[130:131], v[130:131], v[132:133], v[130:131]
	v_div_scale_f64 v[132:133], vcc_lo, 1.0, v[0:1], 1.0
	v_mul_f64 v[134:135], v[132:133], v[130:131]
	v_fma_f64 v[121:122], -v[121:122], v[134:135], v[132:133]
	v_div_fmas_f64 v[121:122], v[121:122], v[130:131], v[134:135]
	v_div_fixup_f64 v[0:1], v[121:122], v[0:1], 1.0
.LBB112_512:
	s_or_b32 exec_lo, exec_lo, s0
	s_mov_b32 s0, exec_lo
	v_cmpx_ne_u32_e64 v129, v120
	s_xor_b32 s0, exec_lo, s0
	s_cbranch_execz .LBB112_518
; %bb.513:
	s_mov_b32 s1, exec_lo
	v_cmpx_eq_u32_e32 30, v129
	s_cbranch_execz .LBB112_517
; %bb.514:
	v_cmp_ne_u32_e32 vcc_lo, 30, v120
	s_xor_b32 s2, s6, -1
	s_and_b32 s3, s2, vcc_lo
	s_and_saveexec_b32 s2, s3
	s_cbranch_execz .LBB112_516
; %bb.515:
	v_ashrrev_i32_e32 v121, 31, v120
	v_lshlrev_b64 v[121:122], 2, v[120:121]
	v_add_co_u32 v121, vcc_lo, v4, v121
	v_add_co_ci_u32_e64 v122, null, v5, v122, vcc_lo
	s_clause 0x1
	global_load_dword v128, v[121:122], off
	global_load_dword v129, v[4:5], off offset:120
	s_waitcnt vmcnt(1)
	global_store_dword v[4:5], v128, off offset:120
	s_waitcnt vmcnt(0)
	global_store_dword v[121:122], v129, off
.LBB112_516:
	s_or_b32 exec_lo, exec_lo, s2
	v_mov_b32_e32 v128, v120
	v_mov_b32_e32 v129, v120
.LBB112_517:
	s_or_b32 exec_lo, exec_lo, s1
.LBB112_518:
	s_andn2_saveexec_b32 s0, s0
	s_cbranch_execz .LBB112_520
; %bb.519:
	v_mov_b32_e32 v129, 30
	ds_write2_b64 v126, v[54:55], v[52:53] offset0:31 offset1:32
	ds_write2_b64 v126, v[48:49], v[50:51] offset0:33 offset1:34
	;; [unrolled: 1-line block ×13, first 2 shown]
.LBB112_520:
	s_or_b32 exec_lo, exec_lo, s0
	s_mov_b32 s0, exec_lo
	s_waitcnt lgkmcnt(0)
	s_waitcnt_vscnt null, 0x0
	s_barrier
	buffer_gl0_inv
	v_cmpx_lt_i32_e32 30, v129
	s_cbranch_execz .LBB112_522
; %bb.521:
	v_mul_f64 v[56:57], v[0:1], v[56:57]
	ds_read2_b64 v[130:133], v126 offset0:31 offset1:32
	ds_read2_b64 v[134:137], v126 offset0:33 offset1:34
	;; [unrolled: 1-line block ×13, first 2 shown]
	s_waitcnt lgkmcnt(12)
	v_fma_f64 v[54:55], -v[56:57], v[130:131], v[54:55]
	v_fma_f64 v[52:53], -v[56:57], v[132:133], v[52:53]
	s_waitcnt lgkmcnt(11)
	v_fma_f64 v[48:49], -v[56:57], v[134:135], v[48:49]
	v_fma_f64 v[50:51], -v[56:57], v[136:137], v[50:51]
	;; [unrolled: 3-line block ×13, first 2 shown]
.LBB112_522:
	s_or_b32 exec_lo, exec_lo, s0
	v_lshl_add_u32 v0, v129, 3, v126
	s_barrier
	buffer_gl0_inv
	v_mov_b32_e32 v120, 31
	ds_write_b64 v0, v[54:55]
	s_waitcnt lgkmcnt(0)
	s_barrier
	buffer_gl0_inv
	ds_read_b64 v[0:1], v126 offset:248
	s_cmp_lt_i32 s7, 33
	s_cbranch_scc1 .LBB112_525
; %bb.523:
	v_add3_u32 v121, v127, 0, 0x100
	v_mov_b32_e32 v120, 31
	s_mov_b32 s0, 32
.LBB112_524:                            ; =>This Inner Loop Header: Depth=1
	ds_read_b64 v[130:131], v121
	v_add_nc_u32_e32 v121, 8, v121
	s_waitcnt lgkmcnt(0)
	v_cmp_lt_f64_e64 vcc_lo, |v[0:1]|, |v[130:131]|
	v_cndmask_b32_e32 v1, v1, v131, vcc_lo
	v_cndmask_b32_e32 v0, v0, v130, vcc_lo
	v_cndmask_b32_e64 v120, v120, s0, vcc_lo
	s_add_i32 s0, s0, 1
	s_cmp_lg_u32 s7, s0
	s_cbranch_scc1 .LBB112_524
.LBB112_525:
	s_mov_b32 s0, exec_lo
	s_waitcnt lgkmcnt(0)
	v_cmpx_eq_f64_e32 0, v[0:1]
	s_xor_b32 s0, exec_lo, s0
; %bb.526:
	v_cmp_ne_u32_e32 vcc_lo, 0, v123
	v_cndmask_b32_e32 v123, 32, v123, vcc_lo
; %bb.527:
	s_andn2_saveexec_b32 s0, s0
	s_cbranch_execz .LBB112_529
; %bb.528:
	v_div_scale_f64 v[121:122], null, v[0:1], v[0:1], 1.0
	v_rcp_f64_e32 v[130:131], v[121:122]
	v_fma_f64 v[132:133], -v[121:122], v[130:131], 1.0
	v_fma_f64 v[130:131], v[130:131], v[132:133], v[130:131]
	v_fma_f64 v[132:133], -v[121:122], v[130:131], 1.0
	v_fma_f64 v[130:131], v[130:131], v[132:133], v[130:131]
	v_div_scale_f64 v[132:133], vcc_lo, 1.0, v[0:1], 1.0
	v_mul_f64 v[134:135], v[132:133], v[130:131]
	v_fma_f64 v[121:122], -v[121:122], v[134:135], v[132:133]
	v_div_fmas_f64 v[121:122], v[121:122], v[130:131], v[134:135]
	v_div_fixup_f64 v[0:1], v[121:122], v[0:1], 1.0
.LBB112_529:
	s_or_b32 exec_lo, exec_lo, s0
	s_mov_b32 s0, exec_lo
	v_cmpx_ne_u32_e64 v129, v120
	s_xor_b32 s0, exec_lo, s0
	s_cbranch_execz .LBB112_535
; %bb.530:
	s_mov_b32 s1, exec_lo
	v_cmpx_eq_u32_e32 31, v129
	s_cbranch_execz .LBB112_534
; %bb.531:
	v_cmp_ne_u32_e32 vcc_lo, 31, v120
	s_xor_b32 s2, s6, -1
	s_and_b32 s3, s2, vcc_lo
	s_and_saveexec_b32 s2, s3
	s_cbranch_execz .LBB112_533
; %bb.532:
	v_ashrrev_i32_e32 v121, 31, v120
	v_lshlrev_b64 v[121:122], 2, v[120:121]
	v_add_co_u32 v121, vcc_lo, v4, v121
	v_add_co_ci_u32_e64 v122, null, v5, v122, vcc_lo
	s_clause 0x1
	global_load_dword v128, v[121:122], off
	global_load_dword v129, v[4:5], off offset:124
	s_waitcnt vmcnt(1)
	global_store_dword v[4:5], v128, off offset:124
	s_waitcnt vmcnt(0)
	global_store_dword v[121:122], v129, off
.LBB112_533:
	s_or_b32 exec_lo, exec_lo, s2
	v_mov_b32_e32 v128, v120
	v_mov_b32_e32 v129, v120
.LBB112_534:
	s_or_b32 exec_lo, exec_lo, s1
.LBB112_535:
	s_andn2_saveexec_b32 s0, s0
	s_cbranch_execz .LBB112_537
; %bb.536:
	v_mov_b32_e32 v120, v52
	v_mov_b32_e32 v121, v53
	;; [unrolled: 1-line block ×12, first 2 shown]
	ds_write2_b64 v126, v[120:121], v[129:130] offset0:32 offset1:33
	ds_write2_b64 v126, v[131:132], v[133:134] offset0:34 offset1:35
	;; [unrolled: 1-line block ×3, first 2 shown]
	v_mov_b32_e32 v120, v40
	v_mov_b32_e32 v121, v41
	;; [unrolled: 1-line block ×20, first 2 shown]
	ds_write2_b64 v126, v[120:121], v[129:130] offset0:38 offset1:39
	ds_write2_b64 v126, v[131:132], v[133:134] offset0:40 offset1:41
	;; [unrolled: 1-line block ×5, first 2 shown]
	v_mov_b32_e32 v120, v20
	v_mov_b32_e32 v121, v21
	;; [unrolled: 1-line block ×8, first 2 shown]
	ds_write2_b64 v126, v[120:121], v[129:130] offset0:48 offset1:49
	v_mov_b32_e32 v129, 31
	v_mov_b32_e32 v135, v12
	;; [unrolled: 1-line block ×9, first 2 shown]
	ds_write2_b64 v126, v[131:132], v[133:134] offset0:50 offset1:51
	ds_write2_b64 v126, v[135:136], v[137:138] offset0:52 offset1:53
	;; [unrolled: 1-line block ×3, first 2 shown]
	ds_write_b64 v126, v[118:119] offset:448
.LBB112_537:
	s_or_b32 exec_lo, exec_lo, s0
	s_mov_b32 s0, exec_lo
	s_waitcnt lgkmcnt(0)
	s_waitcnt_vscnt null, 0x0
	s_barrier
	buffer_gl0_inv
	v_cmpx_lt_i32_e32 31, v129
	s_cbranch_execz .LBB112_539
; %bb.538:
	v_mul_f64 v[54:55], v[0:1], v[54:55]
	ds_read2_b64 v[130:133], v126 offset0:32 offset1:33
	ds_read2_b64 v[134:137], v126 offset0:34 offset1:35
	ds_read2_b64 v[138:141], v126 offset0:36 offset1:37
	ds_read2_b64 v[142:145], v126 offset0:38 offset1:39
	ds_read2_b64 v[146:149], v126 offset0:40 offset1:41
	ds_read2_b64 v[150:153], v126 offset0:42 offset1:43
	ds_read2_b64 v[154:157], v126 offset0:44 offset1:45
	ds_read2_b64 v[158:161], v126 offset0:46 offset1:47
	ds_read2_b64 v[162:165], v126 offset0:48 offset1:49
	ds_read2_b64 v[166:169], v126 offset0:50 offset1:51
	ds_read2_b64 v[170:173], v126 offset0:52 offset1:53
	ds_read2_b64 v[174:177], v126 offset0:54 offset1:55
	ds_read_b64 v[0:1], v126 offset:448
	s_waitcnt lgkmcnt(12)
	v_fma_f64 v[52:53], -v[54:55], v[130:131], v[52:53]
	v_fma_f64 v[48:49], -v[54:55], v[132:133], v[48:49]
	s_waitcnt lgkmcnt(11)
	v_fma_f64 v[50:51], -v[54:55], v[134:135], v[50:51]
	v_fma_f64 v[44:45], -v[54:55], v[136:137], v[44:45]
	;; [unrolled: 3-line block ×12, first 2 shown]
	s_waitcnt lgkmcnt(0)
	v_fma_f64 v[118:119], -v[54:55], v[0:1], v[118:119]
.LBB112_539:
	s_or_b32 exec_lo, exec_lo, s0
	v_lshl_add_u32 v0, v129, 3, v126
	s_barrier
	buffer_gl0_inv
	v_mov_b32_e32 v120, 32
	ds_write_b64 v0, v[52:53]
	s_waitcnt lgkmcnt(0)
	s_barrier
	buffer_gl0_inv
	ds_read_b64 v[0:1], v126 offset:256
	s_cmp_lt_i32 s7, 34
	s_cbranch_scc1 .LBB112_542
; %bb.540:
	v_add3_u32 v121, v127, 0, 0x108
	v_mov_b32_e32 v120, 32
	s_mov_b32 s0, 33
.LBB112_541:                            ; =>This Inner Loop Header: Depth=1
	ds_read_b64 v[130:131], v121
	v_add_nc_u32_e32 v121, 8, v121
	s_waitcnt lgkmcnt(0)
	v_cmp_lt_f64_e64 vcc_lo, |v[0:1]|, |v[130:131]|
	v_cndmask_b32_e32 v1, v1, v131, vcc_lo
	v_cndmask_b32_e32 v0, v0, v130, vcc_lo
	v_cndmask_b32_e64 v120, v120, s0, vcc_lo
	s_add_i32 s0, s0, 1
	s_cmp_lg_u32 s7, s0
	s_cbranch_scc1 .LBB112_541
.LBB112_542:
	s_mov_b32 s0, exec_lo
	s_waitcnt lgkmcnt(0)
	v_cmpx_eq_f64_e32 0, v[0:1]
	s_xor_b32 s0, exec_lo, s0
; %bb.543:
	v_cmp_ne_u32_e32 vcc_lo, 0, v123
	v_cndmask_b32_e32 v123, 33, v123, vcc_lo
; %bb.544:
	s_andn2_saveexec_b32 s0, s0
	s_cbranch_execz .LBB112_546
; %bb.545:
	v_div_scale_f64 v[121:122], null, v[0:1], v[0:1], 1.0
	v_rcp_f64_e32 v[130:131], v[121:122]
	v_fma_f64 v[132:133], -v[121:122], v[130:131], 1.0
	v_fma_f64 v[130:131], v[130:131], v[132:133], v[130:131]
	v_fma_f64 v[132:133], -v[121:122], v[130:131], 1.0
	v_fma_f64 v[130:131], v[130:131], v[132:133], v[130:131]
	v_div_scale_f64 v[132:133], vcc_lo, 1.0, v[0:1], 1.0
	v_mul_f64 v[134:135], v[132:133], v[130:131]
	v_fma_f64 v[121:122], -v[121:122], v[134:135], v[132:133]
	v_div_fmas_f64 v[121:122], v[121:122], v[130:131], v[134:135]
	v_div_fixup_f64 v[0:1], v[121:122], v[0:1], 1.0
.LBB112_546:
	s_or_b32 exec_lo, exec_lo, s0
	s_mov_b32 s0, exec_lo
	v_cmpx_ne_u32_e64 v129, v120
	s_xor_b32 s0, exec_lo, s0
	s_cbranch_execz .LBB112_552
; %bb.547:
	s_mov_b32 s1, exec_lo
	v_cmpx_eq_u32_e32 32, v129
	s_cbranch_execz .LBB112_551
; %bb.548:
	v_cmp_ne_u32_e32 vcc_lo, 32, v120
	s_xor_b32 s2, s6, -1
	s_and_b32 s3, s2, vcc_lo
	s_and_saveexec_b32 s2, s3
	s_cbranch_execz .LBB112_550
; %bb.549:
	v_ashrrev_i32_e32 v121, 31, v120
	v_lshlrev_b64 v[121:122], 2, v[120:121]
	v_add_co_u32 v121, vcc_lo, v4, v121
	v_add_co_ci_u32_e64 v122, null, v5, v122, vcc_lo
	s_clause 0x1
	global_load_dword v128, v[121:122], off
	global_load_dword v129, v[4:5], off offset:128
	s_waitcnt vmcnt(1)
	global_store_dword v[4:5], v128, off offset:128
	s_waitcnt vmcnt(0)
	global_store_dword v[121:122], v129, off
.LBB112_550:
	s_or_b32 exec_lo, exec_lo, s2
	v_mov_b32_e32 v128, v120
	v_mov_b32_e32 v129, v120
.LBB112_551:
	s_or_b32 exec_lo, exec_lo, s1
.LBB112_552:
	s_andn2_saveexec_b32 s0, s0
	s_cbranch_execz .LBB112_554
; %bb.553:
	v_mov_b32_e32 v129, 32
	ds_write2_b64 v126, v[48:49], v[50:51] offset0:33 offset1:34
	ds_write2_b64 v126, v[44:45], v[46:47] offset0:35 offset1:36
	;; [unrolled: 1-line block ×12, first 2 shown]
.LBB112_554:
	s_or_b32 exec_lo, exec_lo, s0
	s_mov_b32 s0, exec_lo
	s_waitcnt lgkmcnt(0)
	s_waitcnt_vscnt null, 0x0
	s_barrier
	buffer_gl0_inv
	v_cmpx_lt_i32_e32 32, v129
	s_cbranch_execz .LBB112_556
; %bb.555:
	v_mul_f64 v[52:53], v[0:1], v[52:53]
	ds_read2_b64 v[130:133], v126 offset0:33 offset1:34
	ds_read2_b64 v[134:137], v126 offset0:35 offset1:36
	ds_read2_b64 v[138:141], v126 offset0:37 offset1:38
	ds_read2_b64 v[142:145], v126 offset0:39 offset1:40
	ds_read2_b64 v[146:149], v126 offset0:41 offset1:42
	ds_read2_b64 v[150:153], v126 offset0:43 offset1:44
	ds_read2_b64 v[154:157], v126 offset0:45 offset1:46
	ds_read2_b64 v[158:161], v126 offset0:47 offset1:48
	ds_read2_b64 v[162:165], v126 offset0:49 offset1:50
	ds_read2_b64 v[166:169], v126 offset0:51 offset1:52
	ds_read2_b64 v[170:173], v126 offset0:53 offset1:54
	ds_read2_b64 v[174:177], v126 offset0:55 offset1:56
	s_waitcnt lgkmcnt(11)
	v_fma_f64 v[48:49], -v[52:53], v[130:131], v[48:49]
	v_fma_f64 v[50:51], -v[52:53], v[132:133], v[50:51]
	s_waitcnt lgkmcnt(10)
	v_fma_f64 v[44:45], -v[52:53], v[134:135], v[44:45]
	v_fma_f64 v[46:47], -v[52:53], v[136:137], v[46:47]
	;; [unrolled: 3-line block ×12, first 2 shown]
.LBB112_556:
	s_or_b32 exec_lo, exec_lo, s0
	v_lshl_add_u32 v0, v129, 3, v126
	s_barrier
	buffer_gl0_inv
	v_mov_b32_e32 v120, 33
	ds_write_b64 v0, v[48:49]
	s_waitcnt lgkmcnt(0)
	s_barrier
	buffer_gl0_inv
	ds_read_b64 v[0:1], v126 offset:264
	s_cmp_lt_i32 s7, 35
	s_cbranch_scc1 .LBB112_559
; %bb.557:
	v_add3_u32 v121, v127, 0, 0x110
	v_mov_b32_e32 v120, 33
	s_mov_b32 s0, 34
.LBB112_558:                            ; =>This Inner Loop Header: Depth=1
	ds_read_b64 v[130:131], v121
	v_add_nc_u32_e32 v121, 8, v121
	s_waitcnt lgkmcnt(0)
	v_cmp_lt_f64_e64 vcc_lo, |v[0:1]|, |v[130:131]|
	v_cndmask_b32_e32 v1, v1, v131, vcc_lo
	v_cndmask_b32_e32 v0, v0, v130, vcc_lo
	v_cndmask_b32_e64 v120, v120, s0, vcc_lo
	s_add_i32 s0, s0, 1
	s_cmp_lg_u32 s7, s0
	s_cbranch_scc1 .LBB112_558
.LBB112_559:
	s_mov_b32 s0, exec_lo
	s_waitcnt lgkmcnt(0)
	v_cmpx_eq_f64_e32 0, v[0:1]
	s_xor_b32 s0, exec_lo, s0
; %bb.560:
	v_cmp_ne_u32_e32 vcc_lo, 0, v123
	v_cndmask_b32_e32 v123, 34, v123, vcc_lo
; %bb.561:
	s_andn2_saveexec_b32 s0, s0
	s_cbranch_execz .LBB112_563
; %bb.562:
	v_div_scale_f64 v[121:122], null, v[0:1], v[0:1], 1.0
	v_rcp_f64_e32 v[130:131], v[121:122]
	v_fma_f64 v[132:133], -v[121:122], v[130:131], 1.0
	v_fma_f64 v[130:131], v[130:131], v[132:133], v[130:131]
	v_fma_f64 v[132:133], -v[121:122], v[130:131], 1.0
	v_fma_f64 v[130:131], v[130:131], v[132:133], v[130:131]
	v_div_scale_f64 v[132:133], vcc_lo, 1.0, v[0:1], 1.0
	v_mul_f64 v[134:135], v[132:133], v[130:131]
	v_fma_f64 v[121:122], -v[121:122], v[134:135], v[132:133]
	v_div_fmas_f64 v[121:122], v[121:122], v[130:131], v[134:135]
	v_div_fixup_f64 v[0:1], v[121:122], v[0:1], 1.0
.LBB112_563:
	s_or_b32 exec_lo, exec_lo, s0
	s_mov_b32 s0, exec_lo
	v_cmpx_ne_u32_e64 v129, v120
	s_xor_b32 s0, exec_lo, s0
	s_cbranch_execz .LBB112_569
; %bb.564:
	s_mov_b32 s1, exec_lo
	v_cmpx_eq_u32_e32 33, v129
	s_cbranch_execz .LBB112_568
; %bb.565:
	v_cmp_ne_u32_e32 vcc_lo, 33, v120
	s_xor_b32 s2, s6, -1
	s_and_b32 s3, s2, vcc_lo
	s_and_saveexec_b32 s2, s3
	s_cbranch_execz .LBB112_567
; %bb.566:
	v_ashrrev_i32_e32 v121, 31, v120
	v_lshlrev_b64 v[121:122], 2, v[120:121]
	v_add_co_u32 v121, vcc_lo, v4, v121
	v_add_co_ci_u32_e64 v122, null, v5, v122, vcc_lo
	s_clause 0x1
	global_load_dword v128, v[121:122], off
	global_load_dword v129, v[4:5], off offset:132
	s_waitcnt vmcnt(1)
	global_store_dword v[4:5], v128, off offset:132
	s_waitcnt vmcnt(0)
	global_store_dword v[121:122], v129, off
.LBB112_567:
	s_or_b32 exec_lo, exec_lo, s2
	v_mov_b32_e32 v128, v120
	v_mov_b32_e32 v129, v120
.LBB112_568:
	s_or_b32 exec_lo, exec_lo, s1
.LBB112_569:
	s_andn2_saveexec_b32 s0, s0
	s_cbranch_execz .LBB112_571
; %bb.570:
	v_mov_b32_e32 v120, v50
	v_mov_b32_e32 v121, v51
	;; [unrolled: 1-line block ×8, first 2 shown]
	ds_write2_b64 v126, v[120:121], v[129:130] offset0:34 offset1:35
	ds_write2_b64 v126, v[131:132], v[133:134] offset0:36 offset1:37
	v_mov_b32_e32 v120, v40
	v_mov_b32_e32 v121, v41
	;; [unrolled: 1-line block ×20, first 2 shown]
	ds_write2_b64 v126, v[120:121], v[129:130] offset0:38 offset1:39
	ds_write2_b64 v126, v[131:132], v[133:134] offset0:40 offset1:41
	;; [unrolled: 1-line block ×5, first 2 shown]
	v_mov_b32_e32 v120, v20
	v_mov_b32_e32 v121, v21
	;; [unrolled: 1-line block ×8, first 2 shown]
	ds_write2_b64 v126, v[120:121], v[129:130] offset0:48 offset1:49
	v_mov_b32_e32 v129, 33
	v_mov_b32_e32 v135, v12
	;; [unrolled: 1-line block ×9, first 2 shown]
	ds_write2_b64 v126, v[131:132], v[133:134] offset0:50 offset1:51
	ds_write2_b64 v126, v[135:136], v[137:138] offset0:52 offset1:53
	ds_write2_b64 v126, v[139:140], v[141:142] offset0:54 offset1:55
	ds_write_b64 v126, v[118:119] offset:448
.LBB112_571:
	s_or_b32 exec_lo, exec_lo, s0
	s_mov_b32 s0, exec_lo
	s_waitcnt lgkmcnt(0)
	s_waitcnt_vscnt null, 0x0
	s_barrier
	buffer_gl0_inv
	v_cmpx_lt_i32_e32 33, v129
	s_cbranch_execz .LBB112_573
; %bb.572:
	v_mul_f64 v[48:49], v[0:1], v[48:49]
	ds_read2_b64 v[130:133], v126 offset0:34 offset1:35
	ds_read2_b64 v[134:137], v126 offset0:36 offset1:37
	;; [unrolled: 1-line block ×11, first 2 shown]
	ds_read_b64 v[0:1], v126 offset:448
	s_waitcnt lgkmcnt(11)
	v_fma_f64 v[50:51], -v[48:49], v[130:131], v[50:51]
	v_fma_f64 v[44:45], -v[48:49], v[132:133], v[44:45]
	s_waitcnt lgkmcnt(10)
	v_fma_f64 v[46:47], -v[48:49], v[134:135], v[46:47]
	v_fma_f64 v[42:43], -v[48:49], v[136:137], v[42:43]
	;; [unrolled: 3-line block ×11, first 2 shown]
	s_waitcnt lgkmcnt(0)
	v_fma_f64 v[118:119], -v[48:49], v[0:1], v[118:119]
.LBB112_573:
	s_or_b32 exec_lo, exec_lo, s0
	v_lshl_add_u32 v0, v129, 3, v126
	s_barrier
	buffer_gl0_inv
	v_mov_b32_e32 v120, 34
	ds_write_b64 v0, v[50:51]
	s_waitcnt lgkmcnt(0)
	s_barrier
	buffer_gl0_inv
	ds_read_b64 v[0:1], v126 offset:272
	s_cmp_lt_i32 s7, 36
	s_cbranch_scc1 .LBB112_576
; %bb.574:
	v_add3_u32 v121, v127, 0, 0x118
	v_mov_b32_e32 v120, 34
	s_mov_b32 s0, 35
.LBB112_575:                            ; =>This Inner Loop Header: Depth=1
	ds_read_b64 v[130:131], v121
	v_add_nc_u32_e32 v121, 8, v121
	s_waitcnt lgkmcnt(0)
	v_cmp_lt_f64_e64 vcc_lo, |v[0:1]|, |v[130:131]|
	v_cndmask_b32_e32 v1, v1, v131, vcc_lo
	v_cndmask_b32_e32 v0, v0, v130, vcc_lo
	v_cndmask_b32_e64 v120, v120, s0, vcc_lo
	s_add_i32 s0, s0, 1
	s_cmp_lg_u32 s7, s0
	s_cbranch_scc1 .LBB112_575
.LBB112_576:
	s_mov_b32 s0, exec_lo
	s_waitcnt lgkmcnt(0)
	v_cmpx_eq_f64_e32 0, v[0:1]
	s_xor_b32 s0, exec_lo, s0
; %bb.577:
	v_cmp_ne_u32_e32 vcc_lo, 0, v123
	v_cndmask_b32_e32 v123, 35, v123, vcc_lo
; %bb.578:
	s_andn2_saveexec_b32 s0, s0
	s_cbranch_execz .LBB112_580
; %bb.579:
	v_div_scale_f64 v[121:122], null, v[0:1], v[0:1], 1.0
	v_rcp_f64_e32 v[130:131], v[121:122]
	v_fma_f64 v[132:133], -v[121:122], v[130:131], 1.0
	v_fma_f64 v[130:131], v[130:131], v[132:133], v[130:131]
	v_fma_f64 v[132:133], -v[121:122], v[130:131], 1.0
	v_fma_f64 v[130:131], v[130:131], v[132:133], v[130:131]
	v_div_scale_f64 v[132:133], vcc_lo, 1.0, v[0:1], 1.0
	v_mul_f64 v[134:135], v[132:133], v[130:131]
	v_fma_f64 v[121:122], -v[121:122], v[134:135], v[132:133]
	v_div_fmas_f64 v[121:122], v[121:122], v[130:131], v[134:135]
	v_div_fixup_f64 v[0:1], v[121:122], v[0:1], 1.0
.LBB112_580:
	s_or_b32 exec_lo, exec_lo, s0
	s_mov_b32 s0, exec_lo
	v_cmpx_ne_u32_e64 v129, v120
	s_xor_b32 s0, exec_lo, s0
	s_cbranch_execz .LBB112_586
; %bb.581:
	s_mov_b32 s1, exec_lo
	v_cmpx_eq_u32_e32 34, v129
	s_cbranch_execz .LBB112_585
; %bb.582:
	v_cmp_ne_u32_e32 vcc_lo, 34, v120
	s_xor_b32 s2, s6, -1
	s_and_b32 s3, s2, vcc_lo
	s_and_saveexec_b32 s2, s3
	s_cbranch_execz .LBB112_584
; %bb.583:
	v_ashrrev_i32_e32 v121, 31, v120
	v_lshlrev_b64 v[121:122], 2, v[120:121]
	v_add_co_u32 v121, vcc_lo, v4, v121
	v_add_co_ci_u32_e64 v122, null, v5, v122, vcc_lo
	s_clause 0x1
	global_load_dword v128, v[121:122], off
	global_load_dword v129, v[4:5], off offset:136
	s_waitcnt vmcnt(1)
	global_store_dword v[4:5], v128, off offset:136
	s_waitcnt vmcnt(0)
	global_store_dword v[121:122], v129, off
.LBB112_584:
	s_or_b32 exec_lo, exec_lo, s2
	v_mov_b32_e32 v128, v120
	v_mov_b32_e32 v129, v120
.LBB112_585:
	s_or_b32 exec_lo, exec_lo, s1
.LBB112_586:
	s_andn2_saveexec_b32 s0, s0
	s_cbranch_execz .LBB112_588
; %bb.587:
	v_mov_b32_e32 v129, 34
	ds_write2_b64 v126, v[44:45], v[46:47] offset0:35 offset1:36
	ds_write2_b64 v126, v[42:43], v[40:41] offset0:37 offset1:38
	;; [unrolled: 1-line block ×11, first 2 shown]
.LBB112_588:
	s_or_b32 exec_lo, exec_lo, s0
	s_mov_b32 s0, exec_lo
	s_waitcnt lgkmcnt(0)
	s_waitcnt_vscnt null, 0x0
	s_barrier
	buffer_gl0_inv
	v_cmpx_lt_i32_e32 34, v129
	s_cbranch_execz .LBB112_590
; %bb.589:
	v_mul_f64 v[50:51], v[0:1], v[50:51]
	ds_read2_b64 v[130:133], v126 offset0:35 offset1:36
	ds_read2_b64 v[134:137], v126 offset0:37 offset1:38
	;; [unrolled: 1-line block ×11, first 2 shown]
	s_waitcnt lgkmcnt(10)
	v_fma_f64 v[44:45], -v[50:51], v[130:131], v[44:45]
	v_fma_f64 v[46:47], -v[50:51], v[132:133], v[46:47]
	s_waitcnt lgkmcnt(9)
	v_fma_f64 v[42:43], -v[50:51], v[134:135], v[42:43]
	v_fma_f64 v[40:41], -v[50:51], v[136:137], v[40:41]
	s_waitcnt lgkmcnt(8)
	v_fma_f64 v[38:39], -v[50:51], v[138:139], v[38:39]
	v_fma_f64 v[36:37], -v[50:51], v[140:141], v[36:37]
	s_waitcnt lgkmcnt(7)
	v_fma_f64 v[34:35], -v[50:51], v[142:143], v[34:35]
	v_fma_f64 v[32:33], -v[50:51], v[144:145], v[32:33]
	s_waitcnt lgkmcnt(6)
	v_fma_f64 v[28:29], -v[50:51], v[146:147], v[28:29]
	v_fma_f64 v[30:31], -v[50:51], v[148:149], v[30:31]
	s_waitcnt lgkmcnt(5)
	v_fma_f64 v[24:25], -v[50:51], v[150:151], v[24:25]
	v_fma_f64 v[26:27], -v[50:51], v[152:153], v[26:27]
	s_waitcnt lgkmcnt(4)
	v_fma_f64 v[22:23], -v[50:51], v[154:155], v[22:23]
	v_fma_f64 v[20:21], -v[50:51], v[156:157], v[20:21]
	s_waitcnt lgkmcnt(3)
	v_fma_f64 v[18:19], -v[50:51], v[158:159], v[18:19]
	v_fma_f64 v[16:17], -v[50:51], v[160:161], v[16:17]
	s_waitcnt lgkmcnt(2)
	v_fma_f64 v[14:15], -v[50:51], v[162:163], v[14:15]
	v_fma_f64 v[12:13], -v[50:51], v[164:165], v[12:13]
	s_waitcnt lgkmcnt(1)
	v_fma_f64 v[8:9], -v[50:51], v[166:167], v[8:9]
	v_fma_f64 v[10:11], -v[50:51], v[168:169], v[10:11]
	s_waitcnt lgkmcnt(0)
	v_fma_f64 v[6:7], -v[50:51], v[170:171], v[6:7]
	v_fma_f64 v[118:119], -v[50:51], v[172:173], v[118:119]
.LBB112_590:
	s_or_b32 exec_lo, exec_lo, s0
	v_lshl_add_u32 v0, v129, 3, v126
	s_barrier
	buffer_gl0_inv
	v_mov_b32_e32 v120, 35
	ds_write_b64 v0, v[44:45]
	s_waitcnt lgkmcnt(0)
	s_barrier
	buffer_gl0_inv
	ds_read_b64 v[0:1], v126 offset:280
	s_cmp_lt_i32 s7, 37
	s_cbranch_scc1 .LBB112_593
; %bb.591:
	v_add3_u32 v121, v127, 0, 0x120
	v_mov_b32_e32 v120, 35
	s_mov_b32 s0, 36
.LBB112_592:                            ; =>This Inner Loop Header: Depth=1
	ds_read_b64 v[130:131], v121
	v_add_nc_u32_e32 v121, 8, v121
	s_waitcnt lgkmcnt(0)
	v_cmp_lt_f64_e64 vcc_lo, |v[0:1]|, |v[130:131]|
	v_cndmask_b32_e32 v1, v1, v131, vcc_lo
	v_cndmask_b32_e32 v0, v0, v130, vcc_lo
	v_cndmask_b32_e64 v120, v120, s0, vcc_lo
	s_add_i32 s0, s0, 1
	s_cmp_lg_u32 s7, s0
	s_cbranch_scc1 .LBB112_592
.LBB112_593:
	s_mov_b32 s0, exec_lo
	s_waitcnt lgkmcnt(0)
	v_cmpx_eq_f64_e32 0, v[0:1]
	s_xor_b32 s0, exec_lo, s0
; %bb.594:
	v_cmp_ne_u32_e32 vcc_lo, 0, v123
	v_cndmask_b32_e32 v123, 36, v123, vcc_lo
; %bb.595:
	s_andn2_saveexec_b32 s0, s0
	s_cbranch_execz .LBB112_597
; %bb.596:
	v_div_scale_f64 v[121:122], null, v[0:1], v[0:1], 1.0
	v_rcp_f64_e32 v[130:131], v[121:122]
	v_fma_f64 v[132:133], -v[121:122], v[130:131], 1.0
	v_fma_f64 v[130:131], v[130:131], v[132:133], v[130:131]
	v_fma_f64 v[132:133], -v[121:122], v[130:131], 1.0
	v_fma_f64 v[130:131], v[130:131], v[132:133], v[130:131]
	v_div_scale_f64 v[132:133], vcc_lo, 1.0, v[0:1], 1.0
	v_mul_f64 v[134:135], v[132:133], v[130:131]
	v_fma_f64 v[121:122], -v[121:122], v[134:135], v[132:133]
	v_div_fmas_f64 v[121:122], v[121:122], v[130:131], v[134:135]
	v_div_fixup_f64 v[0:1], v[121:122], v[0:1], 1.0
.LBB112_597:
	s_or_b32 exec_lo, exec_lo, s0
	s_mov_b32 s0, exec_lo
	v_cmpx_ne_u32_e64 v129, v120
	s_xor_b32 s0, exec_lo, s0
	s_cbranch_execz .LBB112_603
; %bb.598:
	s_mov_b32 s1, exec_lo
	v_cmpx_eq_u32_e32 35, v129
	s_cbranch_execz .LBB112_602
; %bb.599:
	v_cmp_ne_u32_e32 vcc_lo, 35, v120
	s_xor_b32 s2, s6, -1
	s_and_b32 s3, s2, vcc_lo
	s_and_saveexec_b32 s2, s3
	s_cbranch_execz .LBB112_601
; %bb.600:
	v_ashrrev_i32_e32 v121, 31, v120
	v_lshlrev_b64 v[121:122], 2, v[120:121]
	v_add_co_u32 v121, vcc_lo, v4, v121
	v_add_co_ci_u32_e64 v122, null, v5, v122, vcc_lo
	s_clause 0x1
	global_load_dword v128, v[121:122], off
	global_load_dword v129, v[4:5], off offset:140
	s_waitcnt vmcnt(1)
	global_store_dword v[4:5], v128, off offset:140
	s_waitcnt vmcnt(0)
	global_store_dword v[121:122], v129, off
.LBB112_601:
	s_or_b32 exec_lo, exec_lo, s2
	v_mov_b32_e32 v128, v120
	v_mov_b32_e32 v129, v120
.LBB112_602:
	s_or_b32 exec_lo, exec_lo, s1
.LBB112_603:
	s_andn2_saveexec_b32 s0, s0
	s_cbranch_execz .LBB112_605
; %bb.604:
	v_mov_b32_e32 v120, v46
	v_mov_b32_e32 v121, v47
	;; [unrolled: 1-line block ×8, first 2 shown]
	ds_write2_b64 v126, v[120:121], v[129:130] offset0:36 offset1:37
	v_mov_b32_e32 v120, v38
	v_mov_b32_e32 v121, v39
	;; [unrolled: 1-line block ×16, first 2 shown]
	ds_write2_b64 v126, v[131:132], v[120:121] offset0:38 offset1:39
	ds_write2_b64 v126, v[129:130], v[133:134] offset0:40 offset1:41
	;; [unrolled: 1-line block ×5, first 2 shown]
	v_mov_b32_e32 v120, v20
	v_mov_b32_e32 v121, v21
	;; [unrolled: 1-line block ×8, first 2 shown]
	ds_write2_b64 v126, v[120:121], v[129:130] offset0:48 offset1:49
	v_mov_b32_e32 v129, 35
	v_mov_b32_e32 v135, v12
	v_mov_b32_e32 v136, v13
	v_mov_b32_e32 v137, v8
	v_mov_b32_e32 v138, v9
	v_mov_b32_e32 v139, v10
	v_mov_b32_e32 v140, v11
	v_mov_b32_e32 v141, v6
	v_mov_b32_e32 v142, v7
	ds_write2_b64 v126, v[131:132], v[133:134] offset0:50 offset1:51
	ds_write2_b64 v126, v[135:136], v[137:138] offset0:52 offset1:53
	;; [unrolled: 1-line block ×3, first 2 shown]
	ds_write_b64 v126, v[118:119] offset:448
.LBB112_605:
	s_or_b32 exec_lo, exec_lo, s0
	s_mov_b32 s0, exec_lo
	s_waitcnt lgkmcnt(0)
	s_waitcnt_vscnt null, 0x0
	s_barrier
	buffer_gl0_inv
	v_cmpx_lt_i32_e32 35, v129
	s_cbranch_execz .LBB112_607
; %bb.606:
	v_mul_f64 v[44:45], v[0:1], v[44:45]
	ds_read2_b64 v[130:133], v126 offset0:36 offset1:37
	ds_read2_b64 v[134:137], v126 offset0:38 offset1:39
	;; [unrolled: 1-line block ×10, first 2 shown]
	ds_read_b64 v[0:1], v126 offset:448
	s_waitcnt lgkmcnt(10)
	v_fma_f64 v[46:47], -v[44:45], v[130:131], v[46:47]
	v_fma_f64 v[42:43], -v[44:45], v[132:133], v[42:43]
	s_waitcnt lgkmcnt(9)
	v_fma_f64 v[40:41], -v[44:45], v[134:135], v[40:41]
	v_fma_f64 v[38:39], -v[44:45], v[136:137], v[38:39]
	;; [unrolled: 3-line block ×10, first 2 shown]
	s_waitcnt lgkmcnt(0)
	v_fma_f64 v[118:119], -v[44:45], v[0:1], v[118:119]
.LBB112_607:
	s_or_b32 exec_lo, exec_lo, s0
	v_lshl_add_u32 v0, v129, 3, v126
	s_barrier
	buffer_gl0_inv
	v_mov_b32_e32 v120, 36
	ds_write_b64 v0, v[46:47]
	s_waitcnt lgkmcnt(0)
	s_barrier
	buffer_gl0_inv
	ds_read_b64 v[0:1], v126 offset:288
	s_cmp_lt_i32 s7, 38
	s_cbranch_scc1 .LBB112_610
; %bb.608:
	v_add3_u32 v121, v127, 0, 0x128
	v_mov_b32_e32 v120, 36
	s_mov_b32 s0, 37
.LBB112_609:                            ; =>This Inner Loop Header: Depth=1
	ds_read_b64 v[130:131], v121
	v_add_nc_u32_e32 v121, 8, v121
	s_waitcnt lgkmcnt(0)
	v_cmp_lt_f64_e64 vcc_lo, |v[0:1]|, |v[130:131]|
	v_cndmask_b32_e32 v1, v1, v131, vcc_lo
	v_cndmask_b32_e32 v0, v0, v130, vcc_lo
	v_cndmask_b32_e64 v120, v120, s0, vcc_lo
	s_add_i32 s0, s0, 1
	s_cmp_lg_u32 s7, s0
	s_cbranch_scc1 .LBB112_609
.LBB112_610:
	s_mov_b32 s0, exec_lo
	s_waitcnt lgkmcnt(0)
	v_cmpx_eq_f64_e32 0, v[0:1]
	s_xor_b32 s0, exec_lo, s0
; %bb.611:
	v_cmp_ne_u32_e32 vcc_lo, 0, v123
	v_cndmask_b32_e32 v123, 37, v123, vcc_lo
; %bb.612:
	s_andn2_saveexec_b32 s0, s0
	s_cbranch_execz .LBB112_614
; %bb.613:
	v_div_scale_f64 v[121:122], null, v[0:1], v[0:1], 1.0
	v_rcp_f64_e32 v[130:131], v[121:122]
	v_fma_f64 v[132:133], -v[121:122], v[130:131], 1.0
	v_fma_f64 v[130:131], v[130:131], v[132:133], v[130:131]
	v_fma_f64 v[132:133], -v[121:122], v[130:131], 1.0
	v_fma_f64 v[130:131], v[130:131], v[132:133], v[130:131]
	v_div_scale_f64 v[132:133], vcc_lo, 1.0, v[0:1], 1.0
	v_mul_f64 v[134:135], v[132:133], v[130:131]
	v_fma_f64 v[121:122], -v[121:122], v[134:135], v[132:133]
	v_div_fmas_f64 v[121:122], v[121:122], v[130:131], v[134:135]
	v_div_fixup_f64 v[0:1], v[121:122], v[0:1], 1.0
.LBB112_614:
	s_or_b32 exec_lo, exec_lo, s0
	s_mov_b32 s0, exec_lo
	v_cmpx_ne_u32_e64 v129, v120
	s_xor_b32 s0, exec_lo, s0
	s_cbranch_execz .LBB112_620
; %bb.615:
	s_mov_b32 s1, exec_lo
	v_cmpx_eq_u32_e32 36, v129
	s_cbranch_execz .LBB112_619
; %bb.616:
	v_cmp_ne_u32_e32 vcc_lo, 36, v120
	s_xor_b32 s2, s6, -1
	s_and_b32 s3, s2, vcc_lo
	s_and_saveexec_b32 s2, s3
	s_cbranch_execz .LBB112_618
; %bb.617:
	v_ashrrev_i32_e32 v121, 31, v120
	v_lshlrev_b64 v[121:122], 2, v[120:121]
	v_add_co_u32 v121, vcc_lo, v4, v121
	v_add_co_ci_u32_e64 v122, null, v5, v122, vcc_lo
	s_clause 0x1
	global_load_dword v128, v[121:122], off
	global_load_dword v129, v[4:5], off offset:144
	s_waitcnt vmcnt(1)
	global_store_dword v[4:5], v128, off offset:144
	s_waitcnt vmcnt(0)
	global_store_dword v[121:122], v129, off
.LBB112_618:
	s_or_b32 exec_lo, exec_lo, s2
	v_mov_b32_e32 v128, v120
	v_mov_b32_e32 v129, v120
.LBB112_619:
	s_or_b32 exec_lo, exec_lo, s1
.LBB112_620:
	s_andn2_saveexec_b32 s0, s0
	s_cbranch_execz .LBB112_622
; %bb.621:
	v_mov_b32_e32 v129, 36
	ds_write2_b64 v126, v[42:43], v[40:41] offset0:37 offset1:38
	ds_write2_b64 v126, v[38:39], v[36:37] offset0:39 offset1:40
	;; [unrolled: 1-line block ×10, first 2 shown]
.LBB112_622:
	s_or_b32 exec_lo, exec_lo, s0
	s_mov_b32 s0, exec_lo
	s_waitcnt lgkmcnt(0)
	s_waitcnt_vscnt null, 0x0
	s_barrier
	buffer_gl0_inv
	v_cmpx_lt_i32_e32 36, v129
	s_cbranch_execz .LBB112_624
; %bb.623:
	v_mul_f64 v[46:47], v[0:1], v[46:47]
	ds_read2_b64 v[130:133], v126 offset0:37 offset1:38
	ds_read2_b64 v[134:137], v126 offset0:39 offset1:40
	;; [unrolled: 1-line block ×10, first 2 shown]
	s_waitcnt lgkmcnt(9)
	v_fma_f64 v[42:43], -v[46:47], v[130:131], v[42:43]
	v_fma_f64 v[40:41], -v[46:47], v[132:133], v[40:41]
	s_waitcnt lgkmcnt(8)
	v_fma_f64 v[38:39], -v[46:47], v[134:135], v[38:39]
	v_fma_f64 v[36:37], -v[46:47], v[136:137], v[36:37]
	;; [unrolled: 3-line block ×10, first 2 shown]
.LBB112_624:
	s_or_b32 exec_lo, exec_lo, s0
	v_lshl_add_u32 v0, v129, 3, v126
	s_barrier
	buffer_gl0_inv
	v_mov_b32_e32 v120, 37
	ds_write_b64 v0, v[42:43]
	s_waitcnt lgkmcnt(0)
	s_barrier
	buffer_gl0_inv
	ds_read_b64 v[0:1], v126 offset:296
	s_cmp_lt_i32 s7, 39
	s_cbranch_scc1 .LBB112_627
; %bb.625:
	v_add3_u32 v121, v127, 0, 0x130
	v_mov_b32_e32 v120, 37
	s_mov_b32 s0, 38
.LBB112_626:                            ; =>This Inner Loop Header: Depth=1
	ds_read_b64 v[130:131], v121
	v_add_nc_u32_e32 v121, 8, v121
	s_waitcnt lgkmcnt(0)
	v_cmp_lt_f64_e64 vcc_lo, |v[0:1]|, |v[130:131]|
	v_cndmask_b32_e32 v1, v1, v131, vcc_lo
	v_cndmask_b32_e32 v0, v0, v130, vcc_lo
	v_cndmask_b32_e64 v120, v120, s0, vcc_lo
	s_add_i32 s0, s0, 1
	s_cmp_lg_u32 s7, s0
	s_cbranch_scc1 .LBB112_626
.LBB112_627:
	s_mov_b32 s0, exec_lo
	s_waitcnt lgkmcnt(0)
	v_cmpx_eq_f64_e32 0, v[0:1]
	s_xor_b32 s0, exec_lo, s0
; %bb.628:
	v_cmp_ne_u32_e32 vcc_lo, 0, v123
	v_cndmask_b32_e32 v123, 38, v123, vcc_lo
; %bb.629:
	s_andn2_saveexec_b32 s0, s0
	s_cbranch_execz .LBB112_631
; %bb.630:
	v_div_scale_f64 v[121:122], null, v[0:1], v[0:1], 1.0
	v_rcp_f64_e32 v[130:131], v[121:122]
	v_fma_f64 v[132:133], -v[121:122], v[130:131], 1.0
	v_fma_f64 v[130:131], v[130:131], v[132:133], v[130:131]
	v_fma_f64 v[132:133], -v[121:122], v[130:131], 1.0
	v_fma_f64 v[130:131], v[130:131], v[132:133], v[130:131]
	v_div_scale_f64 v[132:133], vcc_lo, 1.0, v[0:1], 1.0
	v_mul_f64 v[134:135], v[132:133], v[130:131]
	v_fma_f64 v[121:122], -v[121:122], v[134:135], v[132:133]
	v_div_fmas_f64 v[121:122], v[121:122], v[130:131], v[134:135]
	v_div_fixup_f64 v[0:1], v[121:122], v[0:1], 1.0
.LBB112_631:
	s_or_b32 exec_lo, exec_lo, s0
	s_mov_b32 s0, exec_lo
	v_cmpx_ne_u32_e64 v129, v120
	s_xor_b32 s0, exec_lo, s0
	s_cbranch_execz .LBB112_637
; %bb.632:
	s_mov_b32 s1, exec_lo
	v_cmpx_eq_u32_e32 37, v129
	s_cbranch_execz .LBB112_636
; %bb.633:
	v_cmp_ne_u32_e32 vcc_lo, 37, v120
	s_xor_b32 s2, s6, -1
	s_and_b32 s3, s2, vcc_lo
	s_and_saveexec_b32 s2, s3
	s_cbranch_execz .LBB112_635
; %bb.634:
	v_ashrrev_i32_e32 v121, 31, v120
	v_lshlrev_b64 v[121:122], 2, v[120:121]
	v_add_co_u32 v121, vcc_lo, v4, v121
	v_add_co_ci_u32_e64 v122, null, v5, v122, vcc_lo
	s_clause 0x1
	global_load_dword v128, v[121:122], off
	global_load_dword v129, v[4:5], off offset:148
	s_waitcnt vmcnt(1)
	global_store_dword v[4:5], v128, off offset:148
	s_waitcnt vmcnt(0)
	global_store_dword v[121:122], v129, off
.LBB112_635:
	s_or_b32 exec_lo, exec_lo, s2
	v_mov_b32_e32 v128, v120
	v_mov_b32_e32 v129, v120
.LBB112_636:
	s_or_b32 exec_lo, exec_lo, s1
.LBB112_637:
	s_andn2_saveexec_b32 s0, s0
	s_cbranch_execz .LBB112_639
; %bb.638:
	v_mov_b32_e32 v120, v40
	v_mov_b32_e32 v121, v41
	;; [unrolled: 1-line block ×20, first 2 shown]
	ds_write2_b64 v126, v[120:121], v[129:130] offset0:38 offset1:39
	ds_write2_b64 v126, v[131:132], v[133:134] offset0:40 offset1:41
	;; [unrolled: 1-line block ×5, first 2 shown]
	v_mov_b32_e32 v120, v20
	v_mov_b32_e32 v121, v21
	;; [unrolled: 1-line block ×8, first 2 shown]
	ds_write2_b64 v126, v[120:121], v[129:130] offset0:48 offset1:49
	v_mov_b32_e32 v129, 37
	v_mov_b32_e32 v135, v12
	;; [unrolled: 1-line block ×9, first 2 shown]
	ds_write2_b64 v126, v[131:132], v[133:134] offset0:50 offset1:51
	ds_write2_b64 v126, v[135:136], v[137:138] offset0:52 offset1:53
	;; [unrolled: 1-line block ×3, first 2 shown]
	ds_write_b64 v126, v[118:119] offset:448
.LBB112_639:
	s_or_b32 exec_lo, exec_lo, s0
	s_mov_b32 s0, exec_lo
	s_waitcnt lgkmcnt(0)
	s_waitcnt_vscnt null, 0x0
	s_barrier
	buffer_gl0_inv
	v_cmpx_lt_i32_e32 37, v129
	s_cbranch_execz .LBB112_641
; %bb.640:
	v_mul_f64 v[42:43], v[0:1], v[42:43]
	ds_read2_b64 v[130:133], v126 offset0:38 offset1:39
	ds_read2_b64 v[134:137], v126 offset0:40 offset1:41
	;; [unrolled: 1-line block ×9, first 2 shown]
	ds_read_b64 v[0:1], v126 offset:448
	s_waitcnt lgkmcnt(9)
	v_fma_f64 v[40:41], -v[42:43], v[130:131], v[40:41]
	v_fma_f64 v[38:39], -v[42:43], v[132:133], v[38:39]
	s_waitcnt lgkmcnt(8)
	v_fma_f64 v[36:37], -v[42:43], v[134:135], v[36:37]
	v_fma_f64 v[34:35], -v[42:43], v[136:137], v[34:35]
	;; [unrolled: 3-line block ×9, first 2 shown]
	s_waitcnt lgkmcnt(0)
	v_fma_f64 v[118:119], -v[42:43], v[0:1], v[118:119]
.LBB112_641:
	s_or_b32 exec_lo, exec_lo, s0
	v_lshl_add_u32 v0, v129, 3, v126
	s_barrier
	buffer_gl0_inv
	v_mov_b32_e32 v120, 38
	ds_write_b64 v0, v[40:41]
	s_waitcnt lgkmcnt(0)
	s_barrier
	buffer_gl0_inv
	ds_read_b64 v[0:1], v126 offset:304
	s_cmp_lt_i32 s7, 40
	s_cbranch_scc1 .LBB112_644
; %bb.642:
	v_add3_u32 v121, v127, 0, 0x138
	v_mov_b32_e32 v120, 38
	s_mov_b32 s0, 39
.LBB112_643:                            ; =>This Inner Loop Header: Depth=1
	ds_read_b64 v[130:131], v121
	v_add_nc_u32_e32 v121, 8, v121
	s_waitcnt lgkmcnt(0)
	v_cmp_lt_f64_e64 vcc_lo, |v[0:1]|, |v[130:131]|
	v_cndmask_b32_e32 v1, v1, v131, vcc_lo
	v_cndmask_b32_e32 v0, v0, v130, vcc_lo
	v_cndmask_b32_e64 v120, v120, s0, vcc_lo
	s_add_i32 s0, s0, 1
	s_cmp_lg_u32 s7, s0
	s_cbranch_scc1 .LBB112_643
.LBB112_644:
	s_mov_b32 s0, exec_lo
	s_waitcnt lgkmcnt(0)
	v_cmpx_eq_f64_e32 0, v[0:1]
	s_xor_b32 s0, exec_lo, s0
; %bb.645:
	v_cmp_ne_u32_e32 vcc_lo, 0, v123
	v_cndmask_b32_e32 v123, 39, v123, vcc_lo
; %bb.646:
	s_andn2_saveexec_b32 s0, s0
	s_cbranch_execz .LBB112_648
; %bb.647:
	v_div_scale_f64 v[121:122], null, v[0:1], v[0:1], 1.0
	v_rcp_f64_e32 v[130:131], v[121:122]
	v_fma_f64 v[132:133], -v[121:122], v[130:131], 1.0
	v_fma_f64 v[130:131], v[130:131], v[132:133], v[130:131]
	v_fma_f64 v[132:133], -v[121:122], v[130:131], 1.0
	v_fma_f64 v[130:131], v[130:131], v[132:133], v[130:131]
	v_div_scale_f64 v[132:133], vcc_lo, 1.0, v[0:1], 1.0
	v_mul_f64 v[134:135], v[132:133], v[130:131]
	v_fma_f64 v[121:122], -v[121:122], v[134:135], v[132:133]
	v_div_fmas_f64 v[121:122], v[121:122], v[130:131], v[134:135]
	v_div_fixup_f64 v[0:1], v[121:122], v[0:1], 1.0
.LBB112_648:
	s_or_b32 exec_lo, exec_lo, s0
	s_mov_b32 s0, exec_lo
	v_cmpx_ne_u32_e64 v129, v120
	s_xor_b32 s0, exec_lo, s0
	s_cbranch_execz .LBB112_654
; %bb.649:
	s_mov_b32 s1, exec_lo
	v_cmpx_eq_u32_e32 38, v129
	s_cbranch_execz .LBB112_653
; %bb.650:
	v_cmp_ne_u32_e32 vcc_lo, 38, v120
	s_xor_b32 s2, s6, -1
	s_and_b32 s3, s2, vcc_lo
	s_and_saveexec_b32 s2, s3
	s_cbranch_execz .LBB112_652
; %bb.651:
	v_ashrrev_i32_e32 v121, 31, v120
	v_lshlrev_b64 v[121:122], 2, v[120:121]
	v_add_co_u32 v121, vcc_lo, v4, v121
	v_add_co_ci_u32_e64 v122, null, v5, v122, vcc_lo
	s_clause 0x1
	global_load_dword v128, v[121:122], off
	global_load_dword v129, v[4:5], off offset:152
	s_waitcnt vmcnt(1)
	global_store_dword v[4:5], v128, off offset:152
	s_waitcnt vmcnt(0)
	global_store_dword v[121:122], v129, off
.LBB112_652:
	s_or_b32 exec_lo, exec_lo, s2
	v_mov_b32_e32 v128, v120
	v_mov_b32_e32 v129, v120
.LBB112_653:
	s_or_b32 exec_lo, exec_lo, s1
.LBB112_654:
	s_andn2_saveexec_b32 s0, s0
	s_cbranch_execz .LBB112_656
; %bb.655:
	v_mov_b32_e32 v129, 38
	ds_write2_b64 v126, v[38:39], v[36:37] offset0:39 offset1:40
	ds_write2_b64 v126, v[34:35], v[32:33] offset0:41 offset1:42
	ds_write2_b64 v126, v[28:29], v[30:31] offset0:43 offset1:44
	ds_write2_b64 v126, v[24:25], v[26:27] offset0:45 offset1:46
	ds_write2_b64 v126, v[22:23], v[20:21] offset0:47 offset1:48
	ds_write2_b64 v126, v[18:19], v[16:17] offset0:49 offset1:50
	ds_write2_b64 v126, v[14:15], v[12:13] offset0:51 offset1:52
	ds_write2_b64 v126, v[8:9], v[10:11] offset0:53 offset1:54
	ds_write2_b64 v126, v[6:7], v[118:119] offset0:55 offset1:56
.LBB112_656:
	s_or_b32 exec_lo, exec_lo, s0
	s_mov_b32 s0, exec_lo
	s_waitcnt lgkmcnt(0)
	s_waitcnt_vscnt null, 0x0
	s_barrier
	buffer_gl0_inv
	v_cmpx_lt_i32_e32 38, v129
	s_cbranch_execz .LBB112_658
; %bb.657:
	v_mul_f64 v[40:41], v[0:1], v[40:41]
	ds_read2_b64 v[130:133], v126 offset0:39 offset1:40
	ds_read2_b64 v[134:137], v126 offset0:41 offset1:42
	;; [unrolled: 1-line block ×9, first 2 shown]
	s_waitcnt lgkmcnt(8)
	v_fma_f64 v[38:39], -v[40:41], v[130:131], v[38:39]
	v_fma_f64 v[36:37], -v[40:41], v[132:133], v[36:37]
	s_waitcnt lgkmcnt(7)
	v_fma_f64 v[34:35], -v[40:41], v[134:135], v[34:35]
	v_fma_f64 v[32:33], -v[40:41], v[136:137], v[32:33]
	;; [unrolled: 3-line block ×9, first 2 shown]
.LBB112_658:
	s_or_b32 exec_lo, exec_lo, s0
	v_lshl_add_u32 v0, v129, 3, v126
	s_barrier
	buffer_gl0_inv
	v_mov_b32_e32 v120, 39
	ds_write_b64 v0, v[38:39]
	s_waitcnt lgkmcnt(0)
	s_barrier
	buffer_gl0_inv
	ds_read_b64 v[0:1], v126 offset:312
	s_cmp_lt_i32 s7, 41
	s_cbranch_scc1 .LBB112_661
; %bb.659:
	v_add3_u32 v121, v127, 0, 0x140
	v_mov_b32_e32 v120, 39
	s_mov_b32 s0, 40
.LBB112_660:                            ; =>This Inner Loop Header: Depth=1
	ds_read_b64 v[130:131], v121
	v_add_nc_u32_e32 v121, 8, v121
	s_waitcnt lgkmcnt(0)
	v_cmp_lt_f64_e64 vcc_lo, |v[0:1]|, |v[130:131]|
	v_cndmask_b32_e32 v1, v1, v131, vcc_lo
	v_cndmask_b32_e32 v0, v0, v130, vcc_lo
	v_cndmask_b32_e64 v120, v120, s0, vcc_lo
	s_add_i32 s0, s0, 1
	s_cmp_lg_u32 s7, s0
	s_cbranch_scc1 .LBB112_660
.LBB112_661:
	s_mov_b32 s0, exec_lo
	s_waitcnt lgkmcnt(0)
	v_cmpx_eq_f64_e32 0, v[0:1]
	s_xor_b32 s0, exec_lo, s0
; %bb.662:
	v_cmp_ne_u32_e32 vcc_lo, 0, v123
	v_cndmask_b32_e32 v123, 40, v123, vcc_lo
; %bb.663:
	s_andn2_saveexec_b32 s0, s0
	s_cbranch_execz .LBB112_665
; %bb.664:
	v_div_scale_f64 v[121:122], null, v[0:1], v[0:1], 1.0
	v_rcp_f64_e32 v[130:131], v[121:122]
	v_fma_f64 v[132:133], -v[121:122], v[130:131], 1.0
	v_fma_f64 v[130:131], v[130:131], v[132:133], v[130:131]
	v_fma_f64 v[132:133], -v[121:122], v[130:131], 1.0
	v_fma_f64 v[130:131], v[130:131], v[132:133], v[130:131]
	v_div_scale_f64 v[132:133], vcc_lo, 1.0, v[0:1], 1.0
	v_mul_f64 v[134:135], v[132:133], v[130:131]
	v_fma_f64 v[121:122], -v[121:122], v[134:135], v[132:133]
	v_div_fmas_f64 v[121:122], v[121:122], v[130:131], v[134:135]
	v_div_fixup_f64 v[0:1], v[121:122], v[0:1], 1.0
.LBB112_665:
	s_or_b32 exec_lo, exec_lo, s0
	s_mov_b32 s0, exec_lo
	v_cmpx_ne_u32_e64 v129, v120
	s_xor_b32 s0, exec_lo, s0
	s_cbranch_execz .LBB112_671
; %bb.666:
	s_mov_b32 s1, exec_lo
	v_cmpx_eq_u32_e32 39, v129
	s_cbranch_execz .LBB112_670
; %bb.667:
	v_cmp_ne_u32_e32 vcc_lo, 39, v120
	s_xor_b32 s2, s6, -1
	s_and_b32 s3, s2, vcc_lo
	s_and_saveexec_b32 s2, s3
	s_cbranch_execz .LBB112_669
; %bb.668:
	v_ashrrev_i32_e32 v121, 31, v120
	v_lshlrev_b64 v[121:122], 2, v[120:121]
	v_add_co_u32 v121, vcc_lo, v4, v121
	v_add_co_ci_u32_e64 v122, null, v5, v122, vcc_lo
	s_clause 0x1
	global_load_dword v128, v[121:122], off
	global_load_dword v129, v[4:5], off offset:156
	s_waitcnt vmcnt(1)
	global_store_dword v[4:5], v128, off offset:156
	s_waitcnt vmcnt(0)
	global_store_dword v[121:122], v129, off
.LBB112_669:
	s_or_b32 exec_lo, exec_lo, s2
	v_mov_b32_e32 v128, v120
	v_mov_b32_e32 v129, v120
.LBB112_670:
	s_or_b32 exec_lo, exec_lo, s1
.LBB112_671:
	s_andn2_saveexec_b32 s0, s0
	s_cbranch_execz .LBB112_673
; %bb.672:
	v_mov_b32_e32 v120, v36
	v_mov_b32_e32 v121, v37
	;; [unrolled: 1-line block ×16, first 2 shown]
	ds_write2_b64 v126, v[120:121], v[129:130] offset0:40 offset1:41
	ds_write2_b64 v126, v[131:132], v[133:134] offset0:42 offset1:43
	;; [unrolled: 1-line block ×4, first 2 shown]
	v_mov_b32_e32 v120, v20
	v_mov_b32_e32 v121, v21
	;; [unrolled: 1-line block ×8, first 2 shown]
	ds_write2_b64 v126, v[120:121], v[129:130] offset0:48 offset1:49
	v_mov_b32_e32 v129, 39
	v_mov_b32_e32 v135, v12
	;; [unrolled: 1-line block ×9, first 2 shown]
	ds_write2_b64 v126, v[131:132], v[133:134] offset0:50 offset1:51
	ds_write2_b64 v126, v[135:136], v[137:138] offset0:52 offset1:53
	;; [unrolled: 1-line block ×3, first 2 shown]
	ds_write_b64 v126, v[118:119] offset:448
.LBB112_673:
	s_or_b32 exec_lo, exec_lo, s0
	s_mov_b32 s0, exec_lo
	s_waitcnt lgkmcnt(0)
	s_waitcnt_vscnt null, 0x0
	s_barrier
	buffer_gl0_inv
	v_cmpx_lt_i32_e32 39, v129
	s_cbranch_execz .LBB112_675
; %bb.674:
	v_mul_f64 v[38:39], v[0:1], v[38:39]
	ds_read2_b64 v[130:133], v126 offset0:40 offset1:41
	ds_read2_b64 v[134:137], v126 offset0:42 offset1:43
	;; [unrolled: 1-line block ×8, first 2 shown]
	ds_read_b64 v[0:1], v126 offset:448
	s_waitcnt lgkmcnt(8)
	v_fma_f64 v[36:37], -v[38:39], v[130:131], v[36:37]
	v_fma_f64 v[34:35], -v[38:39], v[132:133], v[34:35]
	s_waitcnt lgkmcnt(7)
	v_fma_f64 v[32:33], -v[38:39], v[134:135], v[32:33]
	v_fma_f64 v[28:29], -v[38:39], v[136:137], v[28:29]
	;; [unrolled: 3-line block ×8, first 2 shown]
	s_waitcnt lgkmcnt(0)
	v_fma_f64 v[118:119], -v[38:39], v[0:1], v[118:119]
.LBB112_675:
	s_or_b32 exec_lo, exec_lo, s0
	v_lshl_add_u32 v0, v129, 3, v126
	s_barrier
	buffer_gl0_inv
	v_mov_b32_e32 v120, 40
	ds_write_b64 v0, v[36:37]
	s_waitcnt lgkmcnt(0)
	s_barrier
	buffer_gl0_inv
	ds_read_b64 v[0:1], v126 offset:320
	s_cmp_lt_i32 s7, 42
	s_cbranch_scc1 .LBB112_678
; %bb.676:
	v_add3_u32 v121, v127, 0, 0x148
	v_mov_b32_e32 v120, 40
	s_mov_b32 s0, 41
.LBB112_677:                            ; =>This Inner Loop Header: Depth=1
	ds_read_b64 v[130:131], v121
	v_add_nc_u32_e32 v121, 8, v121
	s_waitcnt lgkmcnt(0)
	v_cmp_lt_f64_e64 vcc_lo, |v[0:1]|, |v[130:131]|
	v_cndmask_b32_e32 v1, v1, v131, vcc_lo
	v_cndmask_b32_e32 v0, v0, v130, vcc_lo
	v_cndmask_b32_e64 v120, v120, s0, vcc_lo
	s_add_i32 s0, s0, 1
	s_cmp_lg_u32 s7, s0
	s_cbranch_scc1 .LBB112_677
.LBB112_678:
	s_mov_b32 s0, exec_lo
	s_waitcnt lgkmcnt(0)
	v_cmpx_eq_f64_e32 0, v[0:1]
	s_xor_b32 s0, exec_lo, s0
; %bb.679:
	v_cmp_ne_u32_e32 vcc_lo, 0, v123
	v_cndmask_b32_e32 v123, 41, v123, vcc_lo
; %bb.680:
	s_andn2_saveexec_b32 s0, s0
	s_cbranch_execz .LBB112_682
; %bb.681:
	v_div_scale_f64 v[121:122], null, v[0:1], v[0:1], 1.0
	v_rcp_f64_e32 v[130:131], v[121:122]
	v_fma_f64 v[132:133], -v[121:122], v[130:131], 1.0
	v_fma_f64 v[130:131], v[130:131], v[132:133], v[130:131]
	v_fma_f64 v[132:133], -v[121:122], v[130:131], 1.0
	v_fma_f64 v[130:131], v[130:131], v[132:133], v[130:131]
	v_div_scale_f64 v[132:133], vcc_lo, 1.0, v[0:1], 1.0
	v_mul_f64 v[134:135], v[132:133], v[130:131]
	v_fma_f64 v[121:122], -v[121:122], v[134:135], v[132:133]
	v_div_fmas_f64 v[121:122], v[121:122], v[130:131], v[134:135]
	v_div_fixup_f64 v[0:1], v[121:122], v[0:1], 1.0
.LBB112_682:
	s_or_b32 exec_lo, exec_lo, s0
	s_mov_b32 s0, exec_lo
	v_cmpx_ne_u32_e64 v129, v120
	s_xor_b32 s0, exec_lo, s0
	s_cbranch_execz .LBB112_688
; %bb.683:
	s_mov_b32 s1, exec_lo
	v_cmpx_eq_u32_e32 40, v129
	s_cbranch_execz .LBB112_687
; %bb.684:
	v_cmp_ne_u32_e32 vcc_lo, 40, v120
	s_xor_b32 s2, s6, -1
	s_and_b32 s3, s2, vcc_lo
	s_and_saveexec_b32 s2, s3
	s_cbranch_execz .LBB112_686
; %bb.685:
	v_ashrrev_i32_e32 v121, 31, v120
	v_lshlrev_b64 v[121:122], 2, v[120:121]
	v_add_co_u32 v121, vcc_lo, v4, v121
	v_add_co_ci_u32_e64 v122, null, v5, v122, vcc_lo
	s_clause 0x1
	global_load_dword v128, v[121:122], off
	global_load_dword v129, v[4:5], off offset:160
	s_waitcnt vmcnt(1)
	global_store_dword v[4:5], v128, off offset:160
	s_waitcnt vmcnt(0)
	global_store_dword v[121:122], v129, off
.LBB112_686:
	s_or_b32 exec_lo, exec_lo, s2
	v_mov_b32_e32 v128, v120
	v_mov_b32_e32 v129, v120
.LBB112_687:
	s_or_b32 exec_lo, exec_lo, s1
.LBB112_688:
	s_andn2_saveexec_b32 s0, s0
	s_cbranch_execz .LBB112_690
; %bb.689:
	v_mov_b32_e32 v129, 40
	ds_write2_b64 v126, v[34:35], v[32:33] offset0:41 offset1:42
	ds_write2_b64 v126, v[28:29], v[30:31] offset0:43 offset1:44
	;; [unrolled: 1-line block ×8, first 2 shown]
.LBB112_690:
	s_or_b32 exec_lo, exec_lo, s0
	s_mov_b32 s0, exec_lo
	s_waitcnt lgkmcnt(0)
	s_waitcnt_vscnt null, 0x0
	s_barrier
	buffer_gl0_inv
	v_cmpx_lt_i32_e32 40, v129
	s_cbranch_execz .LBB112_692
; %bb.691:
	v_mul_f64 v[36:37], v[0:1], v[36:37]
	ds_read2_b64 v[130:133], v126 offset0:41 offset1:42
	ds_read2_b64 v[134:137], v126 offset0:43 offset1:44
	;; [unrolled: 1-line block ×8, first 2 shown]
	s_waitcnt lgkmcnt(7)
	v_fma_f64 v[34:35], -v[36:37], v[130:131], v[34:35]
	v_fma_f64 v[32:33], -v[36:37], v[132:133], v[32:33]
	s_waitcnt lgkmcnt(6)
	v_fma_f64 v[28:29], -v[36:37], v[134:135], v[28:29]
	v_fma_f64 v[30:31], -v[36:37], v[136:137], v[30:31]
	;; [unrolled: 3-line block ×8, first 2 shown]
.LBB112_692:
	s_or_b32 exec_lo, exec_lo, s0
	v_lshl_add_u32 v0, v129, 3, v126
	s_barrier
	buffer_gl0_inv
	v_mov_b32_e32 v120, 41
	ds_write_b64 v0, v[34:35]
	s_waitcnt lgkmcnt(0)
	s_barrier
	buffer_gl0_inv
	ds_read_b64 v[0:1], v126 offset:328
	s_cmp_lt_i32 s7, 43
	s_cbranch_scc1 .LBB112_695
; %bb.693:
	v_add3_u32 v121, v127, 0, 0x150
	v_mov_b32_e32 v120, 41
	s_mov_b32 s0, 42
.LBB112_694:                            ; =>This Inner Loop Header: Depth=1
	ds_read_b64 v[130:131], v121
	v_add_nc_u32_e32 v121, 8, v121
	s_waitcnt lgkmcnt(0)
	v_cmp_lt_f64_e64 vcc_lo, |v[0:1]|, |v[130:131]|
	v_cndmask_b32_e32 v1, v1, v131, vcc_lo
	v_cndmask_b32_e32 v0, v0, v130, vcc_lo
	v_cndmask_b32_e64 v120, v120, s0, vcc_lo
	s_add_i32 s0, s0, 1
	s_cmp_lg_u32 s7, s0
	s_cbranch_scc1 .LBB112_694
.LBB112_695:
	s_mov_b32 s0, exec_lo
	s_waitcnt lgkmcnt(0)
	v_cmpx_eq_f64_e32 0, v[0:1]
	s_xor_b32 s0, exec_lo, s0
; %bb.696:
	v_cmp_ne_u32_e32 vcc_lo, 0, v123
	v_cndmask_b32_e32 v123, 42, v123, vcc_lo
; %bb.697:
	s_andn2_saveexec_b32 s0, s0
	s_cbranch_execz .LBB112_699
; %bb.698:
	v_div_scale_f64 v[121:122], null, v[0:1], v[0:1], 1.0
	v_rcp_f64_e32 v[130:131], v[121:122]
	v_fma_f64 v[132:133], -v[121:122], v[130:131], 1.0
	v_fma_f64 v[130:131], v[130:131], v[132:133], v[130:131]
	v_fma_f64 v[132:133], -v[121:122], v[130:131], 1.0
	v_fma_f64 v[130:131], v[130:131], v[132:133], v[130:131]
	v_div_scale_f64 v[132:133], vcc_lo, 1.0, v[0:1], 1.0
	v_mul_f64 v[134:135], v[132:133], v[130:131]
	v_fma_f64 v[121:122], -v[121:122], v[134:135], v[132:133]
	v_div_fmas_f64 v[121:122], v[121:122], v[130:131], v[134:135]
	v_div_fixup_f64 v[0:1], v[121:122], v[0:1], 1.0
.LBB112_699:
	s_or_b32 exec_lo, exec_lo, s0
	s_mov_b32 s0, exec_lo
	v_cmpx_ne_u32_e64 v129, v120
	s_xor_b32 s0, exec_lo, s0
	s_cbranch_execz .LBB112_705
; %bb.700:
	s_mov_b32 s1, exec_lo
	v_cmpx_eq_u32_e32 41, v129
	s_cbranch_execz .LBB112_704
; %bb.701:
	v_cmp_ne_u32_e32 vcc_lo, 41, v120
	s_xor_b32 s2, s6, -1
	s_and_b32 s3, s2, vcc_lo
	s_and_saveexec_b32 s2, s3
	s_cbranch_execz .LBB112_703
; %bb.702:
	v_ashrrev_i32_e32 v121, 31, v120
	v_lshlrev_b64 v[121:122], 2, v[120:121]
	v_add_co_u32 v121, vcc_lo, v4, v121
	v_add_co_ci_u32_e64 v122, null, v5, v122, vcc_lo
	s_clause 0x1
	global_load_dword v128, v[121:122], off
	global_load_dword v129, v[4:5], off offset:164
	s_waitcnt vmcnt(1)
	global_store_dword v[4:5], v128, off offset:164
	s_waitcnt vmcnt(0)
	global_store_dword v[121:122], v129, off
.LBB112_703:
	s_or_b32 exec_lo, exec_lo, s2
	v_mov_b32_e32 v128, v120
	v_mov_b32_e32 v129, v120
.LBB112_704:
	s_or_b32 exec_lo, exec_lo, s1
.LBB112_705:
	s_andn2_saveexec_b32 s0, s0
	s_cbranch_execz .LBB112_707
; %bb.706:
	v_mov_b32_e32 v120, v32
	v_mov_b32_e32 v121, v33
	;; [unrolled: 1-line block ×12, first 2 shown]
	ds_write2_b64 v126, v[120:121], v[129:130] offset0:42 offset1:43
	ds_write2_b64 v126, v[131:132], v[133:134] offset0:44 offset1:45
	;; [unrolled: 1-line block ×3, first 2 shown]
	v_mov_b32_e32 v120, v20
	v_mov_b32_e32 v121, v21
	;; [unrolled: 1-line block ×8, first 2 shown]
	ds_write2_b64 v126, v[120:121], v[129:130] offset0:48 offset1:49
	v_mov_b32_e32 v129, 41
	v_mov_b32_e32 v135, v12
	;; [unrolled: 1-line block ×9, first 2 shown]
	ds_write2_b64 v126, v[131:132], v[133:134] offset0:50 offset1:51
	ds_write2_b64 v126, v[135:136], v[137:138] offset0:52 offset1:53
	;; [unrolled: 1-line block ×3, first 2 shown]
	ds_write_b64 v126, v[118:119] offset:448
.LBB112_707:
	s_or_b32 exec_lo, exec_lo, s0
	s_mov_b32 s0, exec_lo
	s_waitcnt lgkmcnt(0)
	s_waitcnt_vscnt null, 0x0
	s_barrier
	buffer_gl0_inv
	v_cmpx_lt_i32_e32 41, v129
	s_cbranch_execz .LBB112_709
; %bb.708:
	v_mul_f64 v[34:35], v[0:1], v[34:35]
	ds_read2_b64 v[130:133], v126 offset0:42 offset1:43
	ds_read2_b64 v[134:137], v126 offset0:44 offset1:45
	;; [unrolled: 1-line block ×7, first 2 shown]
	ds_read_b64 v[0:1], v126 offset:448
	s_waitcnt lgkmcnt(7)
	v_fma_f64 v[32:33], -v[34:35], v[130:131], v[32:33]
	v_fma_f64 v[28:29], -v[34:35], v[132:133], v[28:29]
	s_waitcnt lgkmcnt(6)
	v_fma_f64 v[30:31], -v[34:35], v[134:135], v[30:31]
	v_fma_f64 v[24:25], -v[34:35], v[136:137], v[24:25]
	;; [unrolled: 3-line block ×7, first 2 shown]
	s_waitcnt lgkmcnt(0)
	v_fma_f64 v[118:119], -v[34:35], v[0:1], v[118:119]
.LBB112_709:
	s_or_b32 exec_lo, exec_lo, s0
	v_lshl_add_u32 v0, v129, 3, v126
	s_barrier
	buffer_gl0_inv
	v_mov_b32_e32 v120, 42
	ds_write_b64 v0, v[32:33]
	s_waitcnt lgkmcnt(0)
	s_barrier
	buffer_gl0_inv
	ds_read_b64 v[0:1], v126 offset:336
	s_cmp_lt_i32 s7, 44
	s_cbranch_scc1 .LBB112_712
; %bb.710:
	v_add3_u32 v121, v127, 0, 0x158
	v_mov_b32_e32 v120, 42
	s_mov_b32 s0, 43
.LBB112_711:                            ; =>This Inner Loop Header: Depth=1
	ds_read_b64 v[130:131], v121
	v_add_nc_u32_e32 v121, 8, v121
	s_waitcnt lgkmcnt(0)
	v_cmp_lt_f64_e64 vcc_lo, |v[0:1]|, |v[130:131]|
	v_cndmask_b32_e32 v1, v1, v131, vcc_lo
	v_cndmask_b32_e32 v0, v0, v130, vcc_lo
	v_cndmask_b32_e64 v120, v120, s0, vcc_lo
	s_add_i32 s0, s0, 1
	s_cmp_lg_u32 s7, s0
	s_cbranch_scc1 .LBB112_711
.LBB112_712:
	s_mov_b32 s0, exec_lo
	s_waitcnt lgkmcnt(0)
	v_cmpx_eq_f64_e32 0, v[0:1]
	s_xor_b32 s0, exec_lo, s0
; %bb.713:
	v_cmp_ne_u32_e32 vcc_lo, 0, v123
	v_cndmask_b32_e32 v123, 43, v123, vcc_lo
; %bb.714:
	s_andn2_saveexec_b32 s0, s0
	s_cbranch_execz .LBB112_716
; %bb.715:
	v_div_scale_f64 v[121:122], null, v[0:1], v[0:1], 1.0
	v_rcp_f64_e32 v[130:131], v[121:122]
	v_fma_f64 v[132:133], -v[121:122], v[130:131], 1.0
	v_fma_f64 v[130:131], v[130:131], v[132:133], v[130:131]
	v_fma_f64 v[132:133], -v[121:122], v[130:131], 1.0
	v_fma_f64 v[130:131], v[130:131], v[132:133], v[130:131]
	v_div_scale_f64 v[132:133], vcc_lo, 1.0, v[0:1], 1.0
	v_mul_f64 v[134:135], v[132:133], v[130:131]
	v_fma_f64 v[121:122], -v[121:122], v[134:135], v[132:133]
	v_div_fmas_f64 v[121:122], v[121:122], v[130:131], v[134:135]
	v_div_fixup_f64 v[0:1], v[121:122], v[0:1], 1.0
.LBB112_716:
	s_or_b32 exec_lo, exec_lo, s0
	s_mov_b32 s0, exec_lo
	v_cmpx_ne_u32_e64 v129, v120
	s_xor_b32 s0, exec_lo, s0
	s_cbranch_execz .LBB112_722
; %bb.717:
	s_mov_b32 s1, exec_lo
	v_cmpx_eq_u32_e32 42, v129
	s_cbranch_execz .LBB112_721
; %bb.718:
	v_cmp_ne_u32_e32 vcc_lo, 42, v120
	s_xor_b32 s2, s6, -1
	s_and_b32 s3, s2, vcc_lo
	s_and_saveexec_b32 s2, s3
	s_cbranch_execz .LBB112_720
; %bb.719:
	v_ashrrev_i32_e32 v121, 31, v120
	v_lshlrev_b64 v[121:122], 2, v[120:121]
	v_add_co_u32 v121, vcc_lo, v4, v121
	v_add_co_ci_u32_e64 v122, null, v5, v122, vcc_lo
	s_clause 0x1
	global_load_dword v128, v[121:122], off
	global_load_dword v129, v[4:5], off offset:168
	s_waitcnt vmcnt(1)
	global_store_dword v[4:5], v128, off offset:168
	s_waitcnt vmcnt(0)
	global_store_dword v[121:122], v129, off
.LBB112_720:
	s_or_b32 exec_lo, exec_lo, s2
	v_mov_b32_e32 v128, v120
	v_mov_b32_e32 v129, v120
.LBB112_721:
	s_or_b32 exec_lo, exec_lo, s1
.LBB112_722:
	s_andn2_saveexec_b32 s0, s0
	s_cbranch_execz .LBB112_724
; %bb.723:
	v_mov_b32_e32 v129, 42
	ds_write2_b64 v126, v[28:29], v[30:31] offset0:43 offset1:44
	ds_write2_b64 v126, v[24:25], v[26:27] offset0:45 offset1:46
	;; [unrolled: 1-line block ×7, first 2 shown]
.LBB112_724:
	s_or_b32 exec_lo, exec_lo, s0
	s_mov_b32 s0, exec_lo
	s_waitcnt lgkmcnt(0)
	s_waitcnt_vscnt null, 0x0
	s_barrier
	buffer_gl0_inv
	v_cmpx_lt_i32_e32 42, v129
	s_cbranch_execz .LBB112_726
; %bb.725:
	v_mul_f64 v[32:33], v[0:1], v[32:33]
	ds_read2_b64 v[130:133], v126 offset0:43 offset1:44
	ds_read2_b64 v[134:137], v126 offset0:45 offset1:46
	;; [unrolled: 1-line block ×7, first 2 shown]
	s_waitcnt lgkmcnt(6)
	v_fma_f64 v[28:29], -v[32:33], v[130:131], v[28:29]
	v_fma_f64 v[30:31], -v[32:33], v[132:133], v[30:31]
	s_waitcnt lgkmcnt(5)
	v_fma_f64 v[24:25], -v[32:33], v[134:135], v[24:25]
	v_fma_f64 v[26:27], -v[32:33], v[136:137], v[26:27]
	;; [unrolled: 3-line block ×7, first 2 shown]
.LBB112_726:
	s_or_b32 exec_lo, exec_lo, s0
	v_lshl_add_u32 v0, v129, 3, v126
	s_barrier
	buffer_gl0_inv
	v_mov_b32_e32 v120, 43
	ds_write_b64 v0, v[28:29]
	s_waitcnt lgkmcnt(0)
	s_barrier
	buffer_gl0_inv
	ds_read_b64 v[0:1], v126 offset:344
	s_cmp_lt_i32 s7, 45
	s_cbranch_scc1 .LBB112_729
; %bb.727:
	v_add3_u32 v121, v127, 0, 0x160
	v_mov_b32_e32 v120, 43
	s_mov_b32 s0, 44
.LBB112_728:                            ; =>This Inner Loop Header: Depth=1
	ds_read_b64 v[130:131], v121
	v_add_nc_u32_e32 v121, 8, v121
	s_waitcnt lgkmcnt(0)
	v_cmp_lt_f64_e64 vcc_lo, |v[0:1]|, |v[130:131]|
	v_cndmask_b32_e32 v1, v1, v131, vcc_lo
	v_cndmask_b32_e32 v0, v0, v130, vcc_lo
	v_cndmask_b32_e64 v120, v120, s0, vcc_lo
	s_add_i32 s0, s0, 1
	s_cmp_lg_u32 s7, s0
	s_cbranch_scc1 .LBB112_728
.LBB112_729:
	s_mov_b32 s0, exec_lo
	s_waitcnt lgkmcnt(0)
	v_cmpx_eq_f64_e32 0, v[0:1]
	s_xor_b32 s0, exec_lo, s0
; %bb.730:
	v_cmp_ne_u32_e32 vcc_lo, 0, v123
	v_cndmask_b32_e32 v123, 44, v123, vcc_lo
; %bb.731:
	s_andn2_saveexec_b32 s0, s0
	s_cbranch_execz .LBB112_733
; %bb.732:
	v_div_scale_f64 v[121:122], null, v[0:1], v[0:1], 1.0
	v_rcp_f64_e32 v[130:131], v[121:122]
	v_fma_f64 v[132:133], -v[121:122], v[130:131], 1.0
	v_fma_f64 v[130:131], v[130:131], v[132:133], v[130:131]
	v_fma_f64 v[132:133], -v[121:122], v[130:131], 1.0
	v_fma_f64 v[130:131], v[130:131], v[132:133], v[130:131]
	v_div_scale_f64 v[132:133], vcc_lo, 1.0, v[0:1], 1.0
	v_mul_f64 v[134:135], v[132:133], v[130:131]
	v_fma_f64 v[121:122], -v[121:122], v[134:135], v[132:133]
	v_div_fmas_f64 v[121:122], v[121:122], v[130:131], v[134:135]
	v_div_fixup_f64 v[0:1], v[121:122], v[0:1], 1.0
.LBB112_733:
	s_or_b32 exec_lo, exec_lo, s0
	s_mov_b32 s0, exec_lo
	v_cmpx_ne_u32_e64 v129, v120
	s_xor_b32 s0, exec_lo, s0
	s_cbranch_execz .LBB112_739
; %bb.734:
	s_mov_b32 s1, exec_lo
	v_cmpx_eq_u32_e32 43, v129
	s_cbranch_execz .LBB112_738
; %bb.735:
	v_cmp_ne_u32_e32 vcc_lo, 43, v120
	s_xor_b32 s2, s6, -1
	s_and_b32 s3, s2, vcc_lo
	s_and_saveexec_b32 s2, s3
	s_cbranch_execz .LBB112_737
; %bb.736:
	v_ashrrev_i32_e32 v121, 31, v120
	v_lshlrev_b64 v[121:122], 2, v[120:121]
	v_add_co_u32 v121, vcc_lo, v4, v121
	v_add_co_ci_u32_e64 v122, null, v5, v122, vcc_lo
	s_clause 0x1
	global_load_dword v128, v[121:122], off
	global_load_dword v129, v[4:5], off offset:172
	s_waitcnt vmcnt(1)
	global_store_dword v[4:5], v128, off offset:172
	s_waitcnt vmcnt(0)
	global_store_dword v[121:122], v129, off
.LBB112_737:
	s_or_b32 exec_lo, exec_lo, s2
	v_mov_b32_e32 v128, v120
	v_mov_b32_e32 v129, v120
.LBB112_738:
	s_or_b32 exec_lo, exec_lo, s1
.LBB112_739:
	s_andn2_saveexec_b32 s0, s0
	s_cbranch_execz .LBB112_741
; %bb.740:
	v_mov_b32_e32 v120, v30
	v_mov_b32_e32 v121, v31
	;; [unrolled: 1-line block ×8, first 2 shown]
	ds_write2_b64 v126, v[120:121], v[129:130] offset0:44 offset1:45
	ds_write2_b64 v126, v[131:132], v[133:134] offset0:46 offset1:47
	v_mov_b32_e32 v120, v20
	v_mov_b32_e32 v121, v21
	;; [unrolled: 1-line block ×8, first 2 shown]
	ds_write2_b64 v126, v[120:121], v[129:130] offset0:48 offset1:49
	v_mov_b32_e32 v129, 43
	v_mov_b32_e32 v135, v12
	;; [unrolled: 1-line block ×9, first 2 shown]
	ds_write2_b64 v126, v[131:132], v[133:134] offset0:50 offset1:51
	ds_write2_b64 v126, v[135:136], v[137:138] offset0:52 offset1:53
	;; [unrolled: 1-line block ×3, first 2 shown]
	ds_write_b64 v126, v[118:119] offset:448
.LBB112_741:
	s_or_b32 exec_lo, exec_lo, s0
	s_mov_b32 s0, exec_lo
	s_waitcnt lgkmcnt(0)
	s_waitcnt_vscnt null, 0x0
	s_barrier
	buffer_gl0_inv
	v_cmpx_lt_i32_e32 43, v129
	s_cbranch_execz .LBB112_743
; %bb.742:
	v_mul_f64 v[28:29], v[0:1], v[28:29]
	ds_read2_b64 v[130:133], v126 offset0:44 offset1:45
	ds_read2_b64 v[134:137], v126 offset0:46 offset1:47
	;; [unrolled: 1-line block ×6, first 2 shown]
	ds_read_b64 v[0:1], v126 offset:448
	s_waitcnt lgkmcnt(6)
	v_fma_f64 v[30:31], -v[28:29], v[130:131], v[30:31]
	v_fma_f64 v[24:25], -v[28:29], v[132:133], v[24:25]
	s_waitcnt lgkmcnt(5)
	v_fma_f64 v[26:27], -v[28:29], v[134:135], v[26:27]
	v_fma_f64 v[22:23], -v[28:29], v[136:137], v[22:23]
	;; [unrolled: 3-line block ×6, first 2 shown]
	s_waitcnt lgkmcnt(0)
	v_fma_f64 v[118:119], -v[28:29], v[0:1], v[118:119]
.LBB112_743:
	s_or_b32 exec_lo, exec_lo, s0
	v_lshl_add_u32 v0, v129, 3, v126
	s_barrier
	buffer_gl0_inv
	v_mov_b32_e32 v120, 44
	ds_write_b64 v0, v[30:31]
	s_waitcnt lgkmcnt(0)
	s_barrier
	buffer_gl0_inv
	ds_read_b64 v[0:1], v126 offset:352
	s_cmp_lt_i32 s7, 46
	s_cbranch_scc1 .LBB112_746
; %bb.744:
	v_add3_u32 v121, v127, 0, 0x168
	v_mov_b32_e32 v120, 44
	s_mov_b32 s0, 45
.LBB112_745:                            ; =>This Inner Loop Header: Depth=1
	ds_read_b64 v[130:131], v121
	v_add_nc_u32_e32 v121, 8, v121
	s_waitcnt lgkmcnt(0)
	v_cmp_lt_f64_e64 vcc_lo, |v[0:1]|, |v[130:131]|
	v_cndmask_b32_e32 v1, v1, v131, vcc_lo
	v_cndmask_b32_e32 v0, v0, v130, vcc_lo
	v_cndmask_b32_e64 v120, v120, s0, vcc_lo
	s_add_i32 s0, s0, 1
	s_cmp_lg_u32 s7, s0
	s_cbranch_scc1 .LBB112_745
.LBB112_746:
	s_mov_b32 s0, exec_lo
	s_waitcnt lgkmcnt(0)
	v_cmpx_eq_f64_e32 0, v[0:1]
	s_xor_b32 s0, exec_lo, s0
; %bb.747:
	v_cmp_ne_u32_e32 vcc_lo, 0, v123
	v_cndmask_b32_e32 v123, 45, v123, vcc_lo
; %bb.748:
	s_andn2_saveexec_b32 s0, s0
	s_cbranch_execz .LBB112_750
; %bb.749:
	v_div_scale_f64 v[121:122], null, v[0:1], v[0:1], 1.0
	v_rcp_f64_e32 v[130:131], v[121:122]
	v_fma_f64 v[132:133], -v[121:122], v[130:131], 1.0
	v_fma_f64 v[130:131], v[130:131], v[132:133], v[130:131]
	v_fma_f64 v[132:133], -v[121:122], v[130:131], 1.0
	v_fma_f64 v[130:131], v[130:131], v[132:133], v[130:131]
	v_div_scale_f64 v[132:133], vcc_lo, 1.0, v[0:1], 1.0
	v_mul_f64 v[134:135], v[132:133], v[130:131]
	v_fma_f64 v[121:122], -v[121:122], v[134:135], v[132:133]
	v_div_fmas_f64 v[121:122], v[121:122], v[130:131], v[134:135]
	v_div_fixup_f64 v[0:1], v[121:122], v[0:1], 1.0
.LBB112_750:
	s_or_b32 exec_lo, exec_lo, s0
	s_mov_b32 s0, exec_lo
	v_cmpx_ne_u32_e64 v129, v120
	s_xor_b32 s0, exec_lo, s0
	s_cbranch_execz .LBB112_756
; %bb.751:
	s_mov_b32 s1, exec_lo
	v_cmpx_eq_u32_e32 44, v129
	s_cbranch_execz .LBB112_755
; %bb.752:
	v_cmp_ne_u32_e32 vcc_lo, 44, v120
	s_xor_b32 s2, s6, -1
	s_and_b32 s3, s2, vcc_lo
	s_and_saveexec_b32 s2, s3
	s_cbranch_execz .LBB112_754
; %bb.753:
	v_ashrrev_i32_e32 v121, 31, v120
	v_lshlrev_b64 v[121:122], 2, v[120:121]
	v_add_co_u32 v121, vcc_lo, v4, v121
	v_add_co_ci_u32_e64 v122, null, v5, v122, vcc_lo
	s_clause 0x1
	global_load_dword v128, v[121:122], off
	global_load_dword v129, v[4:5], off offset:176
	s_waitcnt vmcnt(1)
	global_store_dword v[4:5], v128, off offset:176
	s_waitcnt vmcnt(0)
	global_store_dword v[121:122], v129, off
.LBB112_754:
	s_or_b32 exec_lo, exec_lo, s2
	v_mov_b32_e32 v128, v120
	v_mov_b32_e32 v129, v120
.LBB112_755:
	s_or_b32 exec_lo, exec_lo, s1
.LBB112_756:
	s_andn2_saveexec_b32 s0, s0
	s_cbranch_execz .LBB112_758
; %bb.757:
	v_mov_b32_e32 v129, 44
	ds_write2_b64 v126, v[24:25], v[26:27] offset0:45 offset1:46
	ds_write2_b64 v126, v[22:23], v[20:21] offset0:47 offset1:48
	;; [unrolled: 1-line block ×6, first 2 shown]
.LBB112_758:
	s_or_b32 exec_lo, exec_lo, s0
	s_mov_b32 s0, exec_lo
	s_waitcnt lgkmcnt(0)
	s_waitcnt_vscnt null, 0x0
	s_barrier
	buffer_gl0_inv
	v_cmpx_lt_i32_e32 44, v129
	s_cbranch_execz .LBB112_760
; %bb.759:
	v_mul_f64 v[30:31], v[0:1], v[30:31]
	ds_read2_b64 v[130:133], v126 offset0:45 offset1:46
	ds_read2_b64 v[134:137], v126 offset0:47 offset1:48
	;; [unrolled: 1-line block ×6, first 2 shown]
	s_waitcnt lgkmcnt(5)
	v_fma_f64 v[24:25], -v[30:31], v[130:131], v[24:25]
	v_fma_f64 v[26:27], -v[30:31], v[132:133], v[26:27]
	s_waitcnt lgkmcnt(4)
	v_fma_f64 v[22:23], -v[30:31], v[134:135], v[22:23]
	v_fma_f64 v[20:21], -v[30:31], v[136:137], v[20:21]
	;; [unrolled: 3-line block ×6, first 2 shown]
.LBB112_760:
	s_or_b32 exec_lo, exec_lo, s0
	v_lshl_add_u32 v0, v129, 3, v126
	s_barrier
	buffer_gl0_inv
	v_mov_b32_e32 v120, 45
	ds_write_b64 v0, v[24:25]
	s_waitcnt lgkmcnt(0)
	s_barrier
	buffer_gl0_inv
	ds_read_b64 v[0:1], v126 offset:360
	s_cmp_lt_i32 s7, 47
	s_cbranch_scc1 .LBB112_763
; %bb.761:
	v_add3_u32 v121, v127, 0, 0x170
	v_mov_b32_e32 v120, 45
	s_mov_b32 s0, 46
.LBB112_762:                            ; =>This Inner Loop Header: Depth=1
	ds_read_b64 v[130:131], v121
	v_add_nc_u32_e32 v121, 8, v121
	s_waitcnt lgkmcnt(0)
	v_cmp_lt_f64_e64 vcc_lo, |v[0:1]|, |v[130:131]|
	v_cndmask_b32_e32 v1, v1, v131, vcc_lo
	v_cndmask_b32_e32 v0, v0, v130, vcc_lo
	v_cndmask_b32_e64 v120, v120, s0, vcc_lo
	s_add_i32 s0, s0, 1
	s_cmp_lg_u32 s7, s0
	s_cbranch_scc1 .LBB112_762
.LBB112_763:
	s_mov_b32 s0, exec_lo
	s_waitcnt lgkmcnt(0)
	v_cmpx_eq_f64_e32 0, v[0:1]
	s_xor_b32 s0, exec_lo, s0
; %bb.764:
	v_cmp_ne_u32_e32 vcc_lo, 0, v123
	v_cndmask_b32_e32 v123, 46, v123, vcc_lo
; %bb.765:
	s_andn2_saveexec_b32 s0, s0
	s_cbranch_execz .LBB112_767
; %bb.766:
	v_div_scale_f64 v[121:122], null, v[0:1], v[0:1], 1.0
	v_rcp_f64_e32 v[130:131], v[121:122]
	v_fma_f64 v[132:133], -v[121:122], v[130:131], 1.0
	v_fma_f64 v[130:131], v[130:131], v[132:133], v[130:131]
	v_fma_f64 v[132:133], -v[121:122], v[130:131], 1.0
	v_fma_f64 v[130:131], v[130:131], v[132:133], v[130:131]
	v_div_scale_f64 v[132:133], vcc_lo, 1.0, v[0:1], 1.0
	v_mul_f64 v[134:135], v[132:133], v[130:131]
	v_fma_f64 v[121:122], -v[121:122], v[134:135], v[132:133]
	v_div_fmas_f64 v[121:122], v[121:122], v[130:131], v[134:135]
	v_div_fixup_f64 v[0:1], v[121:122], v[0:1], 1.0
.LBB112_767:
	s_or_b32 exec_lo, exec_lo, s0
	s_mov_b32 s0, exec_lo
	v_cmpx_ne_u32_e64 v129, v120
	s_xor_b32 s0, exec_lo, s0
	s_cbranch_execz .LBB112_773
; %bb.768:
	s_mov_b32 s1, exec_lo
	v_cmpx_eq_u32_e32 45, v129
	s_cbranch_execz .LBB112_772
; %bb.769:
	v_cmp_ne_u32_e32 vcc_lo, 45, v120
	s_xor_b32 s2, s6, -1
	s_and_b32 s3, s2, vcc_lo
	s_and_saveexec_b32 s2, s3
	s_cbranch_execz .LBB112_771
; %bb.770:
	v_ashrrev_i32_e32 v121, 31, v120
	v_lshlrev_b64 v[121:122], 2, v[120:121]
	v_add_co_u32 v121, vcc_lo, v4, v121
	v_add_co_ci_u32_e64 v122, null, v5, v122, vcc_lo
	s_clause 0x1
	global_load_dword v128, v[121:122], off
	global_load_dword v129, v[4:5], off offset:180
	s_waitcnt vmcnt(1)
	global_store_dword v[4:5], v128, off offset:180
	s_waitcnt vmcnt(0)
	global_store_dword v[121:122], v129, off
.LBB112_771:
	s_or_b32 exec_lo, exec_lo, s2
	v_mov_b32_e32 v128, v120
	v_mov_b32_e32 v129, v120
.LBB112_772:
	s_or_b32 exec_lo, exec_lo, s1
.LBB112_773:
	s_andn2_saveexec_b32 s0, s0
	s_cbranch_execz .LBB112_775
; %bb.774:
	v_mov_b32_e32 v120, v26
	v_mov_b32_e32 v121, v27
	;; [unrolled: 1-line block ×8, first 2 shown]
	ds_write2_b64 v126, v[120:121], v[129:130] offset0:46 offset1:47
	v_mov_b32_e32 v120, v18
	v_mov_b32_e32 v121, v19
	;; [unrolled: 1-line block ×13, first 2 shown]
	ds_write2_b64 v126, v[131:132], v[120:121] offset0:48 offset1:49
	ds_write2_b64 v126, v[133:134], v[135:136] offset0:50 offset1:51
	;; [unrolled: 1-line block ×4, first 2 shown]
	ds_write_b64 v126, v[118:119] offset:448
.LBB112_775:
	s_or_b32 exec_lo, exec_lo, s0
	s_mov_b32 s0, exec_lo
	s_waitcnt lgkmcnt(0)
	s_waitcnt_vscnt null, 0x0
	s_barrier
	buffer_gl0_inv
	v_cmpx_lt_i32_e32 45, v129
	s_cbranch_execz .LBB112_777
; %bb.776:
	v_mul_f64 v[24:25], v[0:1], v[24:25]
	ds_read2_b64 v[130:133], v126 offset0:46 offset1:47
	ds_read2_b64 v[134:137], v126 offset0:48 offset1:49
	ds_read2_b64 v[138:141], v126 offset0:50 offset1:51
	ds_read2_b64 v[142:145], v126 offset0:52 offset1:53
	ds_read2_b64 v[146:149], v126 offset0:54 offset1:55
	ds_read_b64 v[0:1], v126 offset:448
	s_waitcnt lgkmcnt(5)
	v_fma_f64 v[26:27], -v[24:25], v[130:131], v[26:27]
	v_fma_f64 v[22:23], -v[24:25], v[132:133], v[22:23]
	s_waitcnt lgkmcnt(4)
	v_fma_f64 v[20:21], -v[24:25], v[134:135], v[20:21]
	v_fma_f64 v[18:19], -v[24:25], v[136:137], v[18:19]
	s_waitcnt lgkmcnt(3)
	v_fma_f64 v[16:17], -v[24:25], v[138:139], v[16:17]
	v_fma_f64 v[14:15], -v[24:25], v[140:141], v[14:15]
	s_waitcnt lgkmcnt(2)
	v_fma_f64 v[12:13], -v[24:25], v[142:143], v[12:13]
	v_fma_f64 v[8:9], -v[24:25], v[144:145], v[8:9]
	s_waitcnt lgkmcnt(1)
	v_fma_f64 v[10:11], -v[24:25], v[146:147], v[10:11]
	v_fma_f64 v[6:7], -v[24:25], v[148:149], v[6:7]
	s_waitcnt lgkmcnt(0)
	v_fma_f64 v[118:119], -v[24:25], v[0:1], v[118:119]
.LBB112_777:
	s_or_b32 exec_lo, exec_lo, s0
	v_lshl_add_u32 v0, v129, 3, v126
	s_barrier
	buffer_gl0_inv
	v_mov_b32_e32 v120, 46
	ds_write_b64 v0, v[26:27]
	s_waitcnt lgkmcnt(0)
	s_barrier
	buffer_gl0_inv
	ds_read_b64 v[0:1], v126 offset:368
	s_cmp_lt_i32 s7, 48
	s_cbranch_scc1 .LBB112_780
; %bb.778:
	v_add3_u32 v121, v127, 0, 0x178
	v_mov_b32_e32 v120, 46
	s_mov_b32 s0, 47
.LBB112_779:                            ; =>This Inner Loop Header: Depth=1
	ds_read_b64 v[130:131], v121
	v_add_nc_u32_e32 v121, 8, v121
	s_waitcnt lgkmcnt(0)
	v_cmp_lt_f64_e64 vcc_lo, |v[0:1]|, |v[130:131]|
	v_cndmask_b32_e32 v1, v1, v131, vcc_lo
	v_cndmask_b32_e32 v0, v0, v130, vcc_lo
	v_cndmask_b32_e64 v120, v120, s0, vcc_lo
	s_add_i32 s0, s0, 1
	s_cmp_lg_u32 s7, s0
	s_cbranch_scc1 .LBB112_779
.LBB112_780:
	s_mov_b32 s0, exec_lo
	s_waitcnt lgkmcnt(0)
	v_cmpx_eq_f64_e32 0, v[0:1]
	s_xor_b32 s0, exec_lo, s0
; %bb.781:
	v_cmp_ne_u32_e32 vcc_lo, 0, v123
	v_cndmask_b32_e32 v123, 47, v123, vcc_lo
; %bb.782:
	s_andn2_saveexec_b32 s0, s0
	s_cbranch_execz .LBB112_784
; %bb.783:
	v_div_scale_f64 v[121:122], null, v[0:1], v[0:1], 1.0
	v_rcp_f64_e32 v[130:131], v[121:122]
	v_fma_f64 v[132:133], -v[121:122], v[130:131], 1.0
	v_fma_f64 v[130:131], v[130:131], v[132:133], v[130:131]
	v_fma_f64 v[132:133], -v[121:122], v[130:131], 1.0
	v_fma_f64 v[130:131], v[130:131], v[132:133], v[130:131]
	v_div_scale_f64 v[132:133], vcc_lo, 1.0, v[0:1], 1.0
	v_mul_f64 v[134:135], v[132:133], v[130:131]
	v_fma_f64 v[121:122], -v[121:122], v[134:135], v[132:133]
	v_div_fmas_f64 v[121:122], v[121:122], v[130:131], v[134:135]
	v_div_fixup_f64 v[0:1], v[121:122], v[0:1], 1.0
.LBB112_784:
	s_or_b32 exec_lo, exec_lo, s0
	s_mov_b32 s0, exec_lo
	v_cmpx_ne_u32_e64 v129, v120
	s_xor_b32 s0, exec_lo, s0
	s_cbranch_execz .LBB112_790
; %bb.785:
	s_mov_b32 s1, exec_lo
	v_cmpx_eq_u32_e32 46, v129
	s_cbranch_execz .LBB112_789
; %bb.786:
	v_cmp_ne_u32_e32 vcc_lo, 46, v120
	s_xor_b32 s2, s6, -1
	s_and_b32 s3, s2, vcc_lo
	s_and_saveexec_b32 s2, s3
	s_cbranch_execz .LBB112_788
; %bb.787:
	v_ashrrev_i32_e32 v121, 31, v120
	v_lshlrev_b64 v[121:122], 2, v[120:121]
	v_add_co_u32 v121, vcc_lo, v4, v121
	v_add_co_ci_u32_e64 v122, null, v5, v122, vcc_lo
	s_clause 0x1
	global_load_dword v128, v[121:122], off
	global_load_dword v129, v[4:5], off offset:184
	s_waitcnt vmcnt(1)
	global_store_dword v[4:5], v128, off offset:184
	s_waitcnt vmcnt(0)
	global_store_dword v[121:122], v129, off
.LBB112_788:
	s_or_b32 exec_lo, exec_lo, s2
	v_mov_b32_e32 v128, v120
	v_mov_b32_e32 v129, v120
.LBB112_789:
	s_or_b32 exec_lo, exec_lo, s1
.LBB112_790:
	s_andn2_saveexec_b32 s0, s0
	s_cbranch_execz .LBB112_792
; %bb.791:
	v_mov_b32_e32 v129, 46
	ds_write2_b64 v126, v[22:23], v[20:21] offset0:47 offset1:48
	ds_write2_b64 v126, v[18:19], v[16:17] offset0:49 offset1:50
	;; [unrolled: 1-line block ×5, first 2 shown]
.LBB112_792:
	s_or_b32 exec_lo, exec_lo, s0
	s_mov_b32 s0, exec_lo
	s_waitcnt lgkmcnt(0)
	s_waitcnt_vscnt null, 0x0
	s_barrier
	buffer_gl0_inv
	v_cmpx_lt_i32_e32 46, v129
	s_cbranch_execz .LBB112_794
; %bb.793:
	v_mul_f64 v[26:27], v[0:1], v[26:27]
	ds_read2_b64 v[130:133], v126 offset0:47 offset1:48
	ds_read2_b64 v[134:137], v126 offset0:49 offset1:50
	;; [unrolled: 1-line block ×5, first 2 shown]
	s_waitcnt lgkmcnt(4)
	v_fma_f64 v[22:23], -v[26:27], v[130:131], v[22:23]
	v_fma_f64 v[20:21], -v[26:27], v[132:133], v[20:21]
	s_waitcnt lgkmcnt(3)
	v_fma_f64 v[18:19], -v[26:27], v[134:135], v[18:19]
	v_fma_f64 v[16:17], -v[26:27], v[136:137], v[16:17]
	;; [unrolled: 3-line block ×5, first 2 shown]
.LBB112_794:
	s_or_b32 exec_lo, exec_lo, s0
	v_lshl_add_u32 v0, v129, 3, v126
	s_barrier
	buffer_gl0_inv
	v_mov_b32_e32 v120, 47
	ds_write_b64 v0, v[22:23]
	s_waitcnt lgkmcnt(0)
	s_barrier
	buffer_gl0_inv
	ds_read_b64 v[0:1], v126 offset:376
	s_cmp_lt_i32 s7, 49
	s_cbranch_scc1 .LBB112_797
; %bb.795:
	v_add3_u32 v121, v127, 0, 0x180
	v_mov_b32_e32 v120, 47
	s_mov_b32 s0, 48
.LBB112_796:                            ; =>This Inner Loop Header: Depth=1
	ds_read_b64 v[130:131], v121
	v_add_nc_u32_e32 v121, 8, v121
	s_waitcnt lgkmcnt(0)
	v_cmp_lt_f64_e64 vcc_lo, |v[0:1]|, |v[130:131]|
	v_cndmask_b32_e32 v1, v1, v131, vcc_lo
	v_cndmask_b32_e32 v0, v0, v130, vcc_lo
	v_cndmask_b32_e64 v120, v120, s0, vcc_lo
	s_add_i32 s0, s0, 1
	s_cmp_lg_u32 s7, s0
	s_cbranch_scc1 .LBB112_796
.LBB112_797:
	s_mov_b32 s0, exec_lo
	s_waitcnt lgkmcnt(0)
	v_cmpx_eq_f64_e32 0, v[0:1]
	s_xor_b32 s0, exec_lo, s0
; %bb.798:
	v_cmp_ne_u32_e32 vcc_lo, 0, v123
	v_cndmask_b32_e32 v123, 48, v123, vcc_lo
; %bb.799:
	s_andn2_saveexec_b32 s0, s0
	s_cbranch_execz .LBB112_801
; %bb.800:
	v_div_scale_f64 v[121:122], null, v[0:1], v[0:1], 1.0
	v_rcp_f64_e32 v[130:131], v[121:122]
	v_fma_f64 v[132:133], -v[121:122], v[130:131], 1.0
	v_fma_f64 v[130:131], v[130:131], v[132:133], v[130:131]
	v_fma_f64 v[132:133], -v[121:122], v[130:131], 1.0
	v_fma_f64 v[130:131], v[130:131], v[132:133], v[130:131]
	v_div_scale_f64 v[132:133], vcc_lo, 1.0, v[0:1], 1.0
	v_mul_f64 v[134:135], v[132:133], v[130:131]
	v_fma_f64 v[121:122], -v[121:122], v[134:135], v[132:133]
	v_div_fmas_f64 v[121:122], v[121:122], v[130:131], v[134:135]
	v_div_fixup_f64 v[0:1], v[121:122], v[0:1], 1.0
.LBB112_801:
	s_or_b32 exec_lo, exec_lo, s0
	s_mov_b32 s0, exec_lo
	v_cmpx_ne_u32_e64 v129, v120
	s_xor_b32 s0, exec_lo, s0
	s_cbranch_execz .LBB112_807
; %bb.802:
	s_mov_b32 s1, exec_lo
	v_cmpx_eq_u32_e32 47, v129
	s_cbranch_execz .LBB112_806
; %bb.803:
	v_cmp_ne_u32_e32 vcc_lo, 47, v120
	s_xor_b32 s2, s6, -1
	s_and_b32 s3, s2, vcc_lo
	s_and_saveexec_b32 s2, s3
	s_cbranch_execz .LBB112_805
; %bb.804:
	v_ashrrev_i32_e32 v121, 31, v120
	v_lshlrev_b64 v[121:122], 2, v[120:121]
	v_add_co_u32 v121, vcc_lo, v4, v121
	v_add_co_ci_u32_e64 v122, null, v5, v122, vcc_lo
	s_clause 0x1
	global_load_dword v128, v[121:122], off
	global_load_dword v129, v[4:5], off offset:188
	s_waitcnt vmcnt(1)
	global_store_dword v[4:5], v128, off offset:188
	s_waitcnt vmcnt(0)
	global_store_dword v[121:122], v129, off
.LBB112_805:
	s_or_b32 exec_lo, exec_lo, s2
	v_mov_b32_e32 v128, v120
	v_mov_b32_e32 v129, v120
.LBB112_806:
	s_or_b32 exec_lo, exec_lo, s1
.LBB112_807:
	s_andn2_saveexec_b32 s0, s0
	s_cbranch_execz .LBB112_809
; %bb.808:
	v_mov_b32_e32 v120, v20
	v_mov_b32_e32 v121, v21
	;; [unrolled: 1-line block ×8, first 2 shown]
	ds_write2_b64 v126, v[120:121], v[129:130] offset0:48 offset1:49
	v_mov_b32_e32 v129, 47
	v_mov_b32_e32 v135, v12
	;; [unrolled: 1-line block ×9, first 2 shown]
	ds_write2_b64 v126, v[131:132], v[133:134] offset0:50 offset1:51
	ds_write2_b64 v126, v[135:136], v[137:138] offset0:52 offset1:53
	ds_write2_b64 v126, v[139:140], v[141:142] offset0:54 offset1:55
	ds_write_b64 v126, v[118:119] offset:448
.LBB112_809:
	s_or_b32 exec_lo, exec_lo, s0
	s_mov_b32 s0, exec_lo
	s_waitcnt lgkmcnt(0)
	s_waitcnt_vscnt null, 0x0
	s_barrier
	buffer_gl0_inv
	v_cmpx_lt_i32_e32 47, v129
	s_cbranch_execz .LBB112_811
; %bb.810:
	v_mul_f64 v[22:23], v[0:1], v[22:23]
	ds_read2_b64 v[130:133], v126 offset0:48 offset1:49
	ds_read2_b64 v[134:137], v126 offset0:50 offset1:51
	;; [unrolled: 1-line block ×4, first 2 shown]
	ds_read_b64 v[0:1], v126 offset:448
	s_waitcnt lgkmcnt(4)
	v_fma_f64 v[20:21], -v[22:23], v[130:131], v[20:21]
	v_fma_f64 v[18:19], -v[22:23], v[132:133], v[18:19]
	s_waitcnt lgkmcnt(3)
	v_fma_f64 v[16:17], -v[22:23], v[134:135], v[16:17]
	v_fma_f64 v[14:15], -v[22:23], v[136:137], v[14:15]
	;; [unrolled: 3-line block ×4, first 2 shown]
	s_waitcnt lgkmcnt(0)
	v_fma_f64 v[118:119], -v[22:23], v[0:1], v[118:119]
.LBB112_811:
	s_or_b32 exec_lo, exec_lo, s0
	v_lshl_add_u32 v0, v129, 3, v126
	s_barrier
	buffer_gl0_inv
	v_mov_b32_e32 v120, 48
	ds_write_b64 v0, v[20:21]
	s_waitcnt lgkmcnt(0)
	s_barrier
	buffer_gl0_inv
	ds_read_b64 v[0:1], v126 offset:384
	s_cmp_lt_i32 s7, 50
	s_cbranch_scc1 .LBB112_814
; %bb.812:
	v_add3_u32 v121, v127, 0, 0x188
	v_mov_b32_e32 v120, 48
	s_mov_b32 s0, 49
.LBB112_813:                            ; =>This Inner Loop Header: Depth=1
	ds_read_b64 v[130:131], v121
	v_add_nc_u32_e32 v121, 8, v121
	s_waitcnt lgkmcnt(0)
	v_cmp_lt_f64_e64 vcc_lo, |v[0:1]|, |v[130:131]|
	v_cndmask_b32_e32 v1, v1, v131, vcc_lo
	v_cndmask_b32_e32 v0, v0, v130, vcc_lo
	v_cndmask_b32_e64 v120, v120, s0, vcc_lo
	s_add_i32 s0, s0, 1
	s_cmp_lg_u32 s7, s0
	s_cbranch_scc1 .LBB112_813
.LBB112_814:
	s_mov_b32 s0, exec_lo
	s_waitcnt lgkmcnt(0)
	v_cmpx_eq_f64_e32 0, v[0:1]
	s_xor_b32 s0, exec_lo, s0
; %bb.815:
	v_cmp_ne_u32_e32 vcc_lo, 0, v123
	v_cndmask_b32_e32 v123, 49, v123, vcc_lo
; %bb.816:
	s_andn2_saveexec_b32 s0, s0
	s_cbranch_execz .LBB112_818
; %bb.817:
	v_div_scale_f64 v[121:122], null, v[0:1], v[0:1], 1.0
	v_rcp_f64_e32 v[130:131], v[121:122]
	v_fma_f64 v[132:133], -v[121:122], v[130:131], 1.0
	v_fma_f64 v[130:131], v[130:131], v[132:133], v[130:131]
	v_fma_f64 v[132:133], -v[121:122], v[130:131], 1.0
	v_fma_f64 v[130:131], v[130:131], v[132:133], v[130:131]
	v_div_scale_f64 v[132:133], vcc_lo, 1.0, v[0:1], 1.0
	v_mul_f64 v[134:135], v[132:133], v[130:131]
	v_fma_f64 v[121:122], -v[121:122], v[134:135], v[132:133]
	v_div_fmas_f64 v[121:122], v[121:122], v[130:131], v[134:135]
	v_div_fixup_f64 v[0:1], v[121:122], v[0:1], 1.0
.LBB112_818:
	s_or_b32 exec_lo, exec_lo, s0
	s_mov_b32 s0, exec_lo
	v_cmpx_ne_u32_e64 v129, v120
	s_xor_b32 s0, exec_lo, s0
	s_cbranch_execz .LBB112_824
; %bb.819:
	s_mov_b32 s1, exec_lo
	v_cmpx_eq_u32_e32 48, v129
	s_cbranch_execz .LBB112_823
; %bb.820:
	v_cmp_ne_u32_e32 vcc_lo, 48, v120
	s_xor_b32 s2, s6, -1
	s_and_b32 s3, s2, vcc_lo
	s_and_saveexec_b32 s2, s3
	s_cbranch_execz .LBB112_822
; %bb.821:
	v_ashrrev_i32_e32 v121, 31, v120
	v_lshlrev_b64 v[121:122], 2, v[120:121]
	v_add_co_u32 v121, vcc_lo, v4, v121
	v_add_co_ci_u32_e64 v122, null, v5, v122, vcc_lo
	s_clause 0x1
	global_load_dword v128, v[121:122], off
	global_load_dword v129, v[4:5], off offset:192
	s_waitcnt vmcnt(1)
	global_store_dword v[4:5], v128, off offset:192
	s_waitcnt vmcnt(0)
	global_store_dword v[121:122], v129, off
.LBB112_822:
	s_or_b32 exec_lo, exec_lo, s2
	v_mov_b32_e32 v128, v120
	v_mov_b32_e32 v129, v120
.LBB112_823:
	s_or_b32 exec_lo, exec_lo, s1
.LBB112_824:
	s_andn2_saveexec_b32 s0, s0
	s_cbranch_execz .LBB112_826
; %bb.825:
	v_mov_b32_e32 v129, 48
	ds_write2_b64 v126, v[18:19], v[16:17] offset0:49 offset1:50
	ds_write2_b64 v126, v[14:15], v[12:13] offset0:51 offset1:52
	;; [unrolled: 1-line block ×4, first 2 shown]
.LBB112_826:
	s_or_b32 exec_lo, exec_lo, s0
	s_mov_b32 s0, exec_lo
	s_waitcnt lgkmcnt(0)
	s_waitcnt_vscnt null, 0x0
	s_barrier
	buffer_gl0_inv
	v_cmpx_lt_i32_e32 48, v129
	s_cbranch_execz .LBB112_828
; %bb.827:
	v_mul_f64 v[20:21], v[0:1], v[20:21]
	ds_read2_b64 v[130:133], v126 offset0:49 offset1:50
	ds_read2_b64 v[134:137], v126 offset0:51 offset1:52
	;; [unrolled: 1-line block ×4, first 2 shown]
	s_waitcnt lgkmcnt(3)
	v_fma_f64 v[18:19], -v[20:21], v[130:131], v[18:19]
	v_fma_f64 v[16:17], -v[20:21], v[132:133], v[16:17]
	s_waitcnt lgkmcnt(2)
	v_fma_f64 v[14:15], -v[20:21], v[134:135], v[14:15]
	v_fma_f64 v[12:13], -v[20:21], v[136:137], v[12:13]
	s_waitcnt lgkmcnt(1)
	v_fma_f64 v[8:9], -v[20:21], v[138:139], v[8:9]
	v_fma_f64 v[10:11], -v[20:21], v[140:141], v[10:11]
	s_waitcnt lgkmcnt(0)
	v_fma_f64 v[6:7], -v[20:21], v[142:143], v[6:7]
	v_fma_f64 v[118:119], -v[20:21], v[144:145], v[118:119]
.LBB112_828:
	s_or_b32 exec_lo, exec_lo, s0
	v_lshl_add_u32 v0, v129, 3, v126
	s_barrier
	buffer_gl0_inv
	v_mov_b32_e32 v120, 49
	ds_write_b64 v0, v[18:19]
	s_waitcnt lgkmcnt(0)
	s_barrier
	buffer_gl0_inv
	ds_read_b64 v[0:1], v126 offset:392
	s_cmp_lt_i32 s7, 51
	s_cbranch_scc1 .LBB112_831
; %bb.829:
	v_add3_u32 v121, v127, 0, 0x190
	v_mov_b32_e32 v120, 49
	s_mov_b32 s0, 50
.LBB112_830:                            ; =>This Inner Loop Header: Depth=1
	ds_read_b64 v[130:131], v121
	v_add_nc_u32_e32 v121, 8, v121
	s_waitcnt lgkmcnt(0)
	v_cmp_lt_f64_e64 vcc_lo, |v[0:1]|, |v[130:131]|
	v_cndmask_b32_e32 v1, v1, v131, vcc_lo
	v_cndmask_b32_e32 v0, v0, v130, vcc_lo
	v_cndmask_b32_e64 v120, v120, s0, vcc_lo
	s_add_i32 s0, s0, 1
	s_cmp_lg_u32 s7, s0
	s_cbranch_scc1 .LBB112_830
.LBB112_831:
	s_mov_b32 s0, exec_lo
	s_waitcnt lgkmcnt(0)
	v_cmpx_eq_f64_e32 0, v[0:1]
	s_xor_b32 s0, exec_lo, s0
; %bb.832:
	v_cmp_ne_u32_e32 vcc_lo, 0, v123
	v_cndmask_b32_e32 v123, 50, v123, vcc_lo
; %bb.833:
	s_andn2_saveexec_b32 s0, s0
	s_cbranch_execz .LBB112_835
; %bb.834:
	v_div_scale_f64 v[121:122], null, v[0:1], v[0:1], 1.0
	v_rcp_f64_e32 v[130:131], v[121:122]
	v_fma_f64 v[132:133], -v[121:122], v[130:131], 1.0
	v_fma_f64 v[130:131], v[130:131], v[132:133], v[130:131]
	v_fma_f64 v[132:133], -v[121:122], v[130:131], 1.0
	v_fma_f64 v[130:131], v[130:131], v[132:133], v[130:131]
	v_div_scale_f64 v[132:133], vcc_lo, 1.0, v[0:1], 1.0
	v_mul_f64 v[134:135], v[132:133], v[130:131]
	v_fma_f64 v[121:122], -v[121:122], v[134:135], v[132:133]
	v_div_fmas_f64 v[121:122], v[121:122], v[130:131], v[134:135]
	v_div_fixup_f64 v[0:1], v[121:122], v[0:1], 1.0
.LBB112_835:
	s_or_b32 exec_lo, exec_lo, s0
	s_mov_b32 s0, exec_lo
	v_cmpx_ne_u32_e64 v129, v120
	s_xor_b32 s0, exec_lo, s0
	s_cbranch_execz .LBB112_841
; %bb.836:
	s_mov_b32 s1, exec_lo
	v_cmpx_eq_u32_e32 49, v129
	s_cbranch_execz .LBB112_840
; %bb.837:
	v_cmp_ne_u32_e32 vcc_lo, 49, v120
	s_xor_b32 s2, s6, -1
	s_and_b32 s3, s2, vcc_lo
	s_and_saveexec_b32 s2, s3
	s_cbranch_execz .LBB112_839
; %bb.838:
	v_ashrrev_i32_e32 v121, 31, v120
	v_lshlrev_b64 v[121:122], 2, v[120:121]
	v_add_co_u32 v121, vcc_lo, v4, v121
	v_add_co_ci_u32_e64 v122, null, v5, v122, vcc_lo
	s_clause 0x1
	global_load_dword v128, v[121:122], off
	global_load_dword v129, v[4:5], off offset:196
	s_waitcnt vmcnt(1)
	global_store_dword v[4:5], v128, off offset:196
	s_waitcnt vmcnt(0)
	global_store_dword v[121:122], v129, off
.LBB112_839:
	s_or_b32 exec_lo, exec_lo, s2
	v_mov_b32_e32 v128, v120
	v_mov_b32_e32 v129, v120
.LBB112_840:
	s_or_b32 exec_lo, exec_lo, s1
.LBB112_841:
	s_andn2_saveexec_b32 s0, s0
	s_cbranch_execz .LBB112_843
; %bb.842:
	v_mov_b32_e32 v120, v16
	v_mov_b32_e32 v121, v17
	;; [unrolled: 1-line block ×13, first 2 shown]
	ds_write2_b64 v126, v[120:121], v[130:131] offset0:50 offset1:51
	ds_write2_b64 v126, v[132:133], v[134:135] offset0:52 offset1:53
	;; [unrolled: 1-line block ×3, first 2 shown]
	ds_write_b64 v126, v[118:119] offset:448
.LBB112_843:
	s_or_b32 exec_lo, exec_lo, s0
	s_mov_b32 s0, exec_lo
	s_waitcnt lgkmcnt(0)
	s_waitcnt_vscnt null, 0x0
	s_barrier
	buffer_gl0_inv
	v_cmpx_lt_i32_e32 49, v129
	s_cbranch_execz .LBB112_845
; %bb.844:
	v_mul_f64 v[18:19], v[0:1], v[18:19]
	ds_read2_b64 v[130:133], v126 offset0:50 offset1:51
	ds_read2_b64 v[134:137], v126 offset0:52 offset1:53
	;; [unrolled: 1-line block ×3, first 2 shown]
	ds_read_b64 v[0:1], v126 offset:448
	s_waitcnt lgkmcnt(3)
	v_fma_f64 v[16:17], -v[18:19], v[130:131], v[16:17]
	v_fma_f64 v[14:15], -v[18:19], v[132:133], v[14:15]
	s_waitcnt lgkmcnt(2)
	v_fma_f64 v[12:13], -v[18:19], v[134:135], v[12:13]
	v_fma_f64 v[8:9], -v[18:19], v[136:137], v[8:9]
	s_waitcnt lgkmcnt(1)
	v_fma_f64 v[10:11], -v[18:19], v[138:139], v[10:11]
	v_fma_f64 v[6:7], -v[18:19], v[140:141], v[6:7]
	s_waitcnt lgkmcnt(0)
	v_fma_f64 v[118:119], -v[18:19], v[0:1], v[118:119]
.LBB112_845:
	s_or_b32 exec_lo, exec_lo, s0
	v_lshl_add_u32 v0, v129, 3, v126
	s_barrier
	buffer_gl0_inv
	v_mov_b32_e32 v120, 50
	ds_write_b64 v0, v[16:17]
	s_waitcnt lgkmcnt(0)
	s_barrier
	buffer_gl0_inv
	ds_read_b64 v[0:1], v126 offset:400
	s_cmp_lt_i32 s7, 52
	s_cbranch_scc1 .LBB112_848
; %bb.846:
	v_add3_u32 v121, v127, 0, 0x198
	v_mov_b32_e32 v120, 50
	s_mov_b32 s0, 51
.LBB112_847:                            ; =>This Inner Loop Header: Depth=1
	ds_read_b64 v[130:131], v121
	v_add_nc_u32_e32 v121, 8, v121
	s_waitcnt lgkmcnt(0)
	v_cmp_lt_f64_e64 vcc_lo, |v[0:1]|, |v[130:131]|
	v_cndmask_b32_e32 v1, v1, v131, vcc_lo
	v_cndmask_b32_e32 v0, v0, v130, vcc_lo
	v_cndmask_b32_e64 v120, v120, s0, vcc_lo
	s_add_i32 s0, s0, 1
	s_cmp_lg_u32 s7, s0
	s_cbranch_scc1 .LBB112_847
.LBB112_848:
	s_mov_b32 s0, exec_lo
	s_waitcnt lgkmcnt(0)
	v_cmpx_eq_f64_e32 0, v[0:1]
	s_xor_b32 s0, exec_lo, s0
; %bb.849:
	v_cmp_ne_u32_e32 vcc_lo, 0, v123
	v_cndmask_b32_e32 v123, 51, v123, vcc_lo
; %bb.850:
	s_andn2_saveexec_b32 s0, s0
	s_cbranch_execz .LBB112_852
; %bb.851:
	v_div_scale_f64 v[121:122], null, v[0:1], v[0:1], 1.0
	v_rcp_f64_e32 v[130:131], v[121:122]
	v_fma_f64 v[132:133], -v[121:122], v[130:131], 1.0
	v_fma_f64 v[130:131], v[130:131], v[132:133], v[130:131]
	v_fma_f64 v[132:133], -v[121:122], v[130:131], 1.0
	v_fma_f64 v[130:131], v[130:131], v[132:133], v[130:131]
	v_div_scale_f64 v[132:133], vcc_lo, 1.0, v[0:1], 1.0
	v_mul_f64 v[134:135], v[132:133], v[130:131]
	v_fma_f64 v[121:122], -v[121:122], v[134:135], v[132:133]
	v_div_fmas_f64 v[121:122], v[121:122], v[130:131], v[134:135]
	v_div_fixup_f64 v[0:1], v[121:122], v[0:1], 1.0
.LBB112_852:
	s_or_b32 exec_lo, exec_lo, s0
	s_mov_b32 s0, exec_lo
	v_cmpx_ne_u32_e64 v129, v120
	s_xor_b32 s0, exec_lo, s0
	s_cbranch_execz .LBB112_858
; %bb.853:
	s_mov_b32 s1, exec_lo
	v_cmpx_eq_u32_e32 50, v129
	s_cbranch_execz .LBB112_857
; %bb.854:
	v_cmp_ne_u32_e32 vcc_lo, 50, v120
	s_xor_b32 s2, s6, -1
	s_and_b32 s3, s2, vcc_lo
	s_and_saveexec_b32 s2, s3
	s_cbranch_execz .LBB112_856
; %bb.855:
	v_ashrrev_i32_e32 v121, 31, v120
	v_lshlrev_b64 v[121:122], 2, v[120:121]
	v_add_co_u32 v121, vcc_lo, v4, v121
	v_add_co_ci_u32_e64 v122, null, v5, v122, vcc_lo
	s_clause 0x1
	global_load_dword v128, v[121:122], off
	global_load_dword v129, v[4:5], off offset:200
	s_waitcnt vmcnt(1)
	global_store_dword v[4:5], v128, off offset:200
	s_waitcnt vmcnt(0)
	global_store_dword v[121:122], v129, off
.LBB112_856:
	s_or_b32 exec_lo, exec_lo, s2
	v_mov_b32_e32 v128, v120
	v_mov_b32_e32 v129, v120
.LBB112_857:
	s_or_b32 exec_lo, exec_lo, s1
.LBB112_858:
	s_andn2_saveexec_b32 s0, s0
	s_cbranch_execz .LBB112_860
; %bb.859:
	v_mov_b32_e32 v129, 50
	ds_write2_b64 v126, v[14:15], v[12:13] offset0:51 offset1:52
	ds_write2_b64 v126, v[8:9], v[10:11] offset0:53 offset1:54
	;; [unrolled: 1-line block ×3, first 2 shown]
.LBB112_860:
	s_or_b32 exec_lo, exec_lo, s0
	s_mov_b32 s0, exec_lo
	s_waitcnt lgkmcnt(0)
	s_waitcnt_vscnt null, 0x0
	s_barrier
	buffer_gl0_inv
	v_cmpx_lt_i32_e32 50, v129
	s_cbranch_execz .LBB112_862
; %bb.861:
	v_mul_f64 v[16:17], v[0:1], v[16:17]
	ds_read2_b64 v[130:133], v126 offset0:51 offset1:52
	ds_read2_b64 v[134:137], v126 offset0:53 offset1:54
	;; [unrolled: 1-line block ×3, first 2 shown]
	s_waitcnt lgkmcnt(2)
	v_fma_f64 v[14:15], -v[16:17], v[130:131], v[14:15]
	v_fma_f64 v[12:13], -v[16:17], v[132:133], v[12:13]
	s_waitcnt lgkmcnt(1)
	v_fma_f64 v[8:9], -v[16:17], v[134:135], v[8:9]
	v_fma_f64 v[10:11], -v[16:17], v[136:137], v[10:11]
	;; [unrolled: 3-line block ×3, first 2 shown]
.LBB112_862:
	s_or_b32 exec_lo, exec_lo, s0
	v_lshl_add_u32 v0, v129, 3, v126
	s_barrier
	buffer_gl0_inv
	v_mov_b32_e32 v120, 51
	ds_write_b64 v0, v[14:15]
	s_waitcnt lgkmcnt(0)
	s_barrier
	buffer_gl0_inv
	ds_read_b64 v[0:1], v126 offset:408
	s_cmp_lt_i32 s7, 53
	s_cbranch_scc1 .LBB112_865
; %bb.863:
	v_add3_u32 v121, v127, 0, 0x1a0
	v_mov_b32_e32 v120, 51
	s_mov_b32 s0, 52
.LBB112_864:                            ; =>This Inner Loop Header: Depth=1
	ds_read_b64 v[130:131], v121
	v_add_nc_u32_e32 v121, 8, v121
	s_waitcnt lgkmcnt(0)
	v_cmp_lt_f64_e64 vcc_lo, |v[0:1]|, |v[130:131]|
	v_cndmask_b32_e32 v1, v1, v131, vcc_lo
	v_cndmask_b32_e32 v0, v0, v130, vcc_lo
	v_cndmask_b32_e64 v120, v120, s0, vcc_lo
	s_add_i32 s0, s0, 1
	s_cmp_lg_u32 s7, s0
	s_cbranch_scc1 .LBB112_864
.LBB112_865:
	s_mov_b32 s0, exec_lo
	s_waitcnt lgkmcnt(0)
	v_cmpx_eq_f64_e32 0, v[0:1]
	s_xor_b32 s0, exec_lo, s0
; %bb.866:
	v_cmp_ne_u32_e32 vcc_lo, 0, v123
	v_cndmask_b32_e32 v123, 52, v123, vcc_lo
; %bb.867:
	s_andn2_saveexec_b32 s0, s0
	s_cbranch_execz .LBB112_869
; %bb.868:
	v_div_scale_f64 v[121:122], null, v[0:1], v[0:1], 1.0
	v_rcp_f64_e32 v[130:131], v[121:122]
	v_fma_f64 v[132:133], -v[121:122], v[130:131], 1.0
	v_fma_f64 v[130:131], v[130:131], v[132:133], v[130:131]
	v_fma_f64 v[132:133], -v[121:122], v[130:131], 1.0
	v_fma_f64 v[130:131], v[130:131], v[132:133], v[130:131]
	v_div_scale_f64 v[132:133], vcc_lo, 1.0, v[0:1], 1.0
	v_mul_f64 v[134:135], v[132:133], v[130:131]
	v_fma_f64 v[121:122], -v[121:122], v[134:135], v[132:133]
	v_div_fmas_f64 v[121:122], v[121:122], v[130:131], v[134:135]
	v_div_fixup_f64 v[0:1], v[121:122], v[0:1], 1.0
.LBB112_869:
	s_or_b32 exec_lo, exec_lo, s0
	s_mov_b32 s0, exec_lo
	v_cmpx_ne_u32_e64 v129, v120
	s_xor_b32 s0, exec_lo, s0
	s_cbranch_execz .LBB112_875
; %bb.870:
	s_mov_b32 s1, exec_lo
	v_cmpx_eq_u32_e32 51, v129
	s_cbranch_execz .LBB112_874
; %bb.871:
	v_cmp_ne_u32_e32 vcc_lo, 51, v120
	s_xor_b32 s2, s6, -1
	s_and_b32 s3, s2, vcc_lo
	s_and_saveexec_b32 s2, s3
	s_cbranch_execz .LBB112_873
; %bb.872:
	v_ashrrev_i32_e32 v121, 31, v120
	v_lshlrev_b64 v[121:122], 2, v[120:121]
	v_add_co_u32 v121, vcc_lo, v4, v121
	v_add_co_ci_u32_e64 v122, null, v5, v122, vcc_lo
	s_clause 0x1
	global_load_dword v128, v[121:122], off
	global_load_dword v129, v[4:5], off offset:204
	s_waitcnt vmcnt(1)
	global_store_dword v[4:5], v128, off offset:204
	s_waitcnt vmcnt(0)
	global_store_dword v[121:122], v129, off
.LBB112_873:
	s_or_b32 exec_lo, exec_lo, s2
	v_mov_b32_e32 v128, v120
	v_mov_b32_e32 v129, v120
.LBB112_874:
	s_or_b32 exec_lo, exec_lo, s1
.LBB112_875:
	s_andn2_saveexec_b32 s0, s0
	s_cbranch_execz .LBB112_877
; %bb.876:
	v_mov_b32_e32 v120, v12
	v_mov_b32_e32 v121, v13
	;; [unrolled: 1-line block ×9, first 2 shown]
	ds_write2_b64 v126, v[120:121], v[130:131] offset0:52 offset1:53
	ds_write2_b64 v126, v[132:133], v[134:135] offset0:54 offset1:55
	ds_write_b64 v126, v[118:119] offset:448
.LBB112_877:
	s_or_b32 exec_lo, exec_lo, s0
	s_mov_b32 s0, exec_lo
	s_waitcnt lgkmcnt(0)
	s_waitcnt_vscnt null, 0x0
	s_barrier
	buffer_gl0_inv
	v_cmpx_lt_i32_e32 51, v129
	s_cbranch_execz .LBB112_879
; %bb.878:
	v_mul_f64 v[14:15], v[0:1], v[14:15]
	ds_read2_b64 v[130:133], v126 offset0:52 offset1:53
	ds_read2_b64 v[134:137], v126 offset0:54 offset1:55
	ds_read_b64 v[0:1], v126 offset:448
	s_waitcnt lgkmcnt(2)
	v_fma_f64 v[12:13], -v[14:15], v[130:131], v[12:13]
	v_fma_f64 v[8:9], -v[14:15], v[132:133], v[8:9]
	s_waitcnt lgkmcnt(1)
	v_fma_f64 v[10:11], -v[14:15], v[134:135], v[10:11]
	v_fma_f64 v[6:7], -v[14:15], v[136:137], v[6:7]
	s_waitcnt lgkmcnt(0)
	v_fma_f64 v[118:119], -v[14:15], v[0:1], v[118:119]
.LBB112_879:
	s_or_b32 exec_lo, exec_lo, s0
	v_lshl_add_u32 v0, v129, 3, v126
	s_barrier
	buffer_gl0_inv
	v_mov_b32_e32 v120, 52
	ds_write_b64 v0, v[12:13]
	s_waitcnt lgkmcnt(0)
	s_barrier
	buffer_gl0_inv
	ds_read_b64 v[0:1], v126 offset:416
	s_cmp_lt_i32 s7, 54
	s_cbranch_scc1 .LBB112_882
; %bb.880:
	v_add3_u32 v121, v127, 0, 0x1a8
	v_mov_b32_e32 v120, 52
	s_mov_b32 s0, 53
.LBB112_881:                            ; =>This Inner Loop Header: Depth=1
	ds_read_b64 v[130:131], v121
	v_add_nc_u32_e32 v121, 8, v121
	s_waitcnt lgkmcnt(0)
	v_cmp_lt_f64_e64 vcc_lo, |v[0:1]|, |v[130:131]|
	v_cndmask_b32_e32 v1, v1, v131, vcc_lo
	v_cndmask_b32_e32 v0, v0, v130, vcc_lo
	v_cndmask_b32_e64 v120, v120, s0, vcc_lo
	s_add_i32 s0, s0, 1
	s_cmp_lg_u32 s7, s0
	s_cbranch_scc1 .LBB112_881
.LBB112_882:
	s_mov_b32 s0, exec_lo
	s_waitcnt lgkmcnt(0)
	v_cmpx_eq_f64_e32 0, v[0:1]
	s_xor_b32 s0, exec_lo, s0
; %bb.883:
	v_cmp_ne_u32_e32 vcc_lo, 0, v123
	v_cndmask_b32_e32 v123, 53, v123, vcc_lo
; %bb.884:
	s_andn2_saveexec_b32 s0, s0
	s_cbranch_execz .LBB112_886
; %bb.885:
	v_div_scale_f64 v[121:122], null, v[0:1], v[0:1], 1.0
	v_rcp_f64_e32 v[130:131], v[121:122]
	v_fma_f64 v[132:133], -v[121:122], v[130:131], 1.0
	v_fma_f64 v[130:131], v[130:131], v[132:133], v[130:131]
	v_fma_f64 v[132:133], -v[121:122], v[130:131], 1.0
	v_fma_f64 v[130:131], v[130:131], v[132:133], v[130:131]
	v_div_scale_f64 v[132:133], vcc_lo, 1.0, v[0:1], 1.0
	v_mul_f64 v[134:135], v[132:133], v[130:131]
	v_fma_f64 v[121:122], -v[121:122], v[134:135], v[132:133]
	v_div_fmas_f64 v[121:122], v[121:122], v[130:131], v[134:135]
	v_div_fixup_f64 v[0:1], v[121:122], v[0:1], 1.0
.LBB112_886:
	s_or_b32 exec_lo, exec_lo, s0
	s_mov_b32 s0, exec_lo
	v_cmpx_ne_u32_e64 v129, v120
	s_xor_b32 s0, exec_lo, s0
	s_cbranch_execz .LBB112_892
; %bb.887:
	s_mov_b32 s1, exec_lo
	v_cmpx_eq_u32_e32 52, v129
	s_cbranch_execz .LBB112_891
; %bb.888:
	v_cmp_ne_u32_e32 vcc_lo, 52, v120
	s_xor_b32 s2, s6, -1
	s_and_b32 s3, s2, vcc_lo
	s_and_saveexec_b32 s2, s3
	s_cbranch_execz .LBB112_890
; %bb.889:
	v_ashrrev_i32_e32 v121, 31, v120
	v_lshlrev_b64 v[121:122], 2, v[120:121]
	v_add_co_u32 v121, vcc_lo, v4, v121
	v_add_co_ci_u32_e64 v122, null, v5, v122, vcc_lo
	s_clause 0x1
	global_load_dword v128, v[121:122], off
	global_load_dword v129, v[4:5], off offset:208
	s_waitcnt vmcnt(1)
	global_store_dword v[4:5], v128, off offset:208
	s_waitcnt vmcnt(0)
	global_store_dword v[121:122], v129, off
.LBB112_890:
	s_or_b32 exec_lo, exec_lo, s2
	v_mov_b32_e32 v128, v120
	v_mov_b32_e32 v129, v120
.LBB112_891:
	s_or_b32 exec_lo, exec_lo, s1
.LBB112_892:
	s_andn2_saveexec_b32 s0, s0
	s_cbranch_execz .LBB112_894
; %bb.893:
	v_mov_b32_e32 v129, 52
	ds_write2_b64 v126, v[8:9], v[10:11] offset0:53 offset1:54
	ds_write2_b64 v126, v[6:7], v[118:119] offset0:55 offset1:56
.LBB112_894:
	s_or_b32 exec_lo, exec_lo, s0
	s_mov_b32 s0, exec_lo
	s_waitcnt lgkmcnt(0)
	s_waitcnt_vscnt null, 0x0
	s_barrier
	buffer_gl0_inv
	v_cmpx_lt_i32_e32 52, v129
	s_cbranch_execz .LBB112_896
; %bb.895:
	v_mul_f64 v[12:13], v[0:1], v[12:13]
	ds_read2_b64 v[130:133], v126 offset0:53 offset1:54
	ds_read2_b64 v[134:137], v126 offset0:55 offset1:56
	s_waitcnt lgkmcnt(1)
	v_fma_f64 v[8:9], -v[12:13], v[130:131], v[8:9]
	v_fma_f64 v[10:11], -v[12:13], v[132:133], v[10:11]
	s_waitcnt lgkmcnt(0)
	v_fma_f64 v[6:7], -v[12:13], v[134:135], v[6:7]
	v_fma_f64 v[118:119], -v[12:13], v[136:137], v[118:119]
.LBB112_896:
	s_or_b32 exec_lo, exec_lo, s0
	v_lshl_add_u32 v0, v129, 3, v126
	s_barrier
	buffer_gl0_inv
	v_mov_b32_e32 v120, 53
	ds_write_b64 v0, v[8:9]
	s_waitcnt lgkmcnt(0)
	s_barrier
	buffer_gl0_inv
	ds_read_b64 v[0:1], v126 offset:424
	s_cmp_lt_i32 s7, 55
	s_cbranch_scc1 .LBB112_899
; %bb.897:
	v_add3_u32 v121, v127, 0, 0x1b0
	v_mov_b32_e32 v120, 53
	s_mov_b32 s0, 54
.LBB112_898:                            ; =>This Inner Loop Header: Depth=1
	ds_read_b64 v[130:131], v121
	v_add_nc_u32_e32 v121, 8, v121
	s_waitcnt lgkmcnt(0)
	v_cmp_lt_f64_e64 vcc_lo, |v[0:1]|, |v[130:131]|
	v_cndmask_b32_e32 v1, v1, v131, vcc_lo
	v_cndmask_b32_e32 v0, v0, v130, vcc_lo
	v_cndmask_b32_e64 v120, v120, s0, vcc_lo
	s_add_i32 s0, s0, 1
	s_cmp_lg_u32 s7, s0
	s_cbranch_scc1 .LBB112_898
.LBB112_899:
	s_mov_b32 s0, exec_lo
	s_waitcnt lgkmcnt(0)
	v_cmpx_eq_f64_e32 0, v[0:1]
	s_xor_b32 s0, exec_lo, s0
; %bb.900:
	v_cmp_ne_u32_e32 vcc_lo, 0, v123
	v_cndmask_b32_e32 v123, 54, v123, vcc_lo
; %bb.901:
	s_andn2_saveexec_b32 s0, s0
	s_cbranch_execz .LBB112_903
; %bb.902:
	v_div_scale_f64 v[121:122], null, v[0:1], v[0:1], 1.0
	v_rcp_f64_e32 v[130:131], v[121:122]
	v_fma_f64 v[132:133], -v[121:122], v[130:131], 1.0
	v_fma_f64 v[130:131], v[130:131], v[132:133], v[130:131]
	v_fma_f64 v[132:133], -v[121:122], v[130:131], 1.0
	v_fma_f64 v[130:131], v[130:131], v[132:133], v[130:131]
	v_div_scale_f64 v[132:133], vcc_lo, 1.0, v[0:1], 1.0
	v_mul_f64 v[134:135], v[132:133], v[130:131]
	v_fma_f64 v[121:122], -v[121:122], v[134:135], v[132:133]
	v_div_fmas_f64 v[121:122], v[121:122], v[130:131], v[134:135]
	v_div_fixup_f64 v[0:1], v[121:122], v[0:1], 1.0
.LBB112_903:
	s_or_b32 exec_lo, exec_lo, s0
	s_mov_b32 s0, exec_lo
	v_cmpx_ne_u32_e64 v129, v120
	s_xor_b32 s0, exec_lo, s0
	s_cbranch_execz .LBB112_909
; %bb.904:
	s_mov_b32 s1, exec_lo
	v_cmpx_eq_u32_e32 53, v129
	s_cbranch_execz .LBB112_908
; %bb.905:
	v_cmp_ne_u32_e32 vcc_lo, 53, v120
	s_xor_b32 s2, s6, -1
	s_and_b32 s3, s2, vcc_lo
	s_and_saveexec_b32 s2, s3
	s_cbranch_execz .LBB112_907
; %bb.906:
	v_ashrrev_i32_e32 v121, 31, v120
	v_lshlrev_b64 v[121:122], 2, v[120:121]
	v_add_co_u32 v121, vcc_lo, v4, v121
	v_add_co_ci_u32_e64 v122, null, v5, v122, vcc_lo
	s_clause 0x1
	global_load_dword v128, v[121:122], off
	global_load_dword v129, v[4:5], off offset:212
	s_waitcnt vmcnt(1)
	global_store_dword v[4:5], v128, off offset:212
	s_waitcnt vmcnt(0)
	global_store_dword v[121:122], v129, off
.LBB112_907:
	s_or_b32 exec_lo, exec_lo, s2
	v_mov_b32_e32 v128, v120
	v_mov_b32_e32 v129, v120
.LBB112_908:
	s_or_b32 exec_lo, exec_lo, s1
.LBB112_909:
	s_andn2_saveexec_b32 s0, s0
	s_cbranch_execz .LBB112_911
; %bb.910:
	v_mov_b32_e32 v120, v10
	v_mov_b32_e32 v121, v11
	;; [unrolled: 1-line block ×5, first 2 shown]
	ds_write2_b64 v126, v[120:121], v[130:131] offset0:54 offset1:55
	ds_write_b64 v126, v[118:119] offset:448
.LBB112_911:
	s_or_b32 exec_lo, exec_lo, s0
	s_mov_b32 s0, exec_lo
	s_waitcnt lgkmcnt(0)
	s_waitcnt_vscnt null, 0x0
	s_barrier
	buffer_gl0_inv
	v_cmpx_lt_i32_e32 53, v129
	s_cbranch_execz .LBB112_913
; %bb.912:
	v_mul_f64 v[8:9], v[0:1], v[8:9]
	ds_read2_b64 v[130:133], v126 offset0:54 offset1:55
	ds_read_b64 v[0:1], v126 offset:448
	s_waitcnt lgkmcnt(1)
	v_fma_f64 v[10:11], -v[8:9], v[130:131], v[10:11]
	v_fma_f64 v[6:7], -v[8:9], v[132:133], v[6:7]
	s_waitcnt lgkmcnt(0)
	v_fma_f64 v[118:119], -v[8:9], v[0:1], v[118:119]
.LBB112_913:
	s_or_b32 exec_lo, exec_lo, s0
	v_lshl_add_u32 v0, v129, 3, v126
	s_barrier
	buffer_gl0_inv
	v_mov_b32_e32 v120, 54
	ds_write_b64 v0, v[10:11]
	s_waitcnt lgkmcnt(0)
	s_barrier
	buffer_gl0_inv
	ds_read_b64 v[0:1], v126 offset:432
	s_cmp_lt_i32 s7, 56
	s_cbranch_scc1 .LBB112_916
; %bb.914:
	v_add3_u32 v121, v127, 0, 0x1b8
	v_mov_b32_e32 v120, 54
	s_mov_b32 s0, 55
.LBB112_915:                            ; =>This Inner Loop Header: Depth=1
	ds_read_b64 v[130:131], v121
	v_add_nc_u32_e32 v121, 8, v121
	s_waitcnt lgkmcnt(0)
	v_cmp_lt_f64_e64 vcc_lo, |v[0:1]|, |v[130:131]|
	v_cndmask_b32_e32 v1, v1, v131, vcc_lo
	v_cndmask_b32_e32 v0, v0, v130, vcc_lo
	v_cndmask_b32_e64 v120, v120, s0, vcc_lo
	s_add_i32 s0, s0, 1
	s_cmp_lg_u32 s7, s0
	s_cbranch_scc1 .LBB112_915
.LBB112_916:
	s_mov_b32 s0, exec_lo
	s_waitcnt lgkmcnt(0)
	v_cmpx_eq_f64_e32 0, v[0:1]
	s_xor_b32 s0, exec_lo, s0
; %bb.917:
	v_cmp_ne_u32_e32 vcc_lo, 0, v123
	v_cndmask_b32_e32 v123, 55, v123, vcc_lo
; %bb.918:
	s_andn2_saveexec_b32 s0, s0
	s_cbranch_execz .LBB112_920
; %bb.919:
	v_div_scale_f64 v[121:122], null, v[0:1], v[0:1], 1.0
	v_rcp_f64_e32 v[130:131], v[121:122]
	v_fma_f64 v[132:133], -v[121:122], v[130:131], 1.0
	v_fma_f64 v[130:131], v[130:131], v[132:133], v[130:131]
	v_fma_f64 v[132:133], -v[121:122], v[130:131], 1.0
	v_fma_f64 v[130:131], v[130:131], v[132:133], v[130:131]
	v_div_scale_f64 v[132:133], vcc_lo, 1.0, v[0:1], 1.0
	v_mul_f64 v[134:135], v[132:133], v[130:131]
	v_fma_f64 v[121:122], -v[121:122], v[134:135], v[132:133]
	v_div_fmas_f64 v[121:122], v[121:122], v[130:131], v[134:135]
	v_div_fixup_f64 v[0:1], v[121:122], v[0:1], 1.0
.LBB112_920:
	s_or_b32 exec_lo, exec_lo, s0
	s_mov_b32 s0, exec_lo
	v_cmpx_ne_u32_e64 v129, v120
	s_xor_b32 s0, exec_lo, s0
	s_cbranch_execz .LBB112_926
; %bb.921:
	s_mov_b32 s1, exec_lo
	v_cmpx_eq_u32_e32 54, v129
	s_cbranch_execz .LBB112_925
; %bb.922:
	v_cmp_ne_u32_e32 vcc_lo, 54, v120
	s_xor_b32 s2, s6, -1
	s_and_b32 s3, s2, vcc_lo
	s_and_saveexec_b32 s2, s3
	s_cbranch_execz .LBB112_924
; %bb.923:
	v_ashrrev_i32_e32 v121, 31, v120
	v_lshlrev_b64 v[121:122], 2, v[120:121]
	v_add_co_u32 v121, vcc_lo, v4, v121
	v_add_co_ci_u32_e64 v122, null, v5, v122, vcc_lo
	s_clause 0x1
	global_load_dword v128, v[121:122], off
	global_load_dword v129, v[4:5], off offset:216
	s_waitcnt vmcnt(1)
	global_store_dword v[4:5], v128, off offset:216
	s_waitcnt vmcnt(0)
	global_store_dword v[121:122], v129, off
.LBB112_924:
	s_or_b32 exec_lo, exec_lo, s2
	v_mov_b32_e32 v128, v120
	v_mov_b32_e32 v129, v120
.LBB112_925:
	s_or_b32 exec_lo, exec_lo, s1
.LBB112_926:
	s_andn2_saveexec_b32 s0, s0
; %bb.927:
	v_mov_b32_e32 v129, 54
	ds_write2_b64 v126, v[6:7], v[118:119] offset0:55 offset1:56
; %bb.928:
	s_or_b32 exec_lo, exec_lo, s0
	s_mov_b32 s0, exec_lo
	s_waitcnt lgkmcnt(0)
	s_waitcnt_vscnt null, 0x0
	s_barrier
	buffer_gl0_inv
	v_cmpx_lt_i32_e32 54, v129
	s_cbranch_execz .LBB112_930
; %bb.929:
	v_mul_f64 v[10:11], v[0:1], v[10:11]
	ds_read2_b64 v[130:133], v126 offset0:55 offset1:56
	s_waitcnt lgkmcnt(0)
	v_fma_f64 v[6:7], -v[10:11], v[130:131], v[6:7]
	v_fma_f64 v[118:119], -v[10:11], v[132:133], v[118:119]
.LBB112_930:
	s_or_b32 exec_lo, exec_lo, s0
	v_lshl_add_u32 v0, v129, 3, v126
	s_barrier
	buffer_gl0_inv
	v_mov_b32_e32 v120, 55
	ds_write_b64 v0, v[6:7]
	s_waitcnt lgkmcnt(0)
	s_barrier
	buffer_gl0_inv
	ds_read_b64 v[0:1], v126 offset:440
	s_cmp_lt_i32 s7, 57
	s_cbranch_scc1 .LBB112_933
; %bb.931:
	v_add3_u32 v121, v127, 0, 0x1c0
	v_mov_b32_e32 v120, 55
	s_mov_b32 s0, 56
.LBB112_932:                            ; =>This Inner Loop Header: Depth=1
	ds_read_b64 v[130:131], v121
	v_add_nc_u32_e32 v121, 8, v121
	s_waitcnt lgkmcnt(0)
	v_cmp_lt_f64_e64 vcc_lo, |v[0:1]|, |v[130:131]|
	v_cndmask_b32_e32 v1, v1, v131, vcc_lo
	v_cndmask_b32_e32 v0, v0, v130, vcc_lo
	v_cndmask_b32_e64 v120, v120, s0, vcc_lo
	s_add_i32 s0, s0, 1
	s_cmp_lg_u32 s7, s0
	s_cbranch_scc1 .LBB112_932
.LBB112_933:
	s_mov_b32 s0, exec_lo
	s_waitcnt lgkmcnt(0)
	v_cmpx_eq_f64_e32 0, v[0:1]
	s_xor_b32 s0, exec_lo, s0
; %bb.934:
	v_cmp_ne_u32_e32 vcc_lo, 0, v123
	v_cndmask_b32_e32 v123, 56, v123, vcc_lo
; %bb.935:
	s_andn2_saveexec_b32 s0, s0
	s_cbranch_execz .LBB112_937
; %bb.936:
	v_div_scale_f64 v[121:122], null, v[0:1], v[0:1], 1.0
	v_rcp_f64_e32 v[130:131], v[121:122]
	v_fma_f64 v[132:133], -v[121:122], v[130:131], 1.0
	v_fma_f64 v[130:131], v[130:131], v[132:133], v[130:131]
	v_fma_f64 v[132:133], -v[121:122], v[130:131], 1.0
	v_fma_f64 v[130:131], v[130:131], v[132:133], v[130:131]
	v_div_scale_f64 v[132:133], vcc_lo, 1.0, v[0:1], 1.0
	v_mul_f64 v[134:135], v[132:133], v[130:131]
	v_fma_f64 v[121:122], -v[121:122], v[134:135], v[132:133]
	v_div_fmas_f64 v[121:122], v[121:122], v[130:131], v[134:135]
	v_div_fixup_f64 v[0:1], v[121:122], v[0:1], 1.0
.LBB112_937:
	s_or_b32 exec_lo, exec_lo, s0
	s_mov_b32 s0, exec_lo
	v_cmpx_ne_u32_e64 v129, v120
	s_xor_b32 s0, exec_lo, s0
	s_cbranch_execz .LBB112_943
; %bb.938:
	s_mov_b32 s1, exec_lo
	v_cmpx_eq_u32_e32 55, v129
	s_cbranch_execz .LBB112_942
; %bb.939:
	v_cmp_ne_u32_e32 vcc_lo, 55, v120
	s_xor_b32 s2, s6, -1
	s_and_b32 s3, s2, vcc_lo
	s_and_saveexec_b32 s2, s3
	s_cbranch_execz .LBB112_941
; %bb.940:
	v_ashrrev_i32_e32 v121, 31, v120
	v_lshlrev_b64 v[121:122], 2, v[120:121]
	v_add_co_u32 v121, vcc_lo, v4, v121
	v_add_co_ci_u32_e64 v122, null, v5, v122, vcc_lo
	s_clause 0x1
	global_load_dword v128, v[121:122], off
	global_load_dword v129, v[4:5], off offset:220
	s_waitcnt vmcnt(1)
	global_store_dword v[4:5], v128, off offset:220
	s_waitcnt vmcnt(0)
	global_store_dword v[121:122], v129, off
.LBB112_941:
	s_or_b32 exec_lo, exec_lo, s2
	v_mov_b32_e32 v128, v120
	v_mov_b32_e32 v129, v120
.LBB112_942:
	s_or_b32 exec_lo, exec_lo, s1
.LBB112_943:
	s_andn2_saveexec_b32 s0, s0
; %bb.944:
	v_mov_b32_e32 v129, 55
	ds_write_b64 v126, v[118:119] offset:448
; %bb.945:
	s_or_b32 exec_lo, exec_lo, s0
	s_mov_b32 s0, exec_lo
	s_waitcnt lgkmcnt(0)
	s_waitcnt_vscnt null, 0x0
	s_barrier
	buffer_gl0_inv
	v_cmpx_lt_i32_e32 55, v129
	s_cbranch_execz .LBB112_947
; %bb.946:
	v_mul_f64 v[6:7], v[0:1], v[6:7]
	ds_read_b64 v[0:1], v126 offset:448
	s_waitcnt lgkmcnt(0)
	v_fma_f64 v[118:119], -v[6:7], v[0:1], v[118:119]
.LBB112_947:
	s_or_b32 exec_lo, exec_lo, s0
	v_lshl_add_u32 v0, v129, 3, v126
	s_barrier
	buffer_gl0_inv
	v_mov_b32_e32 v120, 56
	ds_write_b64 v0, v[118:119]
	s_waitcnt lgkmcnt(0)
	s_barrier
	buffer_gl0_inv
	ds_read_b64 v[0:1], v126 offset:448
	s_cmp_lt_i32 s7, 58
	s_cbranch_scc1 .LBB112_950
; %bb.948:
	v_add3_u32 v121, v127, 0, 0x1c8
	v_mov_b32_e32 v120, 56
	s_mov_b32 s0, 57
.LBB112_949:                            ; =>This Inner Loop Header: Depth=1
	ds_read_b64 v[126:127], v121
	v_add_nc_u32_e32 v121, 8, v121
	s_waitcnt lgkmcnt(0)
	v_cmp_lt_f64_e64 vcc_lo, |v[0:1]|, |v[126:127]|
	v_cndmask_b32_e32 v1, v1, v127, vcc_lo
	v_cndmask_b32_e32 v0, v0, v126, vcc_lo
	v_cndmask_b32_e64 v120, v120, s0, vcc_lo
	s_add_i32 s0, s0, 1
	s_cmp_lg_u32 s7, s0
	s_cbranch_scc1 .LBB112_949
.LBB112_950:
	s_mov_b32 s0, exec_lo
	s_waitcnt lgkmcnt(0)
	v_cmpx_eq_f64_e32 0, v[0:1]
	s_xor_b32 s0, exec_lo, s0
; %bb.951:
	v_cmp_ne_u32_e32 vcc_lo, 0, v123
	v_cndmask_b32_e32 v123, 57, v123, vcc_lo
; %bb.952:
	s_andn2_saveexec_b32 s0, s0
	s_cbranch_execz .LBB112_954
; %bb.953:
	v_div_scale_f64 v[121:122], null, v[0:1], v[0:1], 1.0
	v_rcp_f64_e32 v[126:127], v[121:122]
	v_fma_f64 v[130:131], -v[121:122], v[126:127], 1.0
	v_fma_f64 v[126:127], v[126:127], v[130:131], v[126:127]
	v_fma_f64 v[130:131], -v[121:122], v[126:127], 1.0
	v_fma_f64 v[126:127], v[126:127], v[130:131], v[126:127]
	v_div_scale_f64 v[130:131], vcc_lo, 1.0, v[0:1], 1.0
	v_mul_f64 v[132:133], v[130:131], v[126:127]
	v_fma_f64 v[121:122], -v[121:122], v[132:133], v[130:131]
	v_div_fmas_f64 v[121:122], v[121:122], v[126:127], v[132:133]
	v_div_fixup_f64 v[0:1], v[121:122], v[0:1], 1.0
.LBB112_954:
	s_or_b32 exec_lo, exec_lo, s0
	v_mov_b32_e32 v121, 56
	s_mov_b32 s0, exec_lo
	v_cmpx_ne_u32_e64 v129, v120
	s_cbranch_execz .LBB112_960
; %bb.955:
	s_mov_b32 s1, exec_lo
	v_cmpx_eq_u32_e32 56, v129
	s_cbranch_execz .LBB112_959
; %bb.956:
	v_cmp_ne_u32_e32 vcc_lo, 56, v120
	s_xor_b32 s2, s6, -1
	s_and_b32 s3, s2, vcc_lo
	s_and_saveexec_b32 s2, s3
	s_cbranch_execz .LBB112_958
; %bb.957:
	v_ashrrev_i32_e32 v121, 31, v120
	v_lshlrev_b64 v[121:122], 2, v[120:121]
	v_add_co_u32 v121, vcc_lo, v4, v121
	v_add_co_ci_u32_e64 v122, null, v5, v122, vcc_lo
	s_clause 0x1
	global_load_dword v126, v[121:122], off
	global_load_dword v127, v[4:5], off offset:224
	s_waitcnt vmcnt(1)
	global_store_dword v[4:5], v126, off offset:224
	s_waitcnt vmcnt(0)
	global_store_dword v[121:122], v127, off
.LBB112_958:
	s_or_b32 exec_lo, exec_lo, s2
	v_mov_b32_e32 v128, v120
	v_mov_b32_e32 v129, v120
.LBB112_959:
	s_or_b32 exec_lo, exec_lo, s1
	v_mov_b32_e32 v121, v129
.LBB112_960:
	s_or_b32 exec_lo, exec_lo, s0
	s_load_dwordx8 s[0:7], s[4:5], 0x28
	v_ashrrev_i32_e32 v122, 31, v121
	s_mov_b32 s9, exec_lo
	s_waitcnt lgkmcnt(0)
	s_waitcnt_vscnt null, 0x0
	s_barrier
	buffer_gl0_inv
	s_barrier
	buffer_gl0_inv
	v_cmpx_gt_i32_e32 57, v121
	s_cbranch_execz .LBB112_962
; %bb.961:
	v_mul_lo_u32 v120, s5, v2
	v_mul_lo_u32 v126, s4, v3
	v_mad_u64_u32 v[4:5], null, s4, v2, 0
	s_lshl_b64 s[2:3], s[2:3], 2
	v_add3_u32 v5, v5, v126, v120
	v_lshlrev_b64 v[4:5], 2, v[4:5]
	v_add_co_u32 v120, vcc_lo, s0, v4
	v_add_co_ci_u32_e64 v126, null, s1, v5, vcc_lo
	v_lshlrev_b64 v[4:5], 2, v[121:122]
	v_add_co_u32 v120, vcc_lo, v120, s2
	v_add_co_ci_u32_e64 v126, null, s3, v126, vcc_lo
	v_add_co_u32 v4, vcc_lo, v120, v4
	v_add_co_ci_u32_e64 v5, null, v126, v5, vcc_lo
	v_add3_u32 v120, v128, s13, 1
	global_store_dword v[4:5], v120, off
.LBB112_962:
	s_or_b32 exec_lo, exec_lo, s9
	s_mov_b32 s1, exec_lo
	v_cmpx_eq_u32_e32 0, v121
	s_cbranch_execz .LBB112_965
; %bb.963:
	v_lshlrev_b64 v[2:3], 2, v[2:3]
	v_cmp_ne_u32_e64 s0, 0, v123
	v_add_co_u32 v2, vcc_lo, s6, v2
	v_add_co_ci_u32_e64 v3, null, s7, v3, vcc_lo
	global_load_dword v4, v[2:3], off
	s_waitcnt vmcnt(0)
	v_cmp_eq_u32_e32 vcc_lo, 0, v4
	s_and_b32 s0, vcc_lo, s0
	s_and_b32 exec_lo, exec_lo, s0
	s_cbranch_execz .LBB112_965
; %bb.964:
	v_add_nc_u32_e32 v4, s13, v123
	global_store_dword v[2:3], v4, off
.LBB112_965:
	s_or_b32 exec_lo, exec_lo, s1
	v_mul_f64 v[0:1], v[0:1], v[118:119]
	v_add3_u32 v2, s8, s8, v121
	v_lshlrev_b64 v[4:5], 3, v[121:122]
	v_cmp_lt_i32_e32 vcc_lo, 56, v121
	v_add_nc_u32_e32 v120, s8, v2
	v_ashrrev_i32_e32 v3, 31, v2
	v_add_co_u32 v4, s0, v124, v4
	v_add_co_ci_u32_e64 v5, null, v125, v5, s0
	v_add_nc_u32_e32 v122, s8, v120
	v_ashrrev_i32_e32 v121, 31, v120
	v_add_co_u32 v126, s0, v4, s10
	v_add_co_ci_u32_e64 v127, null, s11, v5, s0
	v_ashrrev_i32_e32 v123, 31, v122
	v_lshlrev_b64 v[2:3], 3, v[2:3]
	flat_store_dwordx2 v[4:5], v[116:117]
	v_lshlrev_b64 v[4:5], 3, v[120:121]
	flat_store_dwordx2 v[126:127], v[114:115]
	v_lshlrev_b64 v[114:115], 3, v[122:123]
	v_cndmask_b32_e32 v1, v119, v1, vcc_lo
	v_cndmask_b32_e32 v0, v118, v0, vcc_lo
	v_add_co_u32 v2, vcc_lo, v124, v2
	v_add_nc_u32_e32 v116, s8, v122
	v_add_co_ci_u32_e64 v3, null, v125, v3, vcc_lo
	v_add_co_u32 v4, vcc_lo, v124, v4
	v_add_co_ci_u32_e64 v5, null, v125, v5, vcc_lo
	v_add_co_u32 v114, vcc_lo, v124, v114
	v_add_nc_u32_e32 v118, s8, v116
	v_add_co_ci_u32_e64 v115, null, v125, v115, vcc_lo
	v_ashrrev_i32_e32 v117, 31, v116
	flat_store_dwordx2 v[2:3], v[112:113]
	flat_store_dwordx2 v[4:5], v[108:109]
	flat_store_dwordx2 v[114:115], v[110:111]
	v_add_nc_u32_e32 v108, s8, v118
	v_ashrrev_i32_e32 v119, 31, v118
	v_lshlrev_b64 v[2:3], 3, v[116:117]
	v_add_nc_u32_e32 v110, s8, v108
	v_lshlrev_b64 v[4:5], 3, v[118:119]
	v_ashrrev_i32_e32 v109, 31, v108
	v_add_co_u32 v2, vcc_lo, v124, v2
	v_add_nc_u32_e32 v112, s8, v110
	v_add_co_ci_u32_e64 v3, null, v125, v3, vcc_lo
	v_add_co_u32 v4, vcc_lo, v124, v4
	v_ashrrev_i32_e32 v111, 31, v110
	v_add_co_ci_u32_e64 v5, null, v125, v5, vcc_lo
	v_ashrrev_i32_e32 v113, 31, v112
	v_lshlrev_b64 v[108:109], 3, v[108:109]
	flat_store_dwordx2 v[2:3], v[104:105]
	flat_store_dwordx2 v[4:5], v[106:107]
	v_lshlrev_b64 v[2:3], 3, v[110:111]
	v_add_nc_u32_e32 v106, s8, v112
	v_lshlrev_b64 v[104:105], 3, v[112:113]
	v_add_co_u32 v4, vcc_lo, v124, v108
	v_add_co_ci_u32_e64 v5, null, v125, v109, vcc_lo
	v_add_co_u32 v2, vcc_lo, v124, v2
	v_add_co_ci_u32_e64 v3, null, v125, v3, vcc_lo
	v_add_co_u32 v104, vcc_lo, v124, v104
	v_add_nc_u32_e32 v108, s8, v106
	v_add_co_ci_u32_e64 v105, null, v125, v105, vcc_lo
	v_ashrrev_i32_e32 v107, 31, v106
	flat_store_dwordx2 v[4:5], v[102:103]
	flat_store_dwordx2 v[2:3], v[100:101]
	flat_store_dwordx2 v[104:105], v[98:99]
	v_add_nc_u32_e32 v98, s8, v108
	v_ashrrev_i32_e32 v109, 31, v108
	v_lshlrev_b64 v[4:5], 3, v[106:107]
	v_add_nc_u32_e32 v100, s8, v98
	v_lshlrev_b64 v[2:3], 3, v[108:109]
	v_ashrrev_i32_e32 v99, 31, v98
	v_add_co_u32 v4, vcc_lo, v124, v4
	v_add_nc_u32_e32 v102, s8, v100
	v_add_co_ci_u32_e64 v5, null, v125, v5, vcc_lo
	v_add_co_u32 v2, vcc_lo, v124, v2
	v_ashrrev_i32_e32 v101, 31, v100
	v_add_co_ci_u32_e64 v3, null, v125, v3, vcc_lo
	v_ashrrev_i32_e32 v103, 31, v102
	v_lshlrev_b64 v[98:99], 3, v[98:99]
	flat_store_dwordx2 v[4:5], v[96:97]
	flat_store_dwordx2 v[2:3], v[94:95]
	v_lshlrev_b64 v[2:3], 3, v[100:101]
	v_add_nc_u32_e32 v96, s8, v102
	v_lshlrev_b64 v[94:95], 3, v[102:103]
	v_add_co_u32 v4, vcc_lo, v124, v98
	;; [unrolled: 30-line block ×9, first 2 shown]
	v_add_co_ci_u32_e64 v5, null, v125, v29, vcc_lo
	v_add_co_u32 v2, vcc_lo, v124, v2
	v_add_nc_u32_e32 v28, s8, v26
	v_add_co_ci_u32_e64 v3, null, v125, v3, vcc_lo
	v_add_co_u32 v24, vcc_lo, v124, v24
	v_ashrrev_i32_e32 v27, 31, v26
	v_add_co_ci_u32_e64 v25, null, v125, v25, vcc_lo
	v_ashrrev_i32_e32 v29, 31, v28
	flat_store_dwordx2 v[4:5], v[22:23]
	v_lshlrev_b64 v[4:5], 3, v[26:27]
	flat_store_dwordx2 v[2:3], v[20:21]
	flat_store_dwordx2 v[24:25], v[18:19]
	v_add_nc_u32_e32 v18, s8, v28
	v_lshlrev_b64 v[2:3], 3, v[28:29]
	v_add_co_u32 v4, vcc_lo, v124, v4
	v_add_nc_u32_e32 v20, s8, v18
	v_add_co_ci_u32_e64 v5, null, v125, v5, vcc_lo
	v_add_co_u32 v2, vcc_lo, v124, v2
	v_add_co_ci_u32_e64 v3, null, v125, v3, vcc_lo
	v_add_nc_u32_e32 v22, s8, v20
	v_ashrrev_i32_e32 v19, 31, v18
	flat_store_dwordx2 v[4:5], v[16:17]
	flat_store_dwordx2 v[2:3], v[14:15]
	v_ashrrev_i32_e32 v21, 31, v20
	v_add_nc_u32_e32 v14, s8, v22
	v_lshlrev_b64 v[4:5], 3, v[18:19]
	v_ashrrev_i32_e32 v23, 31, v22
	v_lshlrev_b64 v[2:3], 3, v[20:21]
	v_add_nc_u32_e32 v18, s8, v14
	v_ashrrev_i32_e32 v15, 31, v14
	v_lshlrev_b64 v[16:17], 3, v[22:23]
	v_add_co_u32 v4, vcc_lo, v124, v4
	v_ashrrev_i32_e32 v19, 31, v18
	v_lshlrev_b64 v[14:15], 3, v[14:15]
	v_add_co_ci_u32_e64 v5, null, v125, v5, vcc_lo
	v_add_co_u32 v2, vcc_lo, v124, v2
	v_lshlrev_b64 v[18:19], 3, v[18:19]
	v_add_co_ci_u32_e64 v3, null, v125, v3, vcc_lo
	v_add_co_u32 v16, vcc_lo, v124, v16
	v_add_co_ci_u32_e64 v17, null, v125, v17, vcc_lo
	v_add_co_u32 v14, vcc_lo, v124, v14
	;; [unrolled: 2-line block ×3, first 2 shown]
	v_add_co_ci_u32_e64 v19, null, v125, v19, vcc_lo
	flat_store_dwordx2 v[4:5], v[12:13]
	flat_store_dwordx2 v[2:3], v[8:9]
	;; [unrolled: 1-line block ×5, first 2 shown]
.LBB112_966:
	s_endpgm
	.section	.rodata,"a",@progbits
	.p2align	6, 0x0
	.amdhsa_kernel _ZN9rocsolver6v33100L18getf2_small_kernelILi57EdiiPKPdEEvT1_T3_lS5_lPS5_llPT2_S5_S5_S7_l
		.amdhsa_group_segment_fixed_size 0
		.amdhsa_private_segment_fixed_size 0
		.amdhsa_kernarg_size 352
		.amdhsa_user_sgpr_count 6
		.amdhsa_user_sgpr_private_segment_buffer 1
		.amdhsa_user_sgpr_dispatch_ptr 0
		.amdhsa_user_sgpr_queue_ptr 0
		.amdhsa_user_sgpr_kernarg_segment_ptr 1
		.amdhsa_user_sgpr_dispatch_id 0
		.amdhsa_user_sgpr_flat_scratch_init 0
		.amdhsa_user_sgpr_private_segment_size 0
		.amdhsa_wavefront_size32 1
		.amdhsa_uses_dynamic_stack 0
		.amdhsa_system_sgpr_private_segment_wavefront_offset 0
		.amdhsa_system_sgpr_workgroup_id_x 1
		.amdhsa_system_sgpr_workgroup_id_y 1
		.amdhsa_system_sgpr_workgroup_id_z 0
		.amdhsa_system_sgpr_workgroup_info 0
		.amdhsa_system_vgpr_workitem_id 1
		.amdhsa_next_free_vgpr 234
		.amdhsa_next_free_sgpr 14
		.amdhsa_reserve_vcc 1
		.amdhsa_reserve_flat_scratch 1
		.amdhsa_float_round_mode_32 0
		.amdhsa_float_round_mode_16_64 0
		.amdhsa_float_denorm_mode_32 3
		.amdhsa_float_denorm_mode_16_64 3
		.amdhsa_dx10_clamp 1
		.amdhsa_ieee_mode 1
		.amdhsa_fp16_overflow 0
		.amdhsa_workgroup_processor_mode 1
		.amdhsa_memory_ordered 1
		.amdhsa_forward_progress 1
		.amdhsa_shared_vgpr_count 0
		.amdhsa_exception_fp_ieee_invalid_op 0
		.amdhsa_exception_fp_denorm_src 0
		.amdhsa_exception_fp_ieee_div_zero 0
		.amdhsa_exception_fp_ieee_overflow 0
		.amdhsa_exception_fp_ieee_underflow 0
		.amdhsa_exception_fp_ieee_inexact 0
		.amdhsa_exception_int_div_zero 0
	.end_amdhsa_kernel
	.section	.text._ZN9rocsolver6v33100L18getf2_small_kernelILi57EdiiPKPdEEvT1_T3_lS5_lPS5_llPT2_S5_S5_S7_l,"axG",@progbits,_ZN9rocsolver6v33100L18getf2_small_kernelILi57EdiiPKPdEEvT1_T3_lS5_lPS5_llPT2_S5_S5_S7_l,comdat
.Lfunc_end112:
	.size	_ZN9rocsolver6v33100L18getf2_small_kernelILi57EdiiPKPdEEvT1_T3_lS5_lPS5_llPT2_S5_S5_S7_l, .Lfunc_end112-_ZN9rocsolver6v33100L18getf2_small_kernelILi57EdiiPKPdEEvT1_T3_lS5_lPS5_llPT2_S5_S5_S7_l
                                        ; -- End function
	.set _ZN9rocsolver6v33100L18getf2_small_kernelILi57EdiiPKPdEEvT1_T3_lS5_lPS5_llPT2_S5_S5_S7_l.num_vgpr, 234
	.set _ZN9rocsolver6v33100L18getf2_small_kernelILi57EdiiPKPdEEvT1_T3_lS5_lPS5_llPT2_S5_S5_S7_l.num_agpr, 0
	.set _ZN9rocsolver6v33100L18getf2_small_kernelILi57EdiiPKPdEEvT1_T3_lS5_lPS5_llPT2_S5_S5_S7_l.numbered_sgpr, 14
	.set _ZN9rocsolver6v33100L18getf2_small_kernelILi57EdiiPKPdEEvT1_T3_lS5_lPS5_llPT2_S5_S5_S7_l.num_named_barrier, 0
	.set _ZN9rocsolver6v33100L18getf2_small_kernelILi57EdiiPKPdEEvT1_T3_lS5_lPS5_llPT2_S5_S5_S7_l.private_seg_size, 0
	.set _ZN9rocsolver6v33100L18getf2_small_kernelILi57EdiiPKPdEEvT1_T3_lS5_lPS5_llPT2_S5_S5_S7_l.uses_vcc, 1
	.set _ZN9rocsolver6v33100L18getf2_small_kernelILi57EdiiPKPdEEvT1_T3_lS5_lPS5_llPT2_S5_S5_S7_l.uses_flat_scratch, 1
	.set _ZN9rocsolver6v33100L18getf2_small_kernelILi57EdiiPKPdEEvT1_T3_lS5_lPS5_llPT2_S5_S5_S7_l.has_dyn_sized_stack, 0
	.set _ZN9rocsolver6v33100L18getf2_small_kernelILi57EdiiPKPdEEvT1_T3_lS5_lPS5_llPT2_S5_S5_S7_l.has_recursion, 0
	.set _ZN9rocsolver6v33100L18getf2_small_kernelILi57EdiiPKPdEEvT1_T3_lS5_lPS5_llPT2_S5_S5_S7_l.has_indirect_call, 0
	.section	.AMDGPU.csdata,"",@progbits
; Kernel info:
; codeLenInByte = 65948
; TotalNumSgprs: 16
; NumVgprs: 234
; ScratchSize: 0
; MemoryBound: 0
; FloatMode: 240
; IeeeMode: 1
; LDSByteSize: 0 bytes/workgroup (compile time only)
; SGPRBlocks: 0
; VGPRBlocks: 29
; NumSGPRsForWavesPerEU: 16
; NumVGPRsForWavesPerEU: 234
; Occupancy: 4
; WaveLimiterHint : 1
; COMPUTE_PGM_RSRC2:SCRATCH_EN: 0
; COMPUTE_PGM_RSRC2:USER_SGPR: 6
; COMPUTE_PGM_RSRC2:TRAP_HANDLER: 0
; COMPUTE_PGM_RSRC2:TGID_X_EN: 1
; COMPUTE_PGM_RSRC2:TGID_Y_EN: 1
; COMPUTE_PGM_RSRC2:TGID_Z_EN: 0
; COMPUTE_PGM_RSRC2:TIDIG_COMP_CNT: 1
	.section	.text._ZN9rocsolver6v33100L23getf2_npvt_small_kernelILi57EdiiPKPdEEvT1_T3_lS5_lPT2_S5_S5_,"axG",@progbits,_ZN9rocsolver6v33100L23getf2_npvt_small_kernelILi57EdiiPKPdEEvT1_T3_lS5_lPT2_S5_S5_,comdat
	.globl	_ZN9rocsolver6v33100L23getf2_npvt_small_kernelILi57EdiiPKPdEEvT1_T3_lS5_lPT2_S5_S5_ ; -- Begin function _ZN9rocsolver6v33100L23getf2_npvt_small_kernelILi57EdiiPKPdEEvT1_T3_lS5_lPT2_S5_S5_
	.p2align	8
	.type	_ZN9rocsolver6v33100L23getf2_npvt_small_kernelILi57EdiiPKPdEEvT1_T3_lS5_lPT2_S5_S5_,@function
_ZN9rocsolver6v33100L23getf2_npvt_small_kernelILi57EdiiPKPdEEvT1_T3_lS5_lPT2_S5_S5_: ; @_ZN9rocsolver6v33100L23getf2_npvt_small_kernelILi57EdiiPKPdEEvT1_T3_lS5_lPT2_S5_S5_
; %bb.0:
	s_mov_b64 s[14:15], s[2:3]
	s_mov_b64 s[12:13], s[0:1]
	s_add_u32 s12, s12, s8
	s_clause 0x1
	s_load_dword s0, s[4:5], 0x44
	s_load_dwordx2 s[8:9], s[4:5], 0x30
	s_addc_u32 s13, s13, 0
	s_waitcnt lgkmcnt(0)
	s_lshr_b32 s10, s0, 16
	s_mov_b32 s0, exec_lo
	v_mad_u64_u32 v[2:3], null, s7, s10, v[1:2]
	v_cmpx_gt_i32_e64 s8, v2
	s_cbranch_execz .LBB113_288
; %bb.1:
	s_clause 0x1
	s_load_dwordx4 s[0:3], s[4:5], 0x8
	s_load_dword s6, s[4:5], 0x18
	v_ashrrev_i32_e32 v3, 31, v2
	s_mulk_i32 s10, 0x1c8
	v_lshlrev_b64 v[4:5], 3, v[2:3]
	s_waitcnt lgkmcnt(0)
	v_add_co_u32 v4, vcc_lo, s0, v4
	v_add_co_ci_u32_e64 v5, null, s1, v5, vcc_lo
	v_add3_u32 v6, s6, s6, v0
	s_lshl_b64 s[0:1], s[2:3], 3
	s_ashr_i32 s7, s6, 31
	global_load_dwordx2 v[4:5], v[4:5], off
	v_add_nc_u32_e32 v8, s6, v6
	v_ashrrev_i32_e32 v7, 31, v6
	v_add_nc_u32_e32 v10, s6, v8
	v_ashrrev_i32_e32 v9, 31, v8
	v_lshlrev_b64 v[6:7], 3, v[6:7]
	v_add_nc_u32_e32 v12, s6, v10
	v_ashrrev_i32_e32 v11, 31, v10
	v_lshlrev_b64 v[8:9], 3, v[8:9]
	;; [unrolled: 3-line block ×48, first 2 shown]
	v_ashrrev_i32_e32 v105, 31, v104
	v_lshlrev_b64 v[102:103], 3, v[102:103]
	s_waitcnt vmcnt(0)
	v_add_co_u32 v112, vcc_lo, v4, s0
	v_add_co_ci_u32_e64 v113, null, s1, v5, vcc_lo
	s_lshl_b64 s[0:1], s[6:7], 3
	v_add_co_u32 v4, vcc_lo, v112, v6
	v_add_co_ci_u32_e64 v5, null, v113, v7, vcc_lo
	v_add_co_u32 v6, vcc_lo, v112, v8
	v_add_co_ci_u32_e64 v7, null, v113, v9, vcc_lo
	;; [unrolled: 2-line block ×26, first 2 shown]
	v_add_co_u32 v108, vcc_lo, v112, v58
	v_mov_b32_e32 v119, v9
	v_add_co_ci_u32_e64 v109, null, v113, v59, vcc_lo
	v_mov_b32_e32 v118, v8
	v_add_co_u32 v8, vcc_lo, v112, v60
	v_add_co_ci_u32_e64 v9, null, v113, v61, vcc_lo
	v_add_co_u32 v56, vcc_lo, v112, v62
	v_mov_b32_e32 v62, v13
	v_add_co_ci_u32_e64 v57, null, v113, v63, vcc_lo
	v_mov_b32_e32 v61, v12
	v_add_co_u32 v12, vcc_lo, v112, v64
	v_add_co_ci_u32_e64 v13, null, v113, v65, vcc_lo
	v_add_co_u32 v110, vcc_lo, v112, v66
	v_add_co_ci_u32_e64 v111, null, v113, v67, vcc_lo
	;; [unrolled: 2-line block ×8, first 2 shown]
	v_add_co_u32 v130, vcc_lo, v112, v80
	v_mov_b32_e32 v64, v15
	v_mov_b32_e32 v63, v14
	v_add_co_ci_u32_e64 v131, null, v113, v81, vcc_lo
	v_add_co_u32 v14, vcc_lo, v112, v82
	v_mov_b32_e32 v66, v17
	v_mov_b32_e32 v65, v16
	v_add_co_ci_u32_e64 v15, null, v113, v83, vcc_lo
	;; [unrolled: 4-line block ×6, first 2 shown]
	v_add_co_u32 v24, vcc_lo, v112, v92
	v_mov_b32_e32 v115, v5
	v_mov_b32_e32 v76, v27
	;; [unrolled: 1-line block ×4, first 2 shown]
	v_add_co_ci_u32_e64 v25, null, v113, v93, vcc_lo
	v_add_co_u32 v26, vcc_lo, v112, v94
	v_add_nc_u32_e32 v4, s6, v104
	v_mov_b32_e32 v78, v29
	v_mov_b32_e32 v77, v28
	v_add_co_ci_u32_e64 v27, null, v113, v95, vcc_lo
	v_add_co_u32 v28, vcc_lo, v112, v96
	v_mov_b32_e32 v80, v31
	v_mov_b32_e32 v79, v30
	v_add_co_ci_u32_e64 v29, null, v113, v97, vcc_lo
	v_add_co_u32 v30, vcc_lo, v112, v98
	v_mov_b32_e32 v98, v9
	v_mov_b32_e32 v97, v8
	v_add_nc_u32_e32 v8, s6, v4
	v_mov_b32_e32 v55, v7
	v_mov_b32_e32 v54, v6
	v_lshlrev_b64 v[6:7], 3, v[104:105]
	v_mov_b32_e32 v82, v33
	v_mov_b32_e32 v60, v11
	v_mov_b32_e32 v81, v32
	v_add_co_ci_u32_e64 v31, null, v113, v99, vcc_lo
	v_add_co_u32 v32, vcc_lo, v112, v100
	v_mov_b32_e32 v59, v10
	v_mov_b32_e32 v84, v35
	v_ashrrev_i32_e32 v5, 31, v4
	v_ashrrev_i32_e32 v9, 31, v8
	v_add_nc_u32_e32 v10, s6, v8
	v_mov_b32_e32 v83, v34
	v_add_co_ci_u32_e64 v33, null, v113, v101, vcc_lo
	v_add_co_u32 v34, vcc_lo, v112, v102
	v_mov_b32_e32 v86, v37
	v_mov_b32_e32 v85, v36
	v_add_co_ci_u32_e64 v35, null, v113, v103, vcc_lo
	v_add_co_u32 v36, vcc_lo, v112, v6
	v_lshlrev_b64 v[4:5], 3, v[4:5]
	v_add_co_ci_u32_e64 v37, null, v113, v7, vcc_lo
	v_lshlrev_b64 v[6:7], 3, v[8:9]
	v_add_nc_u32_e32 v8, s6, v10
	v_mov_b32_e32 v88, v39
	v_ashrrev_i32_e32 v11, 31, v10
	v_mov_b32_e32 v87, v38
	v_add_co_u32 v38, vcc_lo, v112, v4
	v_ashrrev_i32_e32 v9, 31, v8
	v_mov_b32_e32 v90, v41
	v_mov_b32_e32 v89, v40
	v_add_co_ci_u32_e64 v39, null, v113, v5, vcc_lo
	v_add_co_u32 v40, vcc_lo, v112, v6
	v_lshlrev_b64 v[4:5], 3, v[10:11]
	v_add_co_ci_u32_e64 v41, null, v113, v7, vcc_lo
	v_lshlrev_b64 v[6:7], 3, v[8:9]
	v_add_nc_u32_e32 v8, s6, v8
	v_mov_b32_e32 v92, v43
	v_lshlrev_b32_e32 v10, 3, v0
	v_mov_b32_e32 v91, v42
	v_add_co_u32 v42, vcc_lo, v112, v4
	v_ashrrev_i32_e32 v9, 31, v8
	v_add_co_ci_u32_e64 v43, null, v113, v5, vcc_lo
	v_add_co_u32 v6, vcc_lo, v112, v6
	v_add_co_ci_u32_e64 v7, null, v113, v7, vcc_lo
	v_lshlrev_b64 v[4:5], 3, v[8:9]
	v_add_co_u32 v8, vcc_lo, v112, v10
	v_add_co_ci_u32_e64 v9, null, 0, v113, vcc_lo
	v_mov_b32_e32 v93, v106
	v_add_co_u32 v10, vcc_lo, v8, s0
	v_add_co_ci_u32_e64 v11, null, s1, v9, vcc_lo
	buffer_store_dword v8, off, s[12:15], 0 offset:152 ; 4-byte Folded Spill
	buffer_store_dword v9, off, s[12:15], 0 offset:156 ; 4-byte Folded Spill
	v_mov_b32_e32 v94, v107
	v_mov_b32_e32 v95, v108
	;; [unrolled: 1-line block ×3, first 2 shown]
	v_add_co_u32 v4, vcc_lo, v112, v4
	v_add_co_ci_u32_e64 v5, null, v113, v5, vcc_lo
	v_cmp_ne_u32_e64 s1, 0, v0
	v_cmp_eq_u32_e64 s0, 0, v0
	flat_load_dwordx2 v[192:193], v[8:9]
	buffer_store_dword v10, off, s[12:15], 0 offset:160 ; 4-byte Folded Spill
	buffer_store_dword v11, off, s[12:15], 0 offset:164 ; 4-byte Folded Spill
	flat_load_dwordx2 v[210:211], v[10:11]
	buffer_store_dword v114, off, s[12:15], 0 ; 4-byte Folded Spill
	buffer_store_dword v115, off, s[12:15], 0 offset:4 ; 4-byte Folded Spill
	flat_load_dwordx2 v[228:229], v[114:115]
	buffer_store_dword v54, off, s[12:15], 0 offset:8 ; 4-byte Folded Spill
	buffer_store_dword v55, off, s[12:15], 0 offset:12 ; 4-byte Folded Spill
	flat_load_dwordx2 v[208:209], v[54:55]
	buffer_store_dword v118, off, s[12:15], 0 offset:16 ; 4-byte Folded Spill
	;; [unrolled: 3-line block ×12, first 2 shown]
	buffer_store_dword v78, off, s[12:15], 0 offset:100 ; 4-byte Folded Spill
	v_mov_b32_e32 v76, v35
	v_mov_b32_e32 v75, v34
	flat_load_dwordx2 v[216:217], v[77:78]
	buffer_store_dword v79, off, s[12:15], 0 offset:104 ; 4-byte Folded Spill
	buffer_store_dword v80, off, s[12:15], 0 offset:108 ; 4-byte Folded Spill
	v_mov_b32_e32 v78, v37
	v_mov_b32_e32 v77, v36
	flat_load_dwordx2 v[196:197], v[79:80]
	buffer_store_dword v81, off, s[12:15], 0 offset:112 ; 4-byte Folded Spill
	;; [unrolled: 5-line block ×7, first 2 shown]
	buffer_store_dword v92, off, s[12:15], 0 offset:172 ; 4-byte Folded Spill
	flat_load_dwordx2 v[152:153], v[91:92]
	buffer_store_dword v44, off, s[12:15], 0 offset:176 ; 4-byte Folded Spill
	buffer_store_dword v45, off, s[12:15], 0 offset:180 ; 4-byte Folded Spill
	flat_load_dwordx2 v[188:189], v[44:45]
	buffer_store_dword v46, off, s[12:15], 0 offset:184 ; 4-byte Folded Spill
	;; [unrolled: 3-line block ×4, first 2 shown]
	buffer_store_dword v51, off, s[12:15], 0 offset:204 ; 4-byte Folded Spill
	v_mad_u32_u24 v48, 0x1c8, v1, 0
	flat_load_dwordx2 v[148:149], v[50:51]
	buffer_store_dword v52, off, s[12:15], 0 offset:232 ; 4-byte Folded Spill
	buffer_store_dword v53, off, s[12:15], 0 offset:236 ; 4-byte Folded Spill
	flat_load_dwordx2 v[184:185], v[52:53]
	buffer_store_dword v93, off, s[12:15], 0 offset:208 ; 4-byte Folded Spill
	buffer_store_dword v94, off, s[12:15], 0 offset:212 ; 4-byte Folded Spill
	;; [unrolled: 3-line block ×24, first 2 shown]
	s_clause 0x7
	flat_load_dwordx2 v[124:125], v[32:33]
	flat_load_dwordx2 v[160:161], v[34:35]
	;; [unrolled: 1-line block ×8, first 2 shown]
	v_lshlrev_b32_e32 v4, 3, v1
	v_add3_u32 v1, 0, s10, v4
	s_and_saveexec_b32 s2, s0
	s_cbranch_execz .LBB113_4
; %bb.2:
	s_waitcnt vmcnt(56) lgkmcnt(56)
	ds_write_b64 v1, v[192:193]
	s_waitcnt vmcnt(54) lgkmcnt(55)
	ds_write2_b64 v48, v[210:211], v[228:229] offset0:1 offset1:2
	s_waitcnt vmcnt(52) lgkmcnt(54)
	ds_write2_b64 v48, v[208:209], v[226:227] offset0:3 offset1:4
	s_waitcnt vmcnt(50) lgkmcnt(53)
	ds_write2_b64 v48, v[206:207], v[224:225] offset0:5 offset1:6
	s_waitcnt vmcnt(48) lgkmcnt(52)
	ds_write2_b64 v48, v[204:205], v[222:223] offset0:7 offset1:8
	s_waitcnt vmcnt(46) lgkmcnt(51)
	ds_write2_b64 v48, v[202:203], v[220:221] offset0:9 offset1:10
	s_waitcnt vmcnt(44) lgkmcnt(50)
	ds_write2_b64 v48, v[200:201], v[218:219] offset0:11 offset1:12
	s_waitcnt vmcnt(42) lgkmcnt(49)
	ds_write2_b64 v48, v[198:199], v[216:217] offset0:13 offset1:14
	s_waitcnt vmcnt(40) lgkmcnt(48)
	ds_write2_b64 v48, v[196:197], v[214:215] offset0:15 offset1:16
	s_waitcnt vmcnt(38) lgkmcnt(47)
	ds_write2_b64 v48, v[194:195], v[212:213] offset0:17 offset1:18
	s_waitcnt vmcnt(36) lgkmcnt(46)
	ds_write2_b64 v48, v[154:155], v[190:191] offset0:19 offset1:20
	s_waitcnt vmcnt(34) lgkmcnt(45)
	ds_write2_b64 v48, v[152:153], v[188:189] offset0:21 offset1:22
	s_waitcnt vmcnt(32) lgkmcnt(44)
	ds_write2_b64 v48, v[150:151], v[186:187] offset0:23 offset1:24
	s_waitcnt vmcnt(30) lgkmcnt(43)
	ds_write2_b64 v48, v[148:149], v[184:185] offset0:25 offset1:26
	s_waitcnt vmcnt(28) lgkmcnt(42)
	ds_write2_b64 v48, v[146:147], v[182:183] offset0:27 offset1:28
	s_waitcnt vmcnt(26) lgkmcnt(41)
	ds_write2_b64 v48, v[144:145], v[180:181] offset0:29 offset1:30
	s_waitcnt vmcnt(24) lgkmcnt(40)
	ds_write2_b64 v48, v[142:143], v[178:179] offset0:31 offset1:32
	s_waitcnt vmcnt(22) lgkmcnt(39)
	ds_write2_b64 v48, v[140:141], v[176:177] offset0:33 offset1:34
	s_waitcnt vmcnt(20) lgkmcnt(38)
	ds_write2_b64 v48, v[138:139], v[174:175] offset0:35 offset1:36
	s_waitcnt vmcnt(18) lgkmcnt(37)
	ds_write2_b64 v48, v[136:137], v[172:173] offset0:37 offset1:38
	s_waitcnt vmcnt(16) lgkmcnt(36)
	ds_write2_b64 v48, v[134:135], v[170:171] offset0:39 offset1:40
	s_waitcnt vmcnt(14) lgkmcnt(35)
	ds_write2_b64 v48, v[132:133], v[168:169] offset0:41 offset1:42
	s_waitcnt vmcnt(12) lgkmcnt(34)
	ds_write2_b64 v48, v[130:131], v[166:167] offset0:43 offset1:44
	s_waitcnt vmcnt(10) lgkmcnt(33)
	ds_write2_b64 v48, v[128:129], v[164:165] offset0:45 offset1:46
	s_waitcnt vmcnt(8) lgkmcnt(32)
	ds_write2_b64 v48, v[126:127], v[162:163] offset0:47 offset1:48
	s_waitcnt vmcnt(6) lgkmcnt(31)
	ds_write2_b64 v48, v[124:125], v[160:161] offset0:49 offset1:50
	s_waitcnt vmcnt(4) lgkmcnt(30)
	ds_write2_b64 v48, v[122:123], v[158:159] offset0:51 offset1:52
	s_waitcnt vmcnt(2) lgkmcnt(29)
	ds_write2_b64 v48, v[120:121], v[156:157] offset0:53 offset1:54
	s_waitcnt vmcnt(0) lgkmcnt(28)
	ds_write2_b64 v48, v[118:119], v[230:231] offset0:55 offset1:56
	ds_read_b64 v[4:5], v1
	s_waitcnt lgkmcnt(0)
	v_cmp_neq_f64_e32 vcc_lo, 0, v[4:5]
	s_and_b32 exec_lo, exec_lo, vcc_lo
	s_cbranch_execz .LBB113_4
; %bb.3:
	v_div_scale_f64 v[6:7], null, v[4:5], v[4:5], 1.0
	v_rcp_f64_e32 v[8:9], v[6:7]
	v_fma_f64 v[10:11], -v[6:7], v[8:9], 1.0
	v_fma_f64 v[8:9], v[8:9], v[10:11], v[8:9]
	v_fma_f64 v[10:11], -v[6:7], v[8:9], 1.0
	v_fma_f64 v[8:9], v[8:9], v[10:11], v[8:9]
	v_div_scale_f64 v[10:11], vcc_lo, 1.0, v[4:5], 1.0
	v_mul_f64 v[12:13], v[10:11], v[8:9]
	v_fma_f64 v[6:7], -v[6:7], v[12:13], v[10:11]
	v_div_fmas_f64 v[6:7], v[6:7], v[8:9], v[12:13]
	v_div_fixup_f64 v[4:5], v[6:7], v[4:5], 1.0
	ds_write_b64 v1, v[4:5]
.LBB113_4:
	s_or_b32 exec_lo, exec_lo, s2
	s_waitcnt vmcnt(0) lgkmcnt(0)
	s_waitcnt_vscnt null, 0x0
	s_barrier
	buffer_gl0_inv
	ds_read_b64 v[89:90], v1
	s_and_saveexec_b32 s2, s1
	s_cbranch_execz .LBB113_6
; %bb.5:
	s_waitcnt lgkmcnt(0)
	v_mul_f64 v[192:193], v[89:90], v[192:193]
	ds_read2_b64 v[4:7], v48 offset0:1 offset1:2
	s_waitcnt lgkmcnt(0)
	v_fma_f64 v[210:211], -v[192:193], v[4:5], v[210:211]
	v_fma_f64 v[228:229], -v[192:193], v[6:7], v[228:229]
	ds_read2_b64 v[4:7], v48 offset0:3 offset1:4
	s_waitcnt lgkmcnt(0)
	v_fma_f64 v[208:209], -v[192:193], v[4:5], v[208:209]
	v_fma_f64 v[226:227], -v[192:193], v[6:7], v[226:227]
	;; [unrolled: 4-line block ×28, first 2 shown]
.LBB113_6:
	s_or_b32 exec_lo, exec_lo, s2
	s_mov_b32 s1, exec_lo
	s_waitcnt lgkmcnt(0)
	s_barrier
	buffer_gl0_inv
	v_cmpx_eq_u32_e32 1, v0
	s_cbranch_execz .LBB113_9
; %bb.7:
	v_mov_b32_e32 v4, v228
	v_mov_b32_e32 v5, v229
	;; [unrolled: 1-line block ×8, first 2 shown]
	ds_write_b64 v1, v[210:211]
	ds_write2_b64 v48, v[4:5], v[6:7] offset0:2 offset1:3
	ds_write2_b64 v48, v[8:9], v[10:11] offset0:4 offset1:5
	v_mov_b32_e32 v4, v224
	v_mov_b32_e32 v5, v225
	v_mov_b32_e32 v6, v204
	v_mov_b32_e32 v7, v205
	v_mov_b32_e32 v8, v222
	v_mov_b32_e32 v9, v223
	v_mov_b32_e32 v10, v202
	v_mov_b32_e32 v11, v203
	v_mov_b32_e32 v12, v220
	v_mov_b32_e32 v13, v221
	v_mov_b32_e32 v14, v200
	v_mov_b32_e32 v15, v201
	v_mov_b32_e32 v16, v218
	v_mov_b32_e32 v17, v219
	v_mov_b32_e32 v18, v198
	v_mov_b32_e32 v19, v199
	v_mov_b32_e32 v20, v216
	v_mov_b32_e32 v21, v217
	v_mov_b32_e32 v22, v196
	v_mov_b32_e32 v23, v197
	ds_write2_b64 v48, v[4:5], v[6:7] offset0:6 offset1:7
	ds_write2_b64 v48, v[8:9], v[10:11] offset0:8 offset1:9
	ds_write2_b64 v48, v[12:13], v[14:15] offset0:10 offset1:11
	ds_write2_b64 v48, v[16:17], v[18:19] offset0:12 offset1:13
	ds_write2_b64 v48, v[20:21], v[22:23] offset0:14 offset1:15
	v_mov_b32_e32 v4, v214
	v_mov_b32_e32 v5, v215
	v_mov_b32_e32 v6, v194
	v_mov_b32_e32 v7, v195
	v_mov_b32_e32 v8, v212
	v_mov_b32_e32 v9, v213
	v_mov_b32_e32 v10, v154
	v_mov_b32_e32 v11, v155
	v_mov_b32_e32 v12, v190
	v_mov_b32_e32 v13, v191
	v_mov_b32_e32 v14, v152
	v_mov_b32_e32 v15, v153
	v_mov_b32_e32 v16, v188
	v_mov_b32_e32 v17, v189
	v_mov_b32_e32 v18, v150
	v_mov_b32_e32 v19, v151
	v_mov_b32_e32 v20, v186
	v_mov_b32_e32 v21, v187
	v_mov_b32_e32 v22, v148
	v_mov_b32_e32 v23, v149
	ds_write2_b64 v48, v[4:5], v[6:7] offset0:16 offset1:17
	ds_write2_b64 v48, v[8:9], v[10:11] offset0:18 offset1:19
	ds_write2_b64 v48, v[12:13], v[14:15] offset0:20 offset1:21
	;; [unrolled: 25-line block ×5, first 2 shown]
	ds_write2_b64 v48, v[16:17], v[18:19] offset0:52 offset1:53
	ds_write2_b64 v48, v[20:21], v[22:23] offset0:54 offset1:55
	ds_write_b64 v48, v[230:231] offset:448
	ds_read_b64 v[4:5], v1
	s_waitcnt lgkmcnt(0)
	v_cmp_neq_f64_e32 vcc_lo, 0, v[4:5]
	s_and_b32 exec_lo, exec_lo, vcc_lo
	s_cbranch_execz .LBB113_9
; %bb.8:
	v_div_scale_f64 v[6:7], null, v[4:5], v[4:5], 1.0
	v_rcp_f64_e32 v[8:9], v[6:7]
	v_fma_f64 v[10:11], -v[6:7], v[8:9], 1.0
	v_fma_f64 v[8:9], v[8:9], v[10:11], v[8:9]
	v_fma_f64 v[10:11], -v[6:7], v[8:9], 1.0
	v_fma_f64 v[8:9], v[8:9], v[10:11], v[8:9]
	v_div_scale_f64 v[10:11], vcc_lo, 1.0, v[4:5], 1.0
	v_mul_f64 v[12:13], v[10:11], v[8:9]
	v_fma_f64 v[6:7], -v[6:7], v[12:13], v[10:11]
	v_div_fmas_f64 v[6:7], v[6:7], v[8:9], v[12:13]
	v_div_fixup_f64 v[4:5], v[6:7], v[4:5], 1.0
	ds_write_b64 v1, v[4:5]
.LBB113_9:
	s_or_b32 exec_lo, exec_lo, s1
	s_waitcnt lgkmcnt(0)
	s_barrier
	buffer_gl0_inv
	ds_read_b64 v[91:92], v1
	s_mov_b32 s1, exec_lo
	v_cmpx_lt_u32_e32 1, v0
	s_cbranch_execz .LBB113_11
; %bb.10:
	s_waitcnt lgkmcnt(0)
	v_mul_f64 v[210:211], v[91:92], v[210:211]
	ds_read2_b64 v[4:7], v48 offset0:2 offset1:3
	s_waitcnt lgkmcnt(0)
	v_fma_f64 v[228:229], -v[210:211], v[4:5], v[228:229]
	v_fma_f64 v[208:209], -v[210:211], v[6:7], v[208:209]
	ds_read2_b64 v[4:7], v48 offset0:4 offset1:5
	s_waitcnt lgkmcnt(0)
	v_fma_f64 v[226:227], -v[210:211], v[4:5], v[226:227]
	v_fma_f64 v[206:207], -v[210:211], v[6:7], v[206:207]
	ds_read2_b64 v[4:7], v48 offset0:6 offset1:7
	s_waitcnt lgkmcnt(0)
	v_fma_f64 v[224:225], -v[210:211], v[4:5], v[224:225]
	v_fma_f64 v[204:205], -v[210:211], v[6:7], v[204:205]
	ds_read2_b64 v[4:7], v48 offset0:8 offset1:9
	s_waitcnt lgkmcnt(0)
	v_fma_f64 v[222:223], -v[210:211], v[4:5], v[222:223]
	v_fma_f64 v[202:203], -v[210:211], v[6:7], v[202:203]
	ds_read2_b64 v[4:7], v48 offset0:10 offset1:11
	s_waitcnt lgkmcnt(0)
	v_fma_f64 v[220:221], -v[210:211], v[4:5], v[220:221]
	v_fma_f64 v[200:201], -v[210:211], v[6:7], v[200:201]
	ds_read2_b64 v[4:7], v48 offset0:12 offset1:13
	s_waitcnt lgkmcnt(0)
	v_fma_f64 v[218:219], -v[210:211], v[4:5], v[218:219]
	v_fma_f64 v[198:199], -v[210:211], v[6:7], v[198:199]
	ds_read2_b64 v[4:7], v48 offset0:14 offset1:15
	s_waitcnt lgkmcnt(0)
	v_fma_f64 v[216:217], -v[210:211], v[4:5], v[216:217]
	v_fma_f64 v[196:197], -v[210:211], v[6:7], v[196:197]
	ds_read2_b64 v[4:7], v48 offset0:16 offset1:17
	s_waitcnt lgkmcnt(0)
	v_fma_f64 v[214:215], -v[210:211], v[4:5], v[214:215]
	v_fma_f64 v[194:195], -v[210:211], v[6:7], v[194:195]
	ds_read2_b64 v[4:7], v48 offset0:18 offset1:19
	s_waitcnt lgkmcnt(0)
	v_fma_f64 v[212:213], -v[210:211], v[4:5], v[212:213]
	v_fma_f64 v[154:155], -v[210:211], v[6:7], v[154:155]
	ds_read2_b64 v[4:7], v48 offset0:20 offset1:21
	s_waitcnt lgkmcnt(0)
	v_fma_f64 v[190:191], -v[210:211], v[4:5], v[190:191]
	v_fma_f64 v[152:153], -v[210:211], v[6:7], v[152:153]
	ds_read2_b64 v[4:7], v48 offset0:22 offset1:23
	s_waitcnt lgkmcnt(0)
	v_fma_f64 v[188:189], -v[210:211], v[4:5], v[188:189]
	v_fma_f64 v[150:151], -v[210:211], v[6:7], v[150:151]
	ds_read2_b64 v[4:7], v48 offset0:24 offset1:25
	s_waitcnt lgkmcnt(0)
	v_fma_f64 v[186:187], -v[210:211], v[4:5], v[186:187]
	v_fma_f64 v[148:149], -v[210:211], v[6:7], v[148:149]
	ds_read2_b64 v[4:7], v48 offset0:26 offset1:27
	s_waitcnt lgkmcnt(0)
	v_fma_f64 v[184:185], -v[210:211], v[4:5], v[184:185]
	v_fma_f64 v[146:147], -v[210:211], v[6:7], v[146:147]
	ds_read2_b64 v[4:7], v48 offset0:28 offset1:29
	s_waitcnt lgkmcnt(0)
	v_fma_f64 v[182:183], -v[210:211], v[4:5], v[182:183]
	v_fma_f64 v[144:145], -v[210:211], v[6:7], v[144:145]
	ds_read2_b64 v[4:7], v48 offset0:30 offset1:31
	s_waitcnt lgkmcnt(0)
	v_fma_f64 v[180:181], -v[210:211], v[4:5], v[180:181]
	v_fma_f64 v[142:143], -v[210:211], v[6:7], v[142:143]
	ds_read2_b64 v[4:7], v48 offset0:32 offset1:33
	s_waitcnt lgkmcnt(0)
	v_fma_f64 v[178:179], -v[210:211], v[4:5], v[178:179]
	v_fma_f64 v[140:141], -v[210:211], v[6:7], v[140:141]
	ds_read2_b64 v[4:7], v48 offset0:34 offset1:35
	s_waitcnt lgkmcnt(0)
	v_fma_f64 v[176:177], -v[210:211], v[4:5], v[176:177]
	v_fma_f64 v[138:139], -v[210:211], v[6:7], v[138:139]
	ds_read2_b64 v[4:7], v48 offset0:36 offset1:37
	s_waitcnt lgkmcnt(0)
	v_fma_f64 v[174:175], -v[210:211], v[4:5], v[174:175]
	v_fma_f64 v[136:137], -v[210:211], v[6:7], v[136:137]
	ds_read2_b64 v[4:7], v48 offset0:38 offset1:39
	s_waitcnt lgkmcnt(0)
	v_fma_f64 v[172:173], -v[210:211], v[4:5], v[172:173]
	v_fma_f64 v[134:135], -v[210:211], v[6:7], v[134:135]
	ds_read2_b64 v[4:7], v48 offset0:40 offset1:41
	s_waitcnt lgkmcnt(0)
	v_fma_f64 v[170:171], -v[210:211], v[4:5], v[170:171]
	v_fma_f64 v[132:133], -v[210:211], v[6:7], v[132:133]
	ds_read2_b64 v[4:7], v48 offset0:42 offset1:43
	s_waitcnt lgkmcnt(0)
	v_fma_f64 v[168:169], -v[210:211], v[4:5], v[168:169]
	v_fma_f64 v[130:131], -v[210:211], v[6:7], v[130:131]
	ds_read2_b64 v[4:7], v48 offset0:44 offset1:45
	s_waitcnt lgkmcnt(0)
	v_fma_f64 v[166:167], -v[210:211], v[4:5], v[166:167]
	v_fma_f64 v[128:129], -v[210:211], v[6:7], v[128:129]
	ds_read2_b64 v[4:7], v48 offset0:46 offset1:47
	s_waitcnt lgkmcnt(0)
	v_fma_f64 v[164:165], -v[210:211], v[4:5], v[164:165]
	v_fma_f64 v[126:127], -v[210:211], v[6:7], v[126:127]
	ds_read2_b64 v[4:7], v48 offset0:48 offset1:49
	s_waitcnt lgkmcnt(0)
	v_fma_f64 v[162:163], -v[210:211], v[4:5], v[162:163]
	v_fma_f64 v[124:125], -v[210:211], v[6:7], v[124:125]
	ds_read2_b64 v[4:7], v48 offset0:50 offset1:51
	s_waitcnt lgkmcnt(0)
	v_fma_f64 v[160:161], -v[210:211], v[4:5], v[160:161]
	v_fma_f64 v[122:123], -v[210:211], v[6:7], v[122:123]
	ds_read2_b64 v[4:7], v48 offset0:52 offset1:53
	s_waitcnt lgkmcnt(0)
	v_fma_f64 v[158:159], -v[210:211], v[4:5], v[158:159]
	v_fma_f64 v[120:121], -v[210:211], v[6:7], v[120:121]
	ds_read2_b64 v[4:7], v48 offset0:54 offset1:55
	s_waitcnt lgkmcnt(0)
	v_fma_f64 v[156:157], -v[210:211], v[4:5], v[156:157]
	ds_read_b64 v[4:5], v48 offset:448
	v_fma_f64 v[118:119], -v[210:211], v[6:7], v[118:119]
	s_waitcnt lgkmcnt(0)
	v_fma_f64 v[230:231], -v[210:211], v[4:5], v[230:231]
.LBB113_11:
	s_or_b32 exec_lo, exec_lo, s1
	s_mov_b32 s1, exec_lo
	s_waitcnt lgkmcnt(0)
	s_barrier
	buffer_gl0_inv
	v_cmpx_eq_u32_e32 2, v0
	s_cbranch_execz .LBB113_14
; %bb.12:
	ds_write_b64 v1, v[228:229]
	ds_write2_b64 v48, v[208:209], v[226:227] offset0:3 offset1:4
	ds_write2_b64 v48, v[206:207], v[224:225] offset0:5 offset1:6
	;; [unrolled: 1-line block ×27, first 2 shown]
	ds_read_b64 v[4:5], v1
	s_waitcnt lgkmcnt(0)
	v_cmp_neq_f64_e32 vcc_lo, 0, v[4:5]
	s_and_b32 exec_lo, exec_lo, vcc_lo
	s_cbranch_execz .LBB113_14
; %bb.13:
	v_div_scale_f64 v[6:7], null, v[4:5], v[4:5], 1.0
	v_rcp_f64_e32 v[8:9], v[6:7]
	v_fma_f64 v[10:11], -v[6:7], v[8:9], 1.0
	v_fma_f64 v[8:9], v[8:9], v[10:11], v[8:9]
	v_fma_f64 v[10:11], -v[6:7], v[8:9], 1.0
	v_fma_f64 v[8:9], v[8:9], v[10:11], v[8:9]
	v_div_scale_f64 v[10:11], vcc_lo, 1.0, v[4:5], 1.0
	v_mul_f64 v[12:13], v[10:11], v[8:9]
	v_fma_f64 v[6:7], -v[6:7], v[12:13], v[10:11]
	v_div_fmas_f64 v[6:7], v[6:7], v[8:9], v[12:13]
	v_div_fixup_f64 v[4:5], v[6:7], v[4:5], 1.0
	ds_write_b64 v1, v[4:5]
.LBB113_14:
	s_or_b32 exec_lo, exec_lo, s1
	s_waitcnt lgkmcnt(0)
	s_barrier
	buffer_gl0_inv
	ds_read_b64 v[93:94], v1
	s_mov_b32 s1, exec_lo
	v_cmpx_lt_u32_e32 2, v0
	s_cbranch_execz .LBB113_16
; %bb.15:
	s_waitcnt lgkmcnt(0)
	v_mul_f64 v[228:229], v[93:94], v[228:229]
	ds_read2_b64 v[4:7], v48 offset0:3 offset1:4
	s_waitcnt lgkmcnt(0)
	v_fma_f64 v[208:209], -v[228:229], v[4:5], v[208:209]
	v_fma_f64 v[226:227], -v[228:229], v[6:7], v[226:227]
	ds_read2_b64 v[4:7], v48 offset0:5 offset1:6
	s_waitcnt lgkmcnt(0)
	v_fma_f64 v[206:207], -v[228:229], v[4:5], v[206:207]
	v_fma_f64 v[224:225], -v[228:229], v[6:7], v[224:225]
	ds_read2_b64 v[4:7], v48 offset0:7 offset1:8
	s_waitcnt lgkmcnt(0)
	v_fma_f64 v[204:205], -v[228:229], v[4:5], v[204:205]
	v_fma_f64 v[222:223], -v[228:229], v[6:7], v[222:223]
	ds_read2_b64 v[4:7], v48 offset0:9 offset1:10
	s_waitcnt lgkmcnt(0)
	v_fma_f64 v[202:203], -v[228:229], v[4:5], v[202:203]
	v_fma_f64 v[220:221], -v[228:229], v[6:7], v[220:221]
	ds_read2_b64 v[4:7], v48 offset0:11 offset1:12
	s_waitcnt lgkmcnt(0)
	v_fma_f64 v[200:201], -v[228:229], v[4:5], v[200:201]
	v_fma_f64 v[218:219], -v[228:229], v[6:7], v[218:219]
	ds_read2_b64 v[4:7], v48 offset0:13 offset1:14
	s_waitcnt lgkmcnt(0)
	v_fma_f64 v[198:199], -v[228:229], v[4:5], v[198:199]
	v_fma_f64 v[216:217], -v[228:229], v[6:7], v[216:217]
	ds_read2_b64 v[4:7], v48 offset0:15 offset1:16
	s_waitcnt lgkmcnt(0)
	v_fma_f64 v[196:197], -v[228:229], v[4:5], v[196:197]
	v_fma_f64 v[214:215], -v[228:229], v[6:7], v[214:215]
	ds_read2_b64 v[4:7], v48 offset0:17 offset1:18
	s_waitcnt lgkmcnt(0)
	v_fma_f64 v[194:195], -v[228:229], v[4:5], v[194:195]
	v_fma_f64 v[212:213], -v[228:229], v[6:7], v[212:213]
	ds_read2_b64 v[4:7], v48 offset0:19 offset1:20
	s_waitcnt lgkmcnt(0)
	v_fma_f64 v[154:155], -v[228:229], v[4:5], v[154:155]
	v_fma_f64 v[190:191], -v[228:229], v[6:7], v[190:191]
	ds_read2_b64 v[4:7], v48 offset0:21 offset1:22
	s_waitcnt lgkmcnt(0)
	v_fma_f64 v[152:153], -v[228:229], v[4:5], v[152:153]
	v_fma_f64 v[188:189], -v[228:229], v[6:7], v[188:189]
	ds_read2_b64 v[4:7], v48 offset0:23 offset1:24
	s_waitcnt lgkmcnt(0)
	v_fma_f64 v[150:151], -v[228:229], v[4:5], v[150:151]
	v_fma_f64 v[186:187], -v[228:229], v[6:7], v[186:187]
	ds_read2_b64 v[4:7], v48 offset0:25 offset1:26
	s_waitcnt lgkmcnt(0)
	v_fma_f64 v[148:149], -v[228:229], v[4:5], v[148:149]
	v_fma_f64 v[184:185], -v[228:229], v[6:7], v[184:185]
	ds_read2_b64 v[4:7], v48 offset0:27 offset1:28
	s_waitcnt lgkmcnt(0)
	v_fma_f64 v[146:147], -v[228:229], v[4:5], v[146:147]
	v_fma_f64 v[182:183], -v[228:229], v[6:7], v[182:183]
	ds_read2_b64 v[4:7], v48 offset0:29 offset1:30
	s_waitcnt lgkmcnt(0)
	v_fma_f64 v[144:145], -v[228:229], v[4:5], v[144:145]
	v_fma_f64 v[180:181], -v[228:229], v[6:7], v[180:181]
	ds_read2_b64 v[4:7], v48 offset0:31 offset1:32
	s_waitcnt lgkmcnt(0)
	v_fma_f64 v[142:143], -v[228:229], v[4:5], v[142:143]
	v_fma_f64 v[178:179], -v[228:229], v[6:7], v[178:179]
	ds_read2_b64 v[4:7], v48 offset0:33 offset1:34
	s_waitcnt lgkmcnt(0)
	v_fma_f64 v[140:141], -v[228:229], v[4:5], v[140:141]
	v_fma_f64 v[176:177], -v[228:229], v[6:7], v[176:177]
	ds_read2_b64 v[4:7], v48 offset0:35 offset1:36
	s_waitcnt lgkmcnt(0)
	v_fma_f64 v[138:139], -v[228:229], v[4:5], v[138:139]
	v_fma_f64 v[174:175], -v[228:229], v[6:7], v[174:175]
	ds_read2_b64 v[4:7], v48 offset0:37 offset1:38
	s_waitcnt lgkmcnt(0)
	v_fma_f64 v[136:137], -v[228:229], v[4:5], v[136:137]
	v_fma_f64 v[172:173], -v[228:229], v[6:7], v[172:173]
	ds_read2_b64 v[4:7], v48 offset0:39 offset1:40
	s_waitcnt lgkmcnt(0)
	v_fma_f64 v[134:135], -v[228:229], v[4:5], v[134:135]
	v_fma_f64 v[170:171], -v[228:229], v[6:7], v[170:171]
	ds_read2_b64 v[4:7], v48 offset0:41 offset1:42
	s_waitcnt lgkmcnt(0)
	v_fma_f64 v[132:133], -v[228:229], v[4:5], v[132:133]
	v_fma_f64 v[168:169], -v[228:229], v[6:7], v[168:169]
	ds_read2_b64 v[4:7], v48 offset0:43 offset1:44
	s_waitcnt lgkmcnt(0)
	v_fma_f64 v[130:131], -v[228:229], v[4:5], v[130:131]
	v_fma_f64 v[166:167], -v[228:229], v[6:7], v[166:167]
	ds_read2_b64 v[4:7], v48 offset0:45 offset1:46
	s_waitcnt lgkmcnt(0)
	v_fma_f64 v[128:129], -v[228:229], v[4:5], v[128:129]
	v_fma_f64 v[164:165], -v[228:229], v[6:7], v[164:165]
	ds_read2_b64 v[4:7], v48 offset0:47 offset1:48
	s_waitcnt lgkmcnt(0)
	v_fma_f64 v[126:127], -v[228:229], v[4:5], v[126:127]
	v_fma_f64 v[162:163], -v[228:229], v[6:7], v[162:163]
	ds_read2_b64 v[4:7], v48 offset0:49 offset1:50
	s_waitcnt lgkmcnt(0)
	v_fma_f64 v[124:125], -v[228:229], v[4:5], v[124:125]
	v_fma_f64 v[160:161], -v[228:229], v[6:7], v[160:161]
	ds_read2_b64 v[4:7], v48 offset0:51 offset1:52
	s_waitcnt lgkmcnt(0)
	v_fma_f64 v[122:123], -v[228:229], v[4:5], v[122:123]
	v_fma_f64 v[158:159], -v[228:229], v[6:7], v[158:159]
	ds_read2_b64 v[4:7], v48 offset0:53 offset1:54
	s_waitcnt lgkmcnt(0)
	v_fma_f64 v[120:121], -v[228:229], v[4:5], v[120:121]
	v_fma_f64 v[156:157], -v[228:229], v[6:7], v[156:157]
	ds_read2_b64 v[4:7], v48 offset0:55 offset1:56
	s_waitcnt lgkmcnt(0)
	v_fma_f64 v[118:119], -v[228:229], v[4:5], v[118:119]
	v_fma_f64 v[230:231], -v[228:229], v[6:7], v[230:231]
.LBB113_16:
	s_or_b32 exec_lo, exec_lo, s1
	s_mov_b32 s1, exec_lo
	s_waitcnt lgkmcnt(0)
	s_barrier
	buffer_gl0_inv
	v_cmpx_eq_u32_e32 3, v0
	s_cbranch_execz .LBB113_19
; %bb.17:
	v_mov_b32_e32 v4, v226
	v_mov_b32_e32 v5, v227
	;; [unrolled: 1-line block ×4, first 2 shown]
	ds_write_b64 v1, v[208:209]
	ds_write2_b64 v48, v[4:5], v[6:7] offset0:4 offset1:5
	v_mov_b32_e32 v4, v224
	v_mov_b32_e32 v5, v225
	v_mov_b32_e32 v6, v204
	v_mov_b32_e32 v7, v205
	ds_write2_b64 v48, v[4:5], v[6:7] offset0:6 offset1:7
	v_mov_b32_e32 v4, v222
	v_mov_b32_e32 v5, v223
	v_mov_b32_e32 v6, v202
	v_mov_b32_e32 v7, v203
	;; [unrolled: 5-line block ×25, first 2 shown]
	ds_write2_b64 v48, v[4:5], v[6:7] offset0:54 offset1:55
	ds_write_b64 v48, v[230:231] offset:448
	ds_read_b64 v[4:5], v1
	s_waitcnt lgkmcnt(0)
	v_cmp_neq_f64_e32 vcc_lo, 0, v[4:5]
	s_and_b32 exec_lo, exec_lo, vcc_lo
	s_cbranch_execz .LBB113_19
; %bb.18:
	v_div_scale_f64 v[6:7], null, v[4:5], v[4:5], 1.0
	v_rcp_f64_e32 v[8:9], v[6:7]
	v_fma_f64 v[10:11], -v[6:7], v[8:9], 1.0
	v_fma_f64 v[8:9], v[8:9], v[10:11], v[8:9]
	v_fma_f64 v[10:11], -v[6:7], v[8:9], 1.0
	v_fma_f64 v[8:9], v[8:9], v[10:11], v[8:9]
	v_div_scale_f64 v[10:11], vcc_lo, 1.0, v[4:5], 1.0
	v_mul_f64 v[12:13], v[10:11], v[8:9]
	v_fma_f64 v[6:7], -v[6:7], v[12:13], v[10:11]
	v_div_fmas_f64 v[6:7], v[6:7], v[8:9], v[12:13]
	v_div_fixup_f64 v[4:5], v[6:7], v[4:5], 1.0
	ds_write_b64 v1, v[4:5]
.LBB113_19:
	s_or_b32 exec_lo, exec_lo, s1
	s_waitcnt lgkmcnt(0)
	s_barrier
	buffer_gl0_inv
	ds_read_b64 v[95:96], v1
	s_mov_b32 s1, exec_lo
	v_cmpx_lt_u32_e32 3, v0
	s_cbranch_execz .LBB113_21
; %bb.20:
	s_waitcnt lgkmcnt(0)
	v_mul_f64 v[208:209], v[95:96], v[208:209]
	ds_read2_b64 v[4:7], v48 offset0:4 offset1:5
	s_waitcnt lgkmcnt(0)
	v_fma_f64 v[226:227], -v[208:209], v[4:5], v[226:227]
	v_fma_f64 v[206:207], -v[208:209], v[6:7], v[206:207]
	ds_read2_b64 v[4:7], v48 offset0:6 offset1:7
	s_waitcnt lgkmcnt(0)
	v_fma_f64 v[224:225], -v[208:209], v[4:5], v[224:225]
	v_fma_f64 v[204:205], -v[208:209], v[6:7], v[204:205]
	;; [unrolled: 4-line block ×25, first 2 shown]
	ds_read2_b64 v[4:7], v48 offset0:54 offset1:55
	s_waitcnt lgkmcnt(0)
	v_fma_f64 v[156:157], -v[208:209], v[4:5], v[156:157]
	ds_read_b64 v[4:5], v48 offset:448
	v_fma_f64 v[118:119], -v[208:209], v[6:7], v[118:119]
	s_waitcnt lgkmcnt(0)
	v_fma_f64 v[230:231], -v[208:209], v[4:5], v[230:231]
.LBB113_21:
	s_or_b32 exec_lo, exec_lo, s1
	s_mov_b32 s1, exec_lo
	s_waitcnt lgkmcnt(0)
	s_barrier
	buffer_gl0_inv
	v_cmpx_eq_u32_e32 4, v0
	s_cbranch_execz .LBB113_24
; %bb.22:
	ds_write_b64 v1, v[226:227]
	ds_write2_b64 v48, v[206:207], v[224:225] offset0:5 offset1:6
	ds_write2_b64 v48, v[204:205], v[222:223] offset0:7 offset1:8
	;; [unrolled: 1-line block ×26, first 2 shown]
	ds_read_b64 v[4:5], v1
	s_waitcnt lgkmcnt(0)
	v_cmp_neq_f64_e32 vcc_lo, 0, v[4:5]
	s_and_b32 exec_lo, exec_lo, vcc_lo
	s_cbranch_execz .LBB113_24
; %bb.23:
	v_div_scale_f64 v[6:7], null, v[4:5], v[4:5], 1.0
	v_rcp_f64_e32 v[8:9], v[6:7]
	v_fma_f64 v[10:11], -v[6:7], v[8:9], 1.0
	v_fma_f64 v[8:9], v[8:9], v[10:11], v[8:9]
	v_fma_f64 v[10:11], -v[6:7], v[8:9], 1.0
	v_fma_f64 v[8:9], v[8:9], v[10:11], v[8:9]
	v_div_scale_f64 v[10:11], vcc_lo, 1.0, v[4:5], 1.0
	v_mul_f64 v[12:13], v[10:11], v[8:9]
	v_fma_f64 v[6:7], -v[6:7], v[12:13], v[10:11]
	v_div_fmas_f64 v[6:7], v[6:7], v[8:9], v[12:13]
	v_div_fixup_f64 v[4:5], v[6:7], v[4:5], 1.0
	ds_write_b64 v1, v[4:5]
.LBB113_24:
	s_or_b32 exec_lo, exec_lo, s1
	s_waitcnt lgkmcnt(0)
	s_barrier
	buffer_gl0_inv
	ds_read_b64 v[97:98], v1
	s_mov_b32 s1, exec_lo
	v_cmpx_lt_u32_e32 4, v0
	s_cbranch_execz .LBB113_26
; %bb.25:
	s_waitcnt lgkmcnt(0)
	v_mul_f64 v[226:227], v[97:98], v[226:227]
	ds_read2_b64 v[4:7], v48 offset0:5 offset1:6
	s_waitcnt lgkmcnt(0)
	v_fma_f64 v[206:207], -v[226:227], v[4:5], v[206:207]
	v_fma_f64 v[224:225], -v[226:227], v[6:7], v[224:225]
	ds_read2_b64 v[4:7], v48 offset0:7 offset1:8
	s_waitcnt lgkmcnt(0)
	v_fma_f64 v[204:205], -v[226:227], v[4:5], v[204:205]
	v_fma_f64 v[222:223], -v[226:227], v[6:7], v[222:223]
	;; [unrolled: 4-line block ×26, first 2 shown]
.LBB113_26:
	s_or_b32 exec_lo, exec_lo, s1
	s_mov_b32 s1, exec_lo
	s_waitcnt lgkmcnt(0)
	s_barrier
	buffer_gl0_inv
	v_cmpx_eq_u32_e32 5, v0
	s_cbranch_execz .LBB113_29
; %bb.27:
	v_mov_b32_e32 v4, v224
	v_mov_b32_e32 v5, v225
	;; [unrolled: 1-line block ×4, first 2 shown]
	ds_write_b64 v1, v[206:207]
	ds_write2_b64 v48, v[4:5], v[6:7] offset0:6 offset1:7
	v_mov_b32_e32 v4, v222
	v_mov_b32_e32 v5, v223
	v_mov_b32_e32 v6, v202
	v_mov_b32_e32 v7, v203
	ds_write2_b64 v48, v[4:5], v[6:7] offset0:8 offset1:9
	v_mov_b32_e32 v4, v220
	v_mov_b32_e32 v5, v221
	v_mov_b32_e32 v6, v200
	v_mov_b32_e32 v7, v201
	;; [unrolled: 5-line block ×24, first 2 shown]
	ds_write2_b64 v48, v[4:5], v[6:7] offset0:54 offset1:55
	ds_write_b64 v48, v[230:231] offset:448
	ds_read_b64 v[4:5], v1
	s_waitcnt lgkmcnt(0)
	v_cmp_neq_f64_e32 vcc_lo, 0, v[4:5]
	s_and_b32 exec_lo, exec_lo, vcc_lo
	s_cbranch_execz .LBB113_29
; %bb.28:
	v_div_scale_f64 v[6:7], null, v[4:5], v[4:5], 1.0
	v_rcp_f64_e32 v[8:9], v[6:7]
	v_fma_f64 v[10:11], -v[6:7], v[8:9], 1.0
	v_fma_f64 v[8:9], v[8:9], v[10:11], v[8:9]
	v_fma_f64 v[10:11], -v[6:7], v[8:9], 1.0
	v_fma_f64 v[8:9], v[8:9], v[10:11], v[8:9]
	v_div_scale_f64 v[10:11], vcc_lo, 1.0, v[4:5], 1.0
	v_mul_f64 v[12:13], v[10:11], v[8:9]
	v_fma_f64 v[6:7], -v[6:7], v[12:13], v[10:11]
	v_div_fmas_f64 v[6:7], v[6:7], v[8:9], v[12:13]
	v_div_fixup_f64 v[4:5], v[6:7], v[4:5], 1.0
	ds_write_b64 v1, v[4:5]
.LBB113_29:
	s_or_b32 exec_lo, exec_lo, s1
	s_waitcnt lgkmcnt(0)
	s_barrier
	buffer_gl0_inv
	ds_read_b64 v[99:100], v1
	s_mov_b32 s1, exec_lo
	v_cmpx_lt_u32_e32 5, v0
	s_cbranch_execz .LBB113_31
; %bb.30:
	s_waitcnt lgkmcnt(0)
	v_mul_f64 v[206:207], v[99:100], v[206:207]
	ds_read2_b64 v[4:7], v48 offset0:6 offset1:7
	s_waitcnt lgkmcnt(0)
	v_fma_f64 v[224:225], -v[206:207], v[4:5], v[224:225]
	v_fma_f64 v[204:205], -v[206:207], v[6:7], v[204:205]
	ds_read2_b64 v[4:7], v48 offset0:8 offset1:9
	s_waitcnt lgkmcnt(0)
	v_fma_f64 v[222:223], -v[206:207], v[4:5], v[222:223]
	v_fma_f64 v[202:203], -v[206:207], v[6:7], v[202:203]
	;; [unrolled: 4-line block ×24, first 2 shown]
	ds_read2_b64 v[4:7], v48 offset0:54 offset1:55
	s_waitcnt lgkmcnt(0)
	v_fma_f64 v[156:157], -v[206:207], v[4:5], v[156:157]
	ds_read_b64 v[4:5], v48 offset:448
	v_fma_f64 v[118:119], -v[206:207], v[6:7], v[118:119]
	s_waitcnt lgkmcnt(0)
	v_fma_f64 v[230:231], -v[206:207], v[4:5], v[230:231]
.LBB113_31:
	s_or_b32 exec_lo, exec_lo, s1
	s_mov_b32 s1, exec_lo
	s_waitcnt lgkmcnt(0)
	s_barrier
	buffer_gl0_inv
	v_cmpx_eq_u32_e32 6, v0
	s_cbranch_execz .LBB113_34
; %bb.32:
	ds_write_b64 v1, v[224:225]
	ds_write2_b64 v48, v[204:205], v[222:223] offset0:7 offset1:8
	ds_write2_b64 v48, v[202:203], v[220:221] offset0:9 offset1:10
	;; [unrolled: 1-line block ×25, first 2 shown]
	ds_read_b64 v[4:5], v1
	s_waitcnt lgkmcnt(0)
	v_cmp_neq_f64_e32 vcc_lo, 0, v[4:5]
	s_and_b32 exec_lo, exec_lo, vcc_lo
	s_cbranch_execz .LBB113_34
; %bb.33:
	v_div_scale_f64 v[6:7], null, v[4:5], v[4:5], 1.0
	v_rcp_f64_e32 v[8:9], v[6:7]
	v_fma_f64 v[10:11], -v[6:7], v[8:9], 1.0
	v_fma_f64 v[8:9], v[8:9], v[10:11], v[8:9]
	v_fma_f64 v[10:11], -v[6:7], v[8:9], 1.0
	v_fma_f64 v[8:9], v[8:9], v[10:11], v[8:9]
	v_div_scale_f64 v[10:11], vcc_lo, 1.0, v[4:5], 1.0
	v_mul_f64 v[12:13], v[10:11], v[8:9]
	v_fma_f64 v[6:7], -v[6:7], v[12:13], v[10:11]
	v_div_fmas_f64 v[6:7], v[6:7], v[8:9], v[12:13]
	v_div_fixup_f64 v[4:5], v[6:7], v[4:5], 1.0
	ds_write_b64 v1, v[4:5]
.LBB113_34:
	s_or_b32 exec_lo, exec_lo, s1
	s_waitcnt lgkmcnt(0)
	s_barrier
	buffer_gl0_inv
	ds_read_b64 v[101:102], v1
	s_mov_b32 s1, exec_lo
	v_cmpx_lt_u32_e32 6, v0
	s_cbranch_execz .LBB113_36
; %bb.35:
	s_waitcnt lgkmcnt(0)
	v_mul_f64 v[224:225], v[101:102], v[224:225]
	ds_read2_b64 v[4:7], v48 offset0:7 offset1:8
	s_waitcnt lgkmcnt(0)
	v_fma_f64 v[204:205], -v[224:225], v[4:5], v[204:205]
	v_fma_f64 v[222:223], -v[224:225], v[6:7], v[222:223]
	ds_read2_b64 v[4:7], v48 offset0:9 offset1:10
	s_waitcnt lgkmcnt(0)
	v_fma_f64 v[202:203], -v[224:225], v[4:5], v[202:203]
	v_fma_f64 v[220:221], -v[224:225], v[6:7], v[220:221]
	;; [unrolled: 4-line block ×25, first 2 shown]
.LBB113_36:
	s_or_b32 exec_lo, exec_lo, s1
	s_mov_b32 s1, exec_lo
	s_waitcnt lgkmcnt(0)
	s_barrier
	buffer_gl0_inv
	v_cmpx_eq_u32_e32 7, v0
	s_cbranch_execz .LBB113_39
; %bb.37:
	v_mov_b32_e32 v4, v222
	v_mov_b32_e32 v5, v223
	;; [unrolled: 1-line block ×4, first 2 shown]
	ds_write_b64 v1, v[204:205]
	ds_write2_b64 v48, v[4:5], v[6:7] offset0:8 offset1:9
	v_mov_b32_e32 v4, v220
	v_mov_b32_e32 v5, v221
	v_mov_b32_e32 v6, v200
	v_mov_b32_e32 v7, v201
	ds_write2_b64 v48, v[4:5], v[6:7] offset0:10 offset1:11
	v_mov_b32_e32 v4, v218
	v_mov_b32_e32 v5, v219
	v_mov_b32_e32 v6, v198
	v_mov_b32_e32 v7, v199
	ds_write2_b64 v48, v[4:5], v[6:7] offset0:12 offset1:13
	v_mov_b32_e32 v4, v216
	v_mov_b32_e32 v5, v217
	v_mov_b32_e32 v6, v196
	v_mov_b32_e32 v7, v197
	ds_write2_b64 v48, v[4:5], v[6:7] offset0:14 offset1:15
	v_mov_b32_e32 v4, v214
	v_mov_b32_e32 v5, v215
	v_mov_b32_e32 v6, v194
	v_mov_b32_e32 v7, v195
	ds_write2_b64 v48, v[4:5], v[6:7] offset0:16 offset1:17
	v_mov_b32_e32 v4, v212
	v_mov_b32_e32 v5, v213
	v_mov_b32_e32 v6, v154
	v_mov_b32_e32 v7, v155
	ds_write2_b64 v48, v[4:5], v[6:7] offset0:18 offset1:19
	v_mov_b32_e32 v4, v190
	v_mov_b32_e32 v5, v191
	v_mov_b32_e32 v6, v152
	v_mov_b32_e32 v7, v153
	ds_write2_b64 v48, v[4:5], v[6:7] offset0:20 offset1:21
	v_mov_b32_e32 v4, v188
	v_mov_b32_e32 v5, v189
	v_mov_b32_e32 v6, v150
	v_mov_b32_e32 v7, v151
	ds_write2_b64 v48, v[4:5], v[6:7] offset0:22 offset1:23
	v_mov_b32_e32 v4, v186
	v_mov_b32_e32 v5, v187
	v_mov_b32_e32 v6, v148
	v_mov_b32_e32 v7, v149
	ds_write2_b64 v48, v[4:5], v[6:7] offset0:24 offset1:25
	v_mov_b32_e32 v4, v184
	v_mov_b32_e32 v5, v185
	v_mov_b32_e32 v6, v146
	v_mov_b32_e32 v7, v147
	ds_write2_b64 v48, v[4:5], v[6:7] offset0:26 offset1:27
	v_mov_b32_e32 v4, v182
	v_mov_b32_e32 v5, v183
	v_mov_b32_e32 v6, v144
	v_mov_b32_e32 v7, v145
	ds_write2_b64 v48, v[4:5], v[6:7] offset0:28 offset1:29
	v_mov_b32_e32 v4, v180
	v_mov_b32_e32 v5, v181
	v_mov_b32_e32 v6, v142
	v_mov_b32_e32 v7, v143
	ds_write2_b64 v48, v[4:5], v[6:7] offset0:30 offset1:31
	v_mov_b32_e32 v4, v178
	v_mov_b32_e32 v5, v179
	v_mov_b32_e32 v6, v140
	v_mov_b32_e32 v7, v141
	ds_write2_b64 v48, v[4:5], v[6:7] offset0:32 offset1:33
	v_mov_b32_e32 v4, v176
	v_mov_b32_e32 v5, v177
	v_mov_b32_e32 v6, v138
	v_mov_b32_e32 v7, v139
	ds_write2_b64 v48, v[4:5], v[6:7] offset0:34 offset1:35
	v_mov_b32_e32 v4, v174
	v_mov_b32_e32 v5, v175
	v_mov_b32_e32 v6, v136
	v_mov_b32_e32 v7, v137
	ds_write2_b64 v48, v[4:5], v[6:7] offset0:36 offset1:37
	v_mov_b32_e32 v4, v172
	v_mov_b32_e32 v5, v173
	v_mov_b32_e32 v6, v134
	v_mov_b32_e32 v7, v135
	ds_write2_b64 v48, v[4:5], v[6:7] offset0:38 offset1:39
	v_mov_b32_e32 v4, v170
	v_mov_b32_e32 v5, v171
	v_mov_b32_e32 v6, v132
	v_mov_b32_e32 v7, v133
	ds_write2_b64 v48, v[4:5], v[6:7] offset0:40 offset1:41
	v_mov_b32_e32 v4, v168
	v_mov_b32_e32 v5, v169
	v_mov_b32_e32 v6, v130
	v_mov_b32_e32 v7, v131
	ds_write2_b64 v48, v[4:5], v[6:7] offset0:42 offset1:43
	v_mov_b32_e32 v4, v166
	v_mov_b32_e32 v5, v167
	v_mov_b32_e32 v6, v128
	v_mov_b32_e32 v7, v129
	ds_write2_b64 v48, v[4:5], v[6:7] offset0:44 offset1:45
	v_mov_b32_e32 v4, v164
	v_mov_b32_e32 v5, v165
	v_mov_b32_e32 v6, v126
	v_mov_b32_e32 v7, v127
	ds_write2_b64 v48, v[4:5], v[6:7] offset0:46 offset1:47
	v_mov_b32_e32 v4, v162
	v_mov_b32_e32 v5, v163
	v_mov_b32_e32 v6, v124
	v_mov_b32_e32 v7, v125
	ds_write2_b64 v48, v[4:5], v[6:7] offset0:48 offset1:49
	v_mov_b32_e32 v4, v160
	v_mov_b32_e32 v5, v161
	v_mov_b32_e32 v6, v122
	v_mov_b32_e32 v7, v123
	ds_write2_b64 v48, v[4:5], v[6:7] offset0:50 offset1:51
	v_mov_b32_e32 v4, v158
	v_mov_b32_e32 v5, v159
	v_mov_b32_e32 v6, v120
	v_mov_b32_e32 v7, v121
	ds_write2_b64 v48, v[4:5], v[6:7] offset0:52 offset1:53
	v_mov_b32_e32 v4, v156
	v_mov_b32_e32 v5, v157
	v_mov_b32_e32 v6, v118
	v_mov_b32_e32 v7, v119
	ds_write2_b64 v48, v[4:5], v[6:7] offset0:54 offset1:55
	ds_write_b64 v48, v[230:231] offset:448
	ds_read_b64 v[4:5], v1
	s_waitcnt lgkmcnt(0)
	v_cmp_neq_f64_e32 vcc_lo, 0, v[4:5]
	s_and_b32 exec_lo, exec_lo, vcc_lo
	s_cbranch_execz .LBB113_39
; %bb.38:
	v_div_scale_f64 v[6:7], null, v[4:5], v[4:5], 1.0
	v_rcp_f64_e32 v[8:9], v[6:7]
	v_fma_f64 v[10:11], -v[6:7], v[8:9], 1.0
	v_fma_f64 v[8:9], v[8:9], v[10:11], v[8:9]
	v_fma_f64 v[10:11], -v[6:7], v[8:9], 1.0
	v_fma_f64 v[8:9], v[8:9], v[10:11], v[8:9]
	v_div_scale_f64 v[10:11], vcc_lo, 1.0, v[4:5], 1.0
	v_mul_f64 v[12:13], v[10:11], v[8:9]
	v_fma_f64 v[6:7], -v[6:7], v[12:13], v[10:11]
	v_div_fmas_f64 v[6:7], v[6:7], v[8:9], v[12:13]
	v_div_fixup_f64 v[4:5], v[6:7], v[4:5], 1.0
	ds_write_b64 v1, v[4:5]
.LBB113_39:
	s_or_b32 exec_lo, exec_lo, s1
	s_waitcnt lgkmcnt(0)
	s_barrier
	buffer_gl0_inv
	ds_read_b64 v[105:106], v1
	s_mov_b32 s1, exec_lo
	v_cmpx_lt_u32_e32 7, v0
	s_cbranch_execz .LBB113_41
; %bb.40:
	s_waitcnt lgkmcnt(0)
	v_mul_f64 v[204:205], v[105:106], v[204:205]
	ds_read2_b64 v[4:7], v48 offset0:8 offset1:9
	s_waitcnt lgkmcnt(0)
	v_fma_f64 v[222:223], -v[204:205], v[4:5], v[222:223]
	v_fma_f64 v[202:203], -v[204:205], v[6:7], v[202:203]
	ds_read2_b64 v[4:7], v48 offset0:10 offset1:11
	s_waitcnt lgkmcnt(0)
	v_fma_f64 v[220:221], -v[204:205], v[4:5], v[220:221]
	v_fma_f64 v[200:201], -v[204:205], v[6:7], v[200:201]
	;; [unrolled: 4-line block ×23, first 2 shown]
	ds_read2_b64 v[4:7], v48 offset0:54 offset1:55
	s_waitcnt lgkmcnt(0)
	v_fma_f64 v[156:157], -v[204:205], v[4:5], v[156:157]
	ds_read_b64 v[4:5], v48 offset:448
	v_fma_f64 v[118:119], -v[204:205], v[6:7], v[118:119]
	s_waitcnt lgkmcnt(0)
	v_fma_f64 v[230:231], -v[204:205], v[4:5], v[230:231]
.LBB113_41:
	s_or_b32 exec_lo, exec_lo, s1
	s_mov_b32 s1, exec_lo
	s_waitcnt lgkmcnt(0)
	s_barrier
	buffer_gl0_inv
	v_cmpx_eq_u32_e32 8, v0
	s_cbranch_execz .LBB113_44
; %bb.42:
	ds_write_b64 v1, v[222:223]
	ds_write2_b64 v48, v[202:203], v[220:221] offset0:9 offset1:10
	ds_write2_b64 v48, v[200:201], v[218:219] offset0:11 offset1:12
	;; [unrolled: 1-line block ×24, first 2 shown]
	ds_read_b64 v[4:5], v1
	s_waitcnt lgkmcnt(0)
	v_cmp_neq_f64_e32 vcc_lo, 0, v[4:5]
	s_and_b32 exec_lo, exec_lo, vcc_lo
	s_cbranch_execz .LBB113_44
; %bb.43:
	v_div_scale_f64 v[6:7], null, v[4:5], v[4:5], 1.0
	v_rcp_f64_e32 v[8:9], v[6:7]
	v_fma_f64 v[10:11], -v[6:7], v[8:9], 1.0
	v_fma_f64 v[8:9], v[8:9], v[10:11], v[8:9]
	v_fma_f64 v[10:11], -v[6:7], v[8:9], 1.0
	v_fma_f64 v[8:9], v[8:9], v[10:11], v[8:9]
	v_div_scale_f64 v[10:11], vcc_lo, 1.0, v[4:5], 1.0
	v_mul_f64 v[12:13], v[10:11], v[8:9]
	v_fma_f64 v[6:7], -v[6:7], v[12:13], v[10:11]
	v_div_fmas_f64 v[6:7], v[6:7], v[8:9], v[12:13]
	v_div_fixup_f64 v[4:5], v[6:7], v[4:5], 1.0
	ds_write_b64 v1, v[4:5]
.LBB113_44:
	s_or_b32 exec_lo, exec_lo, s1
	s_waitcnt lgkmcnt(0)
	s_barrier
	buffer_gl0_inv
	ds_read_b64 v[107:108], v1
	s_mov_b32 s1, exec_lo
	v_cmpx_lt_u32_e32 8, v0
	s_cbranch_execz .LBB113_46
; %bb.45:
	s_waitcnt lgkmcnt(0)
	v_mul_f64 v[222:223], v[107:108], v[222:223]
	ds_read2_b64 v[4:7], v48 offset0:9 offset1:10
	s_waitcnt lgkmcnt(0)
	v_fma_f64 v[202:203], -v[222:223], v[4:5], v[202:203]
	v_fma_f64 v[220:221], -v[222:223], v[6:7], v[220:221]
	ds_read2_b64 v[4:7], v48 offset0:11 offset1:12
	s_waitcnt lgkmcnt(0)
	v_fma_f64 v[200:201], -v[222:223], v[4:5], v[200:201]
	v_fma_f64 v[218:219], -v[222:223], v[6:7], v[218:219]
	;; [unrolled: 4-line block ×24, first 2 shown]
.LBB113_46:
	s_or_b32 exec_lo, exec_lo, s1
	s_mov_b32 s1, exec_lo
	s_waitcnt lgkmcnt(0)
	s_barrier
	buffer_gl0_inv
	v_cmpx_eq_u32_e32 9, v0
	s_cbranch_execz .LBB113_49
; %bb.47:
	v_mov_b32_e32 v4, v220
	v_mov_b32_e32 v5, v221
	;; [unrolled: 1-line block ×4, first 2 shown]
	ds_write_b64 v1, v[202:203]
	ds_write2_b64 v48, v[4:5], v[6:7] offset0:10 offset1:11
	v_mov_b32_e32 v4, v218
	v_mov_b32_e32 v5, v219
	v_mov_b32_e32 v6, v198
	v_mov_b32_e32 v7, v199
	ds_write2_b64 v48, v[4:5], v[6:7] offset0:12 offset1:13
	v_mov_b32_e32 v4, v216
	v_mov_b32_e32 v5, v217
	v_mov_b32_e32 v6, v196
	v_mov_b32_e32 v7, v197
	;; [unrolled: 5-line block ×22, first 2 shown]
	ds_write2_b64 v48, v[4:5], v[6:7] offset0:54 offset1:55
	ds_write_b64 v48, v[230:231] offset:448
	ds_read_b64 v[4:5], v1
	s_waitcnt lgkmcnt(0)
	v_cmp_neq_f64_e32 vcc_lo, 0, v[4:5]
	s_and_b32 exec_lo, exec_lo, vcc_lo
	s_cbranch_execz .LBB113_49
; %bb.48:
	v_div_scale_f64 v[6:7], null, v[4:5], v[4:5], 1.0
	v_rcp_f64_e32 v[8:9], v[6:7]
	v_fma_f64 v[10:11], -v[6:7], v[8:9], 1.0
	v_fma_f64 v[8:9], v[8:9], v[10:11], v[8:9]
	v_fma_f64 v[10:11], -v[6:7], v[8:9], 1.0
	v_fma_f64 v[8:9], v[8:9], v[10:11], v[8:9]
	v_div_scale_f64 v[10:11], vcc_lo, 1.0, v[4:5], 1.0
	v_mul_f64 v[12:13], v[10:11], v[8:9]
	v_fma_f64 v[6:7], -v[6:7], v[12:13], v[10:11]
	v_div_fmas_f64 v[6:7], v[6:7], v[8:9], v[12:13]
	v_div_fixup_f64 v[4:5], v[6:7], v[4:5], 1.0
	ds_write_b64 v1, v[4:5]
.LBB113_49:
	s_or_b32 exec_lo, exec_lo, s1
	s_waitcnt lgkmcnt(0)
	s_barrier
	buffer_gl0_inv
	ds_read_b64 v[57:58], v1
	s_mov_b32 s1, exec_lo
	v_cmpx_lt_u32_e32 9, v0
	s_cbranch_execz .LBB113_51
; %bb.50:
	s_waitcnt lgkmcnt(0)
	v_mul_f64 v[202:203], v[57:58], v[202:203]
	ds_read2_b64 v[4:7], v48 offset0:10 offset1:11
	s_waitcnt lgkmcnt(0)
	v_fma_f64 v[220:221], -v[202:203], v[4:5], v[220:221]
	v_fma_f64 v[200:201], -v[202:203], v[6:7], v[200:201]
	ds_read2_b64 v[4:7], v48 offset0:12 offset1:13
	s_waitcnt lgkmcnt(0)
	v_fma_f64 v[218:219], -v[202:203], v[4:5], v[218:219]
	v_fma_f64 v[198:199], -v[202:203], v[6:7], v[198:199]
	;; [unrolled: 4-line block ×22, first 2 shown]
	ds_read2_b64 v[4:7], v48 offset0:54 offset1:55
	s_waitcnt lgkmcnt(0)
	v_fma_f64 v[156:157], -v[202:203], v[4:5], v[156:157]
	ds_read_b64 v[4:5], v48 offset:448
	v_fma_f64 v[118:119], -v[202:203], v[6:7], v[118:119]
	s_waitcnt lgkmcnt(0)
	v_fma_f64 v[230:231], -v[202:203], v[4:5], v[230:231]
.LBB113_51:
	s_or_b32 exec_lo, exec_lo, s1
	s_mov_b32 s1, exec_lo
	s_waitcnt lgkmcnt(0)
	s_barrier
	buffer_gl0_inv
	v_cmpx_eq_u32_e32 10, v0
	s_cbranch_execz .LBB113_54
; %bb.52:
	ds_write_b64 v1, v[220:221]
	ds_write2_b64 v48, v[200:201], v[218:219] offset0:11 offset1:12
	ds_write2_b64 v48, v[198:199], v[216:217] offset0:13 offset1:14
	;; [unrolled: 1-line block ×23, first 2 shown]
	ds_read_b64 v[4:5], v1
	s_waitcnt lgkmcnt(0)
	v_cmp_neq_f64_e32 vcc_lo, 0, v[4:5]
	s_and_b32 exec_lo, exec_lo, vcc_lo
	s_cbranch_execz .LBB113_54
; %bb.53:
	v_div_scale_f64 v[6:7], null, v[4:5], v[4:5], 1.0
	v_rcp_f64_e32 v[8:9], v[6:7]
	v_fma_f64 v[10:11], -v[6:7], v[8:9], 1.0
	v_fma_f64 v[8:9], v[8:9], v[10:11], v[8:9]
	v_fma_f64 v[10:11], -v[6:7], v[8:9], 1.0
	v_fma_f64 v[8:9], v[8:9], v[10:11], v[8:9]
	v_div_scale_f64 v[10:11], vcc_lo, 1.0, v[4:5], 1.0
	v_mul_f64 v[12:13], v[10:11], v[8:9]
	v_fma_f64 v[6:7], -v[6:7], v[12:13], v[10:11]
	v_div_fmas_f64 v[6:7], v[6:7], v[8:9], v[12:13]
	v_div_fixup_f64 v[4:5], v[6:7], v[4:5], 1.0
	ds_write_b64 v1, v[4:5]
.LBB113_54:
	s_or_b32 exec_lo, exec_lo, s1
	s_waitcnt lgkmcnt(0)
	s_barrier
	buffer_gl0_inv
	ds_read_b64 v[103:104], v1
	s_mov_b32 s1, exec_lo
	v_cmpx_lt_u32_e32 10, v0
	s_cbranch_execz .LBB113_56
; %bb.55:
	s_waitcnt lgkmcnt(0)
	v_mul_f64 v[220:221], v[103:104], v[220:221]
	ds_read2_b64 v[4:7], v48 offset0:11 offset1:12
	s_waitcnt lgkmcnt(0)
	v_fma_f64 v[200:201], -v[220:221], v[4:5], v[200:201]
	v_fma_f64 v[218:219], -v[220:221], v[6:7], v[218:219]
	ds_read2_b64 v[4:7], v48 offset0:13 offset1:14
	s_waitcnt lgkmcnt(0)
	v_fma_f64 v[198:199], -v[220:221], v[4:5], v[198:199]
	v_fma_f64 v[216:217], -v[220:221], v[6:7], v[216:217]
	;; [unrolled: 4-line block ×23, first 2 shown]
.LBB113_56:
	s_or_b32 exec_lo, exec_lo, s1
	s_mov_b32 s1, exec_lo
	s_waitcnt lgkmcnt(0)
	s_barrier
	buffer_gl0_inv
	v_cmpx_eq_u32_e32 11, v0
	s_cbranch_execz .LBB113_59
; %bb.57:
	v_mov_b32_e32 v4, v218
	v_mov_b32_e32 v5, v219
	;; [unrolled: 1-line block ×4, first 2 shown]
	ds_write_b64 v1, v[200:201]
	ds_write2_b64 v48, v[4:5], v[6:7] offset0:12 offset1:13
	v_mov_b32_e32 v4, v216
	v_mov_b32_e32 v5, v217
	v_mov_b32_e32 v6, v196
	v_mov_b32_e32 v7, v197
	ds_write2_b64 v48, v[4:5], v[6:7] offset0:14 offset1:15
	v_mov_b32_e32 v4, v214
	v_mov_b32_e32 v5, v215
	v_mov_b32_e32 v6, v194
	v_mov_b32_e32 v7, v195
	;; [unrolled: 5-line block ×21, first 2 shown]
	ds_write2_b64 v48, v[4:5], v[6:7] offset0:54 offset1:55
	ds_write_b64 v48, v[230:231] offset:448
	ds_read_b64 v[4:5], v1
	s_waitcnt lgkmcnt(0)
	v_cmp_neq_f64_e32 vcc_lo, 0, v[4:5]
	s_and_b32 exec_lo, exec_lo, vcc_lo
	s_cbranch_execz .LBB113_59
; %bb.58:
	v_div_scale_f64 v[6:7], null, v[4:5], v[4:5], 1.0
	v_rcp_f64_e32 v[8:9], v[6:7]
	v_fma_f64 v[10:11], -v[6:7], v[8:9], 1.0
	v_fma_f64 v[8:9], v[8:9], v[10:11], v[8:9]
	v_fma_f64 v[10:11], -v[6:7], v[8:9], 1.0
	v_fma_f64 v[8:9], v[8:9], v[10:11], v[8:9]
	v_div_scale_f64 v[10:11], vcc_lo, 1.0, v[4:5], 1.0
	v_mul_f64 v[12:13], v[10:11], v[8:9]
	v_fma_f64 v[6:7], -v[6:7], v[12:13], v[10:11]
	v_div_fmas_f64 v[6:7], v[6:7], v[8:9], v[12:13]
	v_div_fixup_f64 v[4:5], v[6:7], v[4:5], 1.0
	ds_write_b64 v1, v[4:5]
.LBB113_59:
	s_or_b32 exec_lo, exec_lo, s1
	s_waitcnt lgkmcnt(0)
	s_barrier
	buffer_gl0_inv
	ds_read_b64 v[109:110], v1
	s_mov_b32 s1, exec_lo
	v_cmpx_lt_u32_e32 11, v0
	s_cbranch_execz .LBB113_61
; %bb.60:
	s_waitcnt lgkmcnt(0)
	v_mul_f64 v[200:201], v[109:110], v[200:201]
	ds_read2_b64 v[4:7], v48 offset0:12 offset1:13
	s_waitcnt lgkmcnt(0)
	v_fma_f64 v[218:219], -v[200:201], v[4:5], v[218:219]
	v_fma_f64 v[198:199], -v[200:201], v[6:7], v[198:199]
	ds_read2_b64 v[4:7], v48 offset0:14 offset1:15
	s_waitcnt lgkmcnt(0)
	v_fma_f64 v[216:217], -v[200:201], v[4:5], v[216:217]
	v_fma_f64 v[196:197], -v[200:201], v[6:7], v[196:197]
	;; [unrolled: 4-line block ×21, first 2 shown]
	ds_read2_b64 v[4:7], v48 offset0:54 offset1:55
	s_waitcnt lgkmcnt(0)
	v_fma_f64 v[156:157], -v[200:201], v[4:5], v[156:157]
	ds_read_b64 v[4:5], v48 offset:448
	v_fma_f64 v[118:119], -v[200:201], v[6:7], v[118:119]
	s_waitcnt lgkmcnt(0)
	v_fma_f64 v[230:231], -v[200:201], v[4:5], v[230:231]
.LBB113_61:
	s_or_b32 exec_lo, exec_lo, s1
	s_mov_b32 s1, exec_lo
	s_waitcnt lgkmcnt(0)
	s_barrier
	buffer_gl0_inv
	v_cmpx_eq_u32_e32 12, v0
	s_cbranch_execz .LBB113_64
; %bb.62:
	ds_write_b64 v1, v[218:219]
	ds_write2_b64 v48, v[198:199], v[216:217] offset0:13 offset1:14
	ds_write2_b64 v48, v[196:197], v[214:215] offset0:15 offset1:16
	;; [unrolled: 1-line block ×22, first 2 shown]
	ds_read_b64 v[4:5], v1
	s_waitcnt lgkmcnt(0)
	v_cmp_neq_f64_e32 vcc_lo, 0, v[4:5]
	s_and_b32 exec_lo, exec_lo, vcc_lo
	s_cbranch_execz .LBB113_64
; %bb.63:
	v_div_scale_f64 v[6:7], null, v[4:5], v[4:5], 1.0
	v_rcp_f64_e32 v[8:9], v[6:7]
	v_fma_f64 v[10:11], -v[6:7], v[8:9], 1.0
	v_fma_f64 v[8:9], v[8:9], v[10:11], v[8:9]
	v_fma_f64 v[10:11], -v[6:7], v[8:9], 1.0
	v_fma_f64 v[8:9], v[8:9], v[10:11], v[8:9]
	v_div_scale_f64 v[10:11], vcc_lo, 1.0, v[4:5], 1.0
	v_mul_f64 v[12:13], v[10:11], v[8:9]
	v_fma_f64 v[6:7], -v[6:7], v[12:13], v[10:11]
	v_div_fmas_f64 v[6:7], v[6:7], v[8:9], v[12:13]
	v_div_fixup_f64 v[4:5], v[6:7], v[4:5], 1.0
	ds_write_b64 v1, v[4:5]
.LBB113_64:
	s_or_b32 exec_lo, exec_lo, s1
	s_waitcnt lgkmcnt(0)
	s_barrier
	buffer_gl0_inv
	ds_read_b64 v[111:112], v1
	s_mov_b32 s1, exec_lo
	v_cmpx_lt_u32_e32 12, v0
	s_cbranch_execz .LBB113_66
; %bb.65:
	s_waitcnt lgkmcnt(0)
	v_mul_f64 v[218:219], v[111:112], v[218:219]
	ds_read2_b64 v[4:7], v48 offset0:13 offset1:14
	s_waitcnt lgkmcnt(0)
	v_fma_f64 v[198:199], -v[218:219], v[4:5], v[198:199]
	v_fma_f64 v[216:217], -v[218:219], v[6:7], v[216:217]
	ds_read2_b64 v[4:7], v48 offset0:15 offset1:16
	s_waitcnt lgkmcnt(0)
	v_fma_f64 v[196:197], -v[218:219], v[4:5], v[196:197]
	v_fma_f64 v[214:215], -v[218:219], v[6:7], v[214:215]
	;; [unrolled: 4-line block ×22, first 2 shown]
.LBB113_66:
	s_or_b32 exec_lo, exec_lo, s1
	s_mov_b32 s1, exec_lo
	s_waitcnt lgkmcnt(0)
	s_barrier
	buffer_gl0_inv
	v_cmpx_eq_u32_e32 13, v0
	s_cbranch_execz .LBB113_69
; %bb.67:
	v_mov_b32_e32 v4, v216
	v_mov_b32_e32 v5, v217
	;; [unrolled: 1-line block ×4, first 2 shown]
	ds_write_b64 v1, v[198:199]
	ds_write2_b64 v48, v[4:5], v[6:7] offset0:14 offset1:15
	v_mov_b32_e32 v4, v214
	v_mov_b32_e32 v5, v215
	v_mov_b32_e32 v6, v194
	v_mov_b32_e32 v7, v195
	ds_write2_b64 v48, v[4:5], v[6:7] offset0:16 offset1:17
	v_mov_b32_e32 v4, v212
	v_mov_b32_e32 v5, v213
	v_mov_b32_e32 v6, v154
	v_mov_b32_e32 v7, v155
	;; [unrolled: 5-line block ×20, first 2 shown]
	ds_write2_b64 v48, v[4:5], v[6:7] offset0:54 offset1:55
	ds_write_b64 v48, v[230:231] offset:448
	ds_read_b64 v[4:5], v1
	s_waitcnt lgkmcnt(0)
	v_cmp_neq_f64_e32 vcc_lo, 0, v[4:5]
	s_and_b32 exec_lo, exec_lo, vcc_lo
	s_cbranch_execz .LBB113_69
; %bb.68:
	v_div_scale_f64 v[6:7], null, v[4:5], v[4:5], 1.0
	v_rcp_f64_e32 v[8:9], v[6:7]
	v_fma_f64 v[10:11], -v[6:7], v[8:9], 1.0
	v_fma_f64 v[8:9], v[8:9], v[10:11], v[8:9]
	v_fma_f64 v[10:11], -v[6:7], v[8:9], 1.0
	v_fma_f64 v[8:9], v[8:9], v[10:11], v[8:9]
	v_div_scale_f64 v[10:11], vcc_lo, 1.0, v[4:5], 1.0
	v_mul_f64 v[12:13], v[10:11], v[8:9]
	v_fma_f64 v[6:7], -v[6:7], v[12:13], v[10:11]
	v_div_fmas_f64 v[6:7], v[6:7], v[8:9], v[12:13]
	v_div_fixup_f64 v[4:5], v[6:7], v[4:5], 1.0
	ds_write_b64 v1, v[4:5]
.LBB113_69:
	s_or_b32 exec_lo, exec_lo, s1
	s_waitcnt lgkmcnt(0)
	s_barrier
	buffer_gl0_inv
	ds_read_b64 v[115:116], v1
	s_mov_b32 s1, exec_lo
	v_cmpx_lt_u32_e32 13, v0
	s_cbranch_execz .LBB113_71
; %bb.70:
	s_waitcnt lgkmcnt(0)
	v_mul_f64 v[198:199], v[115:116], v[198:199]
	ds_read2_b64 v[4:7], v48 offset0:14 offset1:15
	s_waitcnt lgkmcnt(0)
	v_fma_f64 v[216:217], -v[198:199], v[4:5], v[216:217]
	v_fma_f64 v[196:197], -v[198:199], v[6:7], v[196:197]
	ds_read2_b64 v[4:7], v48 offset0:16 offset1:17
	s_waitcnt lgkmcnt(0)
	v_fma_f64 v[214:215], -v[198:199], v[4:5], v[214:215]
	v_fma_f64 v[194:195], -v[198:199], v[6:7], v[194:195]
	;; [unrolled: 4-line block ×20, first 2 shown]
	ds_read2_b64 v[4:7], v48 offset0:54 offset1:55
	s_waitcnt lgkmcnt(0)
	v_fma_f64 v[156:157], -v[198:199], v[4:5], v[156:157]
	ds_read_b64 v[4:5], v48 offset:448
	v_fma_f64 v[118:119], -v[198:199], v[6:7], v[118:119]
	s_waitcnt lgkmcnt(0)
	v_fma_f64 v[230:231], -v[198:199], v[4:5], v[230:231]
.LBB113_71:
	s_or_b32 exec_lo, exec_lo, s1
	s_mov_b32 s1, exec_lo
	s_waitcnt lgkmcnt(0)
	s_barrier
	buffer_gl0_inv
	v_cmpx_eq_u32_e32 14, v0
	s_cbranch_execz .LBB113_74
; %bb.72:
	ds_write_b64 v1, v[216:217]
	ds_write2_b64 v48, v[196:197], v[214:215] offset0:15 offset1:16
	ds_write2_b64 v48, v[194:195], v[212:213] offset0:17 offset1:18
	;; [unrolled: 1-line block ×21, first 2 shown]
	ds_read_b64 v[4:5], v1
	s_waitcnt lgkmcnt(0)
	v_cmp_neq_f64_e32 vcc_lo, 0, v[4:5]
	s_and_b32 exec_lo, exec_lo, vcc_lo
	s_cbranch_execz .LBB113_74
; %bb.73:
	v_div_scale_f64 v[6:7], null, v[4:5], v[4:5], 1.0
	v_rcp_f64_e32 v[8:9], v[6:7]
	v_fma_f64 v[10:11], -v[6:7], v[8:9], 1.0
	v_fma_f64 v[8:9], v[8:9], v[10:11], v[8:9]
	v_fma_f64 v[10:11], -v[6:7], v[8:9], 1.0
	v_fma_f64 v[8:9], v[8:9], v[10:11], v[8:9]
	v_div_scale_f64 v[10:11], vcc_lo, 1.0, v[4:5], 1.0
	v_mul_f64 v[12:13], v[10:11], v[8:9]
	v_fma_f64 v[6:7], -v[6:7], v[12:13], v[10:11]
	v_div_fmas_f64 v[6:7], v[6:7], v[8:9], v[12:13]
	v_div_fixup_f64 v[4:5], v[6:7], v[4:5], 1.0
	ds_write_b64 v1, v[4:5]
.LBB113_74:
	s_or_b32 exec_lo, exec_lo, s1
	s_waitcnt lgkmcnt(0)
	s_barrier
	buffer_gl0_inv
	ds_read_b64 v[254:255], v1
	s_mov_b32 s1, exec_lo
	v_cmpx_lt_u32_e32 14, v0
	s_cbranch_execz .LBB113_76
; %bb.75:
	s_waitcnt lgkmcnt(0)
	v_mul_f64 v[216:217], v[254:255], v[216:217]
	ds_read2_b64 v[4:7], v48 offset0:15 offset1:16
	s_waitcnt lgkmcnt(0)
	v_fma_f64 v[196:197], -v[216:217], v[4:5], v[196:197]
	v_fma_f64 v[214:215], -v[216:217], v[6:7], v[214:215]
	ds_read2_b64 v[4:7], v48 offset0:17 offset1:18
	s_waitcnt lgkmcnt(0)
	v_fma_f64 v[194:195], -v[216:217], v[4:5], v[194:195]
	v_fma_f64 v[212:213], -v[216:217], v[6:7], v[212:213]
	ds_read2_b64 v[4:7], v48 offset0:19 offset1:20
	s_waitcnt lgkmcnt(0)
	v_fma_f64 v[154:155], -v[216:217], v[4:5], v[154:155]
	v_fma_f64 v[190:191], -v[216:217], v[6:7], v[190:191]
	ds_read2_b64 v[4:7], v48 offset0:21 offset1:22
	s_waitcnt lgkmcnt(0)
	v_fma_f64 v[152:153], -v[216:217], v[4:5], v[152:153]
	v_fma_f64 v[188:189], -v[216:217], v[6:7], v[188:189]
	ds_read2_b64 v[4:7], v48 offset0:23 offset1:24
	s_waitcnt lgkmcnt(0)
	v_fma_f64 v[150:151], -v[216:217], v[4:5], v[150:151]
	v_fma_f64 v[186:187], -v[216:217], v[6:7], v[186:187]
	ds_read2_b64 v[4:7], v48 offset0:25 offset1:26
	s_waitcnt lgkmcnt(0)
	v_fma_f64 v[148:149], -v[216:217], v[4:5], v[148:149]
	v_fma_f64 v[184:185], -v[216:217], v[6:7], v[184:185]
	ds_read2_b64 v[4:7], v48 offset0:27 offset1:28
	s_waitcnt lgkmcnt(0)
	v_fma_f64 v[146:147], -v[216:217], v[4:5], v[146:147]
	v_fma_f64 v[182:183], -v[216:217], v[6:7], v[182:183]
	ds_read2_b64 v[4:7], v48 offset0:29 offset1:30
	s_waitcnt lgkmcnt(0)
	v_fma_f64 v[144:145], -v[216:217], v[4:5], v[144:145]
	v_fma_f64 v[180:181], -v[216:217], v[6:7], v[180:181]
	ds_read2_b64 v[4:7], v48 offset0:31 offset1:32
	s_waitcnt lgkmcnt(0)
	v_fma_f64 v[142:143], -v[216:217], v[4:5], v[142:143]
	v_fma_f64 v[178:179], -v[216:217], v[6:7], v[178:179]
	ds_read2_b64 v[4:7], v48 offset0:33 offset1:34
	s_waitcnt lgkmcnt(0)
	v_fma_f64 v[140:141], -v[216:217], v[4:5], v[140:141]
	v_fma_f64 v[176:177], -v[216:217], v[6:7], v[176:177]
	ds_read2_b64 v[4:7], v48 offset0:35 offset1:36
	s_waitcnt lgkmcnt(0)
	v_fma_f64 v[138:139], -v[216:217], v[4:5], v[138:139]
	v_fma_f64 v[174:175], -v[216:217], v[6:7], v[174:175]
	ds_read2_b64 v[4:7], v48 offset0:37 offset1:38
	s_waitcnt lgkmcnt(0)
	v_fma_f64 v[136:137], -v[216:217], v[4:5], v[136:137]
	v_fma_f64 v[172:173], -v[216:217], v[6:7], v[172:173]
	ds_read2_b64 v[4:7], v48 offset0:39 offset1:40
	s_waitcnt lgkmcnt(0)
	v_fma_f64 v[134:135], -v[216:217], v[4:5], v[134:135]
	v_fma_f64 v[170:171], -v[216:217], v[6:7], v[170:171]
	ds_read2_b64 v[4:7], v48 offset0:41 offset1:42
	s_waitcnt lgkmcnt(0)
	v_fma_f64 v[132:133], -v[216:217], v[4:5], v[132:133]
	v_fma_f64 v[168:169], -v[216:217], v[6:7], v[168:169]
	ds_read2_b64 v[4:7], v48 offset0:43 offset1:44
	s_waitcnt lgkmcnt(0)
	v_fma_f64 v[130:131], -v[216:217], v[4:5], v[130:131]
	v_fma_f64 v[166:167], -v[216:217], v[6:7], v[166:167]
	ds_read2_b64 v[4:7], v48 offset0:45 offset1:46
	s_waitcnt lgkmcnt(0)
	v_fma_f64 v[128:129], -v[216:217], v[4:5], v[128:129]
	v_fma_f64 v[164:165], -v[216:217], v[6:7], v[164:165]
	ds_read2_b64 v[4:7], v48 offset0:47 offset1:48
	s_waitcnt lgkmcnt(0)
	v_fma_f64 v[126:127], -v[216:217], v[4:5], v[126:127]
	v_fma_f64 v[162:163], -v[216:217], v[6:7], v[162:163]
	ds_read2_b64 v[4:7], v48 offset0:49 offset1:50
	s_waitcnt lgkmcnt(0)
	v_fma_f64 v[124:125], -v[216:217], v[4:5], v[124:125]
	v_fma_f64 v[160:161], -v[216:217], v[6:7], v[160:161]
	ds_read2_b64 v[4:7], v48 offset0:51 offset1:52
	s_waitcnt lgkmcnt(0)
	v_fma_f64 v[122:123], -v[216:217], v[4:5], v[122:123]
	v_fma_f64 v[158:159], -v[216:217], v[6:7], v[158:159]
	ds_read2_b64 v[4:7], v48 offset0:53 offset1:54
	s_waitcnt lgkmcnt(0)
	v_fma_f64 v[120:121], -v[216:217], v[4:5], v[120:121]
	v_fma_f64 v[156:157], -v[216:217], v[6:7], v[156:157]
	ds_read2_b64 v[4:7], v48 offset0:55 offset1:56
	s_waitcnt lgkmcnt(0)
	v_fma_f64 v[118:119], -v[216:217], v[4:5], v[118:119]
	v_fma_f64 v[230:231], -v[216:217], v[6:7], v[230:231]
.LBB113_76:
	s_or_b32 exec_lo, exec_lo, s1
	s_mov_b32 s1, exec_lo
	s_waitcnt lgkmcnt(0)
	s_barrier
	buffer_gl0_inv
	v_cmpx_eq_u32_e32 15, v0
	s_cbranch_execz .LBB113_79
; %bb.77:
	v_mov_b32_e32 v4, v214
	v_mov_b32_e32 v5, v215
	v_mov_b32_e32 v6, v194
	v_mov_b32_e32 v7, v195
	ds_write_b64 v1, v[196:197]
	ds_write2_b64 v48, v[4:5], v[6:7] offset0:16 offset1:17
	v_mov_b32_e32 v4, v212
	v_mov_b32_e32 v5, v213
	v_mov_b32_e32 v6, v154
	v_mov_b32_e32 v7, v155
	ds_write2_b64 v48, v[4:5], v[6:7] offset0:18 offset1:19
	v_mov_b32_e32 v4, v190
	v_mov_b32_e32 v5, v191
	v_mov_b32_e32 v6, v152
	v_mov_b32_e32 v7, v153
	ds_write2_b64 v48, v[4:5], v[6:7] offset0:20 offset1:21
	v_mov_b32_e32 v4, v188
	v_mov_b32_e32 v5, v189
	v_mov_b32_e32 v6, v150
	v_mov_b32_e32 v7, v151
	ds_write2_b64 v48, v[4:5], v[6:7] offset0:22 offset1:23
	v_mov_b32_e32 v4, v186
	v_mov_b32_e32 v5, v187
	v_mov_b32_e32 v6, v148
	v_mov_b32_e32 v7, v149
	ds_write2_b64 v48, v[4:5], v[6:7] offset0:24 offset1:25
	v_mov_b32_e32 v4, v184
	v_mov_b32_e32 v5, v185
	v_mov_b32_e32 v6, v146
	v_mov_b32_e32 v7, v147
	ds_write2_b64 v48, v[4:5], v[6:7] offset0:26 offset1:27
	v_mov_b32_e32 v4, v182
	v_mov_b32_e32 v5, v183
	v_mov_b32_e32 v6, v144
	v_mov_b32_e32 v7, v145
	ds_write2_b64 v48, v[4:5], v[6:7] offset0:28 offset1:29
	v_mov_b32_e32 v4, v180
	v_mov_b32_e32 v5, v181
	v_mov_b32_e32 v6, v142
	v_mov_b32_e32 v7, v143
	ds_write2_b64 v48, v[4:5], v[6:7] offset0:30 offset1:31
	v_mov_b32_e32 v4, v178
	v_mov_b32_e32 v5, v179
	v_mov_b32_e32 v6, v140
	v_mov_b32_e32 v7, v141
	ds_write2_b64 v48, v[4:5], v[6:7] offset0:32 offset1:33
	v_mov_b32_e32 v4, v176
	v_mov_b32_e32 v5, v177
	v_mov_b32_e32 v6, v138
	v_mov_b32_e32 v7, v139
	ds_write2_b64 v48, v[4:5], v[6:7] offset0:34 offset1:35
	v_mov_b32_e32 v4, v174
	v_mov_b32_e32 v5, v175
	v_mov_b32_e32 v6, v136
	v_mov_b32_e32 v7, v137
	ds_write2_b64 v48, v[4:5], v[6:7] offset0:36 offset1:37
	v_mov_b32_e32 v4, v172
	v_mov_b32_e32 v5, v173
	v_mov_b32_e32 v6, v134
	v_mov_b32_e32 v7, v135
	ds_write2_b64 v48, v[4:5], v[6:7] offset0:38 offset1:39
	v_mov_b32_e32 v4, v170
	v_mov_b32_e32 v5, v171
	v_mov_b32_e32 v6, v132
	v_mov_b32_e32 v7, v133
	ds_write2_b64 v48, v[4:5], v[6:7] offset0:40 offset1:41
	v_mov_b32_e32 v4, v168
	v_mov_b32_e32 v5, v169
	v_mov_b32_e32 v6, v130
	v_mov_b32_e32 v7, v131
	ds_write2_b64 v48, v[4:5], v[6:7] offset0:42 offset1:43
	v_mov_b32_e32 v4, v166
	v_mov_b32_e32 v5, v167
	v_mov_b32_e32 v6, v128
	v_mov_b32_e32 v7, v129
	ds_write2_b64 v48, v[4:5], v[6:7] offset0:44 offset1:45
	v_mov_b32_e32 v4, v164
	v_mov_b32_e32 v5, v165
	v_mov_b32_e32 v6, v126
	v_mov_b32_e32 v7, v127
	ds_write2_b64 v48, v[4:5], v[6:7] offset0:46 offset1:47
	v_mov_b32_e32 v4, v162
	v_mov_b32_e32 v5, v163
	v_mov_b32_e32 v6, v124
	v_mov_b32_e32 v7, v125
	ds_write2_b64 v48, v[4:5], v[6:7] offset0:48 offset1:49
	v_mov_b32_e32 v4, v160
	v_mov_b32_e32 v5, v161
	v_mov_b32_e32 v6, v122
	v_mov_b32_e32 v7, v123
	ds_write2_b64 v48, v[4:5], v[6:7] offset0:50 offset1:51
	v_mov_b32_e32 v4, v158
	v_mov_b32_e32 v5, v159
	v_mov_b32_e32 v6, v120
	v_mov_b32_e32 v7, v121
	ds_write2_b64 v48, v[4:5], v[6:7] offset0:52 offset1:53
	v_mov_b32_e32 v4, v156
	v_mov_b32_e32 v5, v157
	v_mov_b32_e32 v6, v118
	v_mov_b32_e32 v7, v119
	ds_write2_b64 v48, v[4:5], v[6:7] offset0:54 offset1:55
	ds_write_b64 v48, v[230:231] offset:448
	ds_read_b64 v[4:5], v1
	s_waitcnt lgkmcnt(0)
	v_cmp_neq_f64_e32 vcc_lo, 0, v[4:5]
	s_and_b32 exec_lo, exec_lo, vcc_lo
	s_cbranch_execz .LBB113_79
; %bb.78:
	v_div_scale_f64 v[6:7], null, v[4:5], v[4:5], 1.0
	v_rcp_f64_e32 v[8:9], v[6:7]
	v_fma_f64 v[10:11], -v[6:7], v[8:9], 1.0
	v_fma_f64 v[8:9], v[8:9], v[10:11], v[8:9]
	v_fma_f64 v[10:11], -v[6:7], v[8:9], 1.0
	v_fma_f64 v[8:9], v[8:9], v[10:11], v[8:9]
	v_div_scale_f64 v[10:11], vcc_lo, 1.0, v[4:5], 1.0
	v_mul_f64 v[12:13], v[10:11], v[8:9]
	v_fma_f64 v[6:7], -v[6:7], v[12:13], v[10:11]
	v_div_fmas_f64 v[6:7], v[6:7], v[8:9], v[12:13]
	v_div_fixup_f64 v[4:5], v[6:7], v[4:5], 1.0
	ds_write_b64 v1, v[4:5]
.LBB113_79:
	s_or_b32 exec_lo, exec_lo, s1
	s_waitcnt lgkmcnt(0)
	s_barrier
	buffer_gl0_inv
	ds_read_b64 v[232:233], v1
	s_mov_b32 s1, exec_lo
	v_cmpx_lt_u32_e32 15, v0
	s_cbranch_execz .LBB113_81
; %bb.80:
	s_waitcnt lgkmcnt(0)
	v_mul_f64 v[196:197], v[232:233], v[196:197]
	ds_read2_b64 v[4:7], v48 offset0:16 offset1:17
	s_waitcnt lgkmcnt(0)
	v_fma_f64 v[214:215], -v[196:197], v[4:5], v[214:215]
	v_fma_f64 v[194:195], -v[196:197], v[6:7], v[194:195]
	ds_read2_b64 v[4:7], v48 offset0:18 offset1:19
	s_waitcnt lgkmcnt(0)
	v_fma_f64 v[212:213], -v[196:197], v[4:5], v[212:213]
	v_fma_f64 v[154:155], -v[196:197], v[6:7], v[154:155]
	;; [unrolled: 4-line block ×19, first 2 shown]
	ds_read2_b64 v[4:7], v48 offset0:54 offset1:55
	s_waitcnt lgkmcnt(0)
	v_fma_f64 v[156:157], -v[196:197], v[4:5], v[156:157]
	ds_read_b64 v[4:5], v48 offset:448
	v_fma_f64 v[118:119], -v[196:197], v[6:7], v[118:119]
	s_waitcnt lgkmcnt(0)
	v_fma_f64 v[230:231], -v[196:197], v[4:5], v[230:231]
.LBB113_81:
	s_or_b32 exec_lo, exec_lo, s1
	s_mov_b32 s1, exec_lo
	s_waitcnt lgkmcnt(0)
	s_barrier
	buffer_gl0_inv
	v_cmpx_eq_u32_e32 16, v0
	s_cbranch_execz .LBB113_84
; %bb.82:
	ds_write_b64 v1, v[214:215]
	ds_write2_b64 v48, v[194:195], v[212:213] offset0:17 offset1:18
	ds_write2_b64 v48, v[154:155], v[190:191] offset0:19 offset1:20
	;; [unrolled: 1-line block ×20, first 2 shown]
	ds_read_b64 v[4:5], v1
	s_waitcnt lgkmcnt(0)
	v_cmp_neq_f64_e32 vcc_lo, 0, v[4:5]
	s_and_b32 exec_lo, exec_lo, vcc_lo
	s_cbranch_execz .LBB113_84
; %bb.83:
	v_div_scale_f64 v[6:7], null, v[4:5], v[4:5], 1.0
	v_rcp_f64_e32 v[8:9], v[6:7]
	v_fma_f64 v[10:11], -v[6:7], v[8:9], 1.0
	v_fma_f64 v[8:9], v[8:9], v[10:11], v[8:9]
	v_fma_f64 v[10:11], -v[6:7], v[8:9], 1.0
	v_fma_f64 v[8:9], v[8:9], v[10:11], v[8:9]
	v_div_scale_f64 v[10:11], vcc_lo, 1.0, v[4:5], 1.0
	v_mul_f64 v[12:13], v[10:11], v[8:9]
	v_fma_f64 v[6:7], -v[6:7], v[12:13], v[10:11]
	v_div_fmas_f64 v[6:7], v[6:7], v[8:9], v[12:13]
	v_div_fixup_f64 v[4:5], v[6:7], v[4:5], 1.0
	ds_write_b64 v1, v[4:5]
.LBB113_84:
	s_or_b32 exec_lo, exec_lo, s1
	s_waitcnt lgkmcnt(0)
	s_barrier
	buffer_gl0_inv
	ds_read_b64 v[234:235], v1
	s_mov_b32 s1, exec_lo
	v_cmpx_lt_u32_e32 16, v0
	s_cbranch_execz .LBB113_86
; %bb.85:
	s_waitcnt lgkmcnt(0)
	v_mul_f64 v[214:215], v[234:235], v[214:215]
	ds_read2_b64 v[4:7], v48 offset0:17 offset1:18
	s_waitcnt lgkmcnt(0)
	v_fma_f64 v[194:195], -v[214:215], v[4:5], v[194:195]
	v_fma_f64 v[212:213], -v[214:215], v[6:7], v[212:213]
	ds_read2_b64 v[4:7], v48 offset0:19 offset1:20
	s_waitcnt lgkmcnt(0)
	v_fma_f64 v[154:155], -v[214:215], v[4:5], v[154:155]
	v_fma_f64 v[190:191], -v[214:215], v[6:7], v[190:191]
	;; [unrolled: 4-line block ×20, first 2 shown]
.LBB113_86:
	s_or_b32 exec_lo, exec_lo, s1
	s_mov_b32 s1, exec_lo
	s_waitcnt lgkmcnt(0)
	s_barrier
	buffer_gl0_inv
	v_cmpx_eq_u32_e32 17, v0
	s_cbranch_execz .LBB113_89
; %bb.87:
	v_mov_b32_e32 v4, v212
	v_mov_b32_e32 v5, v213
	;; [unrolled: 1-line block ×4, first 2 shown]
	ds_write_b64 v1, v[194:195]
	ds_write2_b64 v48, v[4:5], v[6:7] offset0:18 offset1:19
	v_mov_b32_e32 v4, v190
	v_mov_b32_e32 v5, v191
	v_mov_b32_e32 v6, v152
	v_mov_b32_e32 v7, v153
	ds_write2_b64 v48, v[4:5], v[6:7] offset0:20 offset1:21
	v_mov_b32_e32 v4, v188
	v_mov_b32_e32 v5, v189
	v_mov_b32_e32 v6, v150
	v_mov_b32_e32 v7, v151
	;; [unrolled: 5-line block ×18, first 2 shown]
	ds_write2_b64 v48, v[4:5], v[6:7] offset0:54 offset1:55
	ds_write_b64 v48, v[230:231] offset:448
	ds_read_b64 v[4:5], v1
	s_waitcnt lgkmcnt(0)
	v_cmp_neq_f64_e32 vcc_lo, 0, v[4:5]
	s_and_b32 exec_lo, exec_lo, vcc_lo
	s_cbranch_execz .LBB113_89
; %bb.88:
	v_div_scale_f64 v[6:7], null, v[4:5], v[4:5], 1.0
	v_rcp_f64_e32 v[8:9], v[6:7]
	v_fma_f64 v[10:11], -v[6:7], v[8:9], 1.0
	v_fma_f64 v[8:9], v[8:9], v[10:11], v[8:9]
	v_fma_f64 v[10:11], -v[6:7], v[8:9], 1.0
	v_fma_f64 v[8:9], v[8:9], v[10:11], v[8:9]
	v_div_scale_f64 v[10:11], vcc_lo, 1.0, v[4:5], 1.0
	v_mul_f64 v[12:13], v[10:11], v[8:9]
	v_fma_f64 v[6:7], -v[6:7], v[12:13], v[10:11]
	v_div_fmas_f64 v[6:7], v[6:7], v[8:9], v[12:13]
	v_div_fixup_f64 v[4:5], v[6:7], v[4:5], 1.0
	ds_write_b64 v1, v[4:5]
.LBB113_89:
	s_or_b32 exec_lo, exec_lo, s1
	s_waitcnt lgkmcnt(0)
	s_barrier
	buffer_gl0_inv
	ds_read_b64 v[236:237], v1
	s_mov_b32 s1, exec_lo
	v_cmpx_lt_u32_e32 17, v0
	s_cbranch_execz .LBB113_91
; %bb.90:
	s_waitcnt lgkmcnt(0)
	v_mul_f64 v[194:195], v[236:237], v[194:195]
	ds_read2_b64 v[4:7], v48 offset0:18 offset1:19
	s_waitcnt lgkmcnt(0)
	v_fma_f64 v[212:213], -v[194:195], v[4:5], v[212:213]
	v_fma_f64 v[154:155], -v[194:195], v[6:7], v[154:155]
	ds_read2_b64 v[4:7], v48 offset0:20 offset1:21
	s_waitcnt lgkmcnt(0)
	v_fma_f64 v[190:191], -v[194:195], v[4:5], v[190:191]
	v_fma_f64 v[152:153], -v[194:195], v[6:7], v[152:153]
	ds_read2_b64 v[4:7], v48 offset0:22 offset1:23
	s_waitcnt lgkmcnt(0)
	v_fma_f64 v[188:189], -v[194:195], v[4:5], v[188:189]
	v_fma_f64 v[150:151], -v[194:195], v[6:7], v[150:151]
	ds_read2_b64 v[4:7], v48 offset0:24 offset1:25
	s_waitcnt lgkmcnt(0)
	v_fma_f64 v[186:187], -v[194:195], v[4:5], v[186:187]
	v_fma_f64 v[148:149], -v[194:195], v[6:7], v[148:149]
	ds_read2_b64 v[4:7], v48 offset0:26 offset1:27
	s_waitcnt lgkmcnt(0)
	v_fma_f64 v[184:185], -v[194:195], v[4:5], v[184:185]
	v_fma_f64 v[146:147], -v[194:195], v[6:7], v[146:147]
	ds_read2_b64 v[4:7], v48 offset0:28 offset1:29
	s_waitcnt lgkmcnt(0)
	v_fma_f64 v[182:183], -v[194:195], v[4:5], v[182:183]
	v_fma_f64 v[144:145], -v[194:195], v[6:7], v[144:145]
	ds_read2_b64 v[4:7], v48 offset0:30 offset1:31
	s_waitcnt lgkmcnt(0)
	v_fma_f64 v[180:181], -v[194:195], v[4:5], v[180:181]
	v_fma_f64 v[142:143], -v[194:195], v[6:7], v[142:143]
	ds_read2_b64 v[4:7], v48 offset0:32 offset1:33
	s_waitcnt lgkmcnt(0)
	v_fma_f64 v[178:179], -v[194:195], v[4:5], v[178:179]
	v_fma_f64 v[140:141], -v[194:195], v[6:7], v[140:141]
	ds_read2_b64 v[4:7], v48 offset0:34 offset1:35
	s_waitcnt lgkmcnt(0)
	v_fma_f64 v[176:177], -v[194:195], v[4:5], v[176:177]
	v_fma_f64 v[138:139], -v[194:195], v[6:7], v[138:139]
	ds_read2_b64 v[4:7], v48 offset0:36 offset1:37
	s_waitcnt lgkmcnt(0)
	v_fma_f64 v[174:175], -v[194:195], v[4:5], v[174:175]
	v_fma_f64 v[136:137], -v[194:195], v[6:7], v[136:137]
	ds_read2_b64 v[4:7], v48 offset0:38 offset1:39
	s_waitcnt lgkmcnt(0)
	v_fma_f64 v[172:173], -v[194:195], v[4:5], v[172:173]
	v_fma_f64 v[134:135], -v[194:195], v[6:7], v[134:135]
	ds_read2_b64 v[4:7], v48 offset0:40 offset1:41
	s_waitcnt lgkmcnt(0)
	v_fma_f64 v[170:171], -v[194:195], v[4:5], v[170:171]
	v_fma_f64 v[132:133], -v[194:195], v[6:7], v[132:133]
	ds_read2_b64 v[4:7], v48 offset0:42 offset1:43
	s_waitcnt lgkmcnt(0)
	v_fma_f64 v[168:169], -v[194:195], v[4:5], v[168:169]
	v_fma_f64 v[130:131], -v[194:195], v[6:7], v[130:131]
	ds_read2_b64 v[4:7], v48 offset0:44 offset1:45
	s_waitcnt lgkmcnt(0)
	v_fma_f64 v[166:167], -v[194:195], v[4:5], v[166:167]
	v_fma_f64 v[128:129], -v[194:195], v[6:7], v[128:129]
	ds_read2_b64 v[4:7], v48 offset0:46 offset1:47
	s_waitcnt lgkmcnt(0)
	v_fma_f64 v[164:165], -v[194:195], v[4:5], v[164:165]
	v_fma_f64 v[126:127], -v[194:195], v[6:7], v[126:127]
	ds_read2_b64 v[4:7], v48 offset0:48 offset1:49
	s_waitcnt lgkmcnt(0)
	v_fma_f64 v[162:163], -v[194:195], v[4:5], v[162:163]
	v_fma_f64 v[124:125], -v[194:195], v[6:7], v[124:125]
	ds_read2_b64 v[4:7], v48 offset0:50 offset1:51
	s_waitcnt lgkmcnt(0)
	v_fma_f64 v[160:161], -v[194:195], v[4:5], v[160:161]
	v_fma_f64 v[122:123], -v[194:195], v[6:7], v[122:123]
	ds_read2_b64 v[4:7], v48 offset0:52 offset1:53
	s_waitcnt lgkmcnt(0)
	v_fma_f64 v[158:159], -v[194:195], v[4:5], v[158:159]
	v_fma_f64 v[120:121], -v[194:195], v[6:7], v[120:121]
	ds_read2_b64 v[4:7], v48 offset0:54 offset1:55
	s_waitcnt lgkmcnt(0)
	v_fma_f64 v[156:157], -v[194:195], v[4:5], v[156:157]
	ds_read_b64 v[4:5], v48 offset:448
	v_fma_f64 v[118:119], -v[194:195], v[6:7], v[118:119]
	s_waitcnt lgkmcnt(0)
	v_fma_f64 v[230:231], -v[194:195], v[4:5], v[230:231]
.LBB113_91:
	s_or_b32 exec_lo, exec_lo, s1
	s_mov_b32 s1, exec_lo
	s_waitcnt lgkmcnt(0)
	s_barrier
	buffer_gl0_inv
	v_cmpx_eq_u32_e32 18, v0
	s_cbranch_execz .LBB113_94
; %bb.92:
	ds_write_b64 v1, v[212:213]
	ds_write2_b64 v48, v[154:155], v[190:191] offset0:19 offset1:20
	ds_write2_b64 v48, v[152:153], v[188:189] offset0:21 offset1:22
	;; [unrolled: 1-line block ×19, first 2 shown]
	ds_read_b64 v[4:5], v1
	s_waitcnt lgkmcnt(0)
	v_cmp_neq_f64_e32 vcc_lo, 0, v[4:5]
	s_and_b32 exec_lo, exec_lo, vcc_lo
	s_cbranch_execz .LBB113_94
; %bb.93:
	v_div_scale_f64 v[6:7], null, v[4:5], v[4:5], 1.0
	v_rcp_f64_e32 v[8:9], v[6:7]
	v_fma_f64 v[10:11], -v[6:7], v[8:9], 1.0
	v_fma_f64 v[8:9], v[8:9], v[10:11], v[8:9]
	v_fma_f64 v[10:11], -v[6:7], v[8:9], 1.0
	v_fma_f64 v[8:9], v[8:9], v[10:11], v[8:9]
	v_div_scale_f64 v[10:11], vcc_lo, 1.0, v[4:5], 1.0
	v_mul_f64 v[12:13], v[10:11], v[8:9]
	v_fma_f64 v[6:7], -v[6:7], v[12:13], v[10:11]
	v_div_fmas_f64 v[6:7], v[6:7], v[8:9], v[12:13]
	v_div_fixup_f64 v[4:5], v[6:7], v[4:5], 1.0
	ds_write_b64 v1, v[4:5]
.LBB113_94:
	s_or_b32 exec_lo, exec_lo, s1
	s_waitcnt lgkmcnt(0)
	s_barrier
	buffer_gl0_inv
	ds_read_b64 v[238:239], v1
	s_mov_b32 s1, exec_lo
	v_cmpx_lt_u32_e32 18, v0
	s_cbranch_execz .LBB113_96
; %bb.95:
	s_waitcnt lgkmcnt(0)
	v_mul_f64 v[212:213], v[238:239], v[212:213]
	ds_read2_b64 v[4:7], v48 offset0:19 offset1:20
	s_waitcnt lgkmcnt(0)
	v_fma_f64 v[154:155], -v[212:213], v[4:5], v[154:155]
	v_fma_f64 v[190:191], -v[212:213], v[6:7], v[190:191]
	ds_read2_b64 v[4:7], v48 offset0:21 offset1:22
	s_waitcnt lgkmcnt(0)
	v_fma_f64 v[152:153], -v[212:213], v[4:5], v[152:153]
	v_fma_f64 v[188:189], -v[212:213], v[6:7], v[188:189]
	;; [unrolled: 4-line block ×19, first 2 shown]
.LBB113_96:
	s_or_b32 exec_lo, exec_lo, s1
	s_mov_b32 s1, exec_lo
	s_waitcnt lgkmcnt(0)
	s_barrier
	buffer_gl0_inv
	v_cmpx_eq_u32_e32 19, v0
	s_cbranch_execz .LBB113_99
; %bb.97:
	v_mov_b32_e32 v4, v190
	v_mov_b32_e32 v5, v191
	v_mov_b32_e32 v6, v152
	v_mov_b32_e32 v7, v153
	ds_write_b64 v1, v[154:155]
	ds_write2_b64 v48, v[4:5], v[6:7] offset0:20 offset1:21
	v_mov_b32_e32 v4, v188
	v_mov_b32_e32 v5, v189
	v_mov_b32_e32 v6, v150
	v_mov_b32_e32 v7, v151
	ds_write2_b64 v48, v[4:5], v[6:7] offset0:22 offset1:23
	v_mov_b32_e32 v4, v186
	v_mov_b32_e32 v5, v187
	v_mov_b32_e32 v6, v148
	v_mov_b32_e32 v7, v149
	;; [unrolled: 5-line block ×17, first 2 shown]
	ds_write2_b64 v48, v[4:5], v[6:7] offset0:54 offset1:55
	ds_write_b64 v48, v[230:231] offset:448
	ds_read_b64 v[4:5], v1
	s_waitcnt lgkmcnt(0)
	v_cmp_neq_f64_e32 vcc_lo, 0, v[4:5]
	s_and_b32 exec_lo, exec_lo, vcc_lo
	s_cbranch_execz .LBB113_99
; %bb.98:
	v_div_scale_f64 v[6:7], null, v[4:5], v[4:5], 1.0
	v_rcp_f64_e32 v[8:9], v[6:7]
	v_fma_f64 v[10:11], -v[6:7], v[8:9], 1.0
	v_fma_f64 v[8:9], v[8:9], v[10:11], v[8:9]
	v_fma_f64 v[10:11], -v[6:7], v[8:9], 1.0
	v_fma_f64 v[8:9], v[8:9], v[10:11], v[8:9]
	v_div_scale_f64 v[10:11], vcc_lo, 1.0, v[4:5], 1.0
	v_mul_f64 v[12:13], v[10:11], v[8:9]
	v_fma_f64 v[6:7], -v[6:7], v[12:13], v[10:11]
	v_div_fmas_f64 v[6:7], v[6:7], v[8:9], v[12:13]
	v_div_fixup_f64 v[4:5], v[6:7], v[4:5], 1.0
	ds_write_b64 v1, v[4:5]
.LBB113_99:
	s_or_b32 exec_lo, exec_lo, s1
	s_waitcnt lgkmcnt(0)
	s_barrier
	buffer_gl0_inv
	ds_read_b64 v[240:241], v1
	s_mov_b32 s1, exec_lo
	v_cmpx_lt_u32_e32 19, v0
	s_cbranch_execz .LBB113_101
; %bb.100:
	s_waitcnt lgkmcnt(0)
	v_mul_f64 v[154:155], v[240:241], v[154:155]
	ds_read2_b64 v[4:7], v48 offset0:20 offset1:21
	s_waitcnt lgkmcnt(0)
	v_fma_f64 v[190:191], -v[154:155], v[4:5], v[190:191]
	v_fma_f64 v[152:153], -v[154:155], v[6:7], v[152:153]
	ds_read2_b64 v[4:7], v48 offset0:22 offset1:23
	s_waitcnt lgkmcnt(0)
	v_fma_f64 v[188:189], -v[154:155], v[4:5], v[188:189]
	v_fma_f64 v[150:151], -v[154:155], v[6:7], v[150:151]
	;; [unrolled: 4-line block ×17, first 2 shown]
	ds_read2_b64 v[4:7], v48 offset0:54 offset1:55
	s_waitcnt lgkmcnt(0)
	v_fma_f64 v[156:157], -v[154:155], v[4:5], v[156:157]
	ds_read_b64 v[4:5], v48 offset:448
	v_fma_f64 v[118:119], -v[154:155], v[6:7], v[118:119]
	s_waitcnt lgkmcnt(0)
	v_fma_f64 v[230:231], -v[154:155], v[4:5], v[230:231]
.LBB113_101:
	s_or_b32 exec_lo, exec_lo, s1
	s_mov_b32 s1, exec_lo
	s_waitcnt lgkmcnt(0)
	s_barrier
	buffer_gl0_inv
	v_cmpx_eq_u32_e32 20, v0
	s_cbranch_execz .LBB113_104
; %bb.102:
	ds_write_b64 v1, v[190:191]
	ds_write2_b64 v48, v[152:153], v[188:189] offset0:21 offset1:22
	ds_write2_b64 v48, v[150:151], v[186:187] offset0:23 offset1:24
	;; [unrolled: 1-line block ×18, first 2 shown]
	ds_read_b64 v[4:5], v1
	s_waitcnt lgkmcnt(0)
	v_cmp_neq_f64_e32 vcc_lo, 0, v[4:5]
	s_and_b32 exec_lo, exec_lo, vcc_lo
	s_cbranch_execz .LBB113_104
; %bb.103:
	v_div_scale_f64 v[6:7], null, v[4:5], v[4:5], 1.0
	v_rcp_f64_e32 v[8:9], v[6:7]
	v_fma_f64 v[10:11], -v[6:7], v[8:9], 1.0
	v_fma_f64 v[8:9], v[8:9], v[10:11], v[8:9]
	v_fma_f64 v[10:11], -v[6:7], v[8:9], 1.0
	v_fma_f64 v[8:9], v[8:9], v[10:11], v[8:9]
	v_div_scale_f64 v[10:11], vcc_lo, 1.0, v[4:5], 1.0
	v_mul_f64 v[12:13], v[10:11], v[8:9]
	v_fma_f64 v[6:7], -v[6:7], v[12:13], v[10:11]
	v_div_fmas_f64 v[6:7], v[6:7], v[8:9], v[12:13]
	v_div_fixup_f64 v[4:5], v[6:7], v[4:5], 1.0
	ds_write_b64 v1, v[4:5]
.LBB113_104:
	s_or_b32 exec_lo, exec_lo, s1
	s_waitcnt lgkmcnt(0)
	s_barrier
	buffer_gl0_inv
	ds_read_b64 v[242:243], v1
	s_mov_b32 s1, exec_lo
	v_cmpx_lt_u32_e32 20, v0
	s_cbranch_execz .LBB113_106
; %bb.105:
	s_waitcnt lgkmcnt(0)
	v_mul_f64 v[190:191], v[242:243], v[190:191]
	ds_read2_b64 v[4:7], v48 offset0:21 offset1:22
	s_waitcnt lgkmcnt(0)
	v_fma_f64 v[152:153], -v[190:191], v[4:5], v[152:153]
	v_fma_f64 v[188:189], -v[190:191], v[6:7], v[188:189]
	ds_read2_b64 v[4:7], v48 offset0:23 offset1:24
	s_waitcnt lgkmcnt(0)
	v_fma_f64 v[150:151], -v[190:191], v[4:5], v[150:151]
	v_fma_f64 v[186:187], -v[190:191], v[6:7], v[186:187]
	;; [unrolled: 4-line block ×18, first 2 shown]
.LBB113_106:
	s_or_b32 exec_lo, exec_lo, s1
	s_mov_b32 s1, exec_lo
	s_waitcnt lgkmcnt(0)
	s_barrier
	buffer_gl0_inv
	v_cmpx_eq_u32_e32 21, v0
	s_cbranch_execz .LBB113_109
; %bb.107:
	v_mov_b32_e32 v4, v188
	v_mov_b32_e32 v5, v189
	;; [unrolled: 1-line block ×4, first 2 shown]
	ds_write_b64 v1, v[152:153]
	ds_write2_b64 v48, v[4:5], v[6:7] offset0:22 offset1:23
	v_mov_b32_e32 v4, v186
	v_mov_b32_e32 v5, v187
	v_mov_b32_e32 v6, v148
	v_mov_b32_e32 v7, v149
	ds_write2_b64 v48, v[4:5], v[6:7] offset0:24 offset1:25
	v_mov_b32_e32 v4, v184
	v_mov_b32_e32 v5, v185
	v_mov_b32_e32 v6, v146
	v_mov_b32_e32 v7, v147
	;; [unrolled: 5-line block ×16, first 2 shown]
	ds_write2_b64 v48, v[4:5], v[6:7] offset0:54 offset1:55
	ds_write_b64 v48, v[230:231] offset:448
	ds_read_b64 v[4:5], v1
	s_waitcnt lgkmcnt(0)
	v_cmp_neq_f64_e32 vcc_lo, 0, v[4:5]
	s_and_b32 exec_lo, exec_lo, vcc_lo
	s_cbranch_execz .LBB113_109
; %bb.108:
	v_div_scale_f64 v[6:7], null, v[4:5], v[4:5], 1.0
	v_rcp_f64_e32 v[8:9], v[6:7]
	v_fma_f64 v[10:11], -v[6:7], v[8:9], 1.0
	v_fma_f64 v[8:9], v[8:9], v[10:11], v[8:9]
	v_fma_f64 v[10:11], -v[6:7], v[8:9], 1.0
	v_fma_f64 v[8:9], v[8:9], v[10:11], v[8:9]
	v_div_scale_f64 v[10:11], vcc_lo, 1.0, v[4:5], 1.0
	v_mul_f64 v[12:13], v[10:11], v[8:9]
	v_fma_f64 v[6:7], -v[6:7], v[12:13], v[10:11]
	v_div_fmas_f64 v[6:7], v[6:7], v[8:9], v[12:13]
	v_div_fixup_f64 v[4:5], v[6:7], v[4:5], 1.0
	ds_write_b64 v1, v[4:5]
.LBB113_109:
	s_or_b32 exec_lo, exec_lo, s1
	s_waitcnt lgkmcnt(0)
	s_barrier
	buffer_gl0_inv
	ds_read_b64 v[113:114], v1
	s_mov_b32 s1, exec_lo
	v_cmpx_lt_u32_e32 21, v0
	s_cbranch_execz .LBB113_111
; %bb.110:
	s_waitcnt lgkmcnt(0)
	v_mul_f64 v[152:153], v[113:114], v[152:153]
	ds_read2_b64 v[4:7], v48 offset0:22 offset1:23
	s_waitcnt lgkmcnt(0)
	v_fma_f64 v[188:189], -v[152:153], v[4:5], v[188:189]
	v_fma_f64 v[150:151], -v[152:153], v[6:7], v[150:151]
	ds_read2_b64 v[4:7], v48 offset0:24 offset1:25
	s_waitcnt lgkmcnt(0)
	v_fma_f64 v[186:187], -v[152:153], v[4:5], v[186:187]
	v_fma_f64 v[148:149], -v[152:153], v[6:7], v[148:149]
	;; [unrolled: 4-line block ×16, first 2 shown]
	ds_read2_b64 v[4:7], v48 offset0:54 offset1:55
	s_waitcnt lgkmcnt(0)
	v_fma_f64 v[156:157], -v[152:153], v[4:5], v[156:157]
	ds_read_b64 v[4:5], v48 offset:448
	v_fma_f64 v[118:119], -v[152:153], v[6:7], v[118:119]
	s_waitcnt lgkmcnt(0)
	v_fma_f64 v[230:231], -v[152:153], v[4:5], v[230:231]
.LBB113_111:
	s_or_b32 exec_lo, exec_lo, s1
	s_mov_b32 s1, exec_lo
	s_waitcnt lgkmcnt(0)
	s_barrier
	buffer_gl0_inv
	v_cmpx_eq_u32_e32 22, v0
	s_cbranch_execz .LBB113_114
; %bb.112:
	ds_write_b64 v1, v[188:189]
	ds_write2_b64 v48, v[150:151], v[186:187] offset0:23 offset1:24
	ds_write2_b64 v48, v[148:149], v[184:185] offset0:25 offset1:26
	;; [unrolled: 1-line block ×17, first 2 shown]
	ds_read_b64 v[4:5], v1
	s_waitcnt lgkmcnt(0)
	v_cmp_neq_f64_e32 vcc_lo, 0, v[4:5]
	s_and_b32 exec_lo, exec_lo, vcc_lo
	s_cbranch_execz .LBB113_114
; %bb.113:
	v_div_scale_f64 v[6:7], null, v[4:5], v[4:5], 1.0
	v_rcp_f64_e32 v[8:9], v[6:7]
	v_fma_f64 v[10:11], -v[6:7], v[8:9], 1.0
	v_fma_f64 v[8:9], v[8:9], v[10:11], v[8:9]
	v_fma_f64 v[10:11], -v[6:7], v[8:9], 1.0
	v_fma_f64 v[8:9], v[8:9], v[10:11], v[8:9]
	v_div_scale_f64 v[10:11], vcc_lo, 1.0, v[4:5], 1.0
	v_mul_f64 v[12:13], v[10:11], v[8:9]
	v_fma_f64 v[6:7], -v[6:7], v[12:13], v[10:11]
	v_div_fmas_f64 v[6:7], v[6:7], v[8:9], v[12:13]
	v_div_fixup_f64 v[4:5], v[6:7], v[4:5], 1.0
	ds_write_b64 v1, v[4:5]
.LBB113_114:
	s_or_b32 exec_lo, exec_lo, s1
	s_waitcnt lgkmcnt(0)
	s_barrier
	buffer_gl0_inv
	ds_read_b64 v[54:55], v1
	s_mov_b32 s1, exec_lo
	v_cmpx_lt_u32_e32 22, v0
	s_cbranch_execz .LBB113_116
; %bb.115:
	s_waitcnt lgkmcnt(0)
	v_mul_f64 v[188:189], v[54:55], v[188:189]
	ds_read2_b64 v[4:7], v48 offset0:23 offset1:24
	s_waitcnt lgkmcnt(0)
	v_fma_f64 v[150:151], -v[188:189], v[4:5], v[150:151]
	v_fma_f64 v[186:187], -v[188:189], v[6:7], v[186:187]
	ds_read2_b64 v[4:7], v48 offset0:25 offset1:26
	s_waitcnt lgkmcnt(0)
	v_fma_f64 v[148:149], -v[188:189], v[4:5], v[148:149]
	v_fma_f64 v[184:185], -v[188:189], v[6:7], v[184:185]
	;; [unrolled: 4-line block ×17, first 2 shown]
.LBB113_116:
	s_or_b32 exec_lo, exec_lo, s1
	s_mov_b32 s1, exec_lo
	s_waitcnt lgkmcnt(0)
	s_barrier
	buffer_gl0_inv
	v_cmpx_eq_u32_e32 23, v0
	s_cbranch_execz .LBB113_119
; %bb.117:
	v_mov_b32_e32 v4, v186
	v_mov_b32_e32 v5, v187
	;; [unrolled: 1-line block ×4, first 2 shown]
	ds_write_b64 v1, v[150:151]
	ds_write2_b64 v48, v[4:5], v[6:7] offset0:24 offset1:25
	v_mov_b32_e32 v4, v184
	v_mov_b32_e32 v5, v185
	v_mov_b32_e32 v6, v146
	v_mov_b32_e32 v7, v147
	ds_write2_b64 v48, v[4:5], v[6:7] offset0:26 offset1:27
	v_mov_b32_e32 v4, v182
	v_mov_b32_e32 v5, v183
	v_mov_b32_e32 v6, v144
	v_mov_b32_e32 v7, v145
	;; [unrolled: 5-line block ×15, first 2 shown]
	ds_write2_b64 v48, v[4:5], v[6:7] offset0:54 offset1:55
	ds_write_b64 v48, v[230:231] offset:448
	ds_read_b64 v[4:5], v1
	s_waitcnt lgkmcnt(0)
	v_cmp_neq_f64_e32 vcc_lo, 0, v[4:5]
	s_and_b32 exec_lo, exec_lo, vcc_lo
	s_cbranch_execz .LBB113_119
; %bb.118:
	v_div_scale_f64 v[6:7], null, v[4:5], v[4:5], 1.0
	v_rcp_f64_e32 v[8:9], v[6:7]
	v_fma_f64 v[10:11], -v[6:7], v[8:9], 1.0
	v_fma_f64 v[8:9], v[8:9], v[10:11], v[8:9]
	v_fma_f64 v[10:11], -v[6:7], v[8:9], 1.0
	v_fma_f64 v[8:9], v[8:9], v[10:11], v[8:9]
	v_div_scale_f64 v[10:11], vcc_lo, 1.0, v[4:5], 1.0
	v_mul_f64 v[12:13], v[10:11], v[8:9]
	v_fma_f64 v[6:7], -v[6:7], v[12:13], v[10:11]
	v_div_fmas_f64 v[6:7], v[6:7], v[8:9], v[12:13]
	v_div_fixup_f64 v[4:5], v[6:7], v[4:5], 1.0
	ds_write_b64 v1, v[4:5]
.LBB113_119:
	s_or_b32 exec_lo, exec_lo, s1
	s_waitcnt lgkmcnt(0)
	s_barrier
	buffer_gl0_inv
	ds_read_b64 v[59:60], v1
	s_mov_b32 s1, exec_lo
	v_cmpx_lt_u32_e32 23, v0
	s_cbranch_execz .LBB113_121
; %bb.120:
	s_waitcnt lgkmcnt(0)
	v_mul_f64 v[150:151], v[59:60], v[150:151]
	ds_read2_b64 v[4:7], v48 offset0:24 offset1:25
	s_waitcnt lgkmcnt(0)
	v_fma_f64 v[186:187], -v[150:151], v[4:5], v[186:187]
	v_fma_f64 v[148:149], -v[150:151], v[6:7], v[148:149]
	ds_read2_b64 v[4:7], v48 offset0:26 offset1:27
	s_waitcnt lgkmcnt(0)
	v_fma_f64 v[184:185], -v[150:151], v[4:5], v[184:185]
	v_fma_f64 v[146:147], -v[150:151], v[6:7], v[146:147]
	;; [unrolled: 4-line block ×15, first 2 shown]
	ds_read2_b64 v[4:7], v48 offset0:54 offset1:55
	s_waitcnt lgkmcnt(0)
	v_fma_f64 v[156:157], -v[150:151], v[4:5], v[156:157]
	ds_read_b64 v[4:5], v48 offset:448
	v_fma_f64 v[118:119], -v[150:151], v[6:7], v[118:119]
	s_waitcnt lgkmcnt(0)
	v_fma_f64 v[230:231], -v[150:151], v[4:5], v[230:231]
.LBB113_121:
	s_or_b32 exec_lo, exec_lo, s1
	s_mov_b32 s1, exec_lo
	s_waitcnt lgkmcnt(0)
	s_barrier
	buffer_gl0_inv
	v_cmpx_eq_u32_e32 24, v0
	s_cbranch_execz .LBB113_124
; %bb.122:
	ds_write_b64 v1, v[186:187]
	ds_write2_b64 v48, v[148:149], v[184:185] offset0:25 offset1:26
	ds_write2_b64 v48, v[146:147], v[182:183] offset0:27 offset1:28
	;; [unrolled: 1-line block ×16, first 2 shown]
	ds_read_b64 v[4:5], v1
	s_waitcnt lgkmcnt(0)
	v_cmp_neq_f64_e32 vcc_lo, 0, v[4:5]
	s_and_b32 exec_lo, exec_lo, vcc_lo
	s_cbranch_execz .LBB113_124
; %bb.123:
	v_div_scale_f64 v[6:7], null, v[4:5], v[4:5], 1.0
	v_rcp_f64_e32 v[8:9], v[6:7]
	v_fma_f64 v[10:11], -v[6:7], v[8:9], 1.0
	v_fma_f64 v[8:9], v[8:9], v[10:11], v[8:9]
	v_fma_f64 v[10:11], -v[6:7], v[8:9], 1.0
	v_fma_f64 v[8:9], v[8:9], v[10:11], v[8:9]
	v_div_scale_f64 v[10:11], vcc_lo, 1.0, v[4:5], 1.0
	v_mul_f64 v[12:13], v[10:11], v[8:9]
	v_fma_f64 v[6:7], -v[6:7], v[12:13], v[10:11]
	v_div_fmas_f64 v[6:7], v[6:7], v[8:9], v[12:13]
	v_div_fixup_f64 v[4:5], v[6:7], v[4:5], 1.0
	ds_write_b64 v1, v[4:5]
.LBB113_124:
	s_or_b32 exec_lo, exec_lo, s1
	s_waitcnt lgkmcnt(0)
	s_barrier
	buffer_gl0_inv
	ds_read_b64 v[61:62], v1
	s_mov_b32 s1, exec_lo
	v_cmpx_lt_u32_e32 24, v0
	s_cbranch_execz .LBB113_126
; %bb.125:
	s_waitcnt lgkmcnt(0)
	v_mul_f64 v[186:187], v[61:62], v[186:187]
	ds_read2_b64 v[4:7], v48 offset0:25 offset1:26
	s_waitcnt lgkmcnt(0)
	v_fma_f64 v[148:149], -v[186:187], v[4:5], v[148:149]
	v_fma_f64 v[184:185], -v[186:187], v[6:7], v[184:185]
	ds_read2_b64 v[4:7], v48 offset0:27 offset1:28
	s_waitcnt lgkmcnt(0)
	v_fma_f64 v[146:147], -v[186:187], v[4:5], v[146:147]
	v_fma_f64 v[182:183], -v[186:187], v[6:7], v[182:183]
	;; [unrolled: 4-line block ×16, first 2 shown]
.LBB113_126:
	s_or_b32 exec_lo, exec_lo, s1
	s_mov_b32 s1, exec_lo
	s_waitcnt lgkmcnt(0)
	s_barrier
	buffer_gl0_inv
	v_cmpx_eq_u32_e32 25, v0
	s_cbranch_execz .LBB113_129
; %bb.127:
	v_mov_b32_e32 v4, v184
	v_mov_b32_e32 v5, v185
	;; [unrolled: 1-line block ×4, first 2 shown]
	ds_write_b64 v1, v[148:149]
	ds_write2_b64 v48, v[4:5], v[6:7] offset0:26 offset1:27
	v_mov_b32_e32 v4, v182
	v_mov_b32_e32 v5, v183
	v_mov_b32_e32 v6, v144
	v_mov_b32_e32 v7, v145
	ds_write2_b64 v48, v[4:5], v[6:7] offset0:28 offset1:29
	v_mov_b32_e32 v4, v180
	v_mov_b32_e32 v5, v181
	v_mov_b32_e32 v6, v142
	v_mov_b32_e32 v7, v143
	;; [unrolled: 5-line block ×14, first 2 shown]
	ds_write2_b64 v48, v[4:5], v[6:7] offset0:54 offset1:55
	ds_write_b64 v48, v[230:231] offset:448
	ds_read_b64 v[4:5], v1
	s_waitcnt lgkmcnt(0)
	v_cmp_neq_f64_e32 vcc_lo, 0, v[4:5]
	s_and_b32 exec_lo, exec_lo, vcc_lo
	s_cbranch_execz .LBB113_129
; %bb.128:
	v_div_scale_f64 v[6:7], null, v[4:5], v[4:5], 1.0
	v_rcp_f64_e32 v[8:9], v[6:7]
	v_fma_f64 v[10:11], -v[6:7], v[8:9], 1.0
	v_fma_f64 v[8:9], v[8:9], v[10:11], v[8:9]
	v_fma_f64 v[10:11], -v[6:7], v[8:9], 1.0
	v_fma_f64 v[8:9], v[8:9], v[10:11], v[8:9]
	v_div_scale_f64 v[10:11], vcc_lo, 1.0, v[4:5], 1.0
	v_mul_f64 v[12:13], v[10:11], v[8:9]
	v_fma_f64 v[6:7], -v[6:7], v[12:13], v[10:11]
	v_div_fmas_f64 v[6:7], v[6:7], v[8:9], v[12:13]
	v_div_fixup_f64 v[4:5], v[6:7], v[4:5], 1.0
	ds_write_b64 v1, v[4:5]
.LBB113_129:
	s_or_b32 exec_lo, exec_lo, s1
	s_waitcnt lgkmcnt(0)
	s_barrier
	buffer_gl0_inv
	ds_read_b64 v[63:64], v1
	s_mov_b32 s1, exec_lo
	v_cmpx_lt_u32_e32 25, v0
	s_cbranch_execz .LBB113_131
; %bb.130:
	s_waitcnt lgkmcnt(0)
	v_mul_f64 v[148:149], v[63:64], v[148:149]
	ds_read2_b64 v[4:7], v48 offset0:26 offset1:27
	s_waitcnt lgkmcnt(0)
	v_fma_f64 v[184:185], -v[148:149], v[4:5], v[184:185]
	v_fma_f64 v[146:147], -v[148:149], v[6:7], v[146:147]
	ds_read2_b64 v[4:7], v48 offset0:28 offset1:29
	s_waitcnt lgkmcnt(0)
	v_fma_f64 v[182:183], -v[148:149], v[4:5], v[182:183]
	v_fma_f64 v[144:145], -v[148:149], v[6:7], v[144:145]
	;; [unrolled: 4-line block ×14, first 2 shown]
	ds_read2_b64 v[4:7], v48 offset0:54 offset1:55
	s_waitcnt lgkmcnt(0)
	v_fma_f64 v[156:157], -v[148:149], v[4:5], v[156:157]
	ds_read_b64 v[4:5], v48 offset:448
	v_fma_f64 v[118:119], -v[148:149], v[6:7], v[118:119]
	s_waitcnt lgkmcnt(0)
	v_fma_f64 v[230:231], -v[148:149], v[4:5], v[230:231]
.LBB113_131:
	s_or_b32 exec_lo, exec_lo, s1
	s_mov_b32 s1, exec_lo
	s_waitcnt lgkmcnt(0)
	s_barrier
	buffer_gl0_inv
	v_cmpx_eq_u32_e32 26, v0
	s_cbranch_execz .LBB113_134
; %bb.132:
	ds_write_b64 v1, v[184:185]
	ds_write2_b64 v48, v[146:147], v[182:183] offset0:27 offset1:28
	ds_write2_b64 v48, v[144:145], v[180:181] offset0:29 offset1:30
	;; [unrolled: 1-line block ×15, first 2 shown]
	ds_read_b64 v[4:5], v1
	s_waitcnt lgkmcnt(0)
	v_cmp_neq_f64_e32 vcc_lo, 0, v[4:5]
	s_and_b32 exec_lo, exec_lo, vcc_lo
	s_cbranch_execz .LBB113_134
; %bb.133:
	v_div_scale_f64 v[6:7], null, v[4:5], v[4:5], 1.0
	v_rcp_f64_e32 v[8:9], v[6:7]
	v_fma_f64 v[10:11], -v[6:7], v[8:9], 1.0
	v_fma_f64 v[8:9], v[8:9], v[10:11], v[8:9]
	v_fma_f64 v[10:11], -v[6:7], v[8:9], 1.0
	v_fma_f64 v[8:9], v[8:9], v[10:11], v[8:9]
	v_div_scale_f64 v[10:11], vcc_lo, 1.0, v[4:5], 1.0
	v_mul_f64 v[12:13], v[10:11], v[8:9]
	v_fma_f64 v[6:7], -v[6:7], v[12:13], v[10:11]
	v_div_fmas_f64 v[6:7], v[6:7], v[8:9], v[12:13]
	v_div_fixup_f64 v[4:5], v[6:7], v[4:5], 1.0
	ds_write_b64 v1, v[4:5]
.LBB113_134:
	s_or_b32 exec_lo, exec_lo, s1
	s_waitcnt lgkmcnt(0)
	s_barrier
	buffer_gl0_inv
	ds_read_b64 v[65:66], v1
	s_mov_b32 s1, exec_lo
	v_cmpx_lt_u32_e32 26, v0
	s_cbranch_execz .LBB113_136
; %bb.135:
	s_waitcnt lgkmcnt(0)
	v_mul_f64 v[184:185], v[65:66], v[184:185]
	ds_read2_b64 v[4:7], v48 offset0:27 offset1:28
	s_waitcnt lgkmcnt(0)
	v_fma_f64 v[146:147], -v[184:185], v[4:5], v[146:147]
	v_fma_f64 v[182:183], -v[184:185], v[6:7], v[182:183]
	ds_read2_b64 v[4:7], v48 offset0:29 offset1:30
	s_waitcnt lgkmcnt(0)
	v_fma_f64 v[144:145], -v[184:185], v[4:5], v[144:145]
	v_fma_f64 v[180:181], -v[184:185], v[6:7], v[180:181]
	;; [unrolled: 4-line block ×15, first 2 shown]
.LBB113_136:
	s_or_b32 exec_lo, exec_lo, s1
	s_mov_b32 s1, exec_lo
	s_waitcnt lgkmcnt(0)
	s_barrier
	buffer_gl0_inv
	v_cmpx_eq_u32_e32 27, v0
	s_cbranch_execz .LBB113_139
; %bb.137:
	v_mov_b32_e32 v4, v182
	v_mov_b32_e32 v5, v183
	;; [unrolled: 1-line block ×4, first 2 shown]
	ds_write_b64 v1, v[146:147]
	ds_write2_b64 v48, v[4:5], v[6:7] offset0:28 offset1:29
	v_mov_b32_e32 v4, v180
	v_mov_b32_e32 v5, v181
	v_mov_b32_e32 v6, v142
	v_mov_b32_e32 v7, v143
	ds_write2_b64 v48, v[4:5], v[6:7] offset0:30 offset1:31
	v_mov_b32_e32 v4, v178
	v_mov_b32_e32 v5, v179
	v_mov_b32_e32 v6, v140
	v_mov_b32_e32 v7, v141
	;; [unrolled: 5-line block ×13, first 2 shown]
	ds_write2_b64 v48, v[4:5], v[6:7] offset0:54 offset1:55
	ds_write_b64 v48, v[230:231] offset:448
	ds_read_b64 v[4:5], v1
	s_waitcnt lgkmcnt(0)
	v_cmp_neq_f64_e32 vcc_lo, 0, v[4:5]
	s_and_b32 exec_lo, exec_lo, vcc_lo
	s_cbranch_execz .LBB113_139
; %bb.138:
	v_div_scale_f64 v[6:7], null, v[4:5], v[4:5], 1.0
	v_rcp_f64_e32 v[8:9], v[6:7]
	v_fma_f64 v[10:11], -v[6:7], v[8:9], 1.0
	v_fma_f64 v[8:9], v[8:9], v[10:11], v[8:9]
	v_fma_f64 v[10:11], -v[6:7], v[8:9], 1.0
	v_fma_f64 v[8:9], v[8:9], v[10:11], v[8:9]
	v_div_scale_f64 v[10:11], vcc_lo, 1.0, v[4:5], 1.0
	v_mul_f64 v[12:13], v[10:11], v[8:9]
	v_fma_f64 v[6:7], -v[6:7], v[12:13], v[10:11]
	v_div_fmas_f64 v[6:7], v[6:7], v[8:9], v[12:13]
	v_div_fixup_f64 v[4:5], v[6:7], v[4:5], 1.0
	ds_write_b64 v1, v[4:5]
.LBB113_139:
	s_or_b32 exec_lo, exec_lo, s1
	s_waitcnt lgkmcnt(0)
	s_barrier
	buffer_gl0_inv
	ds_read_b64 v[67:68], v1
	s_mov_b32 s1, exec_lo
	v_cmpx_lt_u32_e32 27, v0
	s_cbranch_execz .LBB113_141
; %bb.140:
	s_waitcnt lgkmcnt(0)
	v_mul_f64 v[146:147], v[67:68], v[146:147]
	ds_read2_b64 v[4:7], v48 offset0:28 offset1:29
	s_waitcnt lgkmcnt(0)
	v_fma_f64 v[182:183], -v[146:147], v[4:5], v[182:183]
	v_fma_f64 v[144:145], -v[146:147], v[6:7], v[144:145]
	ds_read2_b64 v[4:7], v48 offset0:30 offset1:31
	s_waitcnt lgkmcnt(0)
	v_fma_f64 v[180:181], -v[146:147], v[4:5], v[180:181]
	v_fma_f64 v[142:143], -v[146:147], v[6:7], v[142:143]
	ds_read2_b64 v[4:7], v48 offset0:32 offset1:33
	s_waitcnt lgkmcnt(0)
	v_fma_f64 v[178:179], -v[146:147], v[4:5], v[178:179]
	v_fma_f64 v[140:141], -v[146:147], v[6:7], v[140:141]
	ds_read2_b64 v[4:7], v48 offset0:34 offset1:35
	s_waitcnt lgkmcnt(0)
	v_fma_f64 v[176:177], -v[146:147], v[4:5], v[176:177]
	v_fma_f64 v[138:139], -v[146:147], v[6:7], v[138:139]
	ds_read2_b64 v[4:7], v48 offset0:36 offset1:37
	s_waitcnt lgkmcnt(0)
	v_fma_f64 v[174:175], -v[146:147], v[4:5], v[174:175]
	v_fma_f64 v[136:137], -v[146:147], v[6:7], v[136:137]
	ds_read2_b64 v[4:7], v48 offset0:38 offset1:39
	s_waitcnt lgkmcnt(0)
	v_fma_f64 v[172:173], -v[146:147], v[4:5], v[172:173]
	v_fma_f64 v[134:135], -v[146:147], v[6:7], v[134:135]
	ds_read2_b64 v[4:7], v48 offset0:40 offset1:41
	s_waitcnt lgkmcnt(0)
	v_fma_f64 v[170:171], -v[146:147], v[4:5], v[170:171]
	v_fma_f64 v[132:133], -v[146:147], v[6:7], v[132:133]
	ds_read2_b64 v[4:7], v48 offset0:42 offset1:43
	s_waitcnt lgkmcnt(0)
	v_fma_f64 v[168:169], -v[146:147], v[4:5], v[168:169]
	v_fma_f64 v[130:131], -v[146:147], v[6:7], v[130:131]
	ds_read2_b64 v[4:7], v48 offset0:44 offset1:45
	s_waitcnt lgkmcnt(0)
	v_fma_f64 v[166:167], -v[146:147], v[4:5], v[166:167]
	v_fma_f64 v[128:129], -v[146:147], v[6:7], v[128:129]
	ds_read2_b64 v[4:7], v48 offset0:46 offset1:47
	s_waitcnt lgkmcnt(0)
	v_fma_f64 v[164:165], -v[146:147], v[4:5], v[164:165]
	v_fma_f64 v[126:127], -v[146:147], v[6:7], v[126:127]
	ds_read2_b64 v[4:7], v48 offset0:48 offset1:49
	s_waitcnt lgkmcnt(0)
	v_fma_f64 v[162:163], -v[146:147], v[4:5], v[162:163]
	v_fma_f64 v[124:125], -v[146:147], v[6:7], v[124:125]
	ds_read2_b64 v[4:7], v48 offset0:50 offset1:51
	s_waitcnt lgkmcnt(0)
	v_fma_f64 v[160:161], -v[146:147], v[4:5], v[160:161]
	v_fma_f64 v[122:123], -v[146:147], v[6:7], v[122:123]
	ds_read2_b64 v[4:7], v48 offset0:52 offset1:53
	s_waitcnt lgkmcnt(0)
	v_fma_f64 v[158:159], -v[146:147], v[4:5], v[158:159]
	v_fma_f64 v[120:121], -v[146:147], v[6:7], v[120:121]
	ds_read2_b64 v[4:7], v48 offset0:54 offset1:55
	s_waitcnt lgkmcnt(0)
	v_fma_f64 v[156:157], -v[146:147], v[4:5], v[156:157]
	ds_read_b64 v[4:5], v48 offset:448
	v_fma_f64 v[118:119], -v[146:147], v[6:7], v[118:119]
	s_waitcnt lgkmcnt(0)
	v_fma_f64 v[230:231], -v[146:147], v[4:5], v[230:231]
.LBB113_141:
	s_or_b32 exec_lo, exec_lo, s1
	s_mov_b32 s1, exec_lo
	s_waitcnt lgkmcnt(0)
	s_barrier
	buffer_gl0_inv
	v_cmpx_eq_u32_e32 28, v0
	s_cbranch_execz .LBB113_144
; %bb.142:
	ds_write_b64 v1, v[182:183]
	ds_write2_b64 v48, v[144:145], v[180:181] offset0:29 offset1:30
	ds_write2_b64 v48, v[142:143], v[178:179] offset0:31 offset1:32
	;; [unrolled: 1-line block ×14, first 2 shown]
	ds_read_b64 v[4:5], v1
	s_waitcnt lgkmcnt(0)
	v_cmp_neq_f64_e32 vcc_lo, 0, v[4:5]
	s_and_b32 exec_lo, exec_lo, vcc_lo
	s_cbranch_execz .LBB113_144
; %bb.143:
	v_div_scale_f64 v[6:7], null, v[4:5], v[4:5], 1.0
	v_rcp_f64_e32 v[8:9], v[6:7]
	v_fma_f64 v[10:11], -v[6:7], v[8:9], 1.0
	v_fma_f64 v[8:9], v[8:9], v[10:11], v[8:9]
	v_fma_f64 v[10:11], -v[6:7], v[8:9], 1.0
	v_fma_f64 v[8:9], v[8:9], v[10:11], v[8:9]
	v_div_scale_f64 v[10:11], vcc_lo, 1.0, v[4:5], 1.0
	v_mul_f64 v[12:13], v[10:11], v[8:9]
	v_fma_f64 v[6:7], -v[6:7], v[12:13], v[10:11]
	v_div_fmas_f64 v[6:7], v[6:7], v[8:9], v[12:13]
	v_div_fixup_f64 v[4:5], v[6:7], v[4:5], 1.0
	ds_write_b64 v1, v[4:5]
.LBB113_144:
	s_or_b32 exec_lo, exec_lo, s1
	s_waitcnt lgkmcnt(0)
	s_barrier
	buffer_gl0_inv
	ds_read_b64 v[69:70], v1
	s_mov_b32 s1, exec_lo
	v_cmpx_lt_u32_e32 28, v0
	s_cbranch_execz .LBB113_146
; %bb.145:
	s_waitcnt lgkmcnt(0)
	v_mul_f64 v[182:183], v[69:70], v[182:183]
	ds_read2_b64 v[4:7], v48 offset0:29 offset1:30
	s_waitcnt lgkmcnt(0)
	v_fma_f64 v[144:145], -v[182:183], v[4:5], v[144:145]
	v_fma_f64 v[180:181], -v[182:183], v[6:7], v[180:181]
	ds_read2_b64 v[4:7], v48 offset0:31 offset1:32
	s_waitcnt lgkmcnt(0)
	v_fma_f64 v[142:143], -v[182:183], v[4:5], v[142:143]
	v_fma_f64 v[178:179], -v[182:183], v[6:7], v[178:179]
	;; [unrolled: 4-line block ×14, first 2 shown]
.LBB113_146:
	s_or_b32 exec_lo, exec_lo, s1
	s_mov_b32 s1, exec_lo
	s_waitcnt lgkmcnt(0)
	s_barrier
	buffer_gl0_inv
	v_cmpx_eq_u32_e32 29, v0
	s_cbranch_execz .LBB113_149
; %bb.147:
	v_mov_b32_e32 v4, v180
	v_mov_b32_e32 v5, v181
	;; [unrolled: 1-line block ×4, first 2 shown]
	ds_write_b64 v1, v[144:145]
	ds_write2_b64 v48, v[4:5], v[6:7] offset0:30 offset1:31
	v_mov_b32_e32 v4, v178
	v_mov_b32_e32 v5, v179
	v_mov_b32_e32 v6, v140
	v_mov_b32_e32 v7, v141
	ds_write2_b64 v48, v[4:5], v[6:7] offset0:32 offset1:33
	v_mov_b32_e32 v4, v176
	v_mov_b32_e32 v5, v177
	v_mov_b32_e32 v6, v138
	v_mov_b32_e32 v7, v139
	;; [unrolled: 5-line block ×12, first 2 shown]
	ds_write2_b64 v48, v[4:5], v[6:7] offset0:54 offset1:55
	ds_write_b64 v48, v[230:231] offset:448
	ds_read_b64 v[4:5], v1
	s_waitcnt lgkmcnt(0)
	v_cmp_neq_f64_e32 vcc_lo, 0, v[4:5]
	s_and_b32 exec_lo, exec_lo, vcc_lo
	s_cbranch_execz .LBB113_149
; %bb.148:
	v_div_scale_f64 v[6:7], null, v[4:5], v[4:5], 1.0
	v_rcp_f64_e32 v[8:9], v[6:7]
	v_fma_f64 v[10:11], -v[6:7], v[8:9], 1.0
	v_fma_f64 v[8:9], v[8:9], v[10:11], v[8:9]
	v_fma_f64 v[10:11], -v[6:7], v[8:9], 1.0
	v_fma_f64 v[8:9], v[8:9], v[10:11], v[8:9]
	v_div_scale_f64 v[10:11], vcc_lo, 1.0, v[4:5], 1.0
	v_mul_f64 v[12:13], v[10:11], v[8:9]
	v_fma_f64 v[6:7], -v[6:7], v[12:13], v[10:11]
	v_div_fmas_f64 v[6:7], v[6:7], v[8:9], v[12:13]
	v_div_fixup_f64 v[4:5], v[6:7], v[4:5], 1.0
	ds_write_b64 v1, v[4:5]
.LBB113_149:
	s_or_b32 exec_lo, exec_lo, s1
	s_waitcnt lgkmcnt(0)
	s_barrier
	buffer_gl0_inv
	ds_read_b64 v[73:74], v1
	s_mov_b32 s1, exec_lo
	v_cmpx_lt_u32_e32 29, v0
	s_cbranch_execz .LBB113_151
; %bb.150:
	s_waitcnt lgkmcnt(0)
	v_mul_f64 v[144:145], v[73:74], v[144:145]
	ds_read2_b64 v[4:7], v48 offset0:30 offset1:31
	s_waitcnt lgkmcnt(0)
	v_fma_f64 v[180:181], -v[144:145], v[4:5], v[180:181]
	v_fma_f64 v[142:143], -v[144:145], v[6:7], v[142:143]
	ds_read2_b64 v[4:7], v48 offset0:32 offset1:33
	s_waitcnt lgkmcnt(0)
	v_fma_f64 v[178:179], -v[144:145], v[4:5], v[178:179]
	v_fma_f64 v[140:141], -v[144:145], v[6:7], v[140:141]
	;; [unrolled: 4-line block ×12, first 2 shown]
	ds_read2_b64 v[4:7], v48 offset0:54 offset1:55
	s_waitcnt lgkmcnt(0)
	v_fma_f64 v[156:157], -v[144:145], v[4:5], v[156:157]
	ds_read_b64 v[4:5], v48 offset:448
	v_fma_f64 v[118:119], -v[144:145], v[6:7], v[118:119]
	s_waitcnt lgkmcnt(0)
	v_fma_f64 v[230:231], -v[144:145], v[4:5], v[230:231]
.LBB113_151:
	s_or_b32 exec_lo, exec_lo, s1
	s_mov_b32 s1, exec_lo
	s_waitcnt lgkmcnt(0)
	s_barrier
	buffer_gl0_inv
	v_cmpx_eq_u32_e32 30, v0
	s_cbranch_execz .LBB113_154
; %bb.152:
	ds_write_b64 v1, v[180:181]
	ds_write2_b64 v48, v[142:143], v[178:179] offset0:31 offset1:32
	ds_write2_b64 v48, v[140:141], v[176:177] offset0:33 offset1:34
	;; [unrolled: 1-line block ×13, first 2 shown]
	ds_read_b64 v[4:5], v1
	s_waitcnt lgkmcnt(0)
	v_cmp_neq_f64_e32 vcc_lo, 0, v[4:5]
	s_and_b32 exec_lo, exec_lo, vcc_lo
	s_cbranch_execz .LBB113_154
; %bb.153:
	v_div_scale_f64 v[6:7], null, v[4:5], v[4:5], 1.0
	v_rcp_f64_e32 v[8:9], v[6:7]
	v_fma_f64 v[10:11], -v[6:7], v[8:9], 1.0
	v_fma_f64 v[8:9], v[8:9], v[10:11], v[8:9]
	v_fma_f64 v[10:11], -v[6:7], v[8:9], 1.0
	v_fma_f64 v[8:9], v[8:9], v[10:11], v[8:9]
	v_div_scale_f64 v[10:11], vcc_lo, 1.0, v[4:5], 1.0
	v_mul_f64 v[12:13], v[10:11], v[8:9]
	v_fma_f64 v[6:7], -v[6:7], v[12:13], v[10:11]
	v_div_fmas_f64 v[6:7], v[6:7], v[8:9], v[12:13]
	v_div_fixup_f64 v[4:5], v[6:7], v[4:5], 1.0
	ds_write_b64 v1, v[4:5]
.LBB113_154:
	s_or_b32 exec_lo, exec_lo, s1
	s_waitcnt lgkmcnt(0)
	s_barrier
	buffer_gl0_inv
	ds_read_b64 v[244:245], v1
	s_mov_b32 s1, exec_lo
	v_cmpx_lt_u32_e32 30, v0
	s_cbranch_execz .LBB113_156
; %bb.155:
	s_waitcnt lgkmcnt(0)
	v_mul_f64 v[180:181], v[244:245], v[180:181]
	ds_read2_b64 v[4:7], v48 offset0:31 offset1:32
	s_waitcnt lgkmcnt(0)
	v_fma_f64 v[142:143], -v[180:181], v[4:5], v[142:143]
	v_fma_f64 v[178:179], -v[180:181], v[6:7], v[178:179]
	ds_read2_b64 v[4:7], v48 offset0:33 offset1:34
	s_waitcnt lgkmcnt(0)
	v_fma_f64 v[140:141], -v[180:181], v[4:5], v[140:141]
	v_fma_f64 v[176:177], -v[180:181], v[6:7], v[176:177]
	;; [unrolled: 4-line block ×13, first 2 shown]
.LBB113_156:
	s_or_b32 exec_lo, exec_lo, s1
	s_mov_b32 s1, exec_lo
	s_waitcnt lgkmcnt(0)
	s_barrier
	buffer_gl0_inv
	v_cmpx_eq_u32_e32 31, v0
	s_cbranch_execz .LBB113_159
; %bb.157:
	v_mov_b32_e32 v4, v178
	v_mov_b32_e32 v5, v179
	;; [unrolled: 1-line block ×4, first 2 shown]
	ds_write_b64 v1, v[142:143]
	ds_write2_b64 v48, v[4:5], v[6:7] offset0:32 offset1:33
	v_mov_b32_e32 v4, v176
	v_mov_b32_e32 v5, v177
	v_mov_b32_e32 v6, v138
	v_mov_b32_e32 v7, v139
	ds_write2_b64 v48, v[4:5], v[6:7] offset0:34 offset1:35
	v_mov_b32_e32 v4, v174
	v_mov_b32_e32 v5, v175
	v_mov_b32_e32 v6, v136
	v_mov_b32_e32 v7, v137
	;; [unrolled: 5-line block ×11, first 2 shown]
	ds_write2_b64 v48, v[4:5], v[6:7] offset0:54 offset1:55
	ds_write_b64 v48, v[230:231] offset:448
	ds_read_b64 v[4:5], v1
	s_waitcnt lgkmcnt(0)
	v_cmp_neq_f64_e32 vcc_lo, 0, v[4:5]
	s_and_b32 exec_lo, exec_lo, vcc_lo
	s_cbranch_execz .LBB113_159
; %bb.158:
	v_div_scale_f64 v[6:7], null, v[4:5], v[4:5], 1.0
	v_rcp_f64_e32 v[8:9], v[6:7]
	v_fma_f64 v[10:11], -v[6:7], v[8:9], 1.0
	v_fma_f64 v[8:9], v[8:9], v[10:11], v[8:9]
	v_fma_f64 v[10:11], -v[6:7], v[8:9], 1.0
	v_fma_f64 v[8:9], v[8:9], v[10:11], v[8:9]
	v_div_scale_f64 v[10:11], vcc_lo, 1.0, v[4:5], 1.0
	v_mul_f64 v[12:13], v[10:11], v[8:9]
	v_fma_f64 v[6:7], -v[6:7], v[12:13], v[10:11]
	v_div_fmas_f64 v[6:7], v[6:7], v[8:9], v[12:13]
	v_div_fixup_f64 v[4:5], v[6:7], v[4:5], 1.0
	ds_write_b64 v1, v[4:5]
.LBB113_159:
	s_or_b32 exec_lo, exec_lo, s1
	s_waitcnt lgkmcnt(0)
	s_barrier
	buffer_gl0_inv
	ds_read_b64 v[246:247], v1
	s_mov_b32 s1, exec_lo
	v_cmpx_lt_u32_e32 31, v0
	s_cbranch_execz .LBB113_161
; %bb.160:
	s_waitcnt lgkmcnt(0)
	v_mul_f64 v[142:143], v[246:247], v[142:143]
	ds_read2_b64 v[4:7], v48 offset0:32 offset1:33
	s_waitcnt lgkmcnt(0)
	v_fma_f64 v[178:179], -v[142:143], v[4:5], v[178:179]
	v_fma_f64 v[140:141], -v[142:143], v[6:7], v[140:141]
	ds_read2_b64 v[4:7], v48 offset0:34 offset1:35
	s_waitcnt lgkmcnt(0)
	v_fma_f64 v[176:177], -v[142:143], v[4:5], v[176:177]
	v_fma_f64 v[138:139], -v[142:143], v[6:7], v[138:139]
	;; [unrolled: 4-line block ×11, first 2 shown]
	ds_read2_b64 v[4:7], v48 offset0:54 offset1:55
	s_waitcnt lgkmcnt(0)
	v_fma_f64 v[156:157], -v[142:143], v[4:5], v[156:157]
	ds_read_b64 v[4:5], v48 offset:448
	v_fma_f64 v[118:119], -v[142:143], v[6:7], v[118:119]
	s_waitcnt lgkmcnt(0)
	v_fma_f64 v[230:231], -v[142:143], v[4:5], v[230:231]
.LBB113_161:
	s_or_b32 exec_lo, exec_lo, s1
	s_mov_b32 s1, exec_lo
	s_waitcnt lgkmcnt(0)
	s_barrier
	buffer_gl0_inv
	v_cmpx_eq_u32_e32 32, v0
	s_cbranch_execz .LBB113_164
; %bb.162:
	ds_write_b64 v1, v[178:179]
	ds_write2_b64 v48, v[140:141], v[176:177] offset0:33 offset1:34
	ds_write2_b64 v48, v[138:139], v[174:175] offset0:35 offset1:36
	ds_write2_b64 v48, v[136:137], v[172:173] offset0:37 offset1:38
	ds_write2_b64 v48, v[134:135], v[170:171] offset0:39 offset1:40
	ds_write2_b64 v48, v[132:133], v[168:169] offset0:41 offset1:42
	ds_write2_b64 v48, v[130:131], v[166:167] offset0:43 offset1:44
	ds_write2_b64 v48, v[128:129], v[164:165] offset0:45 offset1:46
	ds_write2_b64 v48, v[126:127], v[162:163] offset0:47 offset1:48
	ds_write2_b64 v48, v[124:125], v[160:161] offset0:49 offset1:50
	ds_write2_b64 v48, v[122:123], v[158:159] offset0:51 offset1:52
	ds_write2_b64 v48, v[120:121], v[156:157] offset0:53 offset1:54
	ds_write2_b64 v48, v[118:119], v[230:231] offset0:55 offset1:56
	ds_read_b64 v[4:5], v1
	s_waitcnt lgkmcnt(0)
	v_cmp_neq_f64_e32 vcc_lo, 0, v[4:5]
	s_and_b32 exec_lo, exec_lo, vcc_lo
	s_cbranch_execz .LBB113_164
; %bb.163:
	v_div_scale_f64 v[6:7], null, v[4:5], v[4:5], 1.0
	v_rcp_f64_e32 v[8:9], v[6:7]
	v_fma_f64 v[10:11], -v[6:7], v[8:9], 1.0
	v_fma_f64 v[8:9], v[8:9], v[10:11], v[8:9]
	v_fma_f64 v[10:11], -v[6:7], v[8:9], 1.0
	v_fma_f64 v[8:9], v[8:9], v[10:11], v[8:9]
	v_div_scale_f64 v[10:11], vcc_lo, 1.0, v[4:5], 1.0
	v_mul_f64 v[12:13], v[10:11], v[8:9]
	v_fma_f64 v[6:7], -v[6:7], v[12:13], v[10:11]
	v_div_fmas_f64 v[6:7], v[6:7], v[8:9], v[12:13]
	v_div_fixup_f64 v[4:5], v[6:7], v[4:5], 1.0
	ds_write_b64 v1, v[4:5]
.LBB113_164:
	s_or_b32 exec_lo, exec_lo, s1
	s_waitcnt lgkmcnt(0)
	s_barrier
	buffer_gl0_inv
	ds_read_b64 v[248:249], v1
	s_mov_b32 s1, exec_lo
	v_cmpx_lt_u32_e32 32, v0
	s_cbranch_execz .LBB113_166
; %bb.165:
	s_waitcnt lgkmcnt(0)
	v_mul_f64 v[178:179], v[248:249], v[178:179]
	ds_read2_b64 v[4:7], v48 offset0:33 offset1:34
	s_waitcnt lgkmcnt(0)
	v_fma_f64 v[140:141], -v[178:179], v[4:5], v[140:141]
	v_fma_f64 v[176:177], -v[178:179], v[6:7], v[176:177]
	ds_read2_b64 v[4:7], v48 offset0:35 offset1:36
	s_waitcnt lgkmcnt(0)
	v_fma_f64 v[138:139], -v[178:179], v[4:5], v[138:139]
	v_fma_f64 v[174:175], -v[178:179], v[6:7], v[174:175]
	;; [unrolled: 4-line block ×12, first 2 shown]
.LBB113_166:
	s_or_b32 exec_lo, exec_lo, s1
	s_mov_b32 s1, exec_lo
	s_waitcnt lgkmcnt(0)
	s_barrier
	buffer_gl0_inv
	v_cmpx_eq_u32_e32 33, v0
	s_cbranch_execz .LBB113_169
; %bb.167:
	v_mov_b32_e32 v4, v176
	v_mov_b32_e32 v5, v177
	;; [unrolled: 1-line block ×4, first 2 shown]
	ds_write_b64 v1, v[140:141]
	ds_write2_b64 v48, v[4:5], v[6:7] offset0:34 offset1:35
	v_mov_b32_e32 v4, v174
	v_mov_b32_e32 v5, v175
	v_mov_b32_e32 v6, v136
	v_mov_b32_e32 v7, v137
	ds_write2_b64 v48, v[4:5], v[6:7] offset0:36 offset1:37
	v_mov_b32_e32 v4, v172
	v_mov_b32_e32 v5, v173
	v_mov_b32_e32 v6, v134
	v_mov_b32_e32 v7, v135
	;; [unrolled: 5-line block ×10, first 2 shown]
	ds_write2_b64 v48, v[4:5], v[6:7] offset0:54 offset1:55
	ds_write_b64 v48, v[230:231] offset:448
	ds_read_b64 v[4:5], v1
	s_waitcnt lgkmcnt(0)
	v_cmp_neq_f64_e32 vcc_lo, 0, v[4:5]
	s_and_b32 exec_lo, exec_lo, vcc_lo
	s_cbranch_execz .LBB113_169
; %bb.168:
	v_div_scale_f64 v[6:7], null, v[4:5], v[4:5], 1.0
	v_rcp_f64_e32 v[8:9], v[6:7]
	v_fma_f64 v[10:11], -v[6:7], v[8:9], 1.0
	v_fma_f64 v[8:9], v[8:9], v[10:11], v[8:9]
	v_fma_f64 v[10:11], -v[6:7], v[8:9], 1.0
	v_fma_f64 v[8:9], v[8:9], v[10:11], v[8:9]
	v_div_scale_f64 v[10:11], vcc_lo, 1.0, v[4:5], 1.0
	v_mul_f64 v[12:13], v[10:11], v[8:9]
	v_fma_f64 v[6:7], -v[6:7], v[12:13], v[10:11]
	v_div_fmas_f64 v[6:7], v[6:7], v[8:9], v[12:13]
	v_div_fixup_f64 v[4:5], v[6:7], v[4:5], 1.0
	ds_write_b64 v1, v[4:5]
.LBB113_169:
	s_or_b32 exec_lo, exec_lo, s1
	s_waitcnt lgkmcnt(0)
	s_barrier
	buffer_gl0_inv
	ds_read_b64 v[250:251], v1
	s_mov_b32 s1, exec_lo
	v_cmpx_lt_u32_e32 33, v0
	s_cbranch_execz .LBB113_171
; %bb.170:
	s_waitcnt lgkmcnt(0)
	v_mul_f64 v[140:141], v[250:251], v[140:141]
	ds_read2_b64 v[4:7], v48 offset0:34 offset1:35
	s_waitcnt lgkmcnt(0)
	v_fma_f64 v[176:177], -v[140:141], v[4:5], v[176:177]
	v_fma_f64 v[138:139], -v[140:141], v[6:7], v[138:139]
	ds_read2_b64 v[4:7], v48 offset0:36 offset1:37
	s_waitcnt lgkmcnt(0)
	v_fma_f64 v[174:175], -v[140:141], v[4:5], v[174:175]
	v_fma_f64 v[136:137], -v[140:141], v[6:7], v[136:137]
	;; [unrolled: 4-line block ×10, first 2 shown]
	ds_read2_b64 v[4:7], v48 offset0:54 offset1:55
	s_waitcnt lgkmcnt(0)
	v_fma_f64 v[156:157], -v[140:141], v[4:5], v[156:157]
	ds_read_b64 v[4:5], v48 offset:448
	v_fma_f64 v[118:119], -v[140:141], v[6:7], v[118:119]
	s_waitcnt lgkmcnt(0)
	v_fma_f64 v[230:231], -v[140:141], v[4:5], v[230:231]
.LBB113_171:
	s_or_b32 exec_lo, exec_lo, s1
	s_mov_b32 s1, exec_lo
	s_waitcnt lgkmcnt(0)
	s_barrier
	buffer_gl0_inv
	v_cmpx_eq_u32_e32 34, v0
	s_cbranch_execz .LBB113_174
; %bb.172:
	ds_write_b64 v1, v[176:177]
	ds_write2_b64 v48, v[138:139], v[174:175] offset0:35 offset1:36
	ds_write2_b64 v48, v[136:137], v[172:173] offset0:37 offset1:38
	;; [unrolled: 1-line block ×11, first 2 shown]
	ds_read_b64 v[4:5], v1
	s_waitcnt lgkmcnt(0)
	v_cmp_neq_f64_e32 vcc_lo, 0, v[4:5]
	s_and_b32 exec_lo, exec_lo, vcc_lo
	s_cbranch_execz .LBB113_174
; %bb.173:
	v_div_scale_f64 v[6:7], null, v[4:5], v[4:5], 1.0
	v_rcp_f64_e32 v[8:9], v[6:7]
	v_fma_f64 v[10:11], -v[6:7], v[8:9], 1.0
	v_fma_f64 v[8:9], v[8:9], v[10:11], v[8:9]
	v_fma_f64 v[10:11], -v[6:7], v[8:9], 1.0
	v_fma_f64 v[8:9], v[8:9], v[10:11], v[8:9]
	v_div_scale_f64 v[10:11], vcc_lo, 1.0, v[4:5], 1.0
	v_mul_f64 v[12:13], v[10:11], v[8:9]
	v_fma_f64 v[6:7], -v[6:7], v[12:13], v[10:11]
	v_div_fmas_f64 v[6:7], v[6:7], v[8:9], v[12:13]
	v_div_fixup_f64 v[4:5], v[6:7], v[4:5], 1.0
	ds_write_b64 v1, v[4:5]
.LBB113_174:
	s_or_b32 exec_lo, exec_lo, s1
	s_waitcnt lgkmcnt(0)
	s_barrier
	buffer_gl0_inv
	ds_read_b64 v[252:253], v1
	s_mov_b32 s1, exec_lo
	v_cmpx_lt_u32_e32 34, v0
	s_cbranch_execz .LBB113_176
; %bb.175:
	s_waitcnt lgkmcnt(0)
	v_mul_f64 v[176:177], v[252:253], v[176:177]
	ds_read2_b64 v[4:7], v48 offset0:35 offset1:36
	s_waitcnt lgkmcnt(0)
	v_fma_f64 v[138:139], -v[176:177], v[4:5], v[138:139]
	v_fma_f64 v[174:175], -v[176:177], v[6:7], v[174:175]
	ds_read2_b64 v[4:7], v48 offset0:37 offset1:38
	s_waitcnt lgkmcnt(0)
	v_fma_f64 v[136:137], -v[176:177], v[4:5], v[136:137]
	v_fma_f64 v[172:173], -v[176:177], v[6:7], v[172:173]
	;; [unrolled: 4-line block ×11, first 2 shown]
.LBB113_176:
	s_or_b32 exec_lo, exec_lo, s1
	s_mov_b32 s1, exec_lo
	s_waitcnt lgkmcnt(0)
	s_barrier
	buffer_gl0_inv
	v_cmpx_eq_u32_e32 35, v0
	s_cbranch_execz .LBB113_179
; %bb.177:
	v_mov_b32_e32 v4, v174
	v_mov_b32_e32 v5, v175
	;; [unrolled: 1-line block ×4, first 2 shown]
	ds_write_b64 v1, v[138:139]
	ds_write2_b64 v48, v[4:5], v[6:7] offset0:36 offset1:37
	v_mov_b32_e32 v4, v172
	v_mov_b32_e32 v5, v173
	v_mov_b32_e32 v6, v134
	v_mov_b32_e32 v7, v135
	ds_write2_b64 v48, v[4:5], v[6:7] offset0:38 offset1:39
	v_mov_b32_e32 v4, v170
	v_mov_b32_e32 v5, v171
	v_mov_b32_e32 v6, v132
	v_mov_b32_e32 v7, v133
	;; [unrolled: 5-line block ×9, first 2 shown]
	ds_write2_b64 v48, v[4:5], v[6:7] offset0:54 offset1:55
	ds_write_b64 v48, v[230:231] offset:448
	ds_read_b64 v[4:5], v1
	s_waitcnt lgkmcnt(0)
	v_cmp_neq_f64_e32 vcc_lo, 0, v[4:5]
	s_and_b32 exec_lo, exec_lo, vcc_lo
	s_cbranch_execz .LBB113_179
; %bb.178:
	v_div_scale_f64 v[6:7], null, v[4:5], v[4:5], 1.0
	v_rcp_f64_e32 v[8:9], v[6:7]
	v_fma_f64 v[10:11], -v[6:7], v[8:9], 1.0
	v_fma_f64 v[8:9], v[8:9], v[10:11], v[8:9]
	v_fma_f64 v[10:11], -v[6:7], v[8:9], 1.0
	v_fma_f64 v[8:9], v[8:9], v[10:11], v[8:9]
	v_div_scale_f64 v[10:11], vcc_lo, 1.0, v[4:5], 1.0
	v_mul_f64 v[12:13], v[10:11], v[8:9]
	v_fma_f64 v[6:7], -v[6:7], v[12:13], v[10:11]
	v_div_fmas_f64 v[6:7], v[6:7], v[8:9], v[12:13]
	v_div_fixup_f64 v[4:5], v[6:7], v[4:5], 1.0
	ds_write_b64 v1, v[4:5]
.LBB113_179:
	s_or_b32 exec_lo, exec_lo, s1
	s_waitcnt lgkmcnt(0)
	s_barrier
	buffer_gl0_inv
	ds_read_b64 v[4:5], v1
	s_mov_b32 s1, exec_lo
	v_cmpx_lt_u32_e32 35, v0
	s_cbranch_execz .LBB113_181
; %bb.180:
	s_waitcnt lgkmcnt(0)
	v_mul_f64 v[138:139], v[4:5], v[138:139]
	ds_read2_b64 v[6:9], v48 offset0:36 offset1:37
	s_waitcnt lgkmcnt(0)
	v_fma_f64 v[174:175], -v[138:139], v[6:7], v[174:175]
	v_fma_f64 v[136:137], -v[138:139], v[8:9], v[136:137]
	ds_read2_b64 v[6:9], v48 offset0:38 offset1:39
	s_waitcnt lgkmcnt(0)
	v_fma_f64 v[172:173], -v[138:139], v[6:7], v[172:173]
	v_fma_f64 v[134:135], -v[138:139], v[8:9], v[134:135]
	;; [unrolled: 4-line block ×9, first 2 shown]
	ds_read2_b64 v[6:9], v48 offset0:54 offset1:55
	s_waitcnt lgkmcnt(0)
	v_fma_f64 v[156:157], -v[138:139], v[6:7], v[156:157]
	ds_read_b64 v[6:7], v48 offset:448
	v_fma_f64 v[118:119], -v[138:139], v[8:9], v[118:119]
	s_waitcnt lgkmcnt(0)
	v_fma_f64 v[230:231], -v[138:139], v[6:7], v[230:231]
.LBB113_181:
	s_or_b32 exec_lo, exec_lo, s1
	s_mov_b32 s1, exec_lo
	s_waitcnt lgkmcnt(0)
	s_barrier
	buffer_gl0_inv
	v_cmpx_eq_u32_e32 36, v0
	s_cbranch_execz .LBB113_184
; %bb.182:
	ds_write_b64 v1, v[174:175]
	ds_write2_b64 v48, v[136:137], v[172:173] offset0:37 offset1:38
	ds_write2_b64 v48, v[134:135], v[170:171] offset0:39 offset1:40
	;; [unrolled: 1-line block ×10, first 2 shown]
	ds_read_b64 v[6:7], v1
	s_waitcnt lgkmcnt(0)
	v_cmp_neq_f64_e32 vcc_lo, 0, v[6:7]
	s_and_b32 exec_lo, exec_lo, vcc_lo
	s_cbranch_execz .LBB113_184
; %bb.183:
	v_div_scale_f64 v[8:9], null, v[6:7], v[6:7], 1.0
	v_rcp_f64_e32 v[10:11], v[8:9]
	v_fma_f64 v[12:13], -v[8:9], v[10:11], 1.0
	v_fma_f64 v[10:11], v[10:11], v[12:13], v[10:11]
	v_fma_f64 v[12:13], -v[8:9], v[10:11], 1.0
	v_fma_f64 v[10:11], v[10:11], v[12:13], v[10:11]
	v_div_scale_f64 v[12:13], vcc_lo, 1.0, v[6:7], 1.0
	v_mul_f64 v[14:15], v[12:13], v[10:11]
	v_fma_f64 v[8:9], -v[8:9], v[14:15], v[12:13]
	v_div_fmas_f64 v[8:9], v[8:9], v[10:11], v[14:15]
	v_div_fixup_f64 v[6:7], v[8:9], v[6:7], 1.0
	ds_write_b64 v1, v[6:7]
.LBB113_184:
	s_or_b32 exec_lo, exec_lo, s1
	s_waitcnt lgkmcnt(0)
	s_barrier
	buffer_gl0_inv
	ds_read_b64 v[6:7], v1
	s_mov_b32 s1, exec_lo
	v_cmpx_lt_u32_e32 36, v0
	s_cbranch_execz .LBB113_186
; %bb.185:
	s_waitcnt lgkmcnt(0)
	v_mul_f64 v[174:175], v[6:7], v[174:175]
	ds_read2_b64 v[8:11], v48 offset0:37 offset1:38
	s_waitcnt lgkmcnt(0)
	v_fma_f64 v[136:137], -v[174:175], v[8:9], v[136:137]
	v_fma_f64 v[172:173], -v[174:175], v[10:11], v[172:173]
	ds_read2_b64 v[8:11], v48 offset0:39 offset1:40
	s_waitcnt lgkmcnt(0)
	v_fma_f64 v[134:135], -v[174:175], v[8:9], v[134:135]
	v_fma_f64 v[170:171], -v[174:175], v[10:11], v[170:171]
	;; [unrolled: 4-line block ×10, first 2 shown]
.LBB113_186:
	s_or_b32 exec_lo, exec_lo, s1
	s_mov_b32 s1, exec_lo
	s_waitcnt lgkmcnt(0)
	s_barrier
	buffer_gl0_inv
	v_cmpx_eq_u32_e32 37, v0
	s_cbranch_execz .LBB113_189
; %bb.187:
	v_mov_b32_e32 v8, v172
	v_mov_b32_e32 v9, v173
	;; [unrolled: 1-line block ×4, first 2 shown]
	ds_write_b64 v1, v[136:137]
	ds_write2_b64 v48, v[8:9], v[10:11] offset0:38 offset1:39
	v_mov_b32_e32 v8, v170
	v_mov_b32_e32 v9, v171
	v_mov_b32_e32 v10, v132
	v_mov_b32_e32 v11, v133
	ds_write2_b64 v48, v[8:9], v[10:11] offset0:40 offset1:41
	v_mov_b32_e32 v8, v168
	v_mov_b32_e32 v9, v169
	v_mov_b32_e32 v10, v130
	v_mov_b32_e32 v11, v131
	;; [unrolled: 5-line block ×8, first 2 shown]
	ds_write2_b64 v48, v[8:9], v[10:11] offset0:54 offset1:55
	ds_write_b64 v48, v[230:231] offset:448
	ds_read_b64 v[8:9], v1
	s_waitcnt lgkmcnt(0)
	v_cmp_neq_f64_e32 vcc_lo, 0, v[8:9]
	s_and_b32 exec_lo, exec_lo, vcc_lo
	s_cbranch_execz .LBB113_189
; %bb.188:
	v_div_scale_f64 v[10:11], null, v[8:9], v[8:9], 1.0
	v_rcp_f64_e32 v[12:13], v[10:11]
	v_fma_f64 v[14:15], -v[10:11], v[12:13], 1.0
	v_fma_f64 v[12:13], v[12:13], v[14:15], v[12:13]
	v_fma_f64 v[14:15], -v[10:11], v[12:13], 1.0
	v_fma_f64 v[12:13], v[12:13], v[14:15], v[12:13]
	v_div_scale_f64 v[14:15], vcc_lo, 1.0, v[8:9], 1.0
	v_mul_f64 v[16:17], v[14:15], v[12:13]
	v_fma_f64 v[10:11], -v[10:11], v[16:17], v[14:15]
	v_div_fmas_f64 v[10:11], v[10:11], v[12:13], v[16:17]
	v_div_fixup_f64 v[8:9], v[10:11], v[8:9], 1.0
	ds_write_b64 v1, v[8:9]
.LBB113_189:
	s_or_b32 exec_lo, exec_lo, s1
	s_waitcnt lgkmcnt(0)
	s_barrier
	buffer_gl0_inv
	ds_read_b64 v[8:9], v1
	s_mov_b32 s1, exec_lo
	v_cmpx_lt_u32_e32 37, v0
	s_cbranch_execz .LBB113_191
; %bb.190:
	s_waitcnt lgkmcnt(0)
	v_mul_f64 v[136:137], v[8:9], v[136:137]
	ds_read2_b64 v[10:13], v48 offset0:38 offset1:39
	s_waitcnt lgkmcnt(0)
	v_fma_f64 v[172:173], -v[136:137], v[10:11], v[172:173]
	v_fma_f64 v[134:135], -v[136:137], v[12:13], v[134:135]
	ds_read2_b64 v[10:13], v48 offset0:40 offset1:41
	s_waitcnt lgkmcnt(0)
	v_fma_f64 v[170:171], -v[136:137], v[10:11], v[170:171]
	v_fma_f64 v[132:133], -v[136:137], v[12:13], v[132:133]
	;; [unrolled: 4-line block ×8, first 2 shown]
	ds_read2_b64 v[10:13], v48 offset0:54 offset1:55
	s_waitcnt lgkmcnt(0)
	v_fma_f64 v[156:157], -v[136:137], v[10:11], v[156:157]
	ds_read_b64 v[10:11], v48 offset:448
	v_fma_f64 v[118:119], -v[136:137], v[12:13], v[118:119]
	s_waitcnt lgkmcnt(0)
	v_fma_f64 v[230:231], -v[136:137], v[10:11], v[230:231]
.LBB113_191:
	s_or_b32 exec_lo, exec_lo, s1
	s_mov_b32 s1, exec_lo
	s_waitcnt lgkmcnt(0)
	s_barrier
	buffer_gl0_inv
	v_cmpx_eq_u32_e32 38, v0
	s_cbranch_execz .LBB113_194
; %bb.192:
	ds_write_b64 v1, v[172:173]
	ds_write2_b64 v48, v[134:135], v[170:171] offset0:39 offset1:40
	ds_write2_b64 v48, v[132:133], v[168:169] offset0:41 offset1:42
	;; [unrolled: 1-line block ×9, first 2 shown]
	ds_read_b64 v[10:11], v1
	s_waitcnt lgkmcnt(0)
	v_cmp_neq_f64_e32 vcc_lo, 0, v[10:11]
	s_and_b32 exec_lo, exec_lo, vcc_lo
	s_cbranch_execz .LBB113_194
; %bb.193:
	v_div_scale_f64 v[12:13], null, v[10:11], v[10:11], 1.0
	v_rcp_f64_e32 v[14:15], v[12:13]
	v_fma_f64 v[16:17], -v[12:13], v[14:15], 1.0
	v_fma_f64 v[14:15], v[14:15], v[16:17], v[14:15]
	v_fma_f64 v[16:17], -v[12:13], v[14:15], 1.0
	v_fma_f64 v[14:15], v[14:15], v[16:17], v[14:15]
	v_div_scale_f64 v[16:17], vcc_lo, 1.0, v[10:11], 1.0
	v_mul_f64 v[18:19], v[16:17], v[14:15]
	v_fma_f64 v[12:13], -v[12:13], v[18:19], v[16:17]
	v_div_fmas_f64 v[12:13], v[12:13], v[14:15], v[18:19]
	v_div_fixup_f64 v[10:11], v[12:13], v[10:11], 1.0
	ds_write_b64 v1, v[10:11]
.LBB113_194:
	s_or_b32 exec_lo, exec_lo, s1
	s_waitcnt lgkmcnt(0)
	s_barrier
	buffer_gl0_inv
	ds_read_b64 v[10:11], v1
	s_mov_b32 s1, exec_lo
	v_cmpx_lt_u32_e32 38, v0
	s_cbranch_execz .LBB113_196
; %bb.195:
	s_waitcnt lgkmcnt(0)
	v_mul_f64 v[172:173], v[10:11], v[172:173]
	ds_read2_b64 v[12:15], v48 offset0:39 offset1:40
	s_waitcnt lgkmcnt(0)
	v_fma_f64 v[134:135], -v[172:173], v[12:13], v[134:135]
	v_fma_f64 v[170:171], -v[172:173], v[14:15], v[170:171]
	ds_read2_b64 v[12:15], v48 offset0:41 offset1:42
	s_waitcnt lgkmcnt(0)
	v_fma_f64 v[132:133], -v[172:173], v[12:13], v[132:133]
	v_fma_f64 v[168:169], -v[172:173], v[14:15], v[168:169]
	;; [unrolled: 4-line block ×9, first 2 shown]
.LBB113_196:
	s_or_b32 exec_lo, exec_lo, s1
	s_mov_b32 s1, exec_lo
	s_waitcnt lgkmcnt(0)
	s_barrier
	buffer_gl0_inv
	v_cmpx_eq_u32_e32 39, v0
	s_cbranch_execz .LBB113_199
; %bb.197:
	v_mov_b32_e32 v12, v170
	v_mov_b32_e32 v13, v171
	;; [unrolled: 1-line block ×4, first 2 shown]
	ds_write_b64 v1, v[134:135]
	ds_write2_b64 v48, v[12:13], v[14:15] offset0:40 offset1:41
	v_mov_b32_e32 v12, v168
	v_mov_b32_e32 v13, v169
	v_mov_b32_e32 v14, v130
	v_mov_b32_e32 v15, v131
	ds_write2_b64 v48, v[12:13], v[14:15] offset0:42 offset1:43
	v_mov_b32_e32 v12, v166
	v_mov_b32_e32 v13, v167
	v_mov_b32_e32 v14, v128
	v_mov_b32_e32 v15, v129
	;; [unrolled: 5-line block ×7, first 2 shown]
	ds_write2_b64 v48, v[12:13], v[14:15] offset0:54 offset1:55
	ds_write_b64 v48, v[230:231] offset:448
	ds_read_b64 v[12:13], v1
	s_waitcnt lgkmcnt(0)
	v_cmp_neq_f64_e32 vcc_lo, 0, v[12:13]
	s_and_b32 exec_lo, exec_lo, vcc_lo
	s_cbranch_execz .LBB113_199
; %bb.198:
	v_div_scale_f64 v[14:15], null, v[12:13], v[12:13], 1.0
	v_rcp_f64_e32 v[16:17], v[14:15]
	v_fma_f64 v[18:19], -v[14:15], v[16:17], 1.0
	v_fma_f64 v[16:17], v[16:17], v[18:19], v[16:17]
	v_fma_f64 v[18:19], -v[14:15], v[16:17], 1.0
	v_fma_f64 v[16:17], v[16:17], v[18:19], v[16:17]
	v_div_scale_f64 v[18:19], vcc_lo, 1.0, v[12:13], 1.0
	v_mul_f64 v[20:21], v[18:19], v[16:17]
	v_fma_f64 v[14:15], -v[14:15], v[20:21], v[18:19]
	v_div_fmas_f64 v[14:15], v[14:15], v[16:17], v[20:21]
	v_div_fixup_f64 v[12:13], v[14:15], v[12:13], 1.0
	ds_write_b64 v1, v[12:13]
.LBB113_199:
	s_or_b32 exec_lo, exec_lo, s1
	s_waitcnt lgkmcnt(0)
	s_barrier
	buffer_gl0_inv
	ds_read_b64 v[12:13], v1
	s_mov_b32 s1, exec_lo
	v_cmpx_lt_u32_e32 39, v0
	s_cbranch_execz .LBB113_201
; %bb.200:
	s_waitcnt lgkmcnt(0)
	v_mul_f64 v[134:135], v[12:13], v[134:135]
	ds_read2_b64 v[14:17], v48 offset0:40 offset1:41
	s_waitcnt lgkmcnt(0)
	v_fma_f64 v[170:171], -v[134:135], v[14:15], v[170:171]
	v_fma_f64 v[132:133], -v[134:135], v[16:17], v[132:133]
	ds_read2_b64 v[14:17], v48 offset0:42 offset1:43
	s_waitcnt lgkmcnt(0)
	v_fma_f64 v[168:169], -v[134:135], v[14:15], v[168:169]
	v_fma_f64 v[130:131], -v[134:135], v[16:17], v[130:131]
	;; [unrolled: 4-line block ×7, first 2 shown]
	ds_read2_b64 v[14:17], v48 offset0:54 offset1:55
	s_waitcnt lgkmcnt(0)
	v_fma_f64 v[156:157], -v[134:135], v[14:15], v[156:157]
	ds_read_b64 v[14:15], v48 offset:448
	v_fma_f64 v[118:119], -v[134:135], v[16:17], v[118:119]
	s_waitcnt lgkmcnt(0)
	v_fma_f64 v[230:231], -v[134:135], v[14:15], v[230:231]
.LBB113_201:
	s_or_b32 exec_lo, exec_lo, s1
	s_mov_b32 s1, exec_lo
	s_waitcnt lgkmcnt(0)
	s_barrier
	buffer_gl0_inv
	v_cmpx_eq_u32_e32 40, v0
	s_cbranch_execz .LBB113_204
; %bb.202:
	ds_write_b64 v1, v[170:171]
	ds_write2_b64 v48, v[132:133], v[168:169] offset0:41 offset1:42
	ds_write2_b64 v48, v[130:131], v[166:167] offset0:43 offset1:44
	ds_write2_b64 v48, v[128:129], v[164:165] offset0:45 offset1:46
	ds_write2_b64 v48, v[126:127], v[162:163] offset0:47 offset1:48
	ds_write2_b64 v48, v[124:125], v[160:161] offset0:49 offset1:50
	ds_write2_b64 v48, v[122:123], v[158:159] offset0:51 offset1:52
	ds_write2_b64 v48, v[120:121], v[156:157] offset0:53 offset1:54
	ds_write2_b64 v48, v[118:119], v[230:231] offset0:55 offset1:56
	ds_read_b64 v[14:15], v1
	s_waitcnt lgkmcnt(0)
	v_cmp_neq_f64_e32 vcc_lo, 0, v[14:15]
	s_and_b32 exec_lo, exec_lo, vcc_lo
	s_cbranch_execz .LBB113_204
; %bb.203:
	v_div_scale_f64 v[16:17], null, v[14:15], v[14:15], 1.0
	v_rcp_f64_e32 v[18:19], v[16:17]
	v_fma_f64 v[20:21], -v[16:17], v[18:19], 1.0
	v_fma_f64 v[18:19], v[18:19], v[20:21], v[18:19]
	v_fma_f64 v[20:21], -v[16:17], v[18:19], 1.0
	v_fma_f64 v[18:19], v[18:19], v[20:21], v[18:19]
	v_div_scale_f64 v[20:21], vcc_lo, 1.0, v[14:15], 1.0
	v_mul_f64 v[22:23], v[20:21], v[18:19]
	v_fma_f64 v[16:17], -v[16:17], v[22:23], v[20:21]
	v_div_fmas_f64 v[16:17], v[16:17], v[18:19], v[22:23]
	v_div_fixup_f64 v[14:15], v[16:17], v[14:15], 1.0
	ds_write_b64 v1, v[14:15]
.LBB113_204:
	s_or_b32 exec_lo, exec_lo, s1
	s_waitcnt lgkmcnt(0)
	s_barrier
	buffer_gl0_inv
	ds_read_b64 v[14:15], v1
	s_mov_b32 s1, exec_lo
	v_cmpx_lt_u32_e32 40, v0
	s_cbranch_execz .LBB113_206
; %bb.205:
	s_waitcnt lgkmcnt(0)
	v_mul_f64 v[170:171], v[14:15], v[170:171]
	ds_read2_b64 v[16:19], v48 offset0:41 offset1:42
	s_waitcnt lgkmcnt(0)
	v_fma_f64 v[132:133], -v[170:171], v[16:17], v[132:133]
	v_fma_f64 v[168:169], -v[170:171], v[18:19], v[168:169]
	ds_read2_b64 v[16:19], v48 offset0:43 offset1:44
	s_waitcnt lgkmcnt(0)
	v_fma_f64 v[130:131], -v[170:171], v[16:17], v[130:131]
	v_fma_f64 v[166:167], -v[170:171], v[18:19], v[166:167]
	;; [unrolled: 4-line block ×8, first 2 shown]
.LBB113_206:
	s_or_b32 exec_lo, exec_lo, s1
	s_mov_b32 s1, exec_lo
	s_waitcnt lgkmcnt(0)
	s_barrier
	buffer_gl0_inv
	v_cmpx_eq_u32_e32 41, v0
	s_cbranch_execz .LBB113_209
; %bb.207:
	v_mov_b32_e32 v16, v168
	v_mov_b32_e32 v17, v169
	;; [unrolled: 1-line block ×4, first 2 shown]
	ds_write_b64 v1, v[132:133]
	ds_write2_b64 v48, v[16:17], v[18:19] offset0:42 offset1:43
	v_mov_b32_e32 v16, v166
	v_mov_b32_e32 v17, v167
	v_mov_b32_e32 v18, v128
	v_mov_b32_e32 v19, v129
	ds_write2_b64 v48, v[16:17], v[18:19] offset0:44 offset1:45
	v_mov_b32_e32 v16, v164
	v_mov_b32_e32 v17, v165
	v_mov_b32_e32 v18, v126
	v_mov_b32_e32 v19, v127
	;; [unrolled: 5-line block ×6, first 2 shown]
	ds_write2_b64 v48, v[16:17], v[18:19] offset0:54 offset1:55
	ds_write_b64 v48, v[230:231] offset:448
	ds_read_b64 v[16:17], v1
	s_waitcnt lgkmcnt(0)
	v_cmp_neq_f64_e32 vcc_lo, 0, v[16:17]
	s_and_b32 exec_lo, exec_lo, vcc_lo
	s_cbranch_execz .LBB113_209
; %bb.208:
	v_div_scale_f64 v[18:19], null, v[16:17], v[16:17], 1.0
	v_rcp_f64_e32 v[20:21], v[18:19]
	v_fma_f64 v[22:23], -v[18:19], v[20:21], 1.0
	v_fma_f64 v[20:21], v[20:21], v[22:23], v[20:21]
	v_fma_f64 v[22:23], -v[18:19], v[20:21], 1.0
	v_fma_f64 v[20:21], v[20:21], v[22:23], v[20:21]
	v_div_scale_f64 v[22:23], vcc_lo, 1.0, v[16:17], 1.0
	v_mul_f64 v[24:25], v[22:23], v[20:21]
	v_fma_f64 v[18:19], -v[18:19], v[24:25], v[22:23]
	v_div_fmas_f64 v[18:19], v[18:19], v[20:21], v[24:25]
	v_div_fixup_f64 v[16:17], v[18:19], v[16:17], 1.0
	ds_write_b64 v1, v[16:17]
.LBB113_209:
	s_or_b32 exec_lo, exec_lo, s1
	s_waitcnt lgkmcnt(0)
	s_barrier
	buffer_gl0_inv
	ds_read_b64 v[16:17], v1
	s_mov_b32 s1, exec_lo
	v_cmpx_lt_u32_e32 41, v0
	s_cbranch_execz .LBB113_211
; %bb.210:
	s_waitcnt lgkmcnt(0)
	v_mul_f64 v[132:133], v[16:17], v[132:133]
	ds_read2_b64 v[18:21], v48 offset0:42 offset1:43
	s_waitcnt lgkmcnt(0)
	v_fma_f64 v[168:169], -v[132:133], v[18:19], v[168:169]
	v_fma_f64 v[130:131], -v[132:133], v[20:21], v[130:131]
	ds_read2_b64 v[18:21], v48 offset0:44 offset1:45
	s_waitcnt lgkmcnt(0)
	v_fma_f64 v[166:167], -v[132:133], v[18:19], v[166:167]
	v_fma_f64 v[128:129], -v[132:133], v[20:21], v[128:129]
	;; [unrolled: 4-line block ×6, first 2 shown]
	ds_read2_b64 v[18:21], v48 offset0:54 offset1:55
	s_waitcnt lgkmcnt(0)
	v_fma_f64 v[156:157], -v[132:133], v[18:19], v[156:157]
	ds_read_b64 v[18:19], v48 offset:448
	v_fma_f64 v[118:119], -v[132:133], v[20:21], v[118:119]
	s_waitcnt lgkmcnt(0)
	v_fma_f64 v[230:231], -v[132:133], v[18:19], v[230:231]
.LBB113_211:
	s_or_b32 exec_lo, exec_lo, s1
	s_mov_b32 s1, exec_lo
	s_waitcnt lgkmcnt(0)
	s_barrier
	buffer_gl0_inv
	v_cmpx_eq_u32_e32 42, v0
	s_cbranch_execz .LBB113_214
; %bb.212:
	ds_write_b64 v1, v[168:169]
	ds_write2_b64 v48, v[130:131], v[166:167] offset0:43 offset1:44
	ds_write2_b64 v48, v[128:129], v[164:165] offset0:45 offset1:46
	;; [unrolled: 1-line block ×7, first 2 shown]
	ds_read_b64 v[18:19], v1
	s_waitcnt lgkmcnt(0)
	v_cmp_neq_f64_e32 vcc_lo, 0, v[18:19]
	s_and_b32 exec_lo, exec_lo, vcc_lo
	s_cbranch_execz .LBB113_214
; %bb.213:
	v_div_scale_f64 v[20:21], null, v[18:19], v[18:19], 1.0
	v_rcp_f64_e32 v[22:23], v[20:21]
	v_fma_f64 v[24:25], -v[20:21], v[22:23], 1.0
	v_fma_f64 v[22:23], v[22:23], v[24:25], v[22:23]
	v_fma_f64 v[24:25], -v[20:21], v[22:23], 1.0
	v_fma_f64 v[22:23], v[22:23], v[24:25], v[22:23]
	v_div_scale_f64 v[24:25], vcc_lo, 1.0, v[18:19], 1.0
	v_mul_f64 v[26:27], v[24:25], v[22:23]
	v_fma_f64 v[20:21], -v[20:21], v[26:27], v[24:25]
	v_div_fmas_f64 v[20:21], v[20:21], v[22:23], v[26:27]
	v_div_fixup_f64 v[18:19], v[20:21], v[18:19], 1.0
	ds_write_b64 v1, v[18:19]
.LBB113_214:
	s_or_b32 exec_lo, exec_lo, s1
	s_waitcnt lgkmcnt(0)
	s_barrier
	buffer_gl0_inv
	ds_read_b64 v[18:19], v1
	s_mov_b32 s1, exec_lo
	v_cmpx_lt_u32_e32 42, v0
	s_cbranch_execz .LBB113_216
; %bb.215:
	s_waitcnt lgkmcnt(0)
	v_mul_f64 v[168:169], v[18:19], v[168:169]
	ds_read2_b64 v[20:23], v48 offset0:43 offset1:44
	s_waitcnt lgkmcnt(0)
	v_fma_f64 v[130:131], -v[168:169], v[20:21], v[130:131]
	v_fma_f64 v[166:167], -v[168:169], v[22:23], v[166:167]
	ds_read2_b64 v[20:23], v48 offset0:45 offset1:46
	s_waitcnt lgkmcnt(0)
	v_fma_f64 v[128:129], -v[168:169], v[20:21], v[128:129]
	v_fma_f64 v[164:165], -v[168:169], v[22:23], v[164:165]
	;; [unrolled: 4-line block ×7, first 2 shown]
.LBB113_216:
	s_or_b32 exec_lo, exec_lo, s1
	s_mov_b32 s1, exec_lo
	s_waitcnt lgkmcnt(0)
	s_barrier
	buffer_gl0_inv
	v_cmpx_eq_u32_e32 43, v0
	s_cbranch_execz .LBB113_219
; %bb.217:
	v_mov_b32_e32 v20, v166
	v_mov_b32_e32 v21, v167
	;; [unrolled: 1-line block ×4, first 2 shown]
	ds_write_b64 v1, v[130:131]
	ds_write2_b64 v48, v[20:21], v[22:23] offset0:44 offset1:45
	v_mov_b32_e32 v20, v164
	v_mov_b32_e32 v21, v165
	v_mov_b32_e32 v22, v126
	v_mov_b32_e32 v23, v127
	ds_write2_b64 v48, v[20:21], v[22:23] offset0:46 offset1:47
	v_mov_b32_e32 v20, v162
	v_mov_b32_e32 v21, v163
	v_mov_b32_e32 v22, v124
	v_mov_b32_e32 v23, v125
	;; [unrolled: 5-line block ×5, first 2 shown]
	ds_write2_b64 v48, v[20:21], v[22:23] offset0:54 offset1:55
	ds_write_b64 v48, v[230:231] offset:448
	ds_read_b64 v[20:21], v1
	s_waitcnt lgkmcnt(0)
	v_cmp_neq_f64_e32 vcc_lo, 0, v[20:21]
	s_and_b32 exec_lo, exec_lo, vcc_lo
	s_cbranch_execz .LBB113_219
; %bb.218:
	v_div_scale_f64 v[22:23], null, v[20:21], v[20:21], 1.0
	v_rcp_f64_e32 v[24:25], v[22:23]
	v_fma_f64 v[26:27], -v[22:23], v[24:25], 1.0
	v_fma_f64 v[24:25], v[24:25], v[26:27], v[24:25]
	v_fma_f64 v[26:27], -v[22:23], v[24:25], 1.0
	v_fma_f64 v[24:25], v[24:25], v[26:27], v[24:25]
	v_div_scale_f64 v[26:27], vcc_lo, 1.0, v[20:21], 1.0
	v_mul_f64 v[28:29], v[26:27], v[24:25]
	v_fma_f64 v[22:23], -v[22:23], v[28:29], v[26:27]
	v_div_fmas_f64 v[22:23], v[22:23], v[24:25], v[28:29]
	v_div_fixup_f64 v[20:21], v[22:23], v[20:21], 1.0
	ds_write_b64 v1, v[20:21]
.LBB113_219:
	s_or_b32 exec_lo, exec_lo, s1
	s_waitcnt lgkmcnt(0)
	s_barrier
	buffer_gl0_inv
	ds_read_b64 v[20:21], v1
	s_mov_b32 s1, exec_lo
	v_cmpx_lt_u32_e32 43, v0
	s_cbranch_execz .LBB113_221
; %bb.220:
	s_waitcnt lgkmcnt(0)
	v_mul_f64 v[130:131], v[20:21], v[130:131]
	ds_read2_b64 v[22:25], v48 offset0:44 offset1:45
	s_waitcnt lgkmcnt(0)
	v_fma_f64 v[166:167], -v[130:131], v[22:23], v[166:167]
	v_fma_f64 v[128:129], -v[130:131], v[24:25], v[128:129]
	ds_read2_b64 v[22:25], v48 offset0:46 offset1:47
	s_waitcnt lgkmcnt(0)
	v_fma_f64 v[164:165], -v[130:131], v[22:23], v[164:165]
	v_fma_f64 v[126:127], -v[130:131], v[24:25], v[126:127]
	ds_read2_b64 v[22:25], v48 offset0:48 offset1:49
	s_waitcnt lgkmcnt(0)
	v_fma_f64 v[162:163], -v[130:131], v[22:23], v[162:163]
	v_fma_f64 v[124:125], -v[130:131], v[24:25], v[124:125]
	ds_read2_b64 v[22:25], v48 offset0:50 offset1:51
	s_waitcnt lgkmcnt(0)
	v_fma_f64 v[160:161], -v[130:131], v[22:23], v[160:161]
	v_fma_f64 v[122:123], -v[130:131], v[24:25], v[122:123]
	ds_read2_b64 v[22:25], v48 offset0:52 offset1:53
	s_waitcnt lgkmcnt(0)
	v_fma_f64 v[158:159], -v[130:131], v[22:23], v[158:159]
	v_fma_f64 v[120:121], -v[130:131], v[24:25], v[120:121]
	ds_read2_b64 v[22:25], v48 offset0:54 offset1:55
	s_waitcnt lgkmcnt(0)
	v_fma_f64 v[156:157], -v[130:131], v[22:23], v[156:157]
	ds_read_b64 v[22:23], v48 offset:448
	v_fma_f64 v[118:119], -v[130:131], v[24:25], v[118:119]
	s_waitcnt lgkmcnt(0)
	v_fma_f64 v[230:231], -v[130:131], v[22:23], v[230:231]
.LBB113_221:
	s_or_b32 exec_lo, exec_lo, s1
	s_mov_b32 s1, exec_lo
	s_waitcnt lgkmcnt(0)
	s_barrier
	buffer_gl0_inv
	v_cmpx_eq_u32_e32 44, v0
	s_cbranch_execz .LBB113_224
; %bb.222:
	ds_write_b64 v1, v[166:167]
	ds_write2_b64 v48, v[128:129], v[164:165] offset0:45 offset1:46
	ds_write2_b64 v48, v[126:127], v[162:163] offset0:47 offset1:48
	ds_write2_b64 v48, v[124:125], v[160:161] offset0:49 offset1:50
	ds_write2_b64 v48, v[122:123], v[158:159] offset0:51 offset1:52
	ds_write2_b64 v48, v[120:121], v[156:157] offset0:53 offset1:54
	ds_write2_b64 v48, v[118:119], v[230:231] offset0:55 offset1:56
	ds_read_b64 v[22:23], v1
	s_waitcnt lgkmcnt(0)
	v_cmp_neq_f64_e32 vcc_lo, 0, v[22:23]
	s_and_b32 exec_lo, exec_lo, vcc_lo
	s_cbranch_execz .LBB113_224
; %bb.223:
	v_div_scale_f64 v[24:25], null, v[22:23], v[22:23], 1.0
	v_rcp_f64_e32 v[26:27], v[24:25]
	v_fma_f64 v[28:29], -v[24:25], v[26:27], 1.0
	v_fma_f64 v[26:27], v[26:27], v[28:29], v[26:27]
	v_fma_f64 v[28:29], -v[24:25], v[26:27], 1.0
	v_fma_f64 v[26:27], v[26:27], v[28:29], v[26:27]
	v_div_scale_f64 v[28:29], vcc_lo, 1.0, v[22:23], 1.0
	v_mul_f64 v[30:31], v[28:29], v[26:27]
	v_fma_f64 v[24:25], -v[24:25], v[30:31], v[28:29]
	v_div_fmas_f64 v[24:25], v[24:25], v[26:27], v[30:31]
	v_div_fixup_f64 v[22:23], v[24:25], v[22:23], 1.0
	ds_write_b64 v1, v[22:23]
.LBB113_224:
	s_or_b32 exec_lo, exec_lo, s1
	s_waitcnt lgkmcnt(0)
	s_barrier
	buffer_gl0_inv
	ds_read_b64 v[22:23], v1
	s_mov_b32 s1, exec_lo
	v_cmpx_lt_u32_e32 44, v0
	s_cbranch_execz .LBB113_226
; %bb.225:
	s_waitcnt lgkmcnt(0)
	v_mul_f64 v[166:167], v[22:23], v[166:167]
	ds_read2_b64 v[24:27], v48 offset0:45 offset1:46
	s_waitcnt lgkmcnt(0)
	v_fma_f64 v[128:129], -v[166:167], v[24:25], v[128:129]
	v_fma_f64 v[164:165], -v[166:167], v[26:27], v[164:165]
	ds_read2_b64 v[24:27], v48 offset0:47 offset1:48
	s_waitcnt lgkmcnt(0)
	v_fma_f64 v[126:127], -v[166:167], v[24:25], v[126:127]
	v_fma_f64 v[162:163], -v[166:167], v[26:27], v[162:163]
	;; [unrolled: 4-line block ×6, first 2 shown]
.LBB113_226:
	s_or_b32 exec_lo, exec_lo, s1
	s_mov_b32 s1, exec_lo
	s_waitcnt lgkmcnt(0)
	s_barrier
	buffer_gl0_inv
	v_cmpx_eq_u32_e32 45, v0
	s_cbranch_execz .LBB113_229
; %bb.227:
	v_mov_b32_e32 v24, v164
	v_mov_b32_e32 v25, v165
	;; [unrolled: 1-line block ×4, first 2 shown]
	ds_write_b64 v1, v[128:129]
	ds_write2_b64 v48, v[24:25], v[26:27] offset0:46 offset1:47
	v_mov_b32_e32 v24, v162
	v_mov_b32_e32 v25, v163
	v_mov_b32_e32 v26, v124
	v_mov_b32_e32 v27, v125
	ds_write2_b64 v48, v[24:25], v[26:27] offset0:48 offset1:49
	v_mov_b32_e32 v24, v160
	v_mov_b32_e32 v25, v161
	v_mov_b32_e32 v26, v122
	v_mov_b32_e32 v27, v123
	;; [unrolled: 5-line block ×4, first 2 shown]
	ds_write2_b64 v48, v[24:25], v[26:27] offset0:54 offset1:55
	ds_write_b64 v48, v[230:231] offset:448
	ds_read_b64 v[24:25], v1
	s_waitcnt lgkmcnt(0)
	v_cmp_neq_f64_e32 vcc_lo, 0, v[24:25]
	s_and_b32 exec_lo, exec_lo, vcc_lo
	s_cbranch_execz .LBB113_229
; %bb.228:
	v_div_scale_f64 v[26:27], null, v[24:25], v[24:25], 1.0
	v_rcp_f64_e32 v[28:29], v[26:27]
	v_fma_f64 v[30:31], -v[26:27], v[28:29], 1.0
	v_fma_f64 v[28:29], v[28:29], v[30:31], v[28:29]
	v_fma_f64 v[30:31], -v[26:27], v[28:29], 1.0
	v_fma_f64 v[28:29], v[28:29], v[30:31], v[28:29]
	v_div_scale_f64 v[30:31], vcc_lo, 1.0, v[24:25], 1.0
	v_mul_f64 v[32:33], v[30:31], v[28:29]
	v_fma_f64 v[26:27], -v[26:27], v[32:33], v[30:31]
	v_div_fmas_f64 v[26:27], v[26:27], v[28:29], v[32:33]
	v_div_fixup_f64 v[24:25], v[26:27], v[24:25], 1.0
	ds_write_b64 v1, v[24:25]
.LBB113_229:
	s_or_b32 exec_lo, exec_lo, s1
	s_waitcnt lgkmcnt(0)
	s_barrier
	buffer_gl0_inv
	ds_read_b64 v[24:25], v1
	s_mov_b32 s1, exec_lo
	v_cmpx_lt_u32_e32 45, v0
	s_cbranch_execz .LBB113_231
; %bb.230:
	s_waitcnt lgkmcnt(0)
	v_mul_f64 v[128:129], v[24:25], v[128:129]
	ds_read2_b64 v[26:29], v48 offset0:46 offset1:47
	s_waitcnt lgkmcnt(0)
	v_fma_f64 v[164:165], -v[128:129], v[26:27], v[164:165]
	v_fma_f64 v[126:127], -v[128:129], v[28:29], v[126:127]
	ds_read2_b64 v[26:29], v48 offset0:48 offset1:49
	s_waitcnt lgkmcnt(0)
	v_fma_f64 v[162:163], -v[128:129], v[26:27], v[162:163]
	v_fma_f64 v[124:125], -v[128:129], v[28:29], v[124:125]
	;; [unrolled: 4-line block ×4, first 2 shown]
	ds_read2_b64 v[26:29], v48 offset0:54 offset1:55
	s_waitcnt lgkmcnt(0)
	v_fma_f64 v[156:157], -v[128:129], v[26:27], v[156:157]
	ds_read_b64 v[26:27], v48 offset:448
	v_fma_f64 v[118:119], -v[128:129], v[28:29], v[118:119]
	s_waitcnt lgkmcnt(0)
	v_fma_f64 v[230:231], -v[128:129], v[26:27], v[230:231]
.LBB113_231:
	s_or_b32 exec_lo, exec_lo, s1
	s_mov_b32 s1, exec_lo
	s_waitcnt lgkmcnt(0)
	s_barrier
	buffer_gl0_inv
	v_cmpx_eq_u32_e32 46, v0
	s_cbranch_execz .LBB113_234
; %bb.232:
	ds_write_b64 v1, v[164:165]
	ds_write2_b64 v48, v[126:127], v[162:163] offset0:47 offset1:48
	ds_write2_b64 v48, v[124:125], v[160:161] offset0:49 offset1:50
	;; [unrolled: 1-line block ×5, first 2 shown]
	ds_read_b64 v[26:27], v1
	s_waitcnt lgkmcnt(0)
	v_cmp_neq_f64_e32 vcc_lo, 0, v[26:27]
	s_and_b32 exec_lo, exec_lo, vcc_lo
	s_cbranch_execz .LBB113_234
; %bb.233:
	v_div_scale_f64 v[28:29], null, v[26:27], v[26:27], 1.0
	v_rcp_f64_e32 v[30:31], v[28:29]
	v_fma_f64 v[32:33], -v[28:29], v[30:31], 1.0
	v_fma_f64 v[30:31], v[30:31], v[32:33], v[30:31]
	v_fma_f64 v[32:33], -v[28:29], v[30:31], 1.0
	v_fma_f64 v[30:31], v[30:31], v[32:33], v[30:31]
	v_div_scale_f64 v[32:33], vcc_lo, 1.0, v[26:27], 1.0
	v_mul_f64 v[34:35], v[32:33], v[30:31]
	v_fma_f64 v[28:29], -v[28:29], v[34:35], v[32:33]
	v_div_fmas_f64 v[28:29], v[28:29], v[30:31], v[34:35]
	v_div_fixup_f64 v[26:27], v[28:29], v[26:27], 1.0
	ds_write_b64 v1, v[26:27]
.LBB113_234:
	s_or_b32 exec_lo, exec_lo, s1
	s_waitcnt lgkmcnt(0)
	s_barrier
	buffer_gl0_inv
	ds_read_b64 v[26:27], v1
	s_mov_b32 s1, exec_lo
	v_cmpx_lt_u32_e32 46, v0
	s_cbranch_execz .LBB113_236
; %bb.235:
	s_waitcnt lgkmcnt(0)
	v_mul_f64 v[164:165], v[26:27], v[164:165]
	ds_read2_b64 v[28:31], v48 offset0:47 offset1:48
	s_waitcnt lgkmcnt(0)
	v_fma_f64 v[126:127], -v[164:165], v[28:29], v[126:127]
	v_fma_f64 v[162:163], -v[164:165], v[30:31], v[162:163]
	ds_read2_b64 v[28:31], v48 offset0:49 offset1:50
	s_waitcnt lgkmcnt(0)
	v_fma_f64 v[124:125], -v[164:165], v[28:29], v[124:125]
	v_fma_f64 v[160:161], -v[164:165], v[30:31], v[160:161]
	ds_read2_b64 v[28:31], v48 offset0:51 offset1:52
	s_waitcnt lgkmcnt(0)
	v_fma_f64 v[122:123], -v[164:165], v[28:29], v[122:123]
	v_fma_f64 v[158:159], -v[164:165], v[30:31], v[158:159]
	ds_read2_b64 v[28:31], v48 offset0:53 offset1:54
	s_waitcnt lgkmcnt(0)
	v_fma_f64 v[120:121], -v[164:165], v[28:29], v[120:121]
	v_fma_f64 v[156:157], -v[164:165], v[30:31], v[156:157]
	ds_read2_b64 v[28:31], v48 offset0:55 offset1:56
	s_waitcnt lgkmcnt(0)
	v_fma_f64 v[118:119], -v[164:165], v[28:29], v[118:119]
	v_fma_f64 v[230:231], -v[164:165], v[30:31], v[230:231]
.LBB113_236:
	s_or_b32 exec_lo, exec_lo, s1
	s_mov_b32 s1, exec_lo
	s_waitcnt lgkmcnt(0)
	s_barrier
	buffer_gl0_inv
	v_cmpx_eq_u32_e32 47, v0
	s_cbranch_execz .LBB113_239
; %bb.237:
	v_mov_b32_e32 v28, v162
	v_mov_b32_e32 v29, v163
	;; [unrolled: 1-line block ×4, first 2 shown]
	ds_write_b64 v1, v[126:127]
	ds_write2_b64 v48, v[28:29], v[30:31] offset0:48 offset1:49
	v_mov_b32_e32 v28, v160
	v_mov_b32_e32 v29, v161
	v_mov_b32_e32 v30, v122
	v_mov_b32_e32 v31, v123
	ds_write2_b64 v48, v[28:29], v[30:31] offset0:50 offset1:51
	v_mov_b32_e32 v28, v158
	v_mov_b32_e32 v29, v159
	v_mov_b32_e32 v30, v120
	v_mov_b32_e32 v31, v121
	;; [unrolled: 5-line block ×3, first 2 shown]
	ds_write2_b64 v48, v[28:29], v[30:31] offset0:54 offset1:55
	ds_write_b64 v48, v[230:231] offset:448
	ds_read_b64 v[28:29], v1
	s_waitcnt lgkmcnt(0)
	v_cmp_neq_f64_e32 vcc_lo, 0, v[28:29]
	s_and_b32 exec_lo, exec_lo, vcc_lo
	s_cbranch_execz .LBB113_239
; %bb.238:
	v_div_scale_f64 v[30:31], null, v[28:29], v[28:29], 1.0
	v_rcp_f64_e32 v[32:33], v[30:31]
	v_fma_f64 v[34:35], -v[30:31], v[32:33], 1.0
	v_fma_f64 v[32:33], v[32:33], v[34:35], v[32:33]
	v_fma_f64 v[34:35], -v[30:31], v[32:33], 1.0
	v_fma_f64 v[32:33], v[32:33], v[34:35], v[32:33]
	v_div_scale_f64 v[34:35], vcc_lo, 1.0, v[28:29], 1.0
	v_mul_f64 v[36:37], v[34:35], v[32:33]
	v_fma_f64 v[30:31], -v[30:31], v[36:37], v[34:35]
	v_div_fmas_f64 v[30:31], v[30:31], v[32:33], v[36:37]
	v_div_fixup_f64 v[28:29], v[30:31], v[28:29], 1.0
	ds_write_b64 v1, v[28:29]
.LBB113_239:
	s_or_b32 exec_lo, exec_lo, s1
	s_waitcnt lgkmcnt(0)
	s_barrier
	buffer_gl0_inv
	ds_read_b64 v[28:29], v1
	s_mov_b32 s1, exec_lo
	v_cmpx_lt_u32_e32 47, v0
	s_cbranch_execz .LBB113_241
; %bb.240:
	s_waitcnt lgkmcnt(0)
	v_mul_f64 v[126:127], v[28:29], v[126:127]
	ds_read2_b64 v[30:33], v48 offset0:48 offset1:49
	s_waitcnt lgkmcnt(0)
	v_fma_f64 v[162:163], -v[126:127], v[30:31], v[162:163]
	v_fma_f64 v[124:125], -v[126:127], v[32:33], v[124:125]
	ds_read2_b64 v[30:33], v48 offset0:50 offset1:51
	s_waitcnt lgkmcnt(0)
	v_fma_f64 v[160:161], -v[126:127], v[30:31], v[160:161]
	v_fma_f64 v[122:123], -v[126:127], v[32:33], v[122:123]
	;; [unrolled: 4-line block ×3, first 2 shown]
	ds_read2_b64 v[30:33], v48 offset0:54 offset1:55
	s_waitcnt lgkmcnt(0)
	v_fma_f64 v[156:157], -v[126:127], v[30:31], v[156:157]
	ds_read_b64 v[30:31], v48 offset:448
	v_fma_f64 v[118:119], -v[126:127], v[32:33], v[118:119]
	s_waitcnt lgkmcnt(0)
	v_fma_f64 v[230:231], -v[126:127], v[30:31], v[230:231]
.LBB113_241:
	s_or_b32 exec_lo, exec_lo, s1
	s_mov_b32 s1, exec_lo
	s_waitcnt lgkmcnt(0)
	s_barrier
	buffer_gl0_inv
	v_cmpx_eq_u32_e32 48, v0
	s_cbranch_execz .LBB113_244
; %bb.242:
	ds_write_b64 v1, v[162:163]
	ds_write2_b64 v48, v[124:125], v[160:161] offset0:49 offset1:50
	ds_write2_b64 v48, v[122:123], v[158:159] offset0:51 offset1:52
	;; [unrolled: 1-line block ×4, first 2 shown]
	ds_read_b64 v[30:31], v1
	s_waitcnt lgkmcnt(0)
	v_cmp_neq_f64_e32 vcc_lo, 0, v[30:31]
	s_and_b32 exec_lo, exec_lo, vcc_lo
	s_cbranch_execz .LBB113_244
; %bb.243:
	v_div_scale_f64 v[32:33], null, v[30:31], v[30:31], 1.0
	v_rcp_f64_e32 v[34:35], v[32:33]
	v_fma_f64 v[36:37], -v[32:33], v[34:35], 1.0
	v_fma_f64 v[34:35], v[34:35], v[36:37], v[34:35]
	v_fma_f64 v[36:37], -v[32:33], v[34:35], 1.0
	v_fma_f64 v[34:35], v[34:35], v[36:37], v[34:35]
	v_div_scale_f64 v[36:37], vcc_lo, 1.0, v[30:31], 1.0
	v_mul_f64 v[38:39], v[36:37], v[34:35]
	v_fma_f64 v[32:33], -v[32:33], v[38:39], v[36:37]
	v_div_fmas_f64 v[32:33], v[32:33], v[34:35], v[38:39]
	v_div_fixup_f64 v[30:31], v[32:33], v[30:31], 1.0
	ds_write_b64 v1, v[30:31]
.LBB113_244:
	s_or_b32 exec_lo, exec_lo, s1
	s_waitcnt lgkmcnt(0)
	s_barrier
	buffer_gl0_inv
	ds_read_b64 v[30:31], v1
	s_mov_b32 s1, exec_lo
	v_cmpx_lt_u32_e32 48, v0
	s_cbranch_execz .LBB113_246
; %bb.245:
	s_waitcnt lgkmcnt(0)
	v_mul_f64 v[162:163], v[30:31], v[162:163]
	ds_read2_b64 v[32:35], v48 offset0:49 offset1:50
	s_waitcnt lgkmcnt(0)
	v_fma_f64 v[124:125], -v[162:163], v[32:33], v[124:125]
	v_fma_f64 v[160:161], -v[162:163], v[34:35], v[160:161]
	ds_read2_b64 v[32:35], v48 offset0:51 offset1:52
	s_waitcnt lgkmcnt(0)
	v_fma_f64 v[122:123], -v[162:163], v[32:33], v[122:123]
	v_fma_f64 v[158:159], -v[162:163], v[34:35], v[158:159]
	;; [unrolled: 4-line block ×4, first 2 shown]
.LBB113_246:
	s_or_b32 exec_lo, exec_lo, s1
	s_mov_b32 s1, exec_lo
	s_waitcnt lgkmcnt(0)
	s_barrier
	buffer_gl0_inv
	v_cmpx_eq_u32_e32 49, v0
	s_cbranch_execz .LBB113_249
; %bb.247:
	v_mov_b32_e32 v32, v160
	v_mov_b32_e32 v33, v161
	v_mov_b32_e32 v34, v122
	v_mov_b32_e32 v35, v123
	ds_write_b64 v1, v[124:125]
	ds_write2_b64 v48, v[32:33], v[34:35] offset0:50 offset1:51
	v_mov_b32_e32 v32, v158
	v_mov_b32_e32 v33, v159
	;; [unrolled: 1-line block ×4, first 2 shown]
	ds_write2_b64 v48, v[32:33], v[34:35] offset0:52 offset1:53
	v_mov_b32_e32 v32, v156
	v_mov_b32_e32 v33, v157
	;; [unrolled: 1-line block ×4, first 2 shown]
	ds_write2_b64 v48, v[32:33], v[34:35] offset0:54 offset1:55
	ds_write_b64 v48, v[230:231] offset:448
	ds_read_b64 v[32:33], v1
	s_waitcnt lgkmcnt(0)
	v_cmp_neq_f64_e32 vcc_lo, 0, v[32:33]
	s_and_b32 exec_lo, exec_lo, vcc_lo
	s_cbranch_execz .LBB113_249
; %bb.248:
	v_div_scale_f64 v[34:35], null, v[32:33], v[32:33], 1.0
	v_rcp_f64_e32 v[36:37], v[34:35]
	v_fma_f64 v[38:39], -v[34:35], v[36:37], 1.0
	v_fma_f64 v[36:37], v[36:37], v[38:39], v[36:37]
	v_fma_f64 v[38:39], -v[34:35], v[36:37], 1.0
	v_fma_f64 v[36:37], v[36:37], v[38:39], v[36:37]
	v_div_scale_f64 v[38:39], vcc_lo, 1.0, v[32:33], 1.0
	v_mul_f64 v[40:41], v[38:39], v[36:37]
	v_fma_f64 v[34:35], -v[34:35], v[40:41], v[38:39]
	v_div_fmas_f64 v[34:35], v[34:35], v[36:37], v[40:41]
	v_div_fixup_f64 v[32:33], v[34:35], v[32:33], 1.0
	ds_write_b64 v1, v[32:33]
.LBB113_249:
	s_or_b32 exec_lo, exec_lo, s1
	s_waitcnt lgkmcnt(0)
	s_barrier
	buffer_gl0_inv
	ds_read_b64 v[34:35], v1
	s_mov_b32 s1, exec_lo
	v_cmpx_lt_u32_e32 49, v0
	s_cbranch_execz .LBB113_251
; %bb.250:
	s_waitcnt lgkmcnt(0)
	v_mul_f64 v[124:125], v[34:35], v[124:125]
	ds_read2_b64 v[36:39], v48 offset0:50 offset1:51
	ds_read_b64 v[32:33], v48 offset:448
	s_waitcnt lgkmcnt(1)
	v_fma_f64 v[160:161], -v[124:125], v[36:37], v[160:161]
	v_fma_f64 v[122:123], -v[124:125], v[38:39], v[122:123]
	ds_read2_b64 v[36:39], v48 offset0:52 offset1:53
	s_waitcnt lgkmcnt(1)
	v_fma_f64 v[230:231], -v[124:125], v[32:33], v[230:231]
	s_waitcnt lgkmcnt(0)
	v_fma_f64 v[158:159], -v[124:125], v[36:37], v[158:159]
	v_fma_f64 v[120:121], -v[124:125], v[38:39], v[120:121]
	ds_read2_b64 v[36:39], v48 offset0:54 offset1:55
	s_waitcnt lgkmcnt(0)
	v_fma_f64 v[156:157], -v[124:125], v[36:37], v[156:157]
	v_fma_f64 v[118:119], -v[124:125], v[38:39], v[118:119]
.LBB113_251:
	s_or_b32 exec_lo, exec_lo, s1
	s_mov_b32 s1, exec_lo
	s_waitcnt lgkmcnt(0)
	s_barrier
	buffer_gl0_inv
	v_cmpx_eq_u32_e32 50, v0
	s_cbranch_execz .LBB113_254
; %bb.252:
	ds_write_b64 v1, v[160:161]
	ds_write2_b64 v48, v[122:123], v[158:159] offset0:51 offset1:52
	ds_write2_b64 v48, v[120:121], v[156:157] offset0:53 offset1:54
	;; [unrolled: 1-line block ×3, first 2 shown]
	ds_read_b64 v[32:33], v1
	s_waitcnt lgkmcnt(0)
	v_cmp_neq_f64_e32 vcc_lo, 0, v[32:33]
	s_and_b32 exec_lo, exec_lo, vcc_lo
	s_cbranch_execz .LBB113_254
; %bb.253:
	v_div_scale_f64 v[36:37], null, v[32:33], v[32:33], 1.0
	v_rcp_f64_e32 v[38:39], v[36:37]
	v_fma_f64 v[40:41], -v[36:37], v[38:39], 1.0
	v_fma_f64 v[38:39], v[38:39], v[40:41], v[38:39]
	v_fma_f64 v[40:41], -v[36:37], v[38:39], 1.0
	v_fma_f64 v[38:39], v[38:39], v[40:41], v[38:39]
	v_div_scale_f64 v[40:41], vcc_lo, 1.0, v[32:33], 1.0
	v_mul_f64 v[42:43], v[40:41], v[38:39]
	v_fma_f64 v[36:37], -v[36:37], v[42:43], v[40:41]
	v_div_fmas_f64 v[36:37], v[36:37], v[38:39], v[42:43]
	v_div_fixup_f64 v[32:33], v[36:37], v[32:33], 1.0
	ds_write_b64 v1, v[32:33]
.LBB113_254:
	s_or_b32 exec_lo, exec_lo, s1
	s_waitcnt lgkmcnt(0)
	s_barrier
	buffer_gl0_inv
	ds_read_b64 v[36:37], v1
	s_mov_b32 s1, exec_lo
	v_cmpx_lt_u32_e32 50, v0
	s_cbranch_execz .LBB113_256
; %bb.255:
	s_waitcnt lgkmcnt(0)
	v_mul_f64 v[160:161], v[36:37], v[160:161]
	ds_read2_b64 v[38:41], v48 offset0:51 offset1:52
	s_waitcnt lgkmcnt(0)
	v_fma_f64 v[122:123], -v[160:161], v[38:39], v[122:123]
	v_fma_f64 v[158:159], -v[160:161], v[40:41], v[158:159]
	ds_read2_b64 v[38:41], v48 offset0:53 offset1:54
	s_waitcnt lgkmcnt(0)
	v_fma_f64 v[120:121], -v[160:161], v[38:39], v[120:121]
	v_fma_f64 v[156:157], -v[160:161], v[40:41], v[156:157]
	;; [unrolled: 4-line block ×3, first 2 shown]
.LBB113_256:
	s_or_b32 exec_lo, exec_lo, s1
	s_mov_b32 s1, exec_lo
	s_waitcnt lgkmcnt(0)
	s_barrier
	buffer_gl0_inv
	v_cmpx_eq_u32_e32 51, v0
	s_cbranch_execz .LBB113_259
; %bb.257:
	v_mov_b32_e32 v32, v158
	v_mov_b32_e32 v33, v159
	;; [unrolled: 1-line block ×4, first 2 shown]
	ds_write_b64 v1, v[122:123]
	ds_write2_b64 v48, v[32:33], v[38:39] offset0:52 offset1:53
	v_mov_b32_e32 v32, v156
	v_mov_b32_e32 v33, v157
	v_mov_b32_e32 v38, v118
	v_mov_b32_e32 v39, v119
	ds_write2_b64 v48, v[32:33], v[38:39] offset0:54 offset1:55
	ds_write_b64 v48, v[230:231] offset:448
	ds_read_b64 v[32:33], v1
	s_waitcnt lgkmcnt(0)
	v_cmp_neq_f64_e32 vcc_lo, 0, v[32:33]
	s_and_b32 exec_lo, exec_lo, vcc_lo
	s_cbranch_execz .LBB113_259
; %bb.258:
	v_div_scale_f64 v[38:39], null, v[32:33], v[32:33], 1.0
	v_rcp_f64_e32 v[40:41], v[38:39]
	v_fma_f64 v[42:43], -v[38:39], v[40:41], 1.0
	v_fma_f64 v[40:41], v[40:41], v[42:43], v[40:41]
	v_fma_f64 v[42:43], -v[38:39], v[40:41], 1.0
	v_fma_f64 v[40:41], v[40:41], v[42:43], v[40:41]
	v_div_scale_f64 v[42:43], vcc_lo, 1.0, v[32:33], 1.0
	v_mul_f64 v[44:45], v[42:43], v[40:41]
	v_fma_f64 v[38:39], -v[38:39], v[44:45], v[42:43]
	v_div_fmas_f64 v[38:39], v[38:39], v[40:41], v[44:45]
	v_div_fixup_f64 v[32:33], v[38:39], v[32:33], 1.0
	ds_write_b64 v1, v[32:33]
.LBB113_259:
	s_or_b32 exec_lo, exec_lo, s1
	s_waitcnt lgkmcnt(0)
	s_barrier
	buffer_gl0_inv
	ds_read_b64 v[38:39], v1
	s_mov_b32 s1, exec_lo
	v_cmpx_lt_u32_e32 51, v0
	s_cbranch_execz .LBB113_261
; %bb.260:
	s_waitcnt lgkmcnt(0)
	v_mul_f64 v[122:123], v[38:39], v[122:123]
	ds_read2_b64 v[40:43], v48 offset0:52 offset1:53
	ds_read_b64 v[32:33], v48 offset:448
	s_waitcnt lgkmcnt(1)
	v_fma_f64 v[158:159], -v[122:123], v[40:41], v[158:159]
	v_fma_f64 v[120:121], -v[122:123], v[42:43], v[120:121]
	ds_read2_b64 v[40:43], v48 offset0:54 offset1:55
	s_waitcnt lgkmcnt(1)
	v_fma_f64 v[230:231], -v[122:123], v[32:33], v[230:231]
	s_waitcnt lgkmcnt(0)
	v_fma_f64 v[156:157], -v[122:123], v[40:41], v[156:157]
	v_fma_f64 v[118:119], -v[122:123], v[42:43], v[118:119]
.LBB113_261:
	s_or_b32 exec_lo, exec_lo, s1
	s_mov_b32 s1, exec_lo
	s_waitcnt lgkmcnt(0)
	s_barrier
	buffer_gl0_inv
	v_cmpx_eq_u32_e32 52, v0
	s_cbranch_execz .LBB113_264
; %bb.262:
	ds_write_b64 v1, v[158:159]
	ds_write2_b64 v48, v[120:121], v[156:157] offset0:53 offset1:54
	ds_write2_b64 v48, v[118:119], v[230:231] offset0:55 offset1:56
	ds_read_b64 v[32:33], v1
	s_waitcnt lgkmcnt(0)
	v_cmp_neq_f64_e32 vcc_lo, 0, v[32:33]
	s_and_b32 exec_lo, exec_lo, vcc_lo
	s_cbranch_execz .LBB113_264
; %bb.263:
	v_div_scale_f64 v[40:41], null, v[32:33], v[32:33], 1.0
	v_rcp_f64_e32 v[42:43], v[40:41]
	v_fma_f64 v[44:45], -v[40:41], v[42:43], 1.0
	v_fma_f64 v[42:43], v[42:43], v[44:45], v[42:43]
	v_fma_f64 v[44:45], -v[40:41], v[42:43], 1.0
	v_fma_f64 v[42:43], v[42:43], v[44:45], v[42:43]
	v_div_scale_f64 v[44:45], vcc_lo, 1.0, v[32:33], 1.0
	v_mul_f64 v[46:47], v[44:45], v[42:43]
	v_fma_f64 v[40:41], -v[40:41], v[46:47], v[44:45]
	v_div_fmas_f64 v[40:41], v[40:41], v[42:43], v[46:47]
	v_div_fixup_f64 v[32:33], v[40:41], v[32:33], 1.0
	ds_write_b64 v1, v[32:33]
.LBB113_264:
	s_or_b32 exec_lo, exec_lo, s1
	s_waitcnt lgkmcnt(0)
	s_barrier
	buffer_gl0_inv
	ds_read_b64 v[40:41], v1
	s_mov_b32 s1, exec_lo
	v_cmpx_lt_u32_e32 52, v0
	s_cbranch_execz .LBB113_266
; %bb.265:
	s_waitcnt lgkmcnt(0)
	v_mul_f64 v[158:159], v[40:41], v[158:159]
	ds_read2_b64 v[42:45], v48 offset0:53 offset1:54
	s_waitcnt lgkmcnt(0)
	v_fma_f64 v[120:121], -v[158:159], v[42:43], v[120:121]
	v_fma_f64 v[156:157], -v[158:159], v[44:45], v[156:157]
	ds_read2_b64 v[42:45], v48 offset0:55 offset1:56
	s_waitcnt lgkmcnt(0)
	v_fma_f64 v[118:119], -v[158:159], v[42:43], v[118:119]
	v_fma_f64 v[230:231], -v[158:159], v[44:45], v[230:231]
.LBB113_266:
	s_or_b32 exec_lo, exec_lo, s1
	s_mov_b32 s1, exec_lo
	s_waitcnt lgkmcnt(0)
	s_barrier
	buffer_gl0_inv
	v_cmpx_eq_u32_e32 53, v0
	s_cbranch_execz .LBB113_269
; %bb.267:
	v_mov_b32_e32 v32, v156
	v_mov_b32_e32 v33, v157
	;; [unrolled: 1-line block ×4, first 2 shown]
	ds_write_b64 v1, v[120:121]
	ds_write2_b64 v48, v[32:33], v[42:43] offset0:54 offset1:55
	ds_write_b64 v48, v[230:231] offset:448
	ds_read_b64 v[32:33], v1
	s_waitcnt lgkmcnt(0)
	v_cmp_neq_f64_e32 vcc_lo, 0, v[32:33]
	s_and_b32 exec_lo, exec_lo, vcc_lo
	s_cbranch_execz .LBB113_269
; %bb.268:
	v_div_scale_f64 v[42:43], null, v[32:33], v[32:33], 1.0
	v_rcp_f64_e32 v[44:45], v[42:43]
	v_fma_f64 v[46:47], -v[42:43], v[44:45], 1.0
	v_fma_f64 v[44:45], v[44:45], v[46:47], v[44:45]
	v_fma_f64 v[46:47], -v[42:43], v[44:45], 1.0
	v_fma_f64 v[44:45], v[44:45], v[46:47], v[44:45]
	v_div_scale_f64 v[46:47], vcc_lo, 1.0, v[32:33], 1.0
	v_mul_f64 v[49:50], v[46:47], v[44:45]
	v_fma_f64 v[42:43], -v[42:43], v[49:50], v[46:47]
	v_div_fmas_f64 v[42:43], v[42:43], v[44:45], v[49:50]
	v_div_fixup_f64 v[32:33], v[42:43], v[32:33], 1.0
	ds_write_b64 v1, v[32:33]
.LBB113_269:
	s_or_b32 exec_lo, exec_lo, s1
	s_waitcnt lgkmcnt(0)
	s_barrier
	buffer_gl0_inv
	ds_read_b64 v[42:43], v1
	s_mov_b32 s1, exec_lo
	v_cmpx_lt_u32_e32 53, v0
	s_cbranch_execz .LBB113_271
; %bb.270:
	s_waitcnt lgkmcnt(0)
	v_mul_f64 v[120:121], v[42:43], v[120:121]
	ds_read2_b64 v[44:47], v48 offset0:54 offset1:55
	ds_read_b64 v[32:33], v48 offset:448
	s_waitcnt lgkmcnt(1)
	v_fma_f64 v[156:157], -v[120:121], v[44:45], v[156:157]
	v_fma_f64 v[118:119], -v[120:121], v[46:47], v[118:119]
	s_waitcnt lgkmcnt(0)
	v_fma_f64 v[230:231], -v[120:121], v[32:33], v[230:231]
.LBB113_271:
	s_or_b32 exec_lo, exec_lo, s1
	s_mov_b32 s1, exec_lo
	s_waitcnt lgkmcnt(0)
	s_barrier
	buffer_gl0_inv
	v_cmpx_eq_u32_e32 54, v0
	s_cbranch_execz .LBB113_274
; %bb.272:
	ds_write_b64 v1, v[156:157]
	ds_write2_b64 v48, v[118:119], v[230:231] offset0:55 offset1:56
	ds_read_b64 v[32:33], v1
	s_waitcnt lgkmcnt(0)
	v_cmp_neq_f64_e32 vcc_lo, 0, v[32:33]
	s_and_b32 exec_lo, exec_lo, vcc_lo
	s_cbranch_execz .LBB113_274
; %bb.273:
	v_div_scale_f64 v[44:45], null, v[32:33], v[32:33], 1.0
	v_rcp_f64_e32 v[46:47], v[44:45]
	v_fma_f64 v[49:50], -v[44:45], v[46:47], 1.0
	v_fma_f64 v[46:47], v[46:47], v[49:50], v[46:47]
	v_fma_f64 v[49:50], -v[44:45], v[46:47], 1.0
	v_fma_f64 v[46:47], v[46:47], v[49:50], v[46:47]
	v_div_scale_f64 v[49:50], vcc_lo, 1.0, v[32:33], 1.0
	v_mul_f64 v[51:52], v[49:50], v[46:47]
	v_fma_f64 v[44:45], -v[44:45], v[51:52], v[49:50]
	v_div_fmas_f64 v[44:45], v[44:45], v[46:47], v[51:52]
	v_div_fixup_f64 v[32:33], v[44:45], v[32:33], 1.0
	ds_write_b64 v1, v[32:33]
.LBB113_274:
	s_or_b32 exec_lo, exec_lo, s1
	s_waitcnt lgkmcnt(0)
	s_barrier
	buffer_gl0_inv
	ds_read_b64 v[44:45], v1
	s_mov_b32 s1, exec_lo
	v_cmpx_lt_u32_e32 54, v0
	s_cbranch_execz .LBB113_276
; %bb.275:
	s_waitcnt lgkmcnt(0)
	v_mul_f64 v[156:157], v[44:45], v[156:157]
	ds_read2_b64 v[49:52], v48 offset0:55 offset1:56
	s_waitcnt lgkmcnt(0)
	v_fma_f64 v[118:119], -v[156:157], v[49:50], v[118:119]
	v_fma_f64 v[230:231], -v[156:157], v[51:52], v[230:231]
.LBB113_276:
	s_or_b32 exec_lo, exec_lo, s1
	s_mov_b32 s1, exec_lo
	s_waitcnt lgkmcnt(0)
	s_barrier
	buffer_gl0_inv
	v_cmpx_eq_u32_e32 55, v0
	s_cbranch_execz .LBB113_279
; %bb.277:
	ds_write_b64 v1, v[118:119]
	ds_write_b64 v48, v[230:231] offset:448
	ds_read_b64 v[32:33], v1
	s_waitcnt lgkmcnt(0)
	v_cmp_neq_f64_e32 vcc_lo, 0, v[32:33]
	s_and_b32 exec_lo, exec_lo, vcc_lo
	s_cbranch_execz .LBB113_279
; %bb.278:
	v_div_scale_f64 v[46:47], null, v[32:33], v[32:33], 1.0
	v_mov_b32_e32 v72, v70
	v_mov_b32_e32 v71, v69
	;; [unrolled: 1-line block ×20, first 2 shown]
	v_rcp_f64_e32 v[49:50], v[46:47]
	v_mov_b32_e32 v241, v239
	v_mov_b32_e32 v240, v238
	;; [unrolled: 1-line block ×23, first 2 shown]
	v_fma_f64 v[51:52], -v[46:47], v[49:50], 1.0
	v_mov_b32_e32 v107, v105
	v_mov_b32_e32 v106, v102
	v_mov_b32_e32 v105, v101
	v_mov_b32_e32 v102, v100
	v_mov_b32_e32 v101, v99
	v_mov_b32_e32 v100, v98
	v_mov_b32_e32 v99, v97
	v_mov_b32_e32 v98, v96
	v_mov_b32_e32 v97, v95
	v_mov_b32_e32 v96, v94
	v_mov_b32_e32 v95, v93
	v_mov_b32_e32 v94, v92
	v_mov_b32_e32 v93, v91
	v_mov_b32_e32 v92, v90
	v_mov_b32_e32 v91, v89
	v_mov_b32_e32 v90, v88
	v_mov_b32_e32 v89, v87
	v_mov_b32_e32 v88, v86
	v_mov_b32_e32 v87, v85
	v_mov_b32_e32 v86, v84
	v_mov_b32_e32 v85, v83
	v_fma_f64 v[49:50], v[49:50], v[51:52], v[49:50]
	v_mov_b32_e32 v84, v82
	v_mov_b32_e32 v83, v81
	;; [unrolled: 1-line block ×17, first 2 shown]
	v_fma_f64 v[51:52], -v[46:47], v[49:50], 1.0
	v_mov_b32_e32 v92, v94
	v_mov_b32_e32 v93, v95
	;; [unrolled: 1-line block ×21, first 2 shown]
	v_fma_f64 v[49:50], v[49:50], v[51:52], v[49:50]
	v_div_scale_f64 v[51:52], vcc_lo, 1.0, v[32:33], 1.0
	v_mov_b32_e32 v111, v115
	v_mov_b32_e32 v112, v116
	;; [unrolled: 1-line block ×20, first 2 shown]
	v_mul_f64 v[53:54], v[51:52], v[49:50]
	v_fma_f64 v[46:47], -v[46:47], v[53:54], v[51:52]
	v_div_fmas_f64 v[46:47], v[46:47], v[49:50], v[53:54]
	v_mov_b32_e32 v54, v59
	v_mov_b32_e32 v55, v60
	;; [unrolled: 1-line block ×14, first 2 shown]
	v_div_fixup_f64 v[32:33], v[46:47], v[32:33], 1.0
	ds_write_b64 v1, v[32:33]
.LBB113_279:
	s_or_b32 exec_lo, exec_lo, s1
	s_waitcnt lgkmcnt(0)
	s_barrier
	buffer_gl0_inv
	ds_read_b64 v[46:47], v1
	s_mov_b32 s1, exec_lo
	v_cmpx_lt_u32_e32 55, v0
	s_cbranch_execz .LBB113_281
; %bb.280:
	s_waitcnt lgkmcnt(0)
	v_mul_f64 v[118:119], v[46:47], v[118:119]
	ds_read_b64 v[32:33], v48 offset:448
	s_waitcnt lgkmcnt(0)
	v_fma_f64 v[230:231], -v[118:119], v[32:33], v[230:231]
.LBB113_281:
	s_or_b32 exec_lo, exec_lo, s1
	s_mov_b32 s1, exec_lo
	s_waitcnt lgkmcnt(0)
	s_barrier
	buffer_gl0_inv
	v_cmpx_eq_u32_e32 56, v0
	s_cbranch_execz .LBB113_284
; %bb.282:
	v_cmp_neq_f64_e32 vcc_lo, 0, v[230:231]
	ds_write_b64 v1, v[230:231]
	s_and_b32 exec_lo, exec_lo, vcc_lo
	s_cbranch_execz .LBB113_284
; %bb.283:
	v_div_scale_f64 v[32:33], null, v[230:231], v[230:231], 1.0
	v_rcp_f64_e32 v[48:49], v[32:33]
	v_fma_f64 v[50:51], -v[32:33], v[48:49], 1.0
	v_fma_f64 v[48:49], v[48:49], v[50:51], v[48:49]
	v_fma_f64 v[50:51], -v[32:33], v[48:49], 1.0
	v_fma_f64 v[48:49], v[48:49], v[50:51], v[48:49]
	v_div_scale_f64 v[50:51], vcc_lo, 1.0, v[230:231], 1.0
	v_mul_f64 v[52:53], v[50:51], v[48:49]
	v_fma_f64 v[32:33], -v[32:33], v[52:53], v[50:51]
	v_div_fmas_f64 v[32:33], v[32:33], v[48:49], v[52:53]
	v_div_fixup_f64 v[32:33], v[32:33], v[230:231], 1.0
	ds_write_b64 v1, v[32:33]
.LBB113_284:
	s_or_b32 exec_lo, exec_lo, s1
	s_waitcnt lgkmcnt(0)
	s_barrier
	buffer_gl0_inv
	ds_read_b64 v[32:33], v1
	s_waitcnt lgkmcnt(0)
	s_barrier
	buffer_gl0_inv
	s_and_saveexec_b32 s1, s0
	s_cbranch_execz .LBB113_287
; %bb.285:
	v_cmp_eq_f64_e32 vcc_lo, 0, v[89:90]
	v_cmp_neq_f64_e64 s0, 0, v[91:92]
	s_load_dwordx2 s[2:3], s[4:5], 0x28
	v_cndmask_b32_e64 v1, 0, 1, vcc_lo
	s_or_b32 vcc_lo, s0, vcc_lo
	v_cndmask_b32_e32 v1, 2, v1, vcc_lo
	v_cmp_eq_f64_e32 vcc_lo, 0, v[93:94]
	v_cmp_eq_u32_e64 s0, 0, v1
	s_and_b32 s0, vcc_lo, s0
	v_cmp_eq_f64_e32 vcc_lo, 0, v[95:96]
	v_cndmask_b32_e64 v1, v1, 3, s0
	v_cmp_eq_u32_e64 s0, 0, v1
	s_and_b32 s0, vcc_lo, s0
	v_cmp_eq_f64_e32 vcc_lo, 0, v[97:98]
	v_cndmask_b32_e64 v1, v1, 4, s0
	;; [unrolled: 4-line block ×54, first 2 shown]
	v_cmp_eq_u32_e64 s0, 0, v1
	s_and_b32 s0, vcc_lo, s0
	v_cndmask_b32_e64 v4, v1, 57, s0
	v_lshlrev_b64 v[1:2], 2, v[2:3]
	v_cmp_ne_u32_e64 s0, 0, v4
	s_waitcnt lgkmcnt(0)
	v_add_co_u32 v1, vcc_lo, s2, v1
	v_add_co_ci_u32_e64 v2, null, s3, v2, vcc_lo
	global_load_dword v3, v[1:2], off
	s_waitcnt vmcnt(0)
	v_cmp_eq_u32_e32 vcc_lo, 0, v3
	s_and_b32 s0, vcc_lo, s0
	s_and_b32 exec_lo, exec_lo, s0
	s_cbranch_execz .LBB113_287
; %bb.286:
	v_add_nc_u32_e32 v3, s9, v4
	global_store_dword v[1:2], v3, off
.LBB113_287:
	s_or_b32 exec_lo, exec_lo, s1
	s_clause 0x1
	buffer_load_dword v3, off, s[12:15], 0 offset:152
	buffer_load_dword v4, off, s[12:15], 0 offset:156
	v_mul_f64 v[1:2], v[32:33], v[230:231]
	v_cmp_lt_u32_e32 vcc_lo, 56, v0
	v_cndmask_b32_e32 v2, v231, v2, vcc_lo
	v_cndmask_b32_e32 v1, v230, v1, vcc_lo
	s_waitcnt vmcnt(0)
	flat_store_dwordx2 v[3:4], v[192:193]
	s_clause 0x1
	buffer_load_dword v3, off, s[12:15], 0 offset:160
	buffer_load_dword v4, off, s[12:15], 0 offset:164
	s_waitcnt vmcnt(0)
	flat_store_dwordx2 v[3:4], v[210:211]
	s_clause 0x1
	buffer_load_dword v3, off, s[12:15], 0
	buffer_load_dword v4, off, s[12:15], 0 offset:4
	s_waitcnt vmcnt(0)
	flat_store_dwordx2 v[3:4], v[228:229]
	s_clause 0x1
	buffer_load_dword v3, off, s[12:15], 0 offset:8
	buffer_load_dword v4, off, s[12:15], 0 offset:12
	s_waitcnt vmcnt(0)
	flat_store_dwordx2 v[3:4], v[208:209]
	s_clause 0x1
	buffer_load_dword v3, off, s[12:15], 0 offset:16
	;; [unrolled: 5-line block ×47, first 2 shown]
	buffer_load_dword v4, off, s[12:15], 0 offset:396
	s_waitcnt vmcnt(0)
	flat_store_dwordx2 v[3:4], v[124:125]
	flat_store_dwordx2 v[75:76], v[160:161]
	;; [unrolled: 1-line block ×8, first 2 shown]
.LBB113_288:
	s_endpgm
	.section	.rodata,"a",@progbits
	.p2align	6, 0x0
	.amdhsa_kernel _ZN9rocsolver6v33100L23getf2_npvt_small_kernelILi57EdiiPKPdEEvT1_T3_lS5_lPT2_S5_S5_
		.amdhsa_group_segment_fixed_size 0
		.amdhsa_private_segment_fixed_size 404
		.amdhsa_kernarg_size 312
		.amdhsa_user_sgpr_count 6
		.amdhsa_user_sgpr_private_segment_buffer 1
		.amdhsa_user_sgpr_dispatch_ptr 0
		.amdhsa_user_sgpr_queue_ptr 0
		.amdhsa_user_sgpr_kernarg_segment_ptr 1
		.amdhsa_user_sgpr_dispatch_id 0
		.amdhsa_user_sgpr_flat_scratch_init 0
		.amdhsa_user_sgpr_private_segment_size 0
		.amdhsa_wavefront_size32 1
		.amdhsa_uses_dynamic_stack 0
		.amdhsa_system_sgpr_private_segment_wavefront_offset 1
		.amdhsa_system_sgpr_workgroup_id_x 1
		.amdhsa_system_sgpr_workgroup_id_y 1
		.amdhsa_system_sgpr_workgroup_id_z 0
		.amdhsa_system_sgpr_workgroup_info 0
		.amdhsa_system_vgpr_workitem_id 1
		.amdhsa_next_free_vgpr 256
		.amdhsa_next_free_sgpr 16
		.amdhsa_reserve_vcc 1
		.amdhsa_reserve_flat_scratch 1
		.amdhsa_float_round_mode_32 0
		.amdhsa_float_round_mode_16_64 0
		.amdhsa_float_denorm_mode_32 3
		.amdhsa_float_denorm_mode_16_64 3
		.amdhsa_dx10_clamp 1
		.amdhsa_ieee_mode 1
		.amdhsa_fp16_overflow 0
		.amdhsa_workgroup_processor_mode 1
		.amdhsa_memory_ordered 1
		.amdhsa_forward_progress 1
		.amdhsa_shared_vgpr_count 0
		.amdhsa_exception_fp_ieee_invalid_op 0
		.amdhsa_exception_fp_denorm_src 0
		.amdhsa_exception_fp_ieee_div_zero 0
		.amdhsa_exception_fp_ieee_overflow 0
		.amdhsa_exception_fp_ieee_underflow 0
		.amdhsa_exception_fp_ieee_inexact 0
		.amdhsa_exception_int_div_zero 0
	.end_amdhsa_kernel
	.section	.text._ZN9rocsolver6v33100L23getf2_npvt_small_kernelILi57EdiiPKPdEEvT1_T3_lS5_lPT2_S5_S5_,"axG",@progbits,_ZN9rocsolver6v33100L23getf2_npvt_small_kernelILi57EdiiPKPdEEvT1_T3_lS5_lPT2_S5_S5_,comdat
.Lfunc_end113:
	.size	_ZN9rocsolver6v33100L23getf2_npvt_small_kernelILi57EdiiPKPdEEvT1_T3_lS5_lPT2_S5_S5_, .Lfunc_end113-_ZN9rocsolver6v33100L23getf2_npvt_small_kernelILi57EdiiPKPdEEvT1_T3_lS5_lPT2_S5_S5_
                                        ; -- End function
	.set _ZN9rocsolver6v33100L23getf2_npvt_small_kernelILi57EdiiPKPdEEvT1_T3_lS5_lPT2_S5_S5_.num_vgpr, 256
	.set _ZN9rocsolver6v33100L23getf2_npvt_small_kernelILi57EdiiPKPdEEvT1_T3_lS5_lPT2_S5_S5_.num_agpr, 0
	.set _ZN9rocsolver6v33100L23getf2_npvt_small_kernelILi57EdiiPKPdEEvT1_T3_lS5_lPT2_S5_S5_.numbered_sgpr, 16
	.set _ZN9rocsolver6v33100L23getf2_npvt_small_kernelILi57EdiiPKPdEEvT1_T3_lS5_lPT2_S5_S5_.num_named_barrier, 0
	.set _ZN9rocsolver6v33100L23getf2_npvt_small_kernelILi57EdiiPKPdEEvT1_T3_lS5_lPT2_S5_S5_.private_seg_size, 404
	.set _ZN9rocsolver6v33100L23getf2_npvt_small_kernelILi57EdiiPKPdEEvT1_T3_lS5_lPT2_S5_S5_.uses_vcc, 1
	.set _ZN9rocsolver6v33100L23getf2_npvt_small_kernelILi57EdiiPKPdEEvT1_T3_lS5_lPT2_S5_S5_.uses_flat_scratch, 1
	.set _ZN9rocsolver6v33100L23getf2_npvt_small_kernelILi57EdiiPKPdEEvT1_T3_lS5_lPT2_S5_S5_.has_dyn_sized_stack, 0
	.set _ZN9rocsolver6v33100L23getf2_npvt_small_kernelILi57EdiiPKPdEEvT1_T3_lS5_lPT2_S5_S5_.has_recursion, 0
	.set _ZN9rocsolver6v33100L23getf2_npvt_small_kernelILi57EdiiPKPdEEvT1_T3_lS5_lPT2_S5_S5_.has_indirect_call, 0
	.section	.AMDGPU.csdata,"",@progbits
; Kernel info:
; codeLenInByte = 54156
; TotalNumSgprs: 18
; NumVgprs: 256
; ScratchSize: 404
; MemoryBound: 0
; FloatMode: 240
; IeeeMode: 1
; LDSByteSize: 0 bytes/workgroup (compile time only)
; SGPRBlocks: 0
; VGPRBlocks: 31
; NumSGPRsForWavesPerEU: 18
; NumVGPRsForWavesPerEU: 256
; Occupancy: 4
; WaveLimiterHint : 1
; COMPUTE_PGM_RSRC2:SCRATCH_EN: 1
; COMPUTE_PGM_RSRC2:USER_SGPR: 6
; COMPUTE_PGM_RSRC2:TRAP_HANDLER: 0
; COMPUTE_PGM_RSRC2:TGID_X_EN: 1
; COMPUTE_PGM_RSRC2:TGID_Y_EN: 1
; COMPUTE_PGM_RSRC2:TGID_Z_EN: 0
; COMPUTE_PGM_RSRC2:TIDIG_COMP_CNT: 1
	.section	.text._ZN9rocsolver6v33100L18getf2_small_kernelILi58EdiiPKPdEEvT1_T3_lS5_lPS5_llPT2_S5_S5_S7_l,"axG",@progbits,_ZN9rocsolver6v33100L18getf2_small_kernelILi58EdiiPKPdEEvT1_T3_lS5_lPS5_llPT2_S5_S5_S7_l,comdat
	.globl	_ZN9rocsolver6v33100L18getf2_small_kernelILi58EdiiPKPdEEvT1_T3_lS5_lPS5_llPT2_S5_S5_S7_l ; -- Begin function _ZN9rocsolver6v33100L18getf2_small_kernelILi58EdiiPKPdEEvT1_T3_lS5_lPS5_llPT2_S5_S5_S7_l
	.p2align	8
	.type	_ZN9rocsolver6v33100L18getf2_small_kernelILi58EdiiPKPdEEvT1_T3_lS5_lPS5_llPT2_S5_S5_S7_l,@function
_ZN9rocsolver6v33100L18getf2_small_kernelILi58EdiiPKPdEEvT1_T3_lS5_lPS5_llPT2_S5_S5_S7_l: ; @_ZN9rocsolver6v33100L18getf2_small_kernelILi58EdiiPKPdEEvT1_T3_lS5_lPS5_llPT2_S5_S5_S7_l
; %bb.0:
	s_clause 0x1
	s_load_dword s0, s[4:5], 0x6c
	s_load_dwordx2 s[12:13], s[4:5], 0x48
	s_waitcnt lgkmcnt(0)
	s_lshr_b32 s0, s0, 16
	v_mad_u64_u32 v[2:3], null, s7, s0, v[1:2]
	s_mov_b32 s0, exec_lo
	v_cmpx_gt_i32_e64 s12, v2
	s_cbranch_execz .LBB114_983
; %bb.1:
	s_clause 0x1
	s_load_dwordx4 s[0:3], s[4:5], 0x8
	s_load_dwordx4 s[8:11], s[4:5], 0x50
	v_ashrrev_i32_e32 v3, 31, v2
	v_lshlrev_b64 v[4:5], 3, v[2:3]
	s_waitcnt lgkmcnt(0)
	v_add_co_u32 v4, vcc_lo, s0, v4
	v_add_co_ci_u32_e64 v5, null, s1, v5, vcc_lo
	s_cmp_eq_u64 s[8:9], 0
	s_cselect_b32 s6, -1, 0
	global_load_dwordx2 v[6:7], v[4:5], off
	v_mov_b32_e32 v4, 0
	v_mov_b32_e32 v5, 0
	s_and_b32 vcc_lo, exec_lo, s6
	s_cbranch_vccnz .LBB114_3
; %bb.2:
	v_mul_lo_u32 v8, s11, v2
	v_mul_lo_u32 v9, s10, v3
	v_mad_u64_u32 v[4:5], null, s10, v2, 0
	v_add3_u32 v5, v5, v9, v8
	v_lshlrev_b64 v[4:5], 2, v[4:5]
	v_add_co_u32 v4, vcc_lo, s8, v4
	v_add_co_ci_u32_e64 v5, null, s9, v5, vcc_lo
.LBB114_3:
	s_clause 0x1
	s_load_dword s8, s[4:5], 0x18
	s_load_dword s7, s[4:5], 0x0
	s_lshl_b64 s[0:1], s[2:3], 3
	v_lshlrev_b32_e32 v178, 3, v0
	s_waitcnt vmcnt(0)
	v_add_co_u32 v126, vcc_lo, v6, s0
	v_add_co_ci_u32_e64 v127, null, s1, v7, vcc_lo
	s_waitcnt lgkmcnt(0)
	v_add3_u32 v8, s8, s8, v0
	s_ashr_i32 s9, s8, 31
	s_max_i32 s0, s7, 58
	s_lshl_b64 s[10:11], s[8:9], 3
	v_mul_lo_u32 v1, s0, v1
	v_add_nc_u32_e32 v10, s8, v8
	v_ashrrev_i32_e32 v9, 31, v8
	s_cmp_lt_i32 s7, 2
	v_ashrrev_i32_e32 v11, 31, v10
	v_add_nc_u32_e32 v12, s8, v10
	v_lshlrev_b64 v[8:9], 3, v[8:9]
	v_lshlrev_b64 v[6:7], 3, v[10:11]
	v_add_nc_u32_e32 v10, s8, v12
	v_ashrrev_i32_e32 v13, 31, v12
	v_add_co_u32 v8, vcc_lo, v126, v8
	v_add_co_ci_u32_e64 v9, null, v127, v9, vcc_lo
	v_add_nc_u32_e32 v14, s8, v10
	v_ashrrev_i32_e32 v11, 31, v10
	v_lshlrev_b64 v[12:13], 3, v[12:13]
	v_add_co_u32 v6, vcc_lo, v126, v6
	v_add_nc_u32_e32 v16, s8, v14
	v_ashrrev_i32_e32 v15, 31, v14
	v_lshlrev_b64 v[10:11], 3, v[10:11]
	v_add_co_ci_u32_e64 v7, null, v127, v7, vcc_lo
	v_add_nc_u32_e32 v18, s8, v16
	v_ashrrev_i32_e32 v17, 31, v16
	v_lshlrev_b64 v[14:15], 3, v[14:15]
	v_add_co_u32 v12, vcc_lo, v126, v12
	v_add_nc_u32_e32 v20, s8, v18
	v_ashrrev_i32_e32 v19, 31, v18
	v_lshlrev_b64 v[16:17], 3, v[16:17]
	v_add_co_ci_u32_e64 v13, null, v127, v13, vcc_lo
	v_add_nc_u32_e32 v22, s8, v20
	v_ashrrev_i32_e32 v21, 31, v20
	v_add_co_u32 v10, vcc_lo, v126, v10
	v_lshlrev_b64 v[18:19], 3, v[18:19]
	v_add_nc_u32_e32 v24, s8, v22
	v_ashrrev_i32_e32 v23, 31, v22
	v_add_co_ci_u32_e64 v11, null, v127, v11, vcc_lo
	v_add_co_u32 v14, vcc_lo, v126, v14
	v_add_nc_u32_e32 v26, s8, v24
	v_ashrrev_i32_e32 v25, 31, v24
	v_lshlrev_b64 v[20:21], 3, v[20:21]
	v_add_co_ci_u32_e64 v15, null, v127, v15, vcc_lo
	v_add_nc_u32_e32 v28, s8, v26
	v_ashrrev_i32_e32 v27, 31, v26
	v_add_co_u32 v16, vcc_lo, v126, v16
	v_lshlrev_b64 v[22:23], 3, v[22:23]
	v_add_nc_u32_e32 v30, s8, v28
	v_ashrrev_i32_e32 v29, 31, v28
	v_add_co_ci_u32_e64 v17, null, v127, v17, vcc_lo
	v_add_co_u32 v18, vcc_lo, v126, v18
	v_add_nc_u32_e32 v32, s8, v30
	v_lshlrev_b64 v[24:25], 3, v[24:25]
	v_ashrrev_i32_e32 v31, 31, v30
	v_add_co_ci_u32_e64 v19, null, v127, v19, vcc_lo
	v_add_nc_u32_e32 v34, s8, v32
	v_add_co_u32 v20, vcc_lo, v126, v20
	v_lshlrev_b64 v[26:27], 3, v[26:27]
	v_ashrrev_i32_e32 v33, 31, v32
	v_add_nc_u32_e32 v36, s8, v34
	v_add_co_ci_u32_e64 v21, null, v127, v21, vcc_lo
	v_add_co_u32 v22, vcc_lo, v126, v22
	v_add_nc_u32_e32 v38, s8, v36
	v_lshlrev_b64 v[28:29], 3, v[28:29]
	v_ashrrev_i32_e32 v35, 31, v34
	v_add_co_ci_u32_e64 v23, null, v127, v23, vcc_lo
	v_add_nc_u32_e32 v40, s8, v38
	v_add_co_u32 v24, vcc_lo, v126, v24
	v_lshlrev_b64 v[30:31], 3, v[30:31]
	v_ashrrev_i32_e32 v37, 31, v36
	v_add_nc_u32_e32 v42, s8, v40
	;; [unrolled: 11-line block ×4, first 2 shown]
	v_add_co_ci_u32_e64 v33, null, v127, v33, vcc_lo
	v_add_co_u32 v34, vcc_lo, v126, v34
	v_add_nc_u32_e32 v56, s8, v54
	v_lshlrev_b64 v[40:41], 3, v[40:41]
	v_ashrrev_i32_e32 v47, 31, v46
	v_add_co_ci_u32_e64 v35, null, v127, v35, vcc_lo
	v_add_nc_u32_e32 v58, s8, v56
	v_add_co_u32 v36, vcc_lo, v126, v36
	v_lshlrev_b64 v[42:43], 3, v[42:43]
	v_ashrrev_i32_e32 v49, 31, v48
	v_add_co_ci_u32_e64 v37, null, v127, v37, vcc_lo
	v_add_co_u32 v38, vcc_lo, v126, v38
	v_lshlrev_b64 v[44:45], 3, v[44:45]
	v_ashrrev_i32_e32 v51, 31, v50
	v_add_nc_u32_e32 v60, s8, v58
	v_add_co_ci_u32_e64 v39, null, v127, v39, vcc_lo
	v_add_co_u32 v40, vcc_lo, v126, v40
	v_lshlrev_b64 v[46:47], 3, v[46:47]
	v_ashrrev_i32_e32 v53, 31, v52
	v_add_co_ci_u32_e64 v41, null, v127, v41, vcc_lo
	v_add_co_u32 v42, vcc_lo, v126, v42
	v_lshlrev_b64 v[48:49], 3, v[48:49]
	v_ashrrev_i32_e32 v55, 31, v54
	v_add_co_ci_u32_e64 v43, null, v127, v43, vcc_lo
	v_add_co_u32 v44, vcc_lo, v126, v44
	v_lshlrev_b64 v[50:51], 3, v[50:51]
	v_add_nc_u32_e32 v62, s8, v60
	v_ashrrev_i32_e32 v57, 31, v56
	v_add_co_ci_u32_e64 v45, null, v127, v45, vcc_lo
	v_add_co_u32 v46, vcc_lo, v126, v46
	v_lshlrev_b64 v[52:53], 3, v[52:53]
	v_ashrrev_i32_e32 v59, 31, v58
	v_add_co_ci_u32_e64 v47, null, v127, v47, vcc_lo
	v_add_co_u32 v48, vcc_lo, v126, v48
	v_lshlrev_b64 v[54:55], 3, v[54:55]
	v_ashrrev_i32_e32 v61, 31, v60
	v_add_nc_u32_e32 v64, s8, v62
	v_add_co_ci_u32_e64 v49, null, v127, v49, vcc_lo
	v_add_co_u32 v50, vcc_lo, v126, v50
	v_lshlrev_b64 v[56:57], 3, v[56:57]
	v_ashrrev_i32_e32 v63, 31, v62
	v_add_co_ci_u32_e64 v51, null, v127, v51, vcc_lo
	v_add_co_u32 v52, vcc_lo, v126, v52
	v_lshlrev_b64 v[58:59], 3, v[58:59]
	v_add_co_ci_u32_e64 v53, null, v127, v53, vcc_lo
	v_add_co_u32 v54, vcc_lo, v126, v54
	v_lshlrev_b64 v[60:61], 3, v[60:61]
	v_add_nc_u32_e32 v66, s8, v64
	v_add_co_ci_u32_e64 v55, null, v127, v55, vcc_lo
	v_add_co_u32 v56, vcc_lo, v126, v56
	v_lshlrev_b64 v[62:63], 3, v[62:63]
	v_ashrrev_i32_e32 v65, 31, v64
	v_add_co_ci_u32_e64 v57, null, v127, v57, vcc_lo
	v_add_co_u32 v58, vcc_lo, v126, v58
	v_ashrrev_i32_e32 v67, 31, v66
	v_add_nc_u32_e32 v68, s8, v66
	v_add_co_ci_u32_e64 v59, null, v127, v59, vcc_lo
	v_add_co_u32 v60, vcc_lo, v126, v60
	v_lshlrev_b64 v[64:65], 3, v[64:65]
	v_add_co_ci_u32_e64 v61, null, v127, v61, vcc_lo
	v_add_co_u32 v120, vcc_lo, v126, v62
	v_add_co_ci_u32_e64 v121, null, v127, v63, vcc_lo
	v_lshlrev_b64 v[62:63], 3, v[66:67]
	v_ashrrev_i32_e32 v69, 31, v68
	v_add_nc_u32_e32 v66, s8, v68
	v_add_co_u32 v122, vcc_lo, v126, v64
	v_add_co_ci_u32_e64 v123, null, v127, v65, vcc_lo
	v_lshlrev_b64 v[64:65], 3, v[68:69]
	v_ashrrev_i32_e32 v67, 31, v66
	v_add_nc_u32_e32 v68, s8, v66
	;; [unrolled: 5-line block ×22, first 2 shown]
	v_add_co_u32 v166, vcc_lo, v126, v62
	v_add_co_ci_u32_e64 v167, null, v127, v63, vcc_lo
	v_lshlrev_b64 v[62:63], 3, v[66:67]
	v_add_nc_u32_e32 v66, s8, v68
	v_ashrrev_i32_e32 v69, 31, v68
	v_add_co_u32 v168, vcc_lo, v126, v64
	v_add_co_ci_u32_e64 v169, null, v127, v65, vcc_lo
	v_ashrrev_i32_e32 v67, 31, v66
	v_lshlrev_b64 v[64:65], 3, v[68:69]
	v_add_co_u32 v170, vcc_lo, v126, v62
	v_add_co_ci_u32_e64 v171, null, v127, v63, vcc_lo
	v_lshlrev_b64 v[62:63], 3, v[66:67]
	v_add_nc_u32_e32 v66, s8, v66
	v_add_co_u32 v172, vcc_lo, v126, v64
	v_add_co_ci_u32_e64 v173, null, v127, v65, vcc_lo
	v_ashrrev_i32_e32 v67, 31, v66
	v_add_co_u32 v174, vcc_lo, v126, v62
	v_add_co_ci_u32_e64 v175, null, v127, v63, vcc_lo
	v_add_co_u32 v64, vcc_lo, v126, v178
	v_add_co_ci_u32_e64 v65, null, 0, v127, vcc_lo
	v_lshlrev_b64 v[62:63], 3, v[66:67]
	v_add_co_u32 v66, vcc_lo, v64, s10
	v_add_co_ci_u32_e64 v67, null, s11, v65, vcc_lo
	v_add_co_u32 v176, vcc_lo, v126, v62
	v_add_co_ci_u32_e64 v177, null, v127, v63, vcc_lo
	s_clause 0x39
	flat_load_dwordx2 v[118:119], v[64:65]
	flat_load_dwordx2 v[114:115], v[66:67]
	;; [unrolled: 1-line block ×58, first 2 shown]
	v_lshl_add_u32 v128, v1, 3, 0
	v_lshlrev_b32_e32 v129, 3, v1
	v_mov_b32_e32 v124, 0
	v_add_nc_u32_e32 v122, v128, v178
	s_waitcnt vmcnt(57) lgkmcnt(57)
	ds_write_b64 v122, v[118:119]
	s_waitcnt vmcnt(0) lgkmcnt(0)
	s_barrier
	buffer_gl0_inv
	ds_read_b64 v[122:123], v128
	s_cbranch_scc1 .LBB114_6
; %bb.4:
	v_add3_u32 v1, v129, 0, 8
	v_mov_b32_e32 v124, 0
	s_mov_b32 s0, 1
.LBB114_5:                              ; =>This Inner Loop Header: Depth=1
	ds_read_b64 v[130:131], v1
	v_add_nc_u32_e32 v1, 8, v1
	s_waitcnt lgkmcnt(0)
	v_cmp_lt_f64_e64 vcc_lo, |v[122:123]|, |v[130:131]|
	v_cndmask_b32_e32 v123, v123, v131, vcc_lo
	v_cndmask_b32_e32 v122, v122, v130, vcc_lo
	v_cndmask_b32_e64 v124, v124, s0, vcc_lo
	s_add_i32 s0, s0, 1
	s_cmp_eq_u32 s7, s0
	s_cbranch_scc0 .LBB114_5
.LBB114_6:
	s_mov_b32 s0, exec_lo
                                        ; implicit-def: $vgpr131
	v_cmpx_ne_u32_e64 v0, v124
	s_xor_b32 s0, exec_lo, s0
	s_cbranch_execz .LBB114_12
; %bb.7:
	s_mov_b32 s1, exec_lo
	v_cmpx_eq_u32_e32 0, v0
	s_cbranch_execz .LBB114_11
; %bb.8:
	v_cmp_ne_u32_e32 vcc_lo, 0, v124
	s_xor_b32 s2, s6, -1
	s_and_b32 s3, s2, vcc_lo
	s_and_saveexec_b32 s2, s3
	s_cbranch_execz .LBB114_10
; %bb.9:
	v_ashrrev_i32_e32 v125, 31, v124
	v_lshlrev_b64 v[0:1], 2, v[124:125]
	v_add_co_u32 v0, vcc_lo, v4, v0
	v_add_co_ci_u32_e64 v1, null, v5, v1, vcc_lo
	s_clause 0x1
	global_load_dword v125, v[0:1], off
	global_load_dword v130, v[4:5], off
	s_waitcnt vmcnt(1)
	global_store_dword v[4:5], v125, off
	s_waitcnt vmcnt(0)
	global_store_dword v[0:1], v130, off
.LBB114_10:
	s_or_b32 exec_lo, exec_lo, s2
	v_mov_b32_e32 v0, v124
.LBB114_11:
	s_or_b32 exec_lo, exec_lo, s1
	v_mov_b32_e32 v131, v0
                                        ; implicit-def: $vgpr0
.LBB114_12:
	s_or_saveexec_b32 s0, s0
	v_mov_b32_e32 v130, v131
	s_xor_b32 exec_lo, exec_lo, s0
	s_cbranch_execz .LBB114_14
; %bb.13:
	v_mov_b32_e32 v131, 0
	v_mov_b32_e32 v130, v0
	ds_write2_b64 v128, v[114:115], v[116:117] offset0:1 offset1:2
	ds_write2_b64 v128, v[112:113], v[110:111] offset0:3 offset1:4
	;; [unrolled: 1-line block ×28, first 2 shown]
	ds_write_b64 v128, v[120:121] offset:456
.LBB114_14:
	s_or_b32 exec_lo, exec_lo, s0
	s_waitcnt lgkmcnt(0)
	v_cmp_eq_f64_e64 s0, 0, v[122:123]
	s_mov_b32 s1, exec_lo
	s_waitcnt_vscnt null, 0x0
	s_barrier
	buffer_gl0_inv
	v_cmpx_lt_i32_e32 0, v131
	s_cbranch_execz .LBB114_16
; %bb.15:
	v_div_scale_f64 v[0:1], null, v[122:123], v[122:123], 1.0
	v_div_scale_f64 v[134:135], vcc_lo, 1.0, v[122:123], 1.0
	v_rcp_f64_e32 v[124:125], v[0:1]
	v_fma_f64 v[132:133], -v[0:1], v[124:125], 1.0
	v_fma_f64 v[124:125], v[124:125], v[132:133], v[124:125]
	v_fma_f64 v[132:133], -v[0:1], v[124:125], 1.0
	v_fma_f64 v[124:125], v[124:125], v[132:133], v[124:125]
	v_mul_f64 v[132:133], v[134:135], v[124:125]
	v_fma_f64 v[0:1], -v[0:1], v[132:133], v[134:135]
	v_div_fmas_f64 v[0:1], v[0:1], v[124:125], v[132:133]
	v_div_fixup_f64 v[0:1], v[0:1], v[122:123], 1.0
	v_cndmask_b32_e64 v1, v1, v123, s0
	v_cndmask_b32_e64 v0, v0, v122, s0
	ds_read2_b64 v[122:125], v128 offset0:1 offset1:2
	ds_read2_b64 v[132:135], v128 offset0:3 offset1:4
	;; [unrolled: 1-line block ×16, first 2 shown]
	v_mul_f64 v[118:119], v[0:1], v[118:119]
	s_waitcnt lgkmcnt(15)
	v_fma_f64 v[114:115], -v[118:119], v[122:123], v[114:115]
	v_fma_f64 v[116:117], -v[118:119], v[124:125], v[116:117]
	ds_read2_b64 v[122:125], v128 offset0:33 offset1:34
	ds_read2_b64 v[192:195], v128 offset0:35 offset1:36
	s_waitcnt lgkmcnt(16)
	v_fma_f64 v[112:113], -v[118:119], v[132:133], v[112:113]
	v_fma_f64 v[110:111], -v[118:119], v[134:135], v[110:111]
	s_waitcnt lgkmcnt(15)
	v_fma_f64 v[108:109], -v[118:119], v[136:137], v[108:109]
	v_fma_f64 v[106:107], -v[118:119], v[138:139], v[106:107]
	ds_read2_b64 v[132:135], v128 offset0:37 offset1:38
	ds_read2_b64 v[136:139], v128 offset0:39 offset1:40
	s_waitcnt lgkmcnt(16)
	v_fma_f64 v[104:105], -v[118:119], v[140:141], v[104:105]
	v_fma_f64 v[102:103], -v[118:119], v[142:143], v[102:103]
	;; [unrolled: 8-line block ×5, first 2 shown]
	s_waitcnt lgkmcnt(15)
	v_fma_f64 v[74:75], -v[118:119], v[168:169], v[74:75]
	v_fma_f64 v[76:77], -v[118:119], v[170:171], v[76:77]
	ds_read2_b64 v[164:167], v128 offset0:53 offset1:54
	ds_read2_b64 v[168:171], v128 offset0:55 offset1:56
	ds_read_b64 v[0:1], v128 offset:456
	s_waitcnt lgkmcnt(17)
	v_fma_f64 v[72:73], -v[118:119], v[172:173], v[72:73]
	v_fma_f64 v[70:71], -v[118:119], v[174:175], v[70:71]
	s_waitcnt lgkmcnt(16)
	v_fma_f64 v[68:69], -v[118:119], v[176:177], v[68:69]
	v_fma_f64 v[66:67], -v[118:119], v[178:179], v[66:67]
	;; [unrolled: 3-line block ×17, first 2 shown]
	s_waitcnt lgkmcnt(0)
	v_fma_f64 v[120:121], -v[118:119], v[0:1], v[120:121]
.LBB114_16:
	s_or_b32 exec_lo, exec_lo, s1
	v_lshl_add_u32 v0, v131, 3, v128
	s_barrier
	buffer_gl0_inv
	v_mov_b32_e32 v122, 1
	ds_write_b64 v0, v[114:115]
	s_waitcnt lgkmcnt(0)
	s_barrier
	buffer_gl0_inv
	ds_read_b64 v[0:1], v128 offset:8
	s_cmp_lt_i32 s7, 3
	s_cbranch_scc1 .LBB114_19
; %bb.17:
	v_add3_u32 v123, v129, 0, 16
	v_mov_b32_e32 v122, 1
	s_mov_b32 s1, 2
.LBB114_18:                             ; =>This Inner Loop Header: Depth=1
	ds_read_b64 v[124:125], v123
	v_add_nc_u32_e32 v123, 8, v123
	s_waitcnt lgkmcnt(0)
	v_cmp_lt_f64_e64 vcc_lo, |v[0:1]|, |v[124:125]|
	v_cndmask_b32_e32 v1, v1, v125, vcc_lo
	v_cndmask_b32_e32 v0, v0, v124, vcc_lo
	v_cndmask_b32_e64 v122, v122, s1, vcc_lo
	s_add_i32 s1, s1, 1
	s_cmp_lg_u32 s7, s1
	s_cbranch_scc1 .LBB114_18
.LBB114_19:
	s_mov_b32 s1, exec_lo
	v_cmpx_ne_u32_e64 v131, v122
	s_xor_b32 s1, exec_lo, s1
	s_cbranch_execz .LBB114_25
; %bb.20:
	s_mov_b32 s2, exec_lo
	v_cmpx_eq_u32_e32 1, v131
	s_cbranch_execz .LBB114_24
; %bb.21:
	v_cmp_ne_u32_e32 vcc_lo, 1, v122
	s_xor_b32 s3, s6, -1
	s_and_b32 s9, s3, vcc_lo
	s_and_saveexec_b32 s3, s9
	s_cbranch_execz .LBB114_23
; %bb.22:
	v_ashrrev_i32_e32 v123, 31, v122
	v_lshlrev_b64 v[123:124], 2, v[122:123]
	v_add_co_u32 v123, vcc_lo, v4, v123
	v_add_co_ci_u32_e64 v124, null, v5, v124, vcc_lo
	s_clause 0x1
	global_load_dword v125, v[123:124], off
	global_load_dword v130, v[4:5], off offset:4
	s_waitcnt vmcnt(1)
	global_store_dword v[4:5], v125, off offset:4
	s_waitcnt vmcnt(0)
	global_store_dword v[123:124], v130, off
.LBB114_23:
	s_or_b32 exec_lo, exec_lo, s3
	v_mov_b32_e32 v130, v122
	v_mov_b32_e32 v131, v122
.LBB114_24:
	s_or_b32 exec_lo, exec_lo, s2
.LBB114_25:
	s_andn2_saveexec_b32 s1, s1
	s_cbranch_execz .LBB114_27
; %bb.26:
	v_mov_b32_e32 v122, v116
	v_mov_b32_e32 v123, v117
	;; [unrolled: 1-line block ×16, first 2 shown]
	ds_write2_b64 v128, v[122:123], v[124:125] offset0:2 offset1:3
	ds_write2_b64 v128, v[131:132], v[133:134] offset0:4 offset1:5
	ds_write2_b64 v128, v[135:136], v[137:138] offset0:6 offset1:7
	ds_write2_b64 v128, v[139:140], v[141:142] offset0:8 offset1:9
	v_mov_b32_e32 v122, v100
	v_mov_b32_e32 v123, v101
	v_mov_b32_e32 v124, v94
	v_mov_b32_e32 v125, v95
	v_mov_b32_e32 v131, v96
	v_mov_b32_e32 v132, v97
	v_mov_b32_e32 v133, v92
	v_mov_b32_e32 v134, v93
	v_mov_b32_e32 v135, v90
	v_mov_b32_e32 v136, v91
	v_mov_b32_e32 v137, v88
	v_mov_b32_e32 v138, v89
	v_mov_b32_e32 v139, v86
	v_mov_b32_e32 v140, v87
	v_mov_b32_e32 v141, v84
	v_mov_b32_e32 v142, v85
	v_mov_b32_e32 v143, v82
	v_mov_b32_e32 v144, v83
	v_mov_b32_e32 v145, v78
	v_mov_b32_e32 v146, v79
	ds_write2_b64 v128, v[122:123], v[124:125] offset0:10 offset1:11
	ds_write2_b64 v128, v[131:132], v[133:134] offset0:12 offset1:13
	ds_write2_b64 v128, v[135:136], v[137:138] offset0:14 offset1:15
	ds_write2_b64 v128, v[139:140], v[141:142] offset0:16 offset1:17
	ds_write2_b64 v128, v[143:144], v[145:146] offset0:18 offset1:19
	v_mov_b32_e32 v122, v80
	v_mov_b32_e32 v123, v81
	v_mov_b32_e32 v124, v74
	v_mov_b32_e32 v125, v75
	v_mov_b32_e32 v131, v76
	v_mov_b32_e32 v132, v77
	v_mov_b32_e32 v133, v72
	v_mov_b32_e32 v134, v73
	v_mov_b32_e32 v135, v70
	v_mov_b32_e32 v136, v71
	v_mov_b32_e32 v137, v68
	v_mov_b32_e32 v138, v69
	v_mov_b32_e32 v139, v66
	v_mov_b32_e32 v140, v67
	v_mov_b32_e32 v141, v64
	v_mov_b32_e32 v142, v65
	v_mov_b32_e32 v143, v62
	v_mov_b32_e32 v144, v63
	v_mov_b32_e32 v145, v58
	v_mov_b32_e32 v146, v59
	ds_write2_b64 v128, v[122:123], v[124:125] offset0:20 offset1:21
	;; [unrolled: 25-line block ×4, first 2 shown]
	ds_write2_b64 v128, v[131:132], v[133:134] offset0:42 offset1:43
	ds_write2_b64 v128, v[135:136], v[137:138] offset0:44 offset1:45
	;; [unrolled: 1-line block ×4, first 2 shown]
	v_mov_b32_e32 v122, v20
	v_mov_b32_e32 v123, v21
	;; [unrolled: 1-line block ×15, first 2 shown]
	ds_write2_b64 v128, v[122:123], v[124:125] offset0:50 offset1:51
	ds_write2_b64 v128, v[132:133], v[134:135] offset0:52 offset1:53
	;; [unrolled: 1-line block ×4, first 2 shown]
.LBB114_27:
	s_or_b32 exec_lo, exec_lo, s1
	s_waitcnt lgkmcnt(0)
	v_cmp_neq_f64_e64 s1, 0, v[0:1]
	s_mov_b32 s2, exec_lo
	s_waitcnt_vscnt null, 0x0
	s_barrier
	buffer_gl0_inv
	v_cmpx_lt_i32_e32 1, v131
	s_cbranch_execz .LBB114_29
; %bb.28:
	v_div_scale_f64 v[122:123], null, v[0:1], v[0:1], 1.0
	v_div_scale_f64 v[134:135], vcc_lo, 1.0, v[0:1], 1.0
	v_rcp_f64_e32 v[124:125], v[122:123]
	v_fma_f64 v[132:133], -v[122:123], v[124:125], 1.0
	v_fma_f64 v[124:125], v[124:125], v[132:133], v[124:125]
	v_fma_f64 v[132:133], -v[122:123], v[124:125], 1.0
	v_fma_f64 v[124:125], v[124:125], v[132:133], v[124:125]
	v_mul_f64 v[132:133], v[134:135], v[124:125]
	v_fma_f64 v[122:123], -v[122:123], v[132:133], v[134:135]
	v_div_fmas_f64 v[122:123], v[122:123], v[124:125], v[132:133]
	v_div_fixup_f64 v[136:137], v[122:123], v[0:1], 1.0
	ds_read2_b64 v[122:125], v128 offset0:2 offset1:3
	ds_read2_b64 v[132:135], v128 offset0:4 offset1:5
	v_cndmask_b32_e64 v1, v1, v137, s1
	v_cndmask_b32_e64 v0, v0, v136, s1
	ds_read2_b64 v[136:139], v128 offset0:6 offset1:7
	ds_read2_b64 v[140:143], v128 offset0:8 offset1:9
	;; [unrolled: 1-line block ×26, first 2 shown]
	v_mul_f64 v[114:115], v[0:1], v[114:115]
	s_waitcnt lgkmcnt(27)
	v_fma_f64 v[116:117], -v[114:115], v[122:123], v[116:117]
	v_fma_f64 v[112:113], -v[114:115], v[124:125], v[112:113]
	s_waitcnt lgkmcnt(26)
	v_fma_f64 v[110:111], -v[114:115], v[132:133], v[110:111]
	v_fma_f64 v[108:109], -v[114:115], v[134:135], v[108:109]
	;; [unrolled: 3-line block ×28, first 2 shown]
.LBB114_29:
	s_or_b32 exec_lo, exec_lo, s2
	v_lshl_add_u32 v0, v131, 3, v128
	s_barrier
	buffer_gl0_inv
	v_mov_b32_e32 v122, 2
	ds_write_b64 v0, v[116:117]
	s_waitcnt lgkmcnt(0)
	s_barrier
	buffer_gl0_inv
	ds_read_b64 v[0:1], v128 offset:16
	s_cmp_lt_i32 s7, 4
	s_mov_b32 s2, 3
	s_cbranch_scc1 .LBB114_32
; %bb.30:
	v_add3_u32 v123, v129, 0, 24
	v_mov_b32_e32 v122, 2
.LBB114_31:                             ; =>This Inner Loop Header: Depth=1
	ds_read_b64 v[124:125], v123
	v_add_nc_u32_e32 v123, 8, v123
	s_waitcnt lgkmcnt(0)
	v_cmp_lt_f64_e64 vcc_lo, |v[0:1]|, |v[124:125]|
	v_cndmask_b32_e32 v1, v1, v125, vcc_lo
	v_cndmask_b32_e32 v0, v0, v124, vcc_lo
	v_cndmask_b32_e64 v122, v122, s2, vcc_lo
	s_add_i32 s2, s2, 1
	s_cmp_lg_u32 s7, s2
	s_cbranch_scc1 .LBB114_31
.LBB114_32:
	v_cndmask_b32_e64 v123, 2, 1, s0
	v_cndmask_b32_e64 v124, 0, 1, s0
	s_mov_b32 s0, exec_lo
	v_cndmask_b32_e64 v125, v123, v124, s1
	s_waitcnt lgkmcnt(0)
	v_cmpx_eq_f64_e32 0, v[0:1]
	s_xor_b32 s0, exec_lo, s0
; %bb.33:
	v_cmp_ne_u32_e32 vcc_lo, 0, v125
	v_cndmask_b32_e32 v125, 3, v125, vcc_lo
; %bb.34:
	s_andn2_saveexec_b32 s0, s0
	s_cbranch_execz .LBB114_36
; %bb.35:
	v_div_scale_f64 v[123:124], null, v[0:1], v[0:1], 1.0
	v_rcp_f64_e32 v[132:133], v[123:124]
	v_fma_f64 v[134:135], -v[123:124], v[132:133], 1.0
	v_fma_f64 v[132:133], v[132:133], v[134:135], v[132:133]
	v_fma_f64 v[134:135], -v[123:124], v[132:133], 1.0
	v_fma_f64 v[132:133], v[132:133], v[134:135], v[132:133]
	v_div_scale_f64 v[134:135], vcc_lo, 1.0, v[0:1], 1.0
	v_mul_f64 v[136:137], v[134:135], v[132:133]
	v_fma_f64 v[123:124], -v[123:124], v[136:137], v[134:135]
	v_div_fmas_f64 v[123:124], v[123:124], v[132:133], v[136:137]
	v_div_fixup_f64 v[0:1], v[123:124], v[0:1], 1.0
.LBB114_36:
	s_or_b32 exec_lo, exec_lo, s0
	s_mov_b32 s0, exec_lo
	v_cmpx_ne_u32_e64 v131, v122
	s_xor_b32 s0, exec_lo, s0
	s_cbranch_execz .LBB114_42
; %bb.37:
	s_mov_b32 s1, exec_lo
	v_cmpx_eq_u32_e32 2, v131
	s_cbranch_execz .LBB114_41
; %bb.38:
	v_cmp_ne_u32_e32 vcc_lo, 2, v122
	s_xor_b32 s2, s6, -1
	s_and_b32 s3, s2, vcc_lo
	s_and_saveexec_b32 s2, s3
	s_cbranch_execz .LBB114_40
; %bb.39:
	v_ashrrev_i32_e32 v123, 31, v122
	v_lshlrev_b64 v[123:124], 2, v[122:123]
	v_add_co_u32 v123, vcc_lo, v4, v123
	v_add_co_ci_u32_e64 v124, null, v5, v124, vcc_lo
	s_clause 0x1
	global_load_dword v130, v[123:124], off
	global_load_dword v131, v[4:5], off offset:8
	s_waitcnt vmcnt(1)
	global_store_dword v[4:5], v130, off offset:8
	s_waitcnt vmcnt(0)
	global_store_dword v[123:124], v131, off
.LBB114_40:
	s_or_b32 exec_lo, exec_lo, s2
	v_mov_b32_e32 v130, v122
	v_mov_b32_e32 v131, v122
.LBB114_41:
	s_or_b32 exec_lo, exec_lo, s1
.LBB114_42:
	s_andn2_saveexec_b32 s0, s0
	s_cbranch_execz .LBB114_44
; %bb.43:
	v_mov_b32_e32 v131, 2
	ds_write2_b64 v128, v[112:113], v[110:111] offset0:3 offset1:4
	ds_write2_b64 v128, v[108:109], v[106:107] offset0:5 offset1:6
	;; [unrolled: 1-line block ×27, first 2 shown]
	ds_write_b64 v128, v[120:121] offset:456
.LBB114_44:
	s_or_b32 exec_lo, exec_lo, s0
	s_mov_b32 s0, exec_lo
	s_waitcnt lgkmcnt(0)
	s_waitcnt_vscnt null, 0x0
	s_barrier
	buffer_gl0_inv
	v_cmpx_lt_i32_e32 2, v131
	s_cbranch_execz .LBB114_46
; %bb.45:
	v_mul_f64 v[116:117], v[0:1], v[116:117]
	ds_read2_b64 v[132:135], v128 offset0:3 offset1:4
	ds_read2_b64 v[136:139], v128 offset0:5 offset1:6
	;; [unrolled: 1-line block ×12, first 2 shown]
	ds_read_b64 v[0:1], v128 offset:456
	s_waitcnt lgkmcnt(12)
	v_fma_f64 v[112:113], -v[116:117], v[132:133], v[112:113]
	v_fma_f64 v[110:111], -v[116:117], v[134:135], v[110:111]
	s_waitcnt lgkmcnt(11)
	v_fma_f64 v[108:109], -v[116:117], v[136:137], v[108:109]
	v_fma_f64 v[106:107], -v[116:117], v[138:139], v[106:107]
	;; [unrolled: 3-line block ×5, first 2 shown]
	ds_read2_b64 v[132:135], v128 offset0:27 offset1:28
	ds_read2_b64 v[136:139], v128 offset0:29 offset1:30
	;; [unrolled: 1-line block ×5, first 2 shown]
	s_waitcnt lgkmcnt(12)
	v_fma_f64 v[92:93], -v[116:117], v[152:153], v[92:93]
	v_fma_f64 v[90:91], -v[116:117], v[154:155], v[90:91]
	s_waitcnt lgkmcnt(11)
	v_fma_f64 v[88:89], -v[116:117], v[156:157], v[88:89]
	v_fma_f64 v[86:87], -v[116:117], v[158:159], v[86:87]
	;; [unrolled: 3-line block ×5, first 2 shown]
	ds_read2_b64 v[152:155], v128 offset0:37 offset1:38
	ds_read2_b64 v[156:159], v128 offset0:39 offset1:40
	;; [unrolled: 1-line block ×5, first 2 shown]
	s_waitcnt lgkmcnt(9)
	v_fma_f64 v[64:65], -v[116:117], v[132:133], v[64:65]
	v_fma_f64 v[62:63], -v[116:117], v[134:135], v[62:63]
	s_waitcnt lgkmcnt(8)
	v_fma_f64 v[58:59], -v[116:117], v[136:137], v[58:59]
	ds_read2_b64 v[132:135], v128 offset0:41 offset1:42
	v_fma_f64 v[60:61], -v[116:117], v[138:139], v[60:61]
	ds_read2_b64 v[136:139], v128 offset0:43 offset1:44
	s_waitcnt lgkmcnt(9)
	v_fma_f64 v[54:55], -v[116:117], v[140:141], v[54:55]
	v_fma_f64 v[56:57], -v[116:117], v[142:143], v[56:57]
	ds_read2_b64 v[140:143], v128 offset0:47 offset1:48
	s_waitcnt lgkmcnt(9)
	v_fma_f64 v[52:53], -v[116:117], v[144:145], v[52:53]
	;; [unrolled: 4-line block ×3, first 2 shown]
	v_fma_f64 v[46:47], -v[116:117], v[150:151], v[46:47]
	ds_read2_b64 v[148:151], v128 offset0:55 offset1:56
	v_fma_f64 v[72:73], -v[116:117], v[172:173], v[72:73]
	v_fma_f64 v[70:71], -v[116:117], v[174:175], v[70:71]
	;; [unrolled: 1-line block ×4, first 2 shown]
	s_waitcnt lgkmcnt(9)
	v_fma_f64 v[44:45], -v[116:117], v[152:153], v[44:45]
	v_fma_f64 v[42:43], -v[116:117], v[154:155], v[42:43]
	s_waitcnt lgkmcnt(8)
	v_fma_f64 v[38:39], -v[116:117], v[156:157], v[38:39]
	v_fma_f64 v[40:41], -v[116:117], v[158:159], v[40:41]
	;; [unrolled: 3-line block ×4, first 2 shown]
	v_fma_f64 v[28:29], -v[116:117], v[160:161], v[28:29]
	v_fma_f64 v[26:27], -v[116:117], v[162:163], v[26:27]
	s_waitcnt lgkmcnt(2)
	v_fma_f64 v[24:25], -v[116:117], v[140:141], v[24:25]
	v_fma_f64 v[22:23], -v[116:117], v[142:143], v[22:23]
	v_fma_f64 v[18:19], -v[116:117], v[164:165], v[18:19]
	v_fma_f64 v[20:21], -v[116:117], v[166:167], v[20:21]
	s_waitcnt lgkmcnt(1)
	v_fma_f64 v[16:17], -v[116:117], v[144:145], v[16:17]
	v_fma_f64 v[14:15], -v[116:117], v[146:147], v[14:15]
	;; [unrolled: 5-line block ×3, first 2 shown]
	v_fma_f64 v[120:121], -v[116:117], v[0:1], v[120:121]
.LBB114_46:
	s_or_b32 exec_lo, exec_lo, s0
	v_lshl_add_u32 v0, v131, 3, v128
	s_barrier
	buffer_gl0_inv
	v_mov_b32_e32 v122, 3
	ds_write_b64 v0, v[112:113]
	s_waitcnt lgkmcnt(0)
	s_barrier
	buffer_gl0_inv
	ds_read_b64 v[0:1], v128 offset:24
	s_cmp_lt_i32 s7, 5
	s_cbranch_scc1 .LBB114_49
; %bb.47:
	v_mov_b32_e32 v122, 3
	v_add3_u32 v123, v129, 0, 32
	s_mov_b32 s0, 4
.LBB114_48:                             ; =>This Inner Loop Header: Depth=1
	ds_read_b64 v[132:133], v123
	v_add_nc_u32_e32 v123, 8, v123
	s_waitcnt lgkmcnt(0)
	v_cmp_lt_f64_e64 vcc_lo, |v[0:1]|, |v[132:133]|
	v_cndmask_b32_e32 v1, v1, v133, vcc_lo
	v_cndmask_b32_e32 v0, v0, v132, vcc_lo
	v_cndmask_b32_e64 v122, v122, s0, vcc_lo
	s_add_i32 s0, s0, 1
	s_cmp_lg_u32 s7, s0
	s_cbranch_scc1 .LBB114_48
.LBB114_49:
	s_mov_b32 s0, exec_lo
	s_waitcnt lgkmcnt(0)
	v_cmpx_eq_f64_e32 0, v[0:1]
	s_xor_b32 s0, exec_lo, s0
; %bb.50:
	v_cmp_ne_u32_e32 vcc_lo, 0, v125
	v_cndmask_b32_e32 v125, 4, v125, vcc_lo
; %bb.51:
	s_andn2_saveexec_b32 s0, s0
	s_cbranch_execz .LBB114_53
; %bb.52:
	v_div_scale_f64 v[123:124], null, v[0:1], v[0:1], 1.0
	v_rcp_f64_e32 v[132:133], v[123:124]
	v_fma_f64 v[134:135], -v[123:124], v[132:133], 1.0
	v_fma_f64 v[132:133], v[132:133], v[134:135], v[132:133]
	v_fma_f64 v[134:135], -v[123:124], v[132:133], 1.0
	v_fma_f64 v[132:133], v[132:133], v[134:135], v[132:133]
	v_div_scale_f64 v[134:135], vcc_lo, 1.0, v[0:1], 1.0
	v_mul_f64 v[136:137], v[134:135], v[132:133]
	v_fma_f64 v[123:124], -v[123:124], v[136:137], v[134:135]
	v_div_fmas_f64 v[123:124], v[123:124], v[132:133], v[136:137]
	v_div_fixup_f64 v[0:1], v[123:124], v[0:1], 1.0
.LBB114_53:
	s_or_b32 exec_lo, exec_lo, s0
	s_mov_b32 s0, exec_lo
	v_cmpx_ne_u32_e64 v131, v122
	s_xor_b32 s0, exec_lo, s0
	s_cbranch_execz .LBB114_59
; %bb.54:
	s_mov_b32 s1, exec_lo
	v_cmpx_eq_u32_e32 3, v131
	s_cbranch_execz .LBB114_58
; %bb.55:
	v_cmp_ne_u32_e32 vcc_lo, 3, v122
	s_xor_b32 s2, s6, -1
	s_and_b32 s3, s2, vcc_lo
	s_and_saveexec_b32 s2, s3
	s_cbranch_execz .LBB114_57
; %bb.56:
	v_ashrrev_i32_e32 v123, 31, v122
	v_lshlrev_b64 v[123:124], 2, v[122:123]
	v_add_co_u32 v123, vcc_lo, v4, v123
	v_add_co_ci_u32_e64 v124, null, v5, v124, vcc_lo
	s_clause 0x1
	global_load_dword v130, v[123:124], off
	global_load_dword v131, v[4:5], off offset:12
	s_waitcnt vmcnt(1)
	global_store_dword v[4:5], v130, off offset:12
	s_waitcnt vmcnt(0)
	global_store_dword v[123:124], v131, off
.LBB114_57:
	s_or_b32 exec_lo, exec_lo, s2
	v_mov_b32_e32 v130, v122
	v_mov_b32_e32 v131, v122
.LBB114_58:
	s_or_b32 exec_lo, exec_lo, s1
.LBB114_59:
	s_andn2_saveexec_b32 s0, s0
	s_cbranch_execz .LBB114_61
; %bb.60:
	v_mov_b32_e32 v122, v110
	v_mov_b32_e32 v123, v111
	;; [unrolled: 1-line block ×12, first 2 shown]
	ds_write2_b64 v128, v[122:123], v[131:132] offset0:4 offset1:5
	ds_write2_b64 v128, v[133:134], v[135:136] offset0:6 offset1:7
	ds_write2_b64 v128, v[137:138], v[139:140] offset0:8 offset1:9
	v_mov_b32_e32 v122, v100
	v_mov_b32_e32 v123, v101
	v_mov_b32_e32 v131, v94
	v_mov_b32_e32 v132, v95
	v_mov_b32_e32 v133, v96
	v_mov_b32_e32 v134, v97
	v_mov_b32_e32 v135, v92
	v_mov_b32_e32 v136, v93
	v_mov_b32_e32 v137, v90
	v_mov_b32_e32 v138, v91
	v_mov_b32_e32 v139, v88
	v_mov_b32_e32 v140, v89
	v_mov_b32_e32 v141, v86
	v_mov_b32_e32 v142, v87
	v_mov_b32_e32 v143, v84
	v_mov_b32_e32 v144, v85
	v_mov_b32_e32 v145, v82
	v_mov_b32_e32 v146, v83
	v_mov_b32_e32 v147, v78
	v_mov_b32_e32 v148, v79
	ds_write2_b64 v128, v[122:123], v[131:132] offset0:10 offset1:11
	ds_write2_b64 v128, v[133:134], v[135:136] offset0:12 offset1:13
	ds_write2_b64 v128, v[137:138], v[139:140] offset0:14 offset1:15
	ds_write2_b64 v128, v[141:142], v[143:144] offset0:16 offset1:17
	ds_write2_b64 v128, v[145:146], v[147:148] offset0:18 offset1:19
	v_mov_b32_e32 v122, v80
	v_mov_b32_e32 v123, v81
	v_mov_b32_e32 v131, v74
	v_mov_b32_e32 v132, v75
	v_mov_b32_e32 v133, v76
	v_mov_b32_e32 v134, v77
	v_mov_b32_e32 v135, v72
	v_mov_b32_e32 v136, v73
	v_mov_b32_e32 v137, v70
	v_mov_b32_e32 v138, v71
	v_mov_b32_e32 v139, v68
	v_mov_b32_e32 v140, v69
	v_mov_b32_e32 v141, v66
	v_mov_b32_e32 v142, v67
	v_mov_b32_e32 v143, v64
	v_mov_b32_e32 v144, v65
	v_mov_b32_e32 v145, v62
	v_mov_b32_e32 v146, v63
	v_mov_b32_e32 v147, v58
	v_mov_b32_e32 v148, v59
	ds_write2_b64 v128, v[122:123], v[131:132] offset0:20 offset1:21
	ds_write2_b64 v128, v[133:134], v[135:136] offset0:22 offset1:23
	;; [unrolled: 25-line block ×4, first 2 shown]
	ds_write2_b64 v128, v[137:138], v[139:140] offset0:44 offset1:45
	ds_write2_b64 v128, v[141:142], v[143:144] offset0:46 offset1:47
	;; [unrolled: 1-line block ×3, first 2 shown]
	v_mov_b32_e32 v122, v20
	v_mov_b32_e32 v123, v21
	;; [unrolled: 1-line block ×15, first 2 shown]
	ds_write2_b64 v128, v[122:123], v[132:133] offset0:50 offset1:51
	ds_write2_b64 v128, v[134:135], v[136:137] offset0:52 offset1:53
	;; [unrolled: 1-line block ×4, first 2 shown]
.LBB114_61:
	s_or_b32 exec_lo, exec_lo, s0
	s_mov_b32 s0, exec_lo
	s_waitcnt lgkmcnt(0)
	s_waitcnt_vscnt null, 0x0
	s_barrier
	buffer_gl0_inv
	v_cmpx_lt_i32_e32 3, v131
	s_cbranch_execz .LBB114_63
; %bb.62:
	v_mul_f64 v[112:113], v[0:1], v[112:113]
	ds_read2_b64 v[132:135], v128 offset0:4 offset1:5
	ds_read2_b64 v[136:139], v128 offset0:6 offset1:7
	;; [unrolled: 1-line block ×12, first 2 shown]
	s_waitcnt lgkmcnt(11)
	v_fma_f64 v[110:111], -v[112:113], v[132:133], v[110:111]
	v_fma_f64 v[108:109], -v[112:113], v[134:135], v[108:109]
	s_waitcnt lgkmcnt(10)
	v_fma_f64 v[106:107], -v[112:113], v[136:137], v[106:107]
	v_fma_f64 v[104:105], -v[112:113], v[138:139], v[104:105]
	;; [unrolled: 3-line block ×4, first 2 shown]
	ds_read2_b64 v[132:135], v128 offset0:28 offset1:29
	ds_read2_b64 v[136:139], v128 offset0:30 offset1:31
	;; [unrolled: 1-line block ×4, first 2 shown]
	s_waitcnt lgkmcnt(11)
	v_fma_f64 v[96:97], -v[112:113], v[148:149], v[96:97]
	v_fma_f64 v[92:93], -v[112:113], v[150:151], v[92:93]
	s_waitcnt lgkmcnt(10)
	v_fma_f64 v[90:91], -v[112:113], v[152:153], v[90:91]
	v_fma_f64 v[88:89], -v[112:113], v[154:155], v[88:89]
	;; [unrolled: 3-line block ×7, first 2 shown]
	ds_read2_b64 v[148:151], v128 offset0:36 offset1:37
	ds_read2_b64 v[152:155], v128 offset0:38 offset1:39
	s_waitcnt lgkmcnt(5)
	v_fma_f64 v[62:63], -v[112:113], v[132:133], v[62:63]
	ds_read2_b64 v[156:159], v128 offset0:40 offset1:41
	v_fma_f64 v[58:59], -v[112:113], v[134:135], v[58:59]
	ds_read2_b64 v[132:135], v128 offset0:42 offset1:43
	s_waitcnt lgkmcnt(6)
	v_fma_f64 v[60:61], -v[112:113], v[136:137], v[60:61]
	ds_read2_b64 v[160:163], v128 offset0:44 offset1:45
	v_fma_f64 v[54:55], -v[112:113], v[138:139], v[54:55]
	;; [unrolled: 5-line block ×4, first 2 shown]
	ds_read2_b64 v[144:147], v128 offset0:54 offset1:55
	ds_read2_b64 v[172:175], v128 offset0:56 offset1:57
	v_fma_f64 v[66:67], -v[112:113], v[176:177], v[66:67]
	v_fma_f64 v[64:65], -v[112:113], v[178:179], v[64:65]
	s_waitcnt lgkmcnt(10)
	v_fma_f64 v[46:47], -v[112:113], v[148:149], v[46:47]
	v_fma_f64 v[44:45], -v[112:113], v[150:151], v[44:45]
	s_waitcnt lgkmcnt(9)
	v_fma_f64 v[42:43], -v[112:113], v[152:153], v[42:43]
	v_fma_f64 v[38:39], -v[112:113], v[154:155], v[38:39]
	s_waitcnt lgkmcnt(8)
	v_fma_f64 v[40:41], -v[112:113], v[156:157], v[40:41]
	v_fma_f64 v[34:35], -v[112:113], v[158:159], v[34:35]
	s_waitcnt lgkmcnt(7)
	v_fma_f64 v[36:37], -v[112:113], v[132:133], v[36:37]
	v_fma_f64 v[32:33], -v[112:113], v[134:135], v[32:33]
	s_waitcnt lgkmcnt(6)
	v_fma_f64 v[30:31], -v[112:113], v[160:161], v[30:31]
	v_fma_f64 v[28:29], -v[112:113], v[162:163], v[28:29]
	s_waitcnt lgkmcnt(5)
	v_fma_f64 v[26:27], -v[112:113], v[136:137], v[26:27]
	v_fma_f64 v[24:25], -v[112:113], v[138:139], v[24:25]
	s_waitcnt lgkmcnt(4)
	v_fma_f64 v[22:23], -v[112:113], v[164:165], v[22:23]
	v_fma_f64 v[18:19], -v[112:113], v[166:167], v[18:19]
	s_waitcnt lgkmcnt(3)
	v_fma_f64 v[20:21], -v[112:113], v[140:141], v[20:21]
	v_fma_f64 v[16:17], -v[112:113], v[142:143], v[16:17]
	s_waitcnt lgkmcnt(2)
	v_fma_f64 v[14:15], -v[112:113], v[168:169], v[14:15]
	v_fma_f64 v[8:9], -v[112:113], v[170:171], v[8:9]
	s_waitcnt lgkmcnt(1)
	v_fma_f64 v[12:13], -v[112:113], v[144:145], v[12:13]
	v_fma_f64 v[6:7], -v[112:113], v[146:147], v[6:7]
	s_waitcnt lgkmcnt(0)
	v_fma_f64 v[10:11], -v[112:113], v[172:173], v[10:11]
	v_fma_f64 v[120:121], -v[112:113], v[174:175], v[120:121]
.LBB114_63:
	s_or_b32 exec_lo, exec_lo, s0
	v_lshl_add_u32 v0, v131, 3, v128
	s_barrier
	buffer_gl0_inv
	v_mov_b32_e32 v122, 4
	ds_write_b64 v0, v[110:111]
	s_waitcnt lgkmcnt(0)
	s_barrier
	buffer_gl0_inv
	ds_read_b64 v[0:1], v128 offset:32
	s_cmp_lt_i32 s7, 6
	s_cbranch_scc1 .LBB114_66
; %bb.64:
	v_add3_u32 v123, v129, 0, 40
	v_mov_b32_e32 v122, 4
	s_mov_b32 s0, 5
.LBB114_65:                             ; =>This Inner Loop Header: Depth=1
	ds_read_b64 v[132:133], v123
	v_add_nc_u32_e32 v123, 8, v123
	s_waitcnt lgkmcnt(0)
	v_cmp_lt_f64_e64 vcc_lo, |v[0:1]|, |v[132:133]|
	v_cndmask_b32_e32 v1, v1, v133, vcc_lo
	v_cndmask_b32_e32 v0, v0, v132, vcc_lo
	v_cndmask_b32_e64 v122, v122, s0, vcc_lo
	s_add_i32 s0, s0, 1
	s_cmp_lg_u32 s7, s0
	s_cbranch_scc1 .LBB114_65
.LBB114_66:
	s_mov_b32 s0, exec_lo
	s_waitcnt lgkmcnt(0)
	v_cmpx_eq_f64_e32 0, v[0:1]
	s_xor_b32 s0, exec_lo, s0
; %bb.67:
	v_cmp_ne_u32_e32 vcc_lo, 0, v125
	v_cndmask_b32_e32 v125, 5, v125, vcc_lo
; %bb.68:
	s_andn2_saveexec_b32 s0, s0
	s_cbranch_execz .LBB114_70
; %bb.69:
	v_div_scale_f64 v[123:124], null, v[0:1], v[0:1], 1.0
	v_rcp_f64_e32 v[132:133], v[123:124]
	v_fma_f64 v[134:135], -v[123:124], v[132:133], 1.0
	v_fma_f64 v[132:133], v[132:133], v[134:135], v[132:133]
	v_fma_f64 v[134:135], -v[123:124], v[132:133], 1.0
	v_fma_f64 v[132:133], v[132:133], v[134:135], v[132:133]
	v_div_scale_f64 v[134:135], vcc_lo, 1.0, v[0:1], 1.0
	v_mul_f64 v[136:137], v[134:135], v[132:133]
	v_fma_f64 v[123:124], -v[123:124], v[136:137], v[134:135]
	v_div_fmas_f64 v[123:124], v[123:124], v[132:133], v[136:137]
	v_div_fixup_f64 v[0:1], v[123:124], v[0:1], 1.0
.LBB114_70:
	s_or_b32 exec_lo, exec_lo, s0
	s_mov_b32 s0, exec_lo
	v_cmpx_ne_u32_e64 v131, v122
	s_xor_b32 s0, exec_lo, s0
	s_cbranch_execz .LBB114_76
; %bb.71:
	s_mov_b32 s1, exec_lo
	v_cmpx_eq_u32_e32 4, v131
	s_cbranch_execz .LBB114_75
; %bb.72:
	v_cmp_ne_u32_e32 vcc_lo, 4, v122
	s_xor_b32 s2, s6, -1
	s_and_b32 s3, s2, vcc_lo
	s_and_saveexec_b32 s2, s3
	s_cbranch_execz .LBB114_74
; %bb.73:
	v_ashrrev_i32_e32 v123, 31, v122
	v_lshlrev_b64 v[123:124], 2, v[122:123]
	v_add_co_u32 v123, vcc_lo, v4, v123
	v_add_co_ci_u32_e64 v124, null, v5, v124, vcc_lo
	s_clause 0x1
	global_load_dword v130, v[123:124], off
	global_load_dword v131, v[4:5], off offset:16
	s_waitcnt vmcnt(1)
	global_store_dword v[4:5], v130, off offset:16
	s_waitcnt vmcnt(0)
	global_store_dword v[123:124], v131, off
.LBB114_74:
	s_or_b32 exec_lo, exec_lo, s2
	v_mov_b32_e32 v130, v122
	v_mov_b32_e32 v131, v122
.LBB114_75:
	s_or_b32 exec_lo, exec_lo, s1
.LBB114_76:
	s_andn2_saveexec_b32 s0, s0
	s_cbranch_execz .LBB114_78
; %bb.77:
	v_mov_b32_e32 v131, 4
	ds_write2_b64 v128, v[108:109], v[106:107] offset0:5 offset1:6
	ds_write2_b64 v128, v[104:105], v[102:103] offset0:7 offset1:8
	;; [unrolled: 1-line block ×26, first 2 shown]
	ds_write_b64 v128, v[120:121] offset:456
.LBB114_78:
	s_or_b32 exec_lo, exec_lo, s0
	s_mov_b32 s0, exec_lo
	s_waitcnt lgkmcnt(0)
	s_waitcnt_vscnt null, 0x0
	s_barrier
	buffer_gl0_inv
	v_cmpx_lt_i32_e32 4, v131
	s_cbranch_execz .LBB114_80
; %bb.79:
	v_mul_f64 v[110:111], v[0:1], v[110:111]
	ds_read2_b64 v[132:135], v128 offset0:5 offset1:6
	ds_read2_b64 v[136:139], v128 offset0:7 offset1:8
	;; [unrolled: 1-line block ×12, first 2 shown]
	ds_read_b64 v[0:1], v128 offset:456
	s_waitcnt lgkmcnt(12)
	v_fma_f64 v[108:109], -v[110:111], v[132:133], v[108:109]
	v_fma_f64 v[106:107], -v[110:111], v[134:135], v[106:107]
	s_waitcnt lgkmcnt(11)
	v_fma_f64 v[104:105], -v[110:111], v[136:137], v[104:105]
	v_fma_f64 v[102:103], -v[110:111], v[138:139], v[102:103]
	;; [unrolled: 3-line block ×4, first 2 shown]
	ds_read2_b64 v[132:135], v128 offset0:29 offset1:30
	ds_read2_b64 v[136:139], v128 offset0:31 offset1:32
	;; [unrolled: 1-line block ×4, first 2 shown]
	s_waitcnt lgkmcnt(12)
	v_fma_f64 v[92:93], -v[110:111], v[148:149], v[92:93]
	v_fma_f64 v[90:91], -v[110:111], v[150:151], v[90:91]
	s_waitcnt lgkmcnt(11)
	v_fma_f64 v[88:89], -v[110:111], v[152:153], v[88:89]
	v_fma_f64 v[86:87], -v[110:111], v[154:155], v[86:87]
	;; [unrolled: 3-line block ×6, first 2 shown]
	ds_read2_b64 v[148:151], v128 offset0:37 offset1:38
	ds_read2_b64 v[152:155], v128 offset0:39 offset1:40
	;; [unrolled: 1-line block ×4, first 2 shown]
	s_waitcnt lgkmcnt(7)
	v_fma_f64 v[58:59], -v[110:111], v[132:133], v[58:59]
	v_fma_f64 v[60:61], -v[110:111], v[134:135], v[60:61]
	ds_read2_b64 v[132:135], v128 offset0:43 offset1:44
	s_waitcnt lgkmcnt(7)
	v_fma_f64 v[54:55], -v[110:111], v[136:137], v[54:55]
	v_fma_f64 v[56:57], -v[110:111], v[138:139], v[56:57]
	ds_read2_b64 v[136:139], v128 offset0:47 offset1:48
	s_waitcnt lgkmcnt(7)
	v_fma_f64 v[52:53], -v[110:111], v[140:141], v[52:53]
	ds_read2_b64 v[164:167], v128 offset0:49 offset1:50
	v_fma_f64 v[50:51], -v[110:111], v[142:143], v[50:51]
	ds_read2_b64 v[140:143], v128 offset0:51 offset1:52
	s_waitcnt lgkmcnt(8)
	v_fma_f64 v[48:49], -v[110:111], v[144:145], v[48:49]
	ds_read2_b64 v[168:171], v128 offset0:53 offset1:54
	v_fma_f64 v[46:47], -v[110:111], v[146:147], v[46:47]
	ds_read2_b64 v[144:147], v128 offset0:55 offset1:56
	v_fma_f64 v[68:69], -v[110:111], v[172:173], v[68:69]
	v_fma_f64 v[66:67], -v[110:111], v[174:175], v[66:67]
	;; [unrolled: 1-line block ×4, first 2 shown]
	s_waitcnt lgkmcnt(9)
	v_fma_f64 v[44:45], -v[110:111], v[148:149], v[44:45]
	v_fma_f64 v[42:43], -v[110:111], v[150:151], v[42:43]
	s_waitcnt lgkmcnt(8)
	v_fma_f64 v[38:39], -v[110:111], v[152:153], v[38:39]
	v_fma_f64 v[40:41], -v[110:111], v[154:155], v[40:41]
	;; [unrolled: 3-line block ×4, first 2 shown]
	v_fma_f64 v[28:29], -v[110:111], v[160:161], v[28:29]
	v_fma_f64 v[26:27], -v[110:111], v[162:163], v[26:27]
	s_waitcnt lgkmcnt(4)
	v_fma_f64 v[24:25], -v[110:111], v[136:137], v[24:25]
	v_fma_f64 v[22:23], -v[110:111], v[138:139], v[22:23]
	s_waitcnt lgkmcnt(3)
	;; [unrolled: 3-line block ×5, first 2 shown]
	v_fma_f64 v[6:7], -v[110:111], v[144:145], v[6:7]
	v_fma_f64 v[10:11], -v[110:111], v[146:147], v[10:11]
	;; [unrolled: 1-line block ×3, first 2 shown]
.LBB114_80:
	s_or_b32 exec_lo, exec_lo, s0
	v_lshl_add_u32 v0, v131, 3, v128
	s_barrier
	buffer_gl0_inv
	v_mov_b32_e32 v122, 5
	ds_write_b64 v0, v[108:109]
	s_waitcnt lgkmcnt(0)
	s_barrier
	buffer_gl0_inv
	ds_read_b64 v[0:1], v128 offset:40
	s_cmp_lt_i32 s7, 7
	s_cbranch_scc1 .LBB114_83
; %bb.81:
	v_add3_u32 v123, v129, 0, 48
	v_mov_b32_e32 v122, 5
	s_mov_b32 s0, 6
.LBB114_82:                             ; =>This Inner Loop Header: Depth=1
	ds_read_b64 v[132:133], v123
	v_add_nc_u32_e32 v123, 8, v123
	s_waitcnt lgkmcnt(0)
	v_cmp_lt_f64_e64 vcc_lo, |v[0:1]|, |v[132:133]|
	v_cndmask_b32_e32 v1, v1, v133, vcc_lo
	v_cndmask_b32_e32 v0, v0, v132, vcc_lo
	v_cndmask_b32_e64 v122, v122, s0, vcc_lo
	s_add_i32 s0, s0, 1
	s_cmp_lg_u32 s7, s0
	s_cbranch_scc1 .LBB114_82
.LBB114_83:
	s_mov_b32 s0, exec_lo
	s_waitcnt lgkmcnt(0)
	v_cmpx_eq_f64_e32 0, v[0:1]
	s_xor_b32 s0, exec_lo, s0
; %bb.84:
	v_cmp_ne_u32_e32 vcc_lo, 0, v125
	v_cndmask_b32_e32 v125, 6, v125, vcc_lo
; %bb.85:
	s_andn2_saveexec_b32 s0, s0
	s_cbranch_execz .LBB114_87
; %bb.86:
	v_div_scale_f64 v[123:124], null, v[0:1], v[0:1], 1.0
	v_rcp_f64_e32 v[132:133], v[123:124]
	v_fma_f64 v[134:135], -v[123:124], v[132:133], 1.0
	v_fma_f64 v[132:133], v[132:133], v[134:135], v[132:133]
	v_fma_f64 v[134:135], -v[123:124], v[132:133], 1.0
	v_fma_f64 v[132:133], v[132:133], v[134:135], v[132:133]
	v_div_scale_f64 v[134:135], vcc_lo, 1.0, v[0:1], 1.0
	v_mul_f64 v[136:137], v[134:135], v[132:133]
	v_fma_f64 v[123:124], -v[123:124], v[136:137], v[134:135]
	v_div_fmas_f64 v[123:124], v[123:124], v[132:133], v[136:137]
	v_div_fixup_f64 v[0:1], v[123:124], v[0:1], 1.0
.LBB114_87:
	s_or_b32 exec_lo, exec_lo, s0
	s_mov_b32 s0, exec_lo
	v_cmpx_ne_u32_e64 v131, v122
	s_xor_b32 s0, exec_lo, s0
	s_cbranch_execz .LBB114_93
; %bb.88:
	s_mov_b32 s1, exec_lo
	v_cmpx_eq_u32_e32 5, v131
	s_cbranch_execz .LBB114_92
; %bb.89:
	v_cmp_ne_u32_e32 vcc_lo, 5, v122
	s_xor_b32 s2, s6, -1
	s_and_b32 s3, s2, vcc_lo
	s_and_saveexec_b32 s2, s3
	s_cbranch_execz .LBB114_91
; %bb.90:
	v_ashrrev_i32_e32 v123, 31, v122
	v_lshlrev_b64 v[123:124], 2, v[122:123]
	v_add_co_u32 v123, vcc_lo, v4, v123
	v_add_co_ci_u32_e64 v124, null, v5, v124, vcc_lo
	s_clause 0x1
	global_load_dword v130, v[123:124], off
	global_load_dword v131, v[4:5], off offset:20
	s_waitcnt vmcnt(1)
	global_store_dword v[4:5], v130, off offset:20
	s_waitcnt vmcnt(0)
	global_store_dword v[123:124], v131, off
.LBB114_91:
	s_or_b32 exec_lo, exec_lo, s2
	v_mov_b32_e32 v130, v122
	v_mov_b32_e32 v131, v122
.LBB114_92:
	s_or_b32 exec_lo, exec_lo, s1
.LBB114_93:
	s_andn2_saveexec_b32 s0, s0
	s_cbranch_execz .LBB114_95
; %bb.94:
	v_mov_b32_e32 v122, v106
	v_mov_b32_e32 v123, v107
	;; [unrolled: 1-line block ×8, first 2 shown]
	ds_write2_b64 v128, v[122:123], v[131:132] offset0:6 offset1:7
	ds_write2_b64 v128, v[133:134], v[135:136] offset0:8 offset1:9
	v_mov_b32_e32 v122, v100
	v_mov_b32_e32 v123, v101
	v_mov_b32_e32 v131, v94
	v_mov_b32_e32 v132, v95
	v_mov_b32_e32 v133, v96
	v_mov_b32_e32 v134, v97
	v_mov_b32_e32 v135, v92
	v_mov_b32_e32 v136, v93
	v_mov_b32_e32 v137, v90
	v_mov_b32_e32 v138, v91
	v_mov_b32_e32 v139, v88
	v_mov_b32_e32 v140, v89
	v_mov_b32_e32 v141, v86
	v_mov_b32_e32 v142, v87
	v_mov_b32_e32 v143, v84
	v_mov_b32_e32 v144, v85
	v_mov_b32_e32 v145, v82
	v_mov_b32_e32 v146, v83
	v_mov_b32_e32 v147, v78
	v_mov_b32_e32 v148, v79
	ds_write2_b64 v128, v[122:123], v[131:132] offset0:10 offset1:11
	ds_write2_b64 v128, v[133:134], v[135:136] offset0:12 offset1:13
	ds_write2_b64 v128, v[137:138], v[139:140] offset0:14 offset1:15
	ds_write2_b64 v128, v[141:142], v[143:144] offset0:16 offset1:17
	ds_write2_b64 v128, v[145:146], v[147:148] offset0:18 offset1:19
	v_mov_b32_e32 v122, v80
	v_mov_b32_e32 v123, v81
	v_mov_b32_e32 v131, v74
	v_mov_b32_e32 v132, v75
	v_mov_b32_e32 v133, v76
	v_mov_b32_e32 v134, v77
	v_mov_b32_e32 v135, v72
	v_mov_b32_e32 v136, v73
	v_mov_b32_e32 v137, v70
	v_mov_b32_e32 v138, v71
	v_mov_b32_e32 v139, v68
	v_mov_b32_e32 v140, v69
	v_mov_b32_e32 v141, v66
	v_mov_b32_e32 v142, v67
	v_mov_b32_e32 v143, v64
	v_mov_b32_e32 v144, v65
	v_mov_b32_e32 v145, v62
	v_mov_b32_e32 v146, v63
	v_mov_b32_e32 v147, v58
	v_mov_b32_e32 v148, v59
	ds_write2_b64 v128, v[122:123], v[131:132] offset0:20 offset1:21
	ds_write2_b64 v128, v[133:134], v[135:136] offset0:22 offset1:23
	ds_write2_b64 v128, v[137:138], v[139:140] offset0:24 offset1:25
	;; [unrolled: 25-line block ×4, first 2 shown]
	ds_write2_b64 v128, v[141:142], v[143:144] offset0:46 offset1:47
	ds_write2_b64 v128, v[145:146], v[147:148] offset0:48 offset1:49
	v_mov_b32_e32 v122, v20
	v_mov_b32_e32 v123, v21
	v_mov_b32_e32 v132, v16
	v_mov_b32_e32 v133, v17
	v_mov_b32_e32 v131, 5
	v_mov_b32_e32 v134, v14
	v_mov_b32_e32 v135, v15
	v_mov_b32_e32 v136, v8
	v_mov_b32_e32 v137, v9
	v_mov_b32_e32 v138, v12
	v_mov_b32_e32 v139, v13
	v_mov_b32_e32 v140, v6
	v_mov_b32_e32 v141, v7
	v_mov_b32_e32 v142, v10
	v_mov_b32_e32 v143, v11
	ds_write2_b64 v128, v[122:123], v[132:133] offset0:50 offset1:51
	ds_write2_b64 v128, v[134:135], v[136:137] offset0:52 offset1:53
	;; [unrolled: 1-line block ×4, first 2 shown]
.LBB114_95:
	s_or_b32 exec_lo, exec_lo, s0
	s_mov_b32 s0, exec_lo
	s_waitcnt lgkmcnt(0)
	s_waitcnt_vscnt null, 0x0
	s_barrier
	buffer_gl0_inv
	v_cmpx_lt_i32_e32 5, v131
	s_cbranch_execz .LBB114_97
; %bb.96:
	v_mul_f64 v[108:109], v[0:1], v[108:109]
	ds_read2_b64 v[132:135], v128 offset0:6 offset1:7
	ds_read2_b64 v[136:139], v128 offset0:8 offset1:9
	;; [unrolled: 1-line block ×12, first 2 shown]
	s_waitcnt lgkmcnt(11)
	v_fma_f64 v[106:107], -v[108:109], v[132:133], v[106:107]
	v_fma_f64 v[104:105], -v[108:109], v[134:135], v[104:105]
	s_waitcnt lgkmcnt(10)
	v_fma_f64 v[102:103], -v[108:109], v[136:137], v[102:103]
	v_fma_f64 v[98:99], -v[108:109], v[138:139], v[98:99]
	;; [unrolled: 3-line block ×3, first 2 shown]
	ds_read2_b64 v[132:135], v128 offset0:30 offset1:31
	ds_read2_b64 v[136:139], v128 offset0:32 offset1:33
	;; [unrolled: 1-line block ×3, first 2 shown]
	s_waitcnt lgkmcnt(11)
	v_fma_f64 v[96:97], -v[108:109], v[144:145], v[96:97]
	v_fma_f64 v[92:93], -v[108:109], v[146:147], v[92:93]
	s_waitcnt lgkmcnt(10)
	v_fma_f64 v[90:91], -v[108:109], v[148:149], v[90:91]
	v_fma_f64 v[88:89], -v[108:109], v[150:151], v[88:89]
	;; [unrolled: 3-line block ×7, first 2 shown]
	ds_read2_b64 v[144:147], v128 offset0:36 offset1:37
	s_waitcnt lgkmcnt(5)
	v_fma_f64 v[66:67], -v[108:109], v[172:173], v[66:67]
	v_fma_f64 v[64:65], -v[108:109], v[174:175], v[64:65]
	ds_read2_b64 v[148:151], v128 offset0:38 offset1:39
	ds_read2_b64 v[152:155], v128 offset0:40 offset1:41
	;; [unrolled: 1-line block ×4, first 2 shown]
	s_waitcnt lgkmcnt(7)
	v_fma_f64 v[60:61], -v[108:109], v[132:133], v[60:61]
	v_fma_f64 v[54:55], -v[108:109], v[134:135], v[54:55]
	ds_read2_b64 v[132:135], v128 offset0:46 offset1:47
	ds_read2_b64 v[164:167], v128 offset0:48 offset1:49
	s_waitcnt lgkmcnt(8)
	v_fma_f64 v[56:57], -v[108:109], v[136:137], v[56:57]
	v_fma_f64 v[52:53], -v[108:109], v[138:139], v[52:53]
	ds_read2_b64 v[136:139], v128 offset0:50 offset1:51
	ds_read2_b64 v[168:171], v128 offset0:52 offset1:53
	;; [unrolled: 5-line block ×3, first 2 shown]
	v_fma_f64 v[62:63], -v[108:109], v[176:177], v[62:63]
	v_fma_f64 v[58:59], -v[108:109], v[178:179], v[58:59]
	s_waitcnt lgkmcnt(10)
	v_fma_f64 v[46:47], -v[108:109], v[144:145], v[46:47]
	v_fma_f64 v[44:45], -v[108:109], v[146:147], v[44:45]
	s_waitcnt lgkmcnt(9)
	;; [unrolled: 3-line block ×11, first 2 shown]
	v_fma_f64 v[10:11], -v[108:109], v[172:173], v[10:11]
	v_fma_f64 v[120:121], -v[108:109], v[174:175], v[120:121]
.LBB114_97:
	s_or_b32 exec_lo, exec_lo, s0
	v_lshl_add_u32 v0, v131, 3, v128
	s_barrier
	buffer_gl0_inv
	v_mov_b32_e32 v122, 6
	ds_write_b64 v0, v[106:107]
	s_waitcnt lgkmcnt(0)
	s_barrier
	buffer_gl0_inv
	ds_read_b64 v[0:1], v128 offset:48
	s_cmp_lt_i32 s7, 8
	s_cbranch_scc1 .LBB114_100
; %bb.98:
	v_add3_u32 v123, v129, 0, 56
	v_mov_b32_e32 v122, 6
	s_mov_b32 s0, 7
.LBB114_99:                             ; =>This Inner Loop Header: Depth=1
	ds_read_b64 v[132:133], v123
	v_add_nc_u32_e32 v123, 8, v123
	s_waitcnt lgkmcnt(0)
	v_cmp_lt_f64_e64 vcc_lo, |v[0:1]|, |v[132:133]|
	v_cndmask_b32_e32 v1, v1, v133, vcc_lo
	v_cndmask_b32_e32 v0, v0, v132, vcc_lo
	v_cndmask_b32_e64 v122, v122, s0, vcc_lo
	s_add_i32 s0, s0, 1
	s_cmp_lg_u32 s7, s0
	s_cbranch_scc1 .LBB114_99
.LBB114_100:
	s_mov_b32 s0, exec_lo
	s_waitcnt lgkmcnt(0)
	v_cmpx_eq_f64_e32 0, v[0:1]
	s_xor_b32 s0, exec_lo, s0
; %bb.101:
	v_cmp_ne_u32_e32 vcc_lo, 0, v125
	v_cndmask_b32_e32 v125, 7, v125, vcc_lo
; %bb.102:
	s_andn2_saveexec_b32 s0, s0
	s_cbranch_execz .LBB114_104
; %bb.103:
	v_div_scale_f64 v[123:124], null, v[0:1], v[0:1], 1.0
	v_rcp_f64_e32 v[132:133], v[123:124]
	v_fma_f64 v[134:135], -v[123:124], v[132:133], 1.0
	v_fma_f64 v[132:133], v[132:133], v[134:135], v[132:133]
	v_fma_f64 v[134:135], -v[123:124], v[132:133], 1.0
	v_fma_f64 v[132:133], v[132:133], v[134:135], v[132:133]
	v_div_scale_f64 v[134:135], vcc_lo, 1.0, v[0:1], 1.0
	v_mul_f64 v[136:137], v[134:135], v[132:133]
	v_fma_f64 v[123:124], -v[123:124], v[136:137], v[134:135]
	v_div_fmas_f64 v[123:124], v[123:124], v[132:133], v[136:137]
	v_div_fixup_f64 v[0:1], v[123:124], v[0:1], 1.0
.LBB114_104:
	s_or_b32 exec_lo, exec_lo, s0
	s_mov_b32 s0, exec_lo
	v_cmpx_ne_u32_e64 v131, v122
	s_xor_b32 s0, exec_lo, s0
	s_cbranch_execz .LBB114_110
; %bb.105:
	s_mov_b32 s1, exec_lo
	v_cmpx_eq_u32_e32 6, v131
	s_cbranch_execz .LBB114_109
; %bb.106:
	v_cmp_ne_u32_e32 vcc_lo, 6, v122
	s_xor_b32 s2, s6, -1
	s_and_b32 s3, s2, vcc_lo
	s_and_saveexec_b32 s2, s3
	s_cbranch_execz .LBB114_108
; %bb.107:
	v_ashrrev_i32_e32 v123, 31, v122
	v_lshlrev_b64 v[123:124], 2, v[122:123]
	v_add_co_u32 v123, vcc_lo, v4, v123
	v_add_co_ci_u32_e64 v124, null, v5, v124, vcc_lo
	s_clause 0x1
	global_load_dword v130, v[123:124], off
	global_load_dword v131, v[4:5], off offset:24
	s_waitcnt vmcnt(1)
	global_store_dword v[4:5], v130, off offset:24
	s_waitcnt vmcnt(0)
	global_store_dword v[123:124], v131, off
.LBB114_108:
	s_or_b32 exec_lo, exec_lo, s2
	v_mov_b32_e32 v130, v122
	v_mov_b32_e32 v131, v122
.LBB114_109:
	s_or_b32 exec_lo, exec_lo, s1
.LBB114_110:
	s_andn2_saveexec_b32 s0, s0
	s_cbranch_execz .LBB114_112
; %bb.111:
	v_mov_b32_e32 v131, 6
	ds_write2_b64 v128, v[104:105], v[102:103] offset0:7 offset1:8
	ds_write2_b64 v128, v[98:99], v[100:101] offset0:9 offset1:10
	;; [unrolled: 1-line block ×25, first 2 shown]
	ds_write_b64 v128, v[120:121] offset:456
.LBB114_112:
	s_or_b32 exec_lo, exec_lo, s0
	s_mov_b32 s0, exec_lo
	s_waitcnt lgkmcnt(0)
	s_waitcnt_vscnt null, 0x0
	s_barrier
	buffer_gl0_inv
	v_cmpx_lt_i32_e32 6, v131
	s_cbranch_execz .LBB114_114
; %bb.113:
	v_mul_f64 v[106:107], v[0:1], v[106:107]
	ds_read2_b64 v[132:135], v128 offset0:7 offset1:8
	ds_read2_b64 v[136:139], v128 offset0:9 offset1:10
	;; [unrolled: 1-line block ×12, first 2 shown]
	ds_read_b64 v[0:1], v128 offset:456
	s_waitcnt lgkmcnt(12)
	v_fma_f64 v[104:105], -v[106:107], v[132:133], v[104:105]
	v_fma_f64 v[102:103], -v[106:107], v[134:135], v[102:103]
	s_waitcnt lgkmcnt(11)
	v_fma_f64 v[98:99], -v[106:107], v[136:137], v[98:99]
	v_fma_f64 v[100:101], -v[106:107], v[138:139], v[100:101]
	;; [unrolled: 3-line block ×3, first 2 shown]
	ds_read2_b64 v[132:135], v128 offset0:31 offset1:32
	ds_read2_b64 v[136:139], v128 offset0:33 offset1:34
	;; [unrolled: 1-line block ×3, first 2 shown]
	s_waitcnt lgkmcnt(12)
	v_fma_f64 v[92:93], -v[106:107], v[144:145], v[92:93]
	v_fma_f64 v[90:91], -v[106:107], v[146:147], v[90:91]
	s_waitcnt lgkmcnt(11)
	v_fma_f64 v[88:89], -v[106:107], v[148:149], v[88:89]
	v_fma_f64 v[86:87], -v[106:107], v[150:151], v[86:87]
	;; [unrolled: 3-line block ×7, first 2 shown]
	ds_read2_b64 v[144:147], v128 offset0:37 offset1:38
	ds_read2_b64 v[148:151], v128 offset0:39 offset1:40
	;; [unrolled: 1-line block ×5, first 2 shown]
	s_waitcnt lgkmcnt(7)
	v_fma_f64 v[54:55], -v[106:107], v[132:133], v[54:55]
	v_fma_f64 v[56:57], -v[106:107], v[134:135], v[56:57]
	ds_read2_b64 v[132:135], v128 offset0:47 offset1:48
	ds_read2_b64 v[164:167], v128 offset0:49 offset1:50
	s_waitcnt lgkmcnt(8)
	v_fma_f64 v[52:53], -v[106:107], v[136:137], v[52:53]
	v_fma_f64 v[50:51], -v[106:107], v[138:139], v[50:51]
	ds_read2_b64 v[136:139], v128 offset0:51 offset1:52
	ds_read2_b64 v[168:171], v128 offset0:53 offset1:54
	s_waitcnt lgkmcnt(9)
	v_fma_f64 v[48:49], -v[106:107], v[140:141], v[48:49]
	v_fma_f64 v[46:47], -v[106:107], v[142:143], v[46:47]
	ds_read2_b64 v[140:143], v128 offset0:55 offset1:56
	v_fma_f64 v[64:65], -v[106:107], v[172:173], v[64:65]
	v_fma_f64 v[62:63], -v[106:107], v[174:175], v[62:63]
	;; [unrolled: 1-line block ×4, first 2 shown]
	s_waitcnt lgkmcnt(9)
	v_fma_f64 v[44:45], -v[106:107], v[144:145], v[44:45]
	v_fma_f64 v[42:43], -v[106:107], v[146:147], v[42:43]
	s_waitcnt lgkmcnt(8)
	v_fma_f64 v[38:39], -v[106:107], v[148:149], v[38:39]
	v_fma_f64 v[40:41], -v[106:107], v[150:151], v[40:41]
	;; [unrolled: 3-line block ×10, first 2 shown]
	v_fma_f64 v[120:121], -v[106:107], v[0:1], v[120:121]
.LBB114_114:
	s_or_b32 exec_lo, exec_lo, s0
	v_lshl_add_u32 v0, v131, 3, v128
	s_barrier
	buffer_gl0_inv
	v_mov_b32_e32 v122, 7
	ds_write_b64 v0, v[104:105]
	s_waitcnt lgkmcnt(0)
	s_barrier
	buffer_gl0_inv
	ds_read_b64 v[0:1], v128 offset:56
	s_cmp_lt_i32 s7, 9
	s_cbranch_scc1 .LBB114_117
; %bb.115:
	v_add3_u32 v123, v129, 0, 64
	v_mov_b32_e32 v122, 7
	s_mov_b32 s0, 8
.LBB114_116:                            ; =>This Inner Loop Header: Depth=1
	ds_read_b64 v[132:133], v123
	v_add_nc_u32_e32 v123, 8, v123
	s_waitcnt lgkmcnt(0)
	v_cmp_lt_f64_e64 vcc_lo, |v[0:1]|, |v[132:133]|
	v_cndmask_b32_e32 v1, v1, v133, vcc_lo
	v_cndmask_b32_e32 v0, v0, v132, vcc_lo
	v_cndmask_b32_e64 v122, v122, s0, vcc_lo
	s_add_i32 s0, s0, 1
	s_cmp_lg_u32 s7, s0
	s_cbranch_scc1 .LBB114_116
.LBB114_117:
	s_mov_b32 s0, exec_lo
	s_waitcnt lgkmcnt(0)
	v_cmpx_eq_f64_e32 0, v[0:1]
	s_xor_b32 s0, exec_lo, s0
; %bb.118:
	v_cmp_ne_u32_e32 vcc_lo, 0, v125
	v_cndmask_b32_e32 v125, 8, v125, vcc_lo
; %bb.119:
	s_andn2_saveexec_b32 s0, s0
	s_cbranch_execz .LBB114_121
; %bb.120:
	v_div_scale_f64 v[123:124], null, v[0:1], v[0:1], 1.0
	v_rcp_f64_e32 v[132:133], v[123:124]
	v_fma_f64 v[134:135], -v[123:124], v[132:133], 1.0
	v_fma_f64 v[132:133], v[132:133], v[134:135], v[132:133]
	v_fma_f64 v[134:135], -v[123:124], v[132:133], 1.0
	v_fma_f64 v[132:133], v[132:133], v[134:135], v[132:133]
	v_div_scale_f64 v[134:135], vcc_lo, 1.0, v[0:1], 1.0
	v_mul_f64 v[136:137], v[134:135], v[132:133]
	v_fma_f64 v[123:124], -v[123:124], v[136:137], v[134:135]
	v_div_fmas_f64 v[123:124], v[123:124], v[132:133], v[136:137]
	v_div_fixup_f64 v[0:1], v[123:124], v[0:1], 1.0
.LBB114_121:
	s_or_b32 exec_lo, exec_lo, s0
	s_mov_b32 s0, exec_lo
	v_cmpx_ne_u32_e64 v131, v122
	s_xor_b32 s0, exec_lo, s0
	s_cbranch_execz .LBB114_127
; %bb.122:
	s_mov_b32 s1, exec_lo
	v_cmpx_eq_u32_e32 7, v131
	s_cbranch_execz .LBB114_126
; %bb.123:
	v_cmp_ne_u32_e32 vcc_lo, 7, v122
	s_xor_b32 s2, s6, -1
	s_and_b32 s3, s2, vcc_lo
	s_and_saveexec_b32 s2, s3
	s_cbranch_execz .LBB114_125
; %bb.124:
	v_ashrrev_i32_e32 v123, 31, v122
	v_lshlrev_b64 v[123:124], 2, v[122:123]
	v_add_co_u32 v123, vcc_lo, v4, v123
	v_add_co_ci_u32_e64 v124, null, v5, v124, vcc_lo
	s_clause 0x1
	global_load_dword v130, v[123:124], off
	global_load_dword v131, v[4:5], off offset:28
	s_waitcnt vmcnt(1)
	global_store_dword v[4:5], v130, off offset:28
	s_waitcnt vmcnt(0)
	global_store_dword v[123:124], v131, off
.LBB114_125:
	s_or_b32 exec_lo, exec_lo, s2
	v_mov_b32_e32 v130, v122
	v_mov_b32_e32 v131, v122
.LBB114_126:
	s_or_b32 exec_lo, exec_lo, s1
.LBB114_127:
	s_andn2_saveexec_b32 s0, s0
	s_cbranch_execz .LBB114_129
; %bb.128:
	v_mov_b32_e32 v122, v102
	v_mov_b32_e32 v123, v103
	;; [unrolled: 1-line block ×8, first 2 shown]
	ds_write2_b64 v128, v[122:123], v[131:132] offset0:8 offset1:9
	v_mov_b32_e32 v122, v94
	v_mov_b32_e32 v123, v95
	v_mov_b32_e32 v131, v96
	v_mov_b32_e32 v132, v97
	v_mov_b32_e32 v137, v90
	v_mov_b32_e32 v138, v91
	v_mov_b32_e32 v139, v88
	v_mov_b32_e32 v140, v89
	v_mov_b32_e32 v141, v86
	v_mov_b32_e32 v142, v87
	v_mov_b32_e32 v143, v84
	v_mov_b32_e32 v144, v85
	v_mov_b32_e32 v145, v82
	v_mov_b32_e32 v146, v83
	v_mov_b32_e32 v147, v78
	v_mov_b32_e32 v148, v79
	ds_write2_b64 v128, v[133:134], v[122:123] offset0:10 offset1:11
	ds_write2_b64 v128, v[131:132], v[135:136] offset0:12 offset1:13
	ds_write2_b64 v128, v[137:138], v[139:140] offset0:14 offset1:15
	ds_write2_b64 v128, v[141:142], v[143:144] offset0:16 offset1:17
	ds_write2_b64 v128, v[145:146], v[147:148] offset0:18 offset1:19
	v_mov_b32_e32 v122, v80
	v_mov_b32_e32 v123, v81
	v_mov_b32_e32 v131, v74
	v_mov_b32_e32 v132, v75
	v_mov_b32_e32 v133, v76
	v_mov_b32_e32 v134, v77
	v_mov_b32_e32 v135, v72
	v_mov_b32_e32 v136, v73
	v_mov_b32_e32 v137, v70
	v_mov_b32_e32 v138, v71
	v_mov_b32_e32 v139, v68
	v_mov_b32_e32 v140, v69
	v_mov_b32_e32 v141, v66
	v_mov_b32_e32 v142, v67
	v_mov_b32_e32 v143, v64
	v_mov_b32_e32 v144, v65
	v_mov_b32_e32 v145, v62
	v_mov_b32_e32 v146, v63
	v_mov_b32_e32 v147, v58
	v_mov_b32_e32 v148, v59
	ds_write2_b64 v128, v[122:123], v[131:132] offset0:20 offset1:21
	ds_write2_b64 v128, v[133:134], v[135:136] offset0:22 offset1:23
	ds_write2_b64 v128, v[137:138], v[139:140] offset0:24 offset1:25
	ds_write2_b64 v128, v[141:142], v[143:144] offset0:26 offset1:27
	ds_write2_b64 v128, v[145:146], v[147:148] offset0:28 offset1:29
	v_mov_b32_e32 v122, v60
	v_mov_b32_e32 v123, v61
	v_mov_b32_e32 v131, v54
	v_mov_b32_e32 v132, v55
	;; [unrolled: 25-line block ×4, first 2 shown]
	v_mov_b32_e32 v131, 7
	v_mov_b32_e32 v134, v14
	;; [unrolled: 1-line block ×11, first 2 shown]
	ds_write2_b64 v128, v[122:123], v[132:133] offset0:50 offset1:51
	ds_write2_b64 v128, v[134:135], v[136:137] offset0:52 offset1:53
	;; [unrolled: 1-line block ×4, first 2 shown]
.LBB114_129:
	s_or_b32 exec_lo, exec_lo, s0
	s_mov_b32 s0, exec_lo
	s_waitcnt lgkmcnt(0)
	s_waitcnt_vscnt null, 0x0
	s_barrier
	buffer_gl0_inv
	v_cmpx_lt_i32_e32 7, v131
	s_cbranch_execz .LBB114_131
; %bb.130:
	v_mul_f64 v[104:105], v[0:1], v[104:105]
	ds_read2_b64 v[132:135], v128 offset0:8 offset1:9
	ds_read2_b64 v[136:139], v128 offset0:10 offset1:11
	;; [unrolled: 1-line block ×12, first 2 shown]
	s_waitcnt lgkmcnt(11)
	v_fma_f64 v[102:103], -v[104:105], v[132:133], v[102:103]
	v_fma_f64 v[98:99], -v[104:105], v[134:135], v[98:99]
	s_waitcnt lgkmcnt(10)
	v_fma_f64 v[100:101], -v[104:105], v[136:137], v[100:101]
	v_fma_f64 v[94:95], -v[104:105], v[138:139], v[94:95]
	ds_read2_b64 v[132:135], v128 offset0:32 offset1:33
	ds_read2_b64 v[136:139], v128 offset0:34 offset1:35
	s_waitcnt lgkmcnt(11)
	v_fma_f64 v[96:97], -v[104:105], v[140:141], v[96:97]
	v_fma_f64 v[92:93], -v[104:105], v[142:143], v[92:93]
	s_waitcnt lgkmcnt(10)
	v_fma_f64 v[90:91], -v[104:105], v[144:145], v[90:91]
	v_fma_f64 v[88:89], -v[104:105], v[146:147], v[88:89]
	;; [unrolled: 3-line block ×7, first 2 shown]
	ds_read2_b64 v[140:143], v128 offset0:36 offset1:37
	ds_read2_b64 v[144:147], v128 offset0:38 offset1:39
	s_waitcnt lgkmcnt(6)
	v_fma_f64 v[66:67], -v[104:105], v[168:169], v[66:67]
	v_fma_f64 v[64:65], -v[104:105], v[170:171], v[64:65]
	s_waitcnt lgkmcnt(5)
	v_fma_f64 v[62:63], -v[104:105], v[172:173], v[62:63]
	ds_read2_b64 v[148:151], v128 offset0:40 offset1:41
	ds_read2_b64 v[152:155], v128 offset0:42 offset1:43
	v_fma_f64 v[58:59], -v[104:105], v[174:175], v[58:59]
	ds_read2_b64 v[156:159], v128 offset0:44 offset1:45
	ds_read2_b64 v[160:163], v128 offset0:46 offset1:47
	s_waitcnt lgkmcnt(7)
	v_fma_f64 v[56:57], -v[104:105], v[132:133], v[56:57]
	ds_read2_b64 v[164:167], v128 offset0:48 offset1:49
	v_fma_f64 v[52:53], -v[104:105], v[134:135], v[52:53]
	ds_read2_b64 v[132:135], v128 offset0:50 offset1:51
	s_waitcnt lgkmcnt(8)
	v_fma_f64 v[50:51], -v[104:105], v[136:137], v[50:51]
	ds_read2_b64 v[168:171], v128 offset0:52 offset1:53
	v_fma_f64 v[48:49], -v[104:105], v[138:139], v[48:49]
	ds_read2_b64 v[136:139], v128 offset0:54 offset1:55
	ds_read2_b64 v[172:175], v128 offset0:56 offset1:57
	v_fma_f64 v[60:61], -v[104:105], v[176:177], v[60:61]
	v_fma_f64 v[54:55], -v[104:105], v[178:179], v[54:55]
	s_waitcnt lgkmcnt(10)
	v_fma_f64 v[46:47], -v[104:105], v[140:141], v[46:47]
	v_fma_f64 v[44:45], -v[104:105], v[142:143], v[44:45]
	s_waitcnt lgkmcnt(9)
	;; [unrolled: 3-line block ×11, first 2 shown]
	v_fma_f64 v[10:11], -v[104:105], v[172:173], v[10:11]
	v_fma_f64 v[120:121], -v[104:105], v[174:175], v[120:121]
.LBB114_131:
	s_or_b32 exec_lo, exec_lo, s0
	v_lshl_add_u32 v0, v131, 3, v128
	s_barrier
	buffer_gl0_inv
	v_mov_b32_e32 v122, 8
	ds_write_b64 v0, v[102:103]
	s_waitcnt lgkmcnt(0)
	s_barrier
	buffer_gl0_inv
	ds_read_b64 v[0:1], v128 offset:64
	s_cmp_lt_i32 s7, 10
	s_cbranch_scc1 .LBB114_134
; %bb.132:
	v_add3_u32 v123, v129, 0, 0x48
	v_mov_b32_e32 v122, 8
	s_mov_b32 s0, 9
.LBB114_133:                            ; =>This Inner Loop Header: Depth=1
	ds_read_b64 v[132:133], v123
	v_add_nc_u32_e32 v123, 8, v123
	s_waitcnt lgkmcnt(0)
	v_cmp_lt_f64_e64 vcc_lo, |v[0:1]|, |v[132:133]|
	v_cndmask_b32_e32 v1, v1, v133, vcc_lo
	v_cndmask_b32_e32 v0, v0, v132, vcc_lo
	v_cndmask_b32_e64 v122, v122, s0, vcc_lo
	s_add_i32 s0, s0, 1
	s_cmp_lg_u32 s7, s0
	s_cbranch_scc1 .LBB114_133
.LBB114_134:
	s_mov_b32 s0, exec_lo
	s_waitcnt lgkmcnt(0)
	v_cmpx_eq_f64_e32 0, v[0:1]
	s_xor_b32 s0, exec_lo, s0
; %bb.135:
	v_cmp_ne_u32_e32 vcc_lo, 0, v125
	v_cndmask_b32_e32 v125, 9, v125, vcc_lo
; %bb.136:
	s_andn2_saveexec_b32 s0, s0
	s_cbranch_execz .LBB114_138
; %bb.137:
	v_div_scale_f64 v[123:124], null, v[0:1], v[0:1], 1.0
	v_rcp_f64_e32 v[132:133], v[123:124]
	v_fma_f64 v[134:135], -v[123:124], v[132:133], 1.0
	v_fma_f64 v[132:133], v[132:133], v[134:135], v[132:133]
	v_fma_f64 v[134:135], -v[123:124], v[132:133], 1.0
	v_fma_f64 v[132:133], v[132:133], v[134:135], v[132:133]
	v_div_scale_f64 v[134:135], vcc_lo, 1.0, v[0:1], 1.0
	v_mul_f64 v[136:137], v[134:135], v[132:133]
	v_fma_f64 v[123:124], -v[123:124], v[136:137], v[134:135]
	v_div_fmas_f64 v[123:124], v[123:124], v[132:133], v[136:137]
	v_div_fixup_f64 v[0:1], v[123:124], v[0:1], 1.0
.LBB114_138:
	s_or_b32 exec_lo, exec_lo, s0
	s_mov_b32 s0, exec_lo
	v_cmpx_ne_u32_e64 v131, v122
	s_xor_b32 s0, exec_lo, s0
	s_cbranch_execz .LBB114_144
; %bb.139:
	s_mov_b32 s1, exec_lo
	v_cmpx_eq_u32_e32 8, v131
	s_cbranch_execz .LBB114_143
; %bb.140:
	v_cmp_ne_u32_e32 vcc_lo, 8, v122
	s_xor_b32 s2, s6, -1
	s_and_b32 s3, s2, vcc_lo
	s_and_saveexec_b32 s2, s3
	s_cbranch_execz .LBB114_142
; %bb.141:
	v_ashrrev_i32_e32 v123, 31, v122
	v_lshlrev_b64 v[123:124], 2, v[122:123]
	v_add_co_u32 v123, vcc_lo, v4, v123
	v_add_co_ci_u32_e64 v124, null, v5, v124, vcc_lo
	s_clause 0x1
	global_load_dword v130, v[123:124], off
	global_load_dword v131, v[4:5], off offset:32
	s_waitcnt vmcnt(1)
	global_store_dword v[4:5], v130, off offset:32
	s_waitcnt vmcnt(0)
	global_store_dword v[123:124], v131, off
.LBB114_142:
	s_or_b32 exec_lo, exec_lo, s2
	v_mov_b32_e32 v130, v122
	v_mov_b32_e32 v131, v122
.LBB114_143:
	s_or_b32 exec_lo, exec_lo, s1
.LBB114_144:
	s_andn2_saveexec_b32 s0, s0
	s_cbranch_execz .LBB114_146
; %bb.145:
	v_mov_b32_e32 v131, 8
	ds_write2_b64 v128, v[98:99], v[100:101] offset0:9 offset1:10
	ds_write2_b64 v128, v[94:95], v[96:97] offset0:11 offset1:12
	;; [unrolled: 1-line block ×24, first 2 shown]
	ds_write_b64 v128, v[120:121] offset:456
.LBB114_146:
	s_or_b32 exec_lo, exec_lo, s0
	s_mov_b32 s0, exec_lo
	s_waitcnt lgkmcnt(0)
	s_waitcnt_vscnt null, 0x0
	s_barrier
	buffer_gl0_inv
	v_cmpx_lt_i32_e32 8, v131
	s_cbranch_execz .LBB114_148
; %bb.147:
	v_mul_f64 v[102:103], v[0:1], v[102:103]
	ds_read2_b64 v[132:135], v128 offset0:9 offset1:10
	ds_read2_b64 v[136:139], v128 offset0:11 offset1:12
	;; [unrolled: 1-line block ×12, first 2 shown]
	ds_read_b64 v[0:1], v128 offset:456
	s_waitcnt lgkmcnt(12)
	v_fma_f64 v[98:99], -v[102:103], v[132:133], v[98:99]
	v_fma_f64 v[100:101], -v[102:103], v[134:135], v[100:101]
	s_waitcnt lgkmcnt(11)
	v_fma_f64 v[94:95], -v[102:103], v[136:137], v[94:95]
	v_fma_f64 v[96:97], -v[102:103], v[138:139], v[96:97]
	ds_read2_b64 v[132:135], v128 offset0:33 offset1:34
	ds_read2_b64 v[136:139], v128 offset0:35 offset1:36
	s_waitcnt lgkmcnt(12)
	v_fma_f64 v[92:93], -v[102:103], v[140:141], v[92:93]
	v_fma_f64 v[90:91], -v[102:103], v[142:143], v[90:91]
	s_waitcnt lgkmcnt(11)
	v_fma_f64 v[88:89], -v[102:103], v[144:145], v[88:89]
	v_fma_f64 v[86:87], -v[102:103], v[146:147], v[86:87]
	s_waitcnt lgkmcnt(10)
	v_fma_f64 v[84:85], -v[102:103], v[148:149], v[84:85]
	v_fma_f64 v[82:83], -v[102:103], v[150:151], v[82:83]
	s_waitcnt lgkmcnt(9)
	v_fma_f64 v[78:79], -v[102:103], v[152:153], v[78:79]
	v_fma_f64 v[80:81], -v[102:103], v[154:155], v[80:81]
	s_waitcnt lgkmcnt(8)
	v_fma_f64 v[74:75], -v[102:103], v[156:157], v[74:75]
	v_fma_f64 v[76:77], -v[102:103], v[158:159], v[76:77]
	s_waitcnt lgkmcnt(7)
	v_fma_f64 v[72:73], -v[102:103], v[160:161], v[72:73]
	v_fma_f64 v[70:71], -v[102:103], v[162:163], v[70:71]
	s_waitcnt lgkmcnt(6)
	v_fma_f64 v[68:69], -v[102:103], v[164:165], v[68:69]
	v_fma_f64 v[66:67], -v[102:103], v[166:167], v[66:67]
	ds_read2_b64 v[140:143], v128 offset0:37 offset1:38
	ds_read2_b64 v[144:147], v128 offset0:39 offset1:40
	s_waitcnt lgkmcnt(7)
	v_fma_f64 v[64:65], -v[102:103], v[168:169], v[64:65]
	v_fma_f64 v[62:63], -v[102:103], v[170:171], v[62:63]
	ds_read2_b64 v[148:151], v128 offset0:41 offset1:42
	ds_read2_b64 v[152:155], v128 offset0:43 offset1:44
	;; [unrolled: 1-line block ×4, first 2 shown]
	s_waitcnt lgkmcnt(7)
	v_fma_f64 v[52:53], -v[102:103], v[132:133], v[52:53]
	ds_read2_b64 v[164:167], v128 offset0:49 offset1:50
	v_fma_f64 v[50:51], -v[102:103], v[134:135], v[50:51]
	ds_read2_b64 v[132:135], v128 offset0:51 offset1:52
	s_waitcnt lgkmcnt(8)
	v_fma_f64 v[48:49], -v[102:103], v[136:137], v[48:49]
	ds_read2_b64 v[168:171], v128 offset0:53 offset1:54
	v_fma_f64 v[46:47], -v[102:103], v[138:139], v[46:47]
	ds_read2_b64 v[136:139], v128 offset0:55 offset1:56
	v_fma_f64 v[58:59], -v[102:103], v[172:173], v[58:59]
	v_fma_f64 v[60:61], -v[102:103], v[174:175], v[60:61]
	v_fma_f64 v[54:55], -v[102:103], v[176:177], v[54:55]
	v_fma_f64 v[56:57], -v[102:103], v[178:179], v[56:57]
	s_waitcnt lgkmcnt(9)
	v_fma_f64 v[44:45], -v[102:103], v[140:141], v[44:45]
	v_fma_f64 v[42:43], -v[102:103], v[142:143], v[42:43]
	s_waitcnt lgkmcnt(8)
	v_fma_f64 v[38:39], -v[102:103], v[144:145], v[38:39]
	v_fma_f64 v[40:41], -v[102:103], v[146:147], v[40:41]
	;; [unrolled: 3-line block ×10, first 2 shown]
	v_fma_f64 v[120:121], -v[102:103], v[0:1], v[120:121]
.LBB114_148:
	s_or_b32 exec_lo, exec_lo, s0
	v_lshl_add_u32 v0, v131, 3, v128
	s_barrier
	buffer_gl0_inv
	v_mov_b32_e32 v122, 9
	ds_write_b64 v0, v[98:99]
	s_waitcnt lgkmcnt(0)
	s_barrier
	buffer_gl0_inv
	ds_read_b64 v[0:1], v128 offset:72
	s_cmp_lt_i32 s7, 11
	s_cbranch_scc1 .LBB114_151
; %bb.149:
	v_add3_u32 v123, v129, 0, 0x50
	v_mov_b32_e32 v122, 9
	s_mov_b32 s0, 10
.LBB114_150:                            ; =>This Inner Loop Header: Depth=1
	ds_read_b64 v[132:133], v123
	v_add_nc_u32_e32 v123, 8, v123
	s_waitcnt lgkmcnt(0)
	v_cmp_lt_f64_e64 vcc_lo, |v[0:1]|, |v[132:133]|
	v_cndmask_b32_e32 v1, v1, v133, vcc_lo
	v_cndmask_b32_e32 v0, v0, v132, vcc_lo
	v_cndmask_b32_e64 v122, v122, s0, vcc_lo
	s_add_i32 s0, s0, 1
	s_cmp_lg_u32 s7, s0
	s_cbranch_scc1 .LBB114_150
.LBB114_151:
	s_mov_b32 s0, exec_lo
	s_waitcnt lgkmcnt(0)
	v_cmpx_eq_f64_e32 0, v[0:1]
	s_xor_b32 s0, exec_lo, s0
; %bb.152:
	v_cmp_ne_u32_e32 vcc_lo, 0, v125
	v_cndmask_b32_e32 v125, 10, v125, vcc_lo
; %bb.153:
	s_andn2_saveexec_b32 s0, s0
	s_cbranch_execz .LBB114_155
; %bb.154:
	v_div_scale_f64 v[123:124], null, v[0:1], v[0:1], 1.0
	v_rcp_f64_e32 v[132:133], v[123:124]
	v_fma_f64 v[134:135], -v[123:124], v[132:133], 1.0
	v_fma_f64 v[132:133], v[132:133], v[134:135], v[132:133]
	v_fma_f64 v[134:135], -v[123:124], v[132:133], 1.0
	v_fma_f64 v[132:133], v[132:133], v[134:135], v[132:133]
	v_div_scale_f64 v[134:135], vcc_lo, 1.0, v[0:1], 1.0
	v_mul_f64 v[136:137], v[134:135], v[132:133]
	v_fma_f64 v[123:124], -v[123:124], v[136:137], v[134:135]
	v_div_fmas_f64 v[123:124], v[123:124], v[132:133], v[136:137]
	v_div_fixup_f64 v[0:1], v[123:124], v[0:1], 1.0
.LBB114_155:
	s_or_b32 exec_lo, exec_lo, s0
	s_mov_b32 s0, exec_lo
	v_cmpx_ne_u32_e64 v131, v122
	s_xor_b32 s0, exec_lo, s0
	s_cbranch_execz .LBB114_161
; %bb.156:
	s_mov_b32 s1, exec_lo
	v_cmpx_eq_u32_e32 9, v131
	s_cbranch_execz .LBB114_160
; %bb.157:
	v_cmp_ne_u32_e32 vcc_lo, 9, v122
	s_xor_b32 s2, s6, -1
	s_and_b32 s3, s2, vcc_lo
	s_and_saveexec_b32 s2, s3
	s_cbranch_execz .LBB114_159
; %bb.158:
	v_ashrrev_i32_e32 v123, 31, v122
	v_lshlrev_b64 v[123:124], 2, v[122:123]
	v_add_co_u32 v123, vcc_lo, v4, v123
	v_add_co_ci_u32_e64 v124, null, v5, v124, vcc_lo
	s_clause 0x1
	global_load_dword v130, v[123:124], off
	global_load_dword v131, v[4:5], off offset:36
	s_waitcnt vmcnt(1)
	global_store_dword v[4:5], v130, off offset:36
	s_waitcnt vmcnt(0)
	global_store_dword v[123:124], v131, off
.LBB114_159:
	s_or_b32 exec_lo, exec_lo, s2
	v_mov_b32_e32 v130, v122
	v_mov_b32_e32 v131, v122
.LBB114_160:
	s_or_b32 exec_lo, exec_lo, s1
.LBB114_161:
	s_andn2_saveexec_b32 s0, s0
	s_cbranch_execz .LBB114_163
; %bb.162:
	v_mov_b32_e32 v122, v100
	v_mov_b32_e32 v123, v101
	v_mov_b32_e32 v131, v94
	v_mov_b32_e32 v132, v95
	v_mov_b32_e32 v133, v96
	v_mov_b32_e32 v134, v97
	v_mov_b32_e32 v135, v92
	v_mov_b32_e32 v136, v93
	v_mov_b32_e32 v137, v90
	v_mov_b32_e32 v138, v91
	v_mov_b32_e32 v139, v88
	v_mov_b32_e32 v140, v89
	v_mov_b32_e32 v141, v86
	v_mov_b32_e32 v142, v87
	v_mov_b32_e32 v143, v84
	v_mov_b32_e32 v144, v85
	v_mov_b32_e32 v145, v82
	v_mov_b32_e32 v146, v83
	v_mov_b32_e32 v147, v78
	v_mov_b32_e32 v148, v79
	ds_write2_b64 v128, v[122:123], v[131:132] offset0:10 offset1:11
	ds_write2_b64 v128, v[133:134], v[135:136] offset0:12 offset1:13
	ds_write2_b64 v128, v[137:138], v[139:140] offset0:14 offset1:15
	ds_write2_b64 v128, v[141:142], v[143:144] offset0:16 offset1:17
	ds_write2_b64 v128, v[145:146], v[147:148] offset0:18 offset1:19
	v_mov_b32_e32 v122, v80
	v_mov_b32_e32 v123, v81
	v_mov_b32_e32 v131, v74
	v_mov_b32_e32 v132, v75
	v_mov_b32_e32 v133, v76
	v_mov_b32_e32 v134, v77
	v_mov_b32_e32 v135, v72
	v_mov_b32_e32 v136, v73
	v_mov_b32_e32 v137, v70
	v_mov_b32_e32 v138, v71
	v_mov_b32_e32 v139, v68
	v_mov_b32_e32 v140, v69
	v_mov_b32_e32 v141, v66
	v_mov_b32_e32 v142, v67
	v_mov_b32_e32 v143, v64
	v_mov_b32_e32 v144, v65
	v_mov_b32_e32 v145, v62
	v_mov_b32_e32 v146, v63
	v_mov_b32_e32 v147, v58
	v_mov_b32_e32 v148, v59
	ds_write2_b64 v128, v[122:123], v[131:132] offset0:20 offset1:21
	ds_write2_b64 v128, v[133:134], v[135:136] offset0:22 offset1:23
	ds_write2_b64 v128, v[137:138], v[139:140] offset0:24 offset1:25
	ds_write2_b64 v128, v[141:142], v[143:144] offset0:26 offset1:27
	ds_write2_b64 v128, v[145:146], v[147:148] offset0:28 offset1:29
	;; [unrolled: 25-line block ×4, first 2 shown]
	v_mov_b32_e32 v122, v20
	v_mov_b32_e32 v123, v21
	;; [unrolled: 1-line block ×15, first 2 shown]
	ds_write2_b64 v128, v[122:123], v[132:133] offset0:50 offset1:51
	ds_write2_b64 v128, v[134:135], v[136:137] offset0:52 offset1:53
	;; [unrolled: 1-line block ×4, first 2 shown]
.LBB114_163:
	s_or_b32 exec_lo, exec_lo, s0
	s_mov_b32 s0, exec_lo
	s_waitcnt lgkmcnt(0)
	s_waitcnt_vscnt null, 0x0
	s_barrier
	buffer_gl0_inv
	v_cmpx_lt_i32_e32 9, v131
	s_cbranch_execz .LBB114_165
; %bb.164:
	v_mul_f64 v[98:99], v[0:1], v[98:99]
	ds_read2_b64 v[132:135], v128 offset0:10 offset1:11
	ds_read2_b64 v[136:139], v128 offset0:12 offset1:13
	;; [unrolled: 1-line block ×12, first 2 shown]
	s_waitcnt lgkmcnt(11)
	v_fma_f64 v[100:101], -v[98:99], v[132:133], v[100:101]
	v_fma_f64 v[94:95], -v[98:99], v[134:135], v[94:95]
	ds_read2_b64 v[132:135], v128 offset0:34 offset1:35
	s_waitcnt lgkmcnt(11)
	v_fma_f64 v[96:97], -v[98:99], v[136:137], v[96:97]
	v_fma_f64 v[92:93], -v[98:99], v[138:139], v[92:93]
	s_waitcnt lgkmcnt(10)
	v_fma_f64 v[90:91], -v[98:99], v[140:141], v[90:91]
	v_fma_f64 v[88:89], -v[98:99], v[142:143], v[88:89]
	;; [unrolled: 3-line block ×7, first 2 shown]
	ds_read2_b64 v[136:139], v128 offset0:36 offset1:37
	s_waitcnt lgkmcnt(5)
	v_fma_f64 v[66:67], -v[98:99], v[164:165], v[66:67]
	v_fma_f64 v[64:65], -v[98:99], v[166:167], v[64:65]
	ds_read2_b64 v[140:143], v128 offset0:38 offset1:39
	ds_read2_b64 v[144:147], v128 offset0:40 offset1:41
	s_waitcnt lgkmcnt(6)
	v_fma_f64 v[62:63], -v[98:99], v[168:169], v[62:63]
	v_fma_f64 v[58:59], -v[98:99], v[170:171], v[58:59]
	ds_read2_b64 v[148:151], v128 offset0:42 offset1:43
	;; [unrolled: 5-line block ×3, first 2 shown]
	ds_read2_b64 v[160:163], v128 offset0:48 offset1:49
	ds_read2_b64 v[164:167], v128 offset0:50 offset1:51
	;; [unrolled: 1-line block ×3, first 2 shown]
	s_waitcnt lgkmcnt(9)
	v_fma_f64 v[50:51], -v[98:99], v[132:133], v[50:51]
	v_fma_f64 v[48:49], -v[98:99], v[134:135], v[48:49]
	ds_read2_b64 v[132:135], v128 offset0:54 offset1:55
	ds_read2_b64 v[172:175], v128 offset0:56 offset1:57
	v_fma_f64 v[56:57], -v[98:99], v[176:177], v[56:57]
	v_fma_f64 v[52:53], -v[98:99], v[178:179], v[52:53]
	s_waitcnt lgkmcnt(10)
	v_fma_f64 v[46:47], -v[98:99], v[136:137], v[46:47]
	v_fma_f64 v[44:45], -v[98:99], v[138:139], v[44:45]
	s_waitcnt lgkmcnt(9)
	;; [unrolled: 3-line block ×11, first 2 shown]
	v_fma_f64 v[10:11], -v[98:99], v[172:173], v[10:11]
	v_fma_f64 v[120:121], -v[98:99], v[174:175], v[120:121]
.LBB114_165:
	s_or_b32 exec_lo, exec_lo, s0
	v_lshl_add_u32 v0, v131, 3, v128
	s_barrier
	buffer_gl0_inv
	v_mov_b32_e32 v122, 10
	ds_write_b64 v0, v[100:101]
	s_waitcnt lgkmcnt(0)
	s_barrier
	buffer_gl0_inv
	ds_read_b64 v[0:1], v128 offset:80
	s_cmp_lt_i32 s7, 12
	s_cbranch_scc1 .LBB114_168
; %bb.166:
	v_add3_u32 v123, v129, 0, 0x58
	v_mov_b32_e32 v122, 10
	s_mov_b32 s0, 11
.LBB114_167:                            ; =>This Inner Loop Header: Depth=1
	ds_read_b64 v[132:133], v123
	v_add_nc_u32_e32 v123, 8, v123
	s_waitcnt lgkmcnt(0)
	v_cmp_lt_f64_e64 vcc_lo, |v[0:1]|, |v[132:133]|
	v_cndmask_b32_e32 v1, v1, v133, vcc_lo
	v_cndmask_b32_e32 v0, v0, v132, vcc_lo
	v_cndmask_b32_e64 v122, v122, s0, vcc_lo
	s_add_i32 s0, s0, 1
	s_cmp_lg_u32 s7, s0
	s_cbranch_scc1 .LBB114_167
.LBB114_168:
	s_mov_b32 s0, exec_lo
	s_waitcnt lgkmcnt(0)
	v_cmpx_eq_f64_e32 0, v[0:1]
	s_xor_b32 s0, exec_lo, s0
; %bb.169:
	v_cmp_ne_u32_e32 vcc_lo, 0, v125
	v_cndmask_b32_e32 v125, 11, v125, vcc_lo
; %bb.170:
	s_andn2_saveexec_b32 s0, s0
	s_cbranch_execz .LBB114_172
; %bb.171:
	v_div_scale_f64 v[123:124], null, v[0:1], v[0:1], 1.0
	v_rcp_f64_e32 v[132:133], v[123:124]
	v_fma_f64 v[134:135], -v[123:124], v[132:133], 1.0
	v_fma_f64 v[132:133], v[132:133], v[134:135], v[132:133]
	v_fma_f64 v[134:135], -v[123:124], v[132:133], 1.0
	v_fma_f64 v[132:133], v[132:133], v[134:135], v[132:133]
	v_div_scale_f64 v[134:135], vcc_lo, 1.0, v[0:1], 1.0
	v_mul_f64 v[136:137], v[134:135], v[132:133]
	v_fma_f64 v[123:124], -v[123:124], v[136:137], v[134:135]
	v_div_fmas_f64 v[123:124], v[123:124], v[132:133], v[136:137]
	v_div_fixup_f64 v[0:1], v[123:124], v[0:1], 1.0
.LBB114_172:
	s_or_b32 exec_lo, exec_lo, s0
	s_mov_b32 s0, exec_lo
	v_cmpx_ne_u32_e64 v131, v122
	s_xor_b32 s0, exec_lo, s0
	s_cbranch_execz .LBB114_178
; %bb.173:
	s_mov_b32 s1, exec_lo
	v_cmpx_eq_u32_e32 10, v131
	s_cbranch_execz .LBB114_177
; %bb.174:
	v_cmp_ne_u32_e32 vcc_lo, 10, v122
	s_xor_b32 s2, s6, -1
	s_and_b32 s3, s2, vcc_lo
	s_and_saveexec_b32 s2, s3
	s_cbranch_execz .LBB114_176
; %bb.175:
	v_ashrrev_i32_e32 v123, 31, v122
	v_lshlrev_b64 v[123:124], 2, v[122:123]
	v_add_co_u32 v123, vcc_lo, v4, v123
	v_add_co_ci_u32_e64 v124, null, v5, v124, vcc_lo
	s_clause 0x1
	global_load_dword v130, v[123:124], off
	global_load_dword v131, v[4:5], off offset:40
	s_waitcnt vmcnt(1)
	global_store_dword v[4:5], v130, off offset:40
	s_waitcnt vmcnt(0)
	global_store_dword v[123:124], v131, off
.LBB114_176:
	s_or_b32 exec_lo, exec_lo, s2
	v_mov_b32_e32 v130, v122
	v_mov_b32_e32 v131, v122
.LBB114_177:
	s_or_b32 exec_lo, exec_lo, s1
.LBB114_178:
	s_andn2_saveexec_b32 s0, s0
	s_cbranch_execz .LBB114_180
; %bb.179:
	v_mov_b32_e32 v131, 10
	ds_write2_b64 v128, v[94:95], v[96:97] offset0:11 offset1:12
	ds_write2_b64 v128, v[92:93], v[90:91] offset0:13 offset1:14
	;; [unrolled: 1-line block ×23, first 2 shown]
	ds_write_b64 v128, v[120:121] offset:456
.LBB114_180:
	s_or_b32 exec_lo, exec_lo, s0
	s_mov_b32 s0, exec_lo
	s_waitcnt lgkmcnt(0)
	s_waitcnt_vscnt null, 0x0
	s_barrier
	buffer_gl0_inv
	v_cmpx_lt_i32_e32 10, v131
	s_cbranch_execz .LBB114_182
; %bb.181:
	v_mul_f64 v[100:101], v[0:1], v[100:101]
	ds_read2_b64 v[132:135], v128 offset0:11 offset1:12
	ds_read2_b64 v[136:139], v128 offset0:13 offset1:14
	ds_read2_b64 v[140:143], v128 offset0:15 offset1:16
	ds_read2_b64 v[144:147], v128 offset0:17 offset1:18
	ds_read2_b64 v[148:151], v128 offset0:19 offset1:20
	ds_read2_b64 v[152:155], v128 offset0:21 offset1:22
	ds_read2_b64 v[156:159], v128 offset0:23 offset1:24
	ds_read2_b64 v[160:163], v128 offset0:25 offset1:26
	ds_read2_b64 v[164:167], v128 offset0:27 offset1:28
	ds_read2_b64 v[168:171], v128 offset0:29 offset1:30
	ds_read2_b64 v[172:175], v128 offset0:31 offset1:32
	ds_read2_b64 v[176:179], v128 offset0:33 offset1:34
	ds_read_b64 v[0:1], v128 offset:456
	s_waitcnt lgkmcnt(12)
	v_fma_f64 v[94:95], -v[100:101], v[132:133], v[94:95]
	v_fma_f64 v[96:97], -v[100:101], v[134:135], v[96:97]
	ds_read2_b64 v[132:135], v128 offset0:35 offset1:36
	s_waitcnt lgkmcnt(12)
	v_fma_f64 v[92:93], -v[100:101], v[136:137], v[92:93]
	v_fma_f64 v[90:91], -v[100:101], v[138:139], v[90:91]
	s_waitcnt lgkmcnt(11)
	v_fma_f64 v[88:89], -v[100:101], v[140:141], v[88:89]
	v_fma_f64 v[86:87], -v[100:101], v[142:143], v[86:87]
	;; [unrolled: 3-line block ×7, first 2 shown]
	ds_read2_b64 v[136:139], v128 offset0:37 offset1:38
	s_waitcnt lgkmcnt(6)
	v_fma_f64 v[64:65], -v[100:101], v[164:165], v[64:65]
	v_fma_f64 v[62:63], -v[100:101], v[166:167], v[62:63]
	ds_read2_b64 v[140:143], v128 offset0:39 offset1:40
	ds_read2_b64 v[144:147], v128 offset0:41 offset1:42
	s_waitcnt lgkmcnt(7)
	v_fma_f64 v[58:59], -v[100:101], v[168:169], v[58:59]
	v_fma_f64 v[60:61], -v[100:101], v[170:171], v[60:61]
	ds_read2_b64 v[148:151], v128 offset0:43 offset1:44
	ds_read2_b64 v[152:155], v128 offset0:45 offset1:46
	;; [unrolled: 1-line block ×6, first 2 shown]
	s_waitcnt lgkmcnt(9)
	v_fma_f64 v[48:49], -v[100:101], v[132:133], v[48:49]
	v_fma_f64 v[46:47], -v[100:101], v[134:135], v[46:47]
	ds_read2_b64 v[132:135], v128 offset0:55 offset1:56
	v_fma_f64 v[54:55], -v[100:101], v[172:173], v[54:55]
	v_fma_f64 v[56:57], -v[100:101], v[174:175], v[56:57]
	;; [unrolled: 1-line block ×4, first 2 shown]
	s_waitcnt lgkmcnt(9)
	v_fma_f64 v[44:45], -v[100:101], v[136:137], v[44:45]
	v_fma_f64 v[42:43], -v[100:101], v[138:139], v[42:43]
	;; [unrolled: 1-line block ×3, first 2 shown]
	s_waitcnt lgkmcnt(8)
	v_fma_f64 v[38:39], -v[100:101], v[140:141], v[38:39]
	v_fma_f64 v[40:41], -v[100:101], v[142:143], v[40:41]
	s_waitcnt lgkmcnt(7)
	v_fma_f64 v[34:35], -v[100:101], v[144:145], v[34:35]
	v_fma_f64 v[36:37], -v[100:101], v[146:147], v[36:37]
	;; [unrolled: 3-line block ×9, first 2 shown]
.LBB114_182:
	s_or_b32 exec_lo, exec_lo, s0
	v_lshl_add_u32 v0, v131, 3, v128
	s_barrier
	buffer_gl0_inv
	v_mov_b32_e32 v122, 11
	ds_write_b64 v0, v[94:95]
	s_waitcnt lgkmcnt(0)
	s_barrier
	buffer_gl0_inv
	ds_read_b64 v[0:1], v128 offset:88
	s_cmp_lt_i32 s7, 13
	s_cbranch_scc1 .LBB114_185
; %bb.183:
	v_add3_u32 v123, v129, 0, 0x60
	v_mov_b32_e32 v122, 11
	s_mov_b32 s0, 12
.LBB114_184:                            ; =>This Inner Loop Header: Depth=1
	ds_read_b64 v[132:133], v123
	v_add_nc_u32_e32 v123, 8, v123
	s_waitcnt lgkmcnt(0)
	v_cmp_lt_f64_e64 vcc_lo, |v[0:1]|, |v[132:133]|
	v_cndmask_b32_e32 v1, v1, v133, vcc_lo
	v_cndmask_b32_e32 v0, v0, v132, vcc_lo
	v_cndmask_b32_e64 v122, v122, s0, vcc_lo
	s_add_i32 s0, s0, 1
	s_cmp_lg_u32 s7, s0
	s_cbranch_scc1 .LBB114_184
.LBB114_185:
	s_mov_b32 s0, exec_lo
	s_waitcnt lgkmcnt(0)
	v_cmpx_eq_f64_e32 0, v[0:1]
	s_xor_b32 s0, exec_lo, s0
; %bb.186:
	v_cmp_ne_u32_e32 vcc_lo, 0, v125
	v_cndmask_b32_e32 v125, 12, v125, vcc_lo
; %bb.187:
	s_andn2_saveexec_b32 s0, s0
	s_cbranch_execz .LBB114_189
; %bb.188:
	v_div_scale_f64 v[123:124], null, v[0:1], v[0:1], 1.0
	v_rcp_f64_e32 v[132:133], v[123:124]
	v_fma_f64 v[134:135], -v[123:124], v[132:133], 1.0
	v_fma_f64 v[132:133], v[132:133], v[134:135], v[132:133]
	v_fma_f64 v[134:135], -v[123:124], v[132:133], 1.0
	v_fma_f64 v[132:133], v[132:133], v[134:135], v[132:133]
	v_div_scale_f64 v[134:135], vcc_lo, 1.0, v[0:1], 1.0
	v_mul_f64 v[136:137], v[134:135], v[132:133]
	v_fma_f64 v[123:124], -v[123:124], v[136:137], v[134:135]
	v_div_fmas_f64 v[123:124], v[123:124], v[132:133], v[136:137]
	v_div_fixup_f64 v[0:1], v[123:124], v[0:1], 1.0
.LBB114_189:
	s_or_b32 exec_lo, exec_lo, s0
	s_mov_b32 s0, exec_lo
	v_cmpx_ne_u32_e64 v131, v122
	s_xor_b32 s0, exec_lo, s0
	s_cbranch_execz .LBB114_195
; %bb.190:
	s_mov_b32 s1, exec_lo
	v_cmpx_eq_u32_e32 11, v131
	s_cbranch_execz .LBB114_194
; %bb.191:
	v_cmp_ne_u32_e32 vcc_lo, 11, v122
	s_xor_b32 s2, s6, -1
	s_and_b32 s3, s2, vcc_lo
	s_and_saveexec_b32 s2, s3
	s_cbranch_execz .LBB114_193
; %bb.192:
	v_ashrrev_i32_e32 v123, 31, v122
	v_lshlrev_b64 v[123:124], 2, v[122:123]
	v_add_co_u32 v123, vcc_lo, v4, v123
	v_add_co_ci_u32_e64 v124, null, v5, v124, vcc_lo
	s_clause 0x1
	global_load_dword v130, v[123:124], off
	global_load_dword v131, v[4:5], off offset:44
	s_waitcnt vmcnt(1)
	global_store_dword v[4:5], v130, off offset:44
	s_waitcnt vmcnt(0)
	global_store_dword v[123:124], v131, off
.LBB114_193:
	s_or_b32 exec_lo, exec_lo, s2
	v_mov_b32_e32 v130, v122
	v_mov_b32_e32 v131, v122
.LBB114_194:
	s_or_b32 exec_lo, exec_lo, s1
.LBB114_195:
	s_andn2_saveexec_b32 s0, s0
	s_cbranch_execz .LBB114_197
; %bb.196:
	v_mov_b32_e32 v122, v96
	v_mov_b32_e32 v123, v97
	;; [unrolled: 1-line block ×16, first 2 shown]
	ds_write2_b64 v128, v[122:123], v[131:132] offset0:12 offset1:13
	ds_write2_b64 v128, v[133:134], v[135:136] offset0:14 offset1:15
	ds_write2_b64 v128, v[137:138], v[139:140] offset0:16 offset1:17
	ds_write2_b64 v128, v[141:142], v[143:144] offset0:18 offset1:19
	v_mov_b32_e32 v122, v80
	v_mov_b32_e32 v123, v81
	v_mov_b32_e32 v131, v74
	v_mov_b32_e32 v132, v75
	v_mov_b32_e32 v133, v76
	v_mov_b32_e32 v134, v77
	v_mov_b32_e32 v135, v72
	v_mov_b32_e32 v136, v73
	v_mov_b32_e32 v137, v70
	v_mov_b32_e32 v138, v71
	v_mov_b32_e32 v139, v68
	v_mov_b32_e32 v140, v69
	v_mov_b32_e32 v141, v66
	v_mov_b32_e32 v142, v67
	v_mov_b32_e32 v143, v64
	v_mov_b32_e32 v144, v65
	v_mov_b32_e32 v145, v62
	v_mov_b32_e32 v146, v63
	v_mov_b32_e32 v147, v58
	v_mov_b32_e32 v148, v59
	ds_write2_b64 v128, v[122:123], v[131:132] offset0:20 offset1:21
	ds_write2_b64 v128, v[133:134], v[135:136] offset0:22 offset1:23
	ds_write2_b64 v128, v[137:138], v[139:140] offset0:24 offset1:25
	ds_write2_b64 v128, v[141:142], v[143:144] offset0:26 offset1:27
	ds_write2_b64 v128, v[145:146], v[147:148] offset0:28 offset1:29
	v_mov_b32_e32 v122, v60
	v_mov_b32_e32 v123, v61
	v_mov_b32_e32 v131, v54
	v_mov_b32_e32 v132, v55
	v_mov_b32_e32 v133, v56
	v_mov_b32_e32 v134, v57
	v_mov_b32_e32 v135, v52
	v_mov_b32_e32 v136, v53
	v_mov_b32_e32 v137, v50
	v_mov_b32_e32 v138, v51
	v_mov_b32_e32 v139, v48
	v_mov_b32_e32 v140, v49
	v_mov_b32_e32 v141, v46
	v_mov_b32_e32 v142, v47
	v_mov_b32_e32 v143, v44
	v_mov_b32_e32 v144, v45
	v_mov_b32_e32 v145, v42
	v_mov_b32_e32 v146, v43
	v_mov_b32_e32 v147, v38
	v_mov_b32_e32 v148, v39
	ds_write2_b64 v128, v[122:123], v[131:132] offset0:30 offset1:31
	ds_write2_b64 v128, v[133:134], v[135:136] offset0:32 offset1:33
	ds_write2_b64 v128, v[137:138], v[139:140] offset0:34 offset1:35
	ds_write2_b64 v128, v[141:142], v[143:144] offset0:36 offset1:37
	ds_write2_b64 v128, v[145:146], v[147:148] offset0:38 offset1:39
	v_mov_b32_e32 v122, v40
	v_mov_b32_e32 v123, v41
	v_mov_b32_e32 v131, v34
	v_mov_b32_e32 v132, v35
	v_mov_b32_e32 v133, v36
	v_mov_b32_e32 v134, v37
	v_mov_b32_e32 v135, v32
	v_mov_b32_e32 v136, v33
	v_mov_b32_e32 v137, v30
	v_mov_b32_e32 v138, v31
	v_mov_b32_e32 v139, v28
	v_mov_b32_e32 v140, v29
	v_mov_b32_e32 v141, v26
	v_mov_b32_e32 v142, v27
	v_mov_b32_e32 v143, v24
	v_mov_b32_e32 v144, v25
	v_mov_b32_e32 v145, v22
	v_mov_b32_e32 v146, v23
	v_mov_b32_e32 v147, v18
	v_mov_b32_e32 v148, v19
	ds_write2_b64 v128, v[122:123], v[131:132] offset0:40 offset1:41
	ds_write2_b64 v128, v[133:134], v[135:136] offset0:42 offset1:43
	ds_write2_b64 v128, v[137:138], v[139:140] offset0:44 offset1:45
	;; [unrolled: 1-line block ×4, first 2 shown]
	v_mov_b32_e32 v122, v20
	v_mov_b32_e32 v123, v21
	;; [unrolled: 1-line block ×15, first 2 shown]
	ds_write2_b64 v128, v[122:123], v[132:133] offset0:50 offset1:51
	ds_write2_b64 v128, v[134:135], v[136:137] offset0:52 offset1:53
	;; [unrolled: 1-line block ×4, first 2 shown]
.LBB114_197:
	s_or_b32 exec_lo, exec_lo, s0
	s_mov_b32 s0, exec_lo
	s_waitcnt lgkmcnt(0)
	s_waitcnt_vscnt null, 0x0
	s_barrier
	buffer_gl0_inv
	v_cmpx_lt_i32_e32 11, v131
	s_cbranch_execz .LBB114_199
; %bb.198:
	v_mul_f64 v[94:95], v[0:1], v[94:95]
	ds_read2_b64 v[132:135], v128 offset0:12 offset1:13
	ds_read2_b64 v[136:139], v128 offset0:14 offset1:15
	;; [unrolled: 1-line block ×11, first 2 shown]
	s_waitcnt lgkmcnt(10)
	v_fma_f64 v[96:97], -v[94:95], v[132:133], v[96:97]
	v_fma_f64 v[92:93], -v[94:95], v[134:135], v[92:93]
	ds_read2_b64 v[132:135], v128 offset0:34 offset1:35
	s_waitcnt lgkmcnt(10)
	v_fma_f64 v[90:91], -v[94:95], v[136:137], v[90:91]
	v_fma_f64 v[88:89], -v[94:95], v[138:139], v[88:89]
	s_waitcnt lgkmcnt(9)
	v_fma_f64 v[86:87], -v[94:95], v[140:141], v[86:87]
	v_fma_f64 v[84:85], -v[94:95], v[142:143], v[84:85]
	;; [unrolled: 3-line block ×6, first 2 shown]
	ds_read2_b64 v[136:139], v128 offset0:36 offset1:37
	s_waitcnt lgkmcnt(5)
	v_fma_f64 v[66:67], -v[94:95], v[160:161], v[66:67]
	v_fma_f64 v[64:65], -v[94:95], v[162:163], v[64:65]
	ds_read2_b64 v[140:143], v128 offset0:38 offset1:39
	ds_read2_b64 v[144:147], v128 offset0:40 offset1:41
	s_waitcnt lgkmcnt(6)
	v_fma_f64 v[62:63], -v[94:95], v[164:165], v[62:63]
	v_fma_f64 v[58:59], -v[94:95], v[166:167], v[58:59]
	ds_read2_b64 v[148:151], v128 offset0:42 offset1:43
	;; [unrolled: 5-line block ×5, first 2 shown]
	ds_read2_b64 v[172:175], v128 offset0:56 offset1:57
	s_waitcnt lgkmcnt(10)
	v_fma_f64 v[46:47], -v[94:95], v[136:137], v[46:47]
	v_fma_f64 v[44:45], -v[94:95], v[138:139], v[44:45]
	s_waitcnt lgkmcnt(9)
	v_fma_f64 v[42:43], -v[94:95], v[140:141], v[42:43]
	v_fma_f64 v[38:39], -v[94:95], v[142:143], v[38:39]
	;; [unrolled: 3-line block ×11, first 2 shown]
.LBB114_199:
	s_or_b32 exec_lo, exec_lo, s0
	v_lshl_add_u32 v0, v131, 3, v128
	s_barrier
	buffer_gl0_inv
	v_mov_b32_e32 v122, 12
	ds_write_b64 v0, v[96:97]
	s_waitcnt lgkmcnt(0)
	s_barrier
	buffer_gl0_inv
	ds_read_b64 v[0:1], v128 offset:96
	s_cmp_lt_i32 s7, 14
	s_cbranch_scc1 .LBB114_202
; %bb.200:
	v_add3_u32 v123, v129, 0, 0x68
	v_mov_b32_e32 v122, 12
	s_mov_b32 s0, 13
.LBB114_201:                            ; =>This Inner Loop Header: Depth=1
	ds_read_b64 v[132:133], v123
	v_add_nc_u32_e32 v123, 8, v123
	s_waitcnt lgkmcnt(0)
	v_cmp_lt_f64_e64 vcc_lo, |v[0:1]|, |v[132:133]|
	v_cndmask_b32_e32 v1, v1, v133, vcc_lo
	v_cndmask_b32_e32 v0, v0, v132, vcc_lo
	v_cndmask_b32_e64 v122, v122, s0, vcc_lo
	s_add_i32 s0, s0, 1
	s_cmp_lg_u32 s7, s0
	s_cbranch_scc1 .LBB114_201
.LBB114_202:
	s_mov_b32 s0, exec_lo
	s_waitcnt lgkmcnt(0)
	v_cmpx_eq_f64_e32 0, v[0:1]
	s_xor_b32 s0, exec_lo, s0
; %bb.203:
	v_cmp_ne_u32_e32 vcc_lo, 0, v125
	v_cndmask_b32_e32 v125, 13, v125, vcc_lo
; %bb.204:
	s_andn2_saveexec_b32 s0, s0
	s_cbranch_execz .LBB114_206
; %bb.205:
	v_div_scale_f64 v[123:124], null, v[0:1], v[0:1], 1.0
	v_rcp_f64_e32 v[132:133], v[123:124]
	v_fma_f64 v[134:135], -v[123:124], v[132:133], 1.0
	v_fma_f64 v[132:133], v[132:133], v[134:135], v[132:133]
	v_fma_f64 v[134:135], -v[123:124], v[132:133], 1.0
	v_fma_f64 v[132:133], v[132:133], v[134:135], v[132:133]
	v_div_scale_f64 v[134:135], vcc_lo, 1.0, v[0:1], 1.0
	v_mul_f64 v[136:137], v[134:135], v[132:133]
	v_fma_f64 v[123:124], -v[123:124], v[136:137], v[134:135]
	v_div_fmas_f64 v[123:124], v[123:124], v[132:133], v[136:137]
	v_div_fixup_f64 v[0:1], v[123:124], v[0:1], 1.0
.LBB114_206:
	s_or_b32 exec_lo, exec_lo, s0
	s_mov_b32 s0, exec_lo
	v_cmpx_ne_u32_e64 v131, v122
	s_xor_b32 s0, exec_lo, s0
	s_cbranch_execz .LBB114_212
; %bb.207:
	s_mov_b32 s1, exec_lo
	v_cmpx_eq_u32_e32 12, v131
	s_cbranch_execz .LBB114_211
; %bb.208:
	v_cmp_ne_u32_e32 vcc_lo, 12, v122
	s_xor_b32 s2, s6, -1
	s_and_b32 s3, s2, vcc_lo
	s_and_saveexec_b32 s2, s3
	s_cbranch_execz .LBB114_210
; %bb.209:
	v_ashrrev_i32_e32 v123, 31, v122
	v_lshlrev_b64 v[123:124], 2, v[122:123]
	v_add_co_u32 v123, vcc_lo, v4, v123
	v_add_co_ci_u32_e64 v124, null, v5, v124, vcc_lo
	s_clause 0x1
	global_load_dword v130, v[123:124], off
	global_load_dword v131, v[4:5], off offset:48
	s_waitcnt vmcnt(1)
	global_store_dword v[4:5], v130, off offset:48
	s_waitcnt vmcnt(0)
	global_store_dword v[123:124], v131, off
.LBB114_210:
	s_or_b32 exec_lo, exec_lo, s2
	v_mov_b32_e32 v130, v122
	v_mov_b32_e32 v131, v122
.LBB114_211:
	s_or_b32 exec_lo, exec_lo, s1
.LBB114_212:
	s_andn2_saveexec_b32 s0, s0
	s_cbranch_execz .LBB114_214
; %bb.213:
	v_mov_b32_e32 v131, 12
	ds_write2_b64 v128, v[92:93], v[90:91] offset0:13 offset1:14
	ds_write2_b64 v128, v[88:89], v[86:87] offset0:15 offset1:16
	;; [unrolled: 1-line block ×22, first 2 shown]
	ds_write_b64 v128, v[120:121] offset:456
.LBB114_214:
	s_or_b32 exec_lo, exec_lo, s0
	s_mov_b32 s0, exec_lo
	s_waitcnt lgkmcnt(0)
	s_waitcnt_vscnt null, 0x0
	s_barrier
	buffer_gl0_inv
	v_cmpx_lt_i32_e32 12, v131
	s_cbranch_execz .LBB114_216
; %bb.215:
	v_mul_f64 v[96:97], v[0:1], v[96:97]
	ds_read2_b64 v[132:135], v128 offset0:13 offset1:14
	ds_read2_b64 v[136:139], v128 offset0:15 offset1:16
	;; [unrolled: 1-line block ×11, first 2 shown]
	ds_read_b64 v[0:1], v128 offset:456
	s_waitcnt lgkmcnt(11)
	v_fma_f64 v[92:93], -v[96:97], v[132:133], v[92:93]
	v_fma_f64 v[90:91], -v[96:97], v[134:135], v[90:91]
	ds_read2_b64 v[132:135], v128 offset0:35 offset1:36
	s_waitcnt lgkmcnt(11)
	v_fma_f64 v[88:89], -v[96:97], v[136:137], v[88:89]
	v_fma_f64 v[86:87], -v[96:97], v[138:139], v[86:87]
	s_waitcnt lgkmcnt(10)
	v_fma_f64 v[84:85], -v[96:97], v[140:141], v[84:85]
	v_fma_f64 v[82:83], -v[96:97], v[142:143], v[82:83]
	;; [unrolled: 3-line block ×6, first 2 shown]
	ds_read2_b64 v[136:139], v128 offset0:37 offset1:38
	s_waitcnt lgkmcnt(6)
	v_fma_f64 v[64:65], -v[96:97], v[160:161], v[64:65]
	v_fma_f64 v[62:63], -v[96:97], v[162:163], v[62:63]
	ds_read2_b64 v[140:143], v128 offset0:39 offset1:40
	ds_read2_b64 v[144:147], v128 offset0:41 offset1:42
	s_waitcnt lgkmcnt(7)
	v_fma_f64 v[58:59], -v[96:97], v[164:165], v[58:59]
	v_fma_f64 v[60:61], -v[96:97], v[166:167], v[60:61]
	ds_read2_b64 v[148:151], v128 offset0:43 offset1:44
	;; [unrolled: 5-line block ×3, first 2 shown]
	ds_read2_b64 v[160:163], v128 offset0:49 offset1:50
	ds_read2_b64 v[164:167], v128 offset0:51 offset1:52
	;; [unrolled: 1-line block ×3, first 2 shown]
	s_waitcnt lgkmcnt(9)
	v_fma_f64 v[48:49], -v[96:97], v[132:133], v[48:49]
	v_fma_f64 v[46:47], -v[96:97], v[134:135], v[46:47]
	ds_read2_b64 v[132:135], v128 offset0:55 offset1:56
	v_fma_f64 v[52:53], -v[96:97], v[172:173], v[52:53]
	v_fma_f64 v[50:51], -v[96:97], v[174:175], v[50:51]
	s_waitcnt lgkmcnt(9)
	v_fma_f64 v[44:45], -v[96:97], v[136:137], v[44:45]
	v_fma_f64 v[42:43], -v[96:97], v[138:139], v[42:43]
	;; [unrolled: 1-line block ×3, first 2 shown]
	s_waitcnt lgkmcnt(8)
	v_fma_f64 v[38:39], -v[96:97], v[140:141], v[38:39]
	v_fma_f64 v[40:41], -v[96:97], v[142:143], v[40:41]
	s_waitcnt lgkmcnt(7)
	v_fma_f64 v[34:35], -v[96:97], v[144:145], v[34:35]
	v_fma_f64 v[36:37], -v[96:97], v[146:147], v[36:37]
	;; [unrolled: 3-line block ×9, first 2 shown]
.LBB114_216:
	s_or_b32 exec_lo, exec_lo, s0
	v_lshl_add_u32 v0, v131, 3, v128
	s_barrier
	buffer_gl0_inv
	v_mov_b32_e32 v122, 13
	ds_write_b64 v0, v[92:93]
	s_waitcnt lgkmcnt(0)
	s_barrier
	buffer_gl0_inv
	ds_read_b64 v[0:1], v128 offset:104
	s_cmp_lt_i32 s7, 15
	s_cbranch_scc1 .LBB114_219
; %bb.217:
	v_add3_u32 v123, v129, 0, 0x70
	v_mov_b32_e32 v122, 13
	s_mov_b32 s0, 14
.LBB114_218:                            ; =>This Inner Loop Header: Depth=1
	ds_read_b64 v[132:133], v123
	v_add_nc_u32_e32 v123, 8, v123
	s_waitcnt lgkmcnt(0)
	v_cmp_lt_f64_e64 vcc_lo, |v[0:1]|, |v[132:133]|
	v_cndmask_b32_e32 v1, v1, v133, vcc_lo
	v_cndmask_b32_e32 v0, v0, v132, vcc_lo
	v_cndmask_b32_e64 v122, v122, s0, vcc_lo
	s_add_i32 s0, s0, 1
	s_cmp_lg_u32 s7, s0
	s_cbranch_scc1 .LBB114_218
.LBB114_219:
	s_mov_b32 s0, exec_lo
	s_waitcnt lgkmcnt(0)
	v_cmpx_eq_f64_e32 0, v[0:1]
	s_xor_b32 s0, exec_lo, s0
; %bb.220:
	v_cmp_ne_u32_e32 vcc_lo, 0, v125
	v_cndmask_b32_e32 v125, 14, v125, vcc_lo
; %bb.221:
	s_andn2_saveexec_b32 s0, s0
	s_cbranch_execz .LBB114_223
; %bb.222:
	v_div_scale_f64 v[123:124], null, v[0:1], v[0:1], 1.0
	v_rcp_f64_e32 v[132:133], v[123:124]
	v_fma_f64 v[134:135], -v[123:124], v[132:133], 1.0
	v_fma_f64 v[132:133], v[132:133], v[134:135], v[132:133]
	v_fma_f64 v[134:135], -v[123:124], v[132:133], 1.0
	v_fma_f64 v[132:133], v[132:133], v[134:135], v[132:133]
	v_div_scale_f64 v[134:135], vcc_lo, 1.0, v[0:1], 1.0
	v_mul_f64 v[136:137], v[134:135], v[132:133]
	v_fma_f64 v[123:124], -v[123:124], v[136:137], v[134:135]
	v_div_fmas_f64 v[123:124], v[123:124], v[132:133], v[136:137]
	v_div_fixup_f64 v[0:1], v[123:124], v[0:1], 1.0
.LBB114_223:
	s_or_b32 exec_lo, exec_lo, s0
	s_mov_b32 s0, exec_lo
	v_cmpx_ne_u32_e64 v131, v122
	s_xor_b32 s0, exec_lo, s0
	s_cbranch_execz .LBB114_229
; %bb.224:
	s_mov_b32 s1, exec_lo
	v_cmpx_eq_u32_e32 13, v131
	s_cbranch_execz .LBB114_228
; %bb.225:
	v_cmp_ne_u32_e32 vcc_lo, 13, v122
	s_xor_b32 s2, s6, -1
	s_and_b32 s3, s2, vcc_lo
	s_and_saveexec_b32 s2, s3
	s_cbranch_execz .LBB114_227
; %bb.226:
	v_ashrrev_i32_e32 v123, 31, v122
	v_lshlrev_b64 v[123:124], 2, v[122:123]
	v_add_co_u32 v123, vcc_lo, v4, v123
	v_add_co_ci_u32_e64 v124, null, v5, v124, vcc_lo
	s_clause 0x1
	global_load_dword v130, v[123:124], off
	global_load_dword v131, v[4:5], off offset:52
	s_waitcnt vmcnt(1)
	global_store_dword v[4:5], v130, off offset:52
	s_waitcnt vmcnt(0)
	global_store_dword v[123:124], v131, off
.LBB114_227:
	s_or_b32 exec_lo, exec_lo, s2
	v_mov_b32_e32 v130, v122
	v_mov_b32_e32 v131, v122
.LBB114_228:
	s_or_b32 exec_lo, exec_lo, s1
.LBB114_229:
	s_andn2_saveexec_b32 s0, s0
	s_cbranch_execz .LBB114_231
; %bb.230:
	v_mov_b32_e32 v122, v90
	v_mov_b32_e32 v123, v91
	;; [unrolled: 1-line block ×12, first 2 shown]
	ds_write2_b64 v128, v[122:123], v[131:132] offset0:14 offset1:15
	ds_write2_b64 v128, v[133:134], v[135:136] offset0:16 offset1:17
	ds_write2_b64 v128, v[137:138], v[139:140] offset0:18 offset1:19
	v_mov_b32_e32 v122, v80
	v_mov_b32_e32 v123, v81
	v_mov_b32_e32 v131, v74
	v_mov_b32_e32 v132, v75
	v_mov_b32_e32 v133, v76
	v_mov_b32_e32 v134, v77
	v_mov_b32_e32 v135, v72
	v_mov_b32_e32 v136, v73
	v_mov_b32_e32 v137, v70
	v_mov_b32_e32 v138, v71
	v_mov_b32_e32 v139, v68
	v_mov_b32_e32 v140, v69
	v_mov_b32_e32 v141, v66
	v_mov_b32_e32 v142, v67
	v_mov_b32_e32 v143, v64
	v_mov_b32_e32 v144, v65
	v_mov_b32_e32 v145, v62
	v_mov_b32_e32 v146, v63
	v_mov_b32_e32 v147, v58
	v_mov_b32_e32 v148, v59
	ds_write2_b64 v128, v[122:123], v[131:132] offset0:20 offset1:21
	ds_write2_b64 v128, v[133:134], v[135:136] offset0:22 offset1:23
	ds_write2_b64 v128, v[137:138], v[139:140] offset0:24 offset1:25
	ds_write2_b64 v128, v[141:142], v[143:144] offset0:26 offset1:27
	ds_write2_b64 v128, v[145:146], v[147:148] offset0:28 offset1:29
	v_mov_b32_e32 v122, v60
	v_mov_b32_e32 v123, v61
	v_mov_b32_e32 v131, v54
	v_mov_b32_e32 v132, v55
	v_mov_b32_e32 v133, v56
	v_mov_b32_e32 v134, v57
	v_mov_b32_e32 v135, v52
	v_mov_b32_e32 v136, v53
	v_mov_b32_e32 v137, v50
	v_mov_b32_e32 v138, v51
	v_mov_b32_e32 v139, v48
	v_mov_b32_e32 v140, v49
	v_mov_b32_e32 v141, v46
	v_mov_b32_e32 v142, v47
	v_mov_b32_e32 v143, v44
	v_mov_b32_e32 v144, v45
	v_mov_b32_e32 v145, v42
	v_mov_b32_e32 v146, v43
	v_mov_b32_e32 v147, v38
	v_mov_b32_e32 v148, v39
	ds_write2_b64 v128, v[122:123], v[131:132] offset0:30 offset1:31
	ds_write2_b64 v128, v[133:134], v[135:136] offset0:32 offset1:33
	;; [unrolled: 25-line block ×3, first 2 shown]
	ds_write2_b64 v128, v[137:138], v[139:140] offset0:44 offset1:45
	ds_write2_b64 v128, v[141:142], v[143:144] offset0:46 offset1:47
	;; [unrolled: 1-line block ×3, first 2 shown]
	v_mov_b32_e32 v122, v20
	v_mov_b32_e32 v123, v21
	;; [unrolled: 1-line block ×15, first 2 shown]
	ds_write2_b64 v128, v[122:123], v[132:133] offset0:50 offset1:51
	ds_write2_b64 v128, v[134:135], v[136:137] offset0:52 offset1:53
	;; [unrolled: 1-line block ×4, first 2 shown]
.LBB114_231:
	s_or_b32 exec_lo, exec_lo, s0
	s_mov_b32 s0, exec_lo
	s_waitcnt lgkmcnt(0)
	s_waitcnt_vscnt null, 0x0
	s_barrier
	buffer_gl0_inv
	v_cmpx_lt_i32_e32 13, v131
	s_cbranch_execz .LBB114_233
; %bb.232:
	v_mul_f64 v[92:93], v[0:1], v[92:93]
	ds_read2_b64 v[132:135], v128 offset0:14 offset1:15
	ds_read2_b64 v[136:139], v128 offset0:16 offset1:17
	;; [unrolled: 1-line block ×11, first 2 shown]
	s_waitcnt lgkmcnt(10)
	v_fma_f64 v[90:91], -v[92:93], v[132:133], v[90:91]
	v_fma_f64 v[88:89], -v[92:93], v[134:135], v[88:89]
	s_waitcnt lgkmcnt(9)
	v_fma_f64 v[86:87], -v[92:93], v[136:137], v[86:87]
	v_fma_f64 v[84:85], -v[92:93], v[138:139], v[84:85]
	;; [unrolled: 3-line block ×6, first 2 shown]
	ds_read2_b64 v[132:135], v128 offset0:36 offset1:37
	ds_read2_b64 v[136:139], v128 offset0:38 offset1:39
	s_waitcnt lgkmcnt(6)
	v_fma_f64 v[66:67], -v[92:93], v[156:157], v[66:67]
	v_fma_f64 v[64:65], -v[92:93], v[158:159], v[64:65]
	s_waitcnt lgkmcnt(5)
	v_fma_f64 v[62:63], -v[92:93], v[160:161], v[62:63]
	ds_read2_b64 v[140:143], v128 offset0:40 offset1:41
	ds_read2_b64 v[144:147], v128 offset0:42 offset1:43
	v_fma_f64 v[58:59], -v[92:93], v[162:163], v[58:59]
	s_waitcnt lgkmcnt(6)
	v_fma_f64 v[60:61], -v[92:93], v[164:165], v[60:61]
	ds_read2_b64 v[148:151], v128 offset0:44 offset1:45
	ds_read2_b64 v[152:155], v128 offset0:46 offset1:47
	v_fma_f64 v[54:55], -v[92:93], v[166:167], v[54:55]
	s_waitcnt lgkmcnt(7)
	v_fma_f64 v[56:57], -v[92:93], v[168:169], v[56:57]
	ds_read2_b64 v[156:159], v128 offset0:48 offset1:49
	ds_read2_b64 v[160:163], v128 offset0:50 offset1:51
	v_fma_f64 v[52:53], -v[92:93], v[170:171], v[52:53]
	s_waitcnt lgkmcnt(8)
	v_fma_f64 v[50:51], -v[92:93], v[172:173], v[50:51]
	ds_read2_b64 v[164:167], v128 offset0:52 offset1:53
	ds_read2_b64 v[168:171], v128 offset0:54 offset1:55
	v_fma_f64 v[48:49], -v[92:93], v[174:175], v[48:49]
	ds_read2_b64 v[172:175], v128 offset0:56 offset1:57
	s_waitcnt lgkmcnt(10)
	v_fma_f64 v[46:47], -v[92:93], v[132:133], v[46:47]
	v_fma_f64 v[44:45], -v[92:93], v[134:135], v[44:45]
	s_waitcnt lgkmcnt(9)
	v_fma_f64 v[42:43], -v[92:93], v[136:137], v[42:43]
	v_fma_f64 v[38:39], -v[92:93], v[138:139], v[38:39]
	s_waitcnt lgkmcnt(8)
	v_fma_f64 v[40:41], -v[92:93], v[140:141], v[40:41]
	v_fma_f64 v[34:35], -v[92:93], v[142:143], v[34:35]
	s_waitcnt lgkmcnt(7)
	v_fma_f64 v[36:37], -v[92:93], v[144:145], v[36:37]
	v_fma_f64 v[32:33], -v[92:93], v[146:147], v[32:33]
	s_waitcnt lgkmcnt(6)
	v_fma_f64 v[30:31], -v[92:93], v[148:149], v[30:31]
	v_fma_f64 v[28:29], -v[92:93], v[150:151], v[28:29]
	s_waitcnt lgkmcnt(5)
	v_fma_f64 v[26:27], -v[92:93], v[152:153], v[26:27]
	v_fma_f64 v[24:25], -v[92:93], v[154:155], v[24:25]
	s_waitcnt lgkmcnt(4)
	v_fma_f64 v[22:23], -v[92:93], v[156:157], v[22:23]
	v_fma_f64 v[18:19], -v[92:93], v[158:159], v[18:19]
	s_waitcnt lgkmcnt(3)
	v_fma_f64 v[20:21], -v[92:93], v[160:161], v[20:21]
	v_fma_f64 v[16:17], -v[92:93], v[162:163], v[16:17]
	s_waitcnt lgkmcnt(2)
	v_fma_f64 v[14:15], -v[92:93], v[164:165], v[14:15]
	v_fma_f64 v[8:9], -v[92:93], v[166:167], v[8:9]
	s_waitcnt lgkmcnt(1)
	v_fma_f64 v[12:13], -v[92:93], v[168:169], v[12:13]
	v_fma_f64 v[6:7], -v[92:93], v[170:171], v[6:7]
	s_waitcnt lgkmcnt(0)
	v_fma_f64 v[10:11], -v[92:93], v[172:173], v[10:11]
	v_fma_f64 v[120:121], -v[92:93], v[174:175], v[120:121]
.LBB114_233:
	s_or_b32 exec_lo, exec_lo, s0
	v_lshl_add_u32 v0, v131, 3, v128
	s_barrier
	buffer_gl0_inv
	v_mov_b32_e32 v122, 14
	ds_write_b64 v0, v[90:91]
	s_waitcnt lgkmcnt(0)
	s_barrier
	buffer_gl0_inv
	ds_read_b64 v[0:1], v128 offset:112
	s_cmp_lt_i32 s7, 16
	s_cbranch_scc1 .LBB114_236
; %bb.234:
	v_add3_u32 v123, v129, 0, 0x78
	v_mov_b32_e32 v122, 14
	s_mov_b32 s0, 15
.LBB114_235:                            ; =>This Inner Loop Header: Depth=1
	ds_read_b64 v[132:133], v123
	v_add_nc_u32_e32 v123, 8, v123
	s_waitcnt lgkmcnt(0)
	v_cmp_lt_f64_e64 vcc_lo, |v[0:1]|, |v[132:133]|
	v_cndmask_b32_e32 v1, v1, v133, vcc_lo
	v_cndmask_b32_e32 v0, v0, v132, vcc_lo
	v_cndmask_b32_e64 v122, v122, s0, vcc_lo
	s_add_i32 s0, s0, 1
	s_cmp_lg_u32 s7, s0
	s_cbranch_scc1 .LBB114_235
.LBB114_236:
	s_mov_b32 s0, exec_lo
	s_waitcnt lgkmcnt(0)
	v_cmpx_eq_f64_e32 0, v[0:1]
	s_xor_b32 s0, exec_lo, s0
; %bb.237:
	v_cmp_ne_u32_e32 vcc_lo, 0, v125
	v_cndmask_b32_e32 v125, 15, v125, vcc_lo
; %bb.238:
	s_andn2_saveexec_b32 s0, s0
	s_cbranch_execz .LBB114_240
; %bb.239:
	v_div_scale_f64 v[123:124], null, v[0:1], v[0:1], 1.0
	v_rcp_f64_e32 v[132:133], v[123:124]
	v_fma_f64 v[134:135], -v[123:124], v[132:133], 1.0
	v_fma_f64 v[132:133], v[132:133], v[134:135], v[132:133]
	v_fma_f64 v[134:135], -v[123:124], v[132:133], 1.0
	v_fma_f64 v[132:133], v[132:133], v[134:135], v[132:133]
	v_div_scale_f64 v[134:135], vcc_lo, 1.0, v[0:1], 1.0
	v_mul_f64 v[136:137], v[134:135], v[132:133]
	v_fma_f64 v[123:124], -v[123:124], v[136:137], v[134:135]
	v_div_fmas_f64 v[123:124], v[123:124], v[132:133], v[136:137]
	v_div_fixup_f64 v[0:1], v[123:124], v[0:1], 1.0
.LBB114_240:
	s_or_b32 exec_lo, exec_lo, s0
	s_mov_b32 s0, exec_lo
	v_cmpx_ne_u32_e64 v131, v122
	s_xor_b32 s0, exec_lo, s0
	s_cbranch_execz .LBB114_246
; %bb.241:
	s_mov_b32 s1, exec_lo
	v_cmpx_eq_u32_e32 14, v131
	s_cbranch_execz .LBB114_245
; %bb.242:
	v_cmp_ne_u32_e32 vcc_lo, 14, v122
	s_xor_b32 s2, s6, -1
	s_and_b32 s3, s2, vcc_lo
	s_and_saveexec_b32 s2, s3
	s_cbranch_execz .LBB114_244
; %bb.243:
	v_ashrrev_i32_e32 v123, 31, v122
	v_lshlrev_b64 v[123:124], 2, v[122:123]
	v_add_co_u32 v123, vcc_lo, v4, v123
	v_add_co_ci_u32_e64 v124, null, v5, v124, vcc_lo
	s_clause 0x1
	global_load_dword v130, v[123:124], off
	global_load_dword v131, v[4:5], off offset:56
	s_waitcnt vmcnt(1)
	global_store_dword v[4:5], v130, off offset:56
	s_waitcnt vmcnt(0)
	global_store_dword v[123:124], v131, off
.LBB114_244:
	s_or_b32 exec_lo, exec_lo, s2
	v_mov_b32_e32 v130, v122
	v_mov_b32_e32 v131, v122
.LBB114_245:
	s_or_b32 exec_lo, exec_lo, s1
.LBB114_246:
	s_andn2_saveexec_b32 s0, s0
	s_cbranch_execz .LBB114_248
; %bb.247:
	v_mov_b32_e32 v131, 14
	ds_write2_b64 v128, v[88:89], v[86:87] offset0:15 offset1:16
	ds_write2_b64 v128, v[84:85], v[82:83] offset0:17 offset1:18
	;; [unrolled: 1-line block ×21, first 2 shown]
	ds_write_b64 v128, v[120:121] offset:456
.LBB114_248:
	s_or_b32 exec_lo, exec_lo, s0
	s_mov_b32 s0, exec_lo
	s_waitcnt lgkmcnt(0)
	s_waitcnt_vscnt null, 0x0
	s_barrier
	buffer_gl0_inv
	v_cmpx_lt_i32_e32 14, v131
	s_cbranch_execz .LBB114_250
; %bb.249:
	v_mul_f64 v[90:91], v[0:1], v[90:91]
	ds_read2_b64 v[132:135], v128 offset0:15 offset1:16
	ds_read2_b64 v[136:139], v128 offset0:17 offset1:18
	ds_read2_b64 v[140:143], v128 offset0:19 offset1:20
	ds_read2_b64 v[144:147], v128 offset0:21 offset1:22
	ds_read2_b64 v[148:151], v128 offset0:23 offset1:24
	ds_read2_b64 v[152:155], v128 offset0:25 offset1:26
	ds_read2_b64 v[156:159], v128 offset0:27 offset1:28
	ds_read2_b64 v[160:163], v128 offset0:29 offset1:30
	ds_read2_b64 v[164:167], v128 offset0:31 offset1:32
	ds_read2_b64 v[168:171], v128 offset0:33 offset1:34
	ds_read2_b64 v[172:175], v128 offset0:35 offset1:36
	ds_read_b64 v[0:1], v128 offset:456
	s_waitcnt lgkmcnt(11)
	v_fma_f64 v[88:89], -v[90:91], v[132:133], v[88:89]
	v_fma_f64 v[86:87], -v[90:91], v[134:135], v[86:87]
	s_waitcnt lgkmcnt(10)
	v_fma_f64 v[84:85], -v[90:91], v[136:137], v[84:85]
	v_fma_f64 v[82:83], -v[90:91], v[138:139], v[82:83]
	;; [unrolled: 3-line block ×6, first 2 shown]
	ds_read2_b64 v[132:135], v128 offset0:37 offset1:38
	ds_read2_b64 v[136:139], v128 offset0:39 offset1:40
	s_waitcnt lgkmcnt(7)
	v_fma_f64 v[64:65], -v[90:91], v[156:157], v[64:65]
	v_fma_f64 v[62:63], -v[90:91], v[158:159], v[62:63]
	s_waitcnt lgkmcnt(6)
	v_fma_f64 v[58:59], -v[90:91], v[160:161], v[58:59]
	ds_read2_b64 v[140:143], v128 offset0:41 offset1:42
	ds_read2_b64 v[144:147], v128 offset0:43 offset1:44
	v_fma_f64 v[60:61], -v[90:91], v[162:163], v[60:61]
	s_waitcnt lgkmcnt(7)
	v_fma_f64 v[54:55], -v[90:91], v[164:165], v[54:55]
	ds_read2_b64 v[148:151], v128 offset0:45 offset1:46
	ds_read2_b64 v[152:155], v128 offset0:47 offset1:48
	;; [unrolled: 5-line block ×3, first 2 shown]
	v_fma_f64 v[50:51], -v[90:91], v[170:171], v[50:51]
	ds_read2_b64 v[164:167], v128 offset0:53 offset1:54
	ds_read2_b64 v[168:171], v128 offset0:55 offset1:56
	s_waitcnt lgkmcnt(11)
	v_fma_f64 v[48:49], -v[90:91], v[172:173], v[48:49]
	v_fma_f64 v[46:47], -v[90:91], v[174:175], v[46:47]
	s_waitcnt lgkmcnt(9)
	v_fma_f64 v[44:45], -v[90:91], v[132:133], v[44:45]
	v_fma_f64 v[42:43], -v[90:91], v[134:135], v[42:43]
	s_waitcnt lgkmcnt(8)
	v_fma_f64 v[38:39], -v[90:91], v[136:137], v[38:39]
	v_fma_f64 v[40:41], -v[90:91], v[138:139], v[40:41]
	v_fma_f64 v[120:121], -v[90:91], v[0:1], v[120:121]
	s_waitcnt lgkmcnt(7)
	v_fma_f64 v[34:35], -v[90:91], v[140:141], v[34:35]
	v_fma_f64 v[36:37], -v[90:91], v[142:143], v[36:37]
	s_waitcnt lgkmcnt(6)
	v_fma_f64 v[32:33], -v[90:91], v[144:145], v[32:33]
	;; [unrolled: 3-line block ×8, first 2 shown]
	v_fma_f64 v[10:11], -v[90:91], v[170:171], v[10:11]
.LBB114_250:
	s_or_b32 exec_lo, exec_lo, s0
	v_lshl_add_u32 v0, v131, 3, v128
	s_barrier
	buffer_gl0_inv
	v_mov_b32_e32 v122, 15
	ds_write_b64 v0, v[88:89]
	s_waitcnt lgkmcnt(0)
	s_barrier
	buffer_gl0_inv
	ds_read_b64 v[0:1], v128 offset:120
	s_cmp_lt_i32 s7, 17
	s_cbranch_scc1 .LBB114_253
; %bb.251:
	v_add3_u32 v123, v129, 0, 0x80
	v_mov_b32_e32 v122, 15
	s_mov_b32 s0, 16
.LBB114_252:                            ; =>This Inner Loop Header: Depth=1
	ds_read_b64 v[132:133], v123
	v_add_nc_u32_e32 v123, 8, v123
	s_waitcnt lgkmcnt(0)
	v_cmp_lt_f64_e64 vcc_lo, |v[0:1]|, |v[132:133]|
	v_cndmask_b32_e32 v1, v1, v133, vcc_lo
	v_cndmask_b32_e32 v0, v0, v132, vcc_lo
	v_cndmask_b32_e64 v122, v122, s0, vcc_lo
	s_add_i32 s0, s0, 1
	s_cmp_lg_u32 s7, s0
	s_cbranch_scc1 .LBB114_252
.LBB114_253:
	s_mov_b32 s0, exec_lo
	s_waitcnt lgkmcnt(0)
	v_cmpx_eq_f64_e32 0, v[0:1]
	s_xor_b32 s0, exec_lo, s0
; %bb.254:
	v_cmp_ne_u32_e32 vcc_lo, 0, v125
	v_cndmask_b32_e32 v125, 16, v125, vcc_lo
; %bb.255:
	s_andn2_saveexec_b32 s0, s0
	s_cbranch_execz .LBB114_257
; %bb.256:
	v_div_scale_f64 v[123:124], null, v[0:1], v[0:1], 1.0
	v_rcp_f64_e32 v[132:133], v[123:124]
	v_fma_f64 v[134:135], -v[123:124], v[132:133], 1.0
	v_fma_f64 v[132:133], v[132:133], v[134:135], v[132:133]
	v_fma_f64 v[134:135], -v[123:124], v[132:133], 1.0
	v_fma_f64 v[132:133], v[132:133], v[134:135], v[132:133]
	v_div_scale_f64 v[134:135], vcc_lo, 1.0, v[0:1], 1.0
	v_mul_f64 v[136:137], v[134:135], v[132:133]
	v_fma_f64 v[123:124], -v[123:124], v[136:137], v[134:135]
	v_div_fmas_f64 v[123:124], v[123:124], v[132:133], v[136:137]
	v_div_fixup_f64 v[0:1], v[123:124], v[0:1], 1.0
.LBB114_257:
	s_or_b32 exec_lo, exec_lo, s0
	s_mov_b32 s0, exec_lo
	v_cmpx_ne_u32_e64 v131, v122
	s_xor_b32 s0, exec_lo, s0
	s_cbranch_execz .LBB114_263
; %bb.258:
	s_mov_b32 s1, exec_lo
	v_cmpx_eq_u32_e32 15, v131
	s_cbranch_execz .LBB114_262
; %bb.259:
	v_cmp_ne_u32_e32 vcc_lo, 15, v122
	s_xor_b32 s2, s6, -1
	s_and_b32 s3, s2, vcc_lo
	s_and_saveexec_b32 s2, s3
	s_cbranch_execz .LBB114_261
; %bb.260:
	v_ashrrev_i32_e32 v123, 31, v122
	v_lshlrev_b64 v[123:124], 2, v[122:123]
	v_add_co_u32 v123, vcc_lo, v4, v123
	v_add_co_ci_u32_e64 v124, null, v5, v124, vcc_lo
	s_clause 0x1
	global_load_dword v130, v[123:124], off
	global_load_dword v131, v[4:5], off offset:60
	s_waitcnt vmcnt(1)
	global_store_dword v[4:5], v130, off offset:60
	s_waitcnt vmcnt(0)
	global_store_dword v[123:124], v131, off
.LBB114_261:
	s_or_b32 exec_lo, exec_lo, s2
	v_mov_b32_e32 v130, v122
	v_mov_b32_e32 v131, v122
.LBB114_262:
	s_or_b32 exec_lo, exec_lo, s1
.LBB114_263:
	s_andn2_saveexec_b32 s0, s0
	s_cbranch_execz .LBB114_265
; %bb.264:
	v_mov_b32_e32 v122, v86
	v_mov_b32_e32 v123, v87
	;; [unrolled: 1-line block ×8, first 2 shown]
	ds_write2_b64 v128, v[122:123], v[131:132] offset0:16 offset1:17
	ds_write2_b64 v128, v[133:134], v[135:136] offset0:18 offset1:19
	v_mov_b32_e32 v122, v80
	v_mov_b32_e32 v123, v81
	v_mov_b32_e32 v131, v74
	v_mov_b32_e32 v132, v75
	v_mov_b32_e32 v133, v76
	v_mov_b32_e32 v134, v77
	v_mov_b32_e32 v135, v72
	v_mov_b32_e32 v136, v73
	v_mov_b32_e32 v137, v70
	v_mov_b32_e32 v138, v71
	v_mov_b32_e32 v139, v68
	v_mov_b32_e32 v140, v69
	v_mov_b32_e32 v141, v66
	v_mov_b32_e32 v142, v67
	v_mov_b32_e32 v143, v64
	v_mov_b32_e32 v144, v65
	v_mov_b32_e32 v145, v62
	v_mov_b32_e32 v146, v63
	v_mov_b32_e32 v147, v58
	v_mov_b32_e32 v148, v59
	ds_write2_b64 v128, v[122:123], v[131:132] offset0:20 offset1:21
	ds_write2_b64 v128, v[133:134], v[135:136] offset0:22 offset1:23
	ds_write2_b64 v128, v[137:138], v[139:140] offset0:24 offset1:25
	ds_write2_b64 v128, v[141:142], v[143:144] offset0:26 offset1:27
	ds_write2_b64 v128, v[145:146], v[147:148] offset0:28 offset1:29
	v_mov_b32_e32 v122, v60
	v_mov_b32_e32 v123, v61
	v_mov_b32_e32 v131, v54
	v_mov_b32_e32 v132, v55
	v_mov_b32_e32 v133, v56
	v_mov_b32_e32 v134, v57
	v_mov_b32_e32 v135, v52
	v_mov_b32_e32 v136, v53
	v_mov_b32_e32 v137, v50
	v_mov_b32_e32 v138, v51
	v_mov_b32_e32 v139, v48
	v_mov_b32_e32 v140, v49
	v_mov_b32_e32 v141, v46
	v_mov_b32_e32 v142, v47
	v_mov_b32_e32 v143, v44
	v_mov_b32_e32 v144, v45
	v_mov_b32_e32 v145, v42
	v_mov_b32_e32 v146, v43
	v_mov_b32_e32 v147, v38
	v_mov_b32_e32 v148, v39
	ds_write2_b64 v128, v[122:123], v[131:132] offset0:30 offset1:31
	ds_write2_b64 v128, v[133:134], v[135:136] offset0:32 offset1:33
	ds_write2_b64 v128, v[137:138], v[139:140] offset0:34 offset1:35
	;; [unrolled: 25-line block ×3, first 2 shown]
	ds_write2_b64 v128, v[141:142], v[143:144] offset0:46 offset1:47
	ds_write2_b64 v128, v[145:146], v[147:148] offset0:48 offset1:49
	v_mov_b32_e32 v122, v20
	v_mov_b32_e32 v123, v21
	;; [unrolled: 1-line block ×15, first 2 shown]
	ds_write2_b64 v128, v[122:123], v[132:133] offset0:50 offset1:51
	ds_write2_b64 v128, v[134:135], v[136:137] offset0:52 offset1:53
	;; [unrolled: 1-line block ×4, first 2 shown]
.LBB114_265:
	s_or_b32 exec_lo, exec_lo, s0
	s_mov_b32 s0, exec_lo
	s_waitcnt lgkmcnt(0)
	s_waitcnt_vscnt null, 0x0
	s_barrier
	buffer_gl0_inv
	v_cmpx_lt_i32_e32 15, v131
	s_cbranch_execz .LBB114_267
; %bb.266:
	v_mul_f64 v[88:89], v[0:1], v[88:89]
	ds_read2_b64 v[132:135], v128 offset0:16 offset1:17
	ds_read2_b64 v[136:139], v128 offset0:18 offset1:19
	;; [unrolled: 1-line block ×11, first 2 shown]
	s_waitcnt lgkmcnt(10)
	v_fma_f64 v[86:87], -v[88:89], v[132:133], v[86:87]
	v_fma_f64 v[84:85], -v[88:89], v[134:135], v[84:85]
	s_waitcnt lgkmcnt(9)
	v_fma_f64 v[82:83], -v[88:89], v[136:137], v[82:83]
	v_fma_f64 v[78:79], -v[88:89], v[138:139], v[78:79]
	;; [unrolled: 3-line block ×6, first 2 shown]
	ds_read2_b64 v[132:135], v128 offset0:38 offset1:39
	ds_read2_b64 v[136:139], v128 offset0:40 offset1:41
	s_waitcnt lgkmcnt(6)
	v_fma_f64 v[62:63], -v[88:89], v[156:157], v[62:63]
	v_fma_f64 v[58:59], -v[88:89], v[158:159], v[58:59]
	ds_read2_b64 v[140:143], v128 offset0:42 offset1:43
	ds_read2_b64 v[144:147], v128 offset0:44 offset1:45
	s_waitcnt lgkmcnt(7)
	v_fma_f64 v[60:61], -v[88:89], v[160:161], v[60:61]
	v_fma_f64 v[54:55], -v[88:89], v[162:163], v[54:55]
	ds_read2_b64 v[148:151], v128 offset0:46 offset1:47
	ds_read2_b64 v[152:155], v128 offset0:48 offset1:49
	s_waitcnt lgkmcnt(8)
	v_fma_f64 v[56:57], -v[88:89], v[164:165], v[56:57]
	v_fma_f64 v[52:53], -v[88:89], v[166:167], v[52:53]
	ds_read2_b64 v[156:159], v128 offset0:50 offset1:51
	ds_read2_b64 v[160:163], v128 offset0:52 offset1:53
	s_waitcnt lgkmcnt(9)
	v_fma_f64 v[50:51], -v[88:89], v[168:169], v[50:51]
	v_fma_f64 v[48:49], -v[88:89], v[170:171], v[48:49]
	ds_read2_b64 v[164:167], v128 offset0:54 offset1:55
	ds_read2_b64 v[168:171], v128 offset0:56 offset1:57
	s_waitcnt lgkmcnt(10)
	v_fma_f64 v[46:47], -v[88:89], v[172:173], v[46:47]
	v_fma_f64 v[44:45], -v[88:89], v[174:175], v[44:45]
	s_waitcnt lgkmcnt(9)
	v_fma_f64 v[42:43], -v[88:89], v[132:133], v[42:43]
	v_fma_f64 v[38:39], -v[88:89], v[134:135], v[38:39]
	s_waitcnt lgkmcnt(8)
	v_fma_f64 v[40:41], -v[88:89], v[136:137], v[40:41]
	v_fma_f64 v[34:35], -v[88:89], v[138:139], v[34:35]
	;; [unrolled: 3-line block ×10, first 2 shown]
.LBB114_267:
	s_or_b32 exec_lo, exec_lo, s0
	v_lshl_add_u32 v0, v131, 3, v128
	s_barrier
	buffer_gl0_inv
	v_mov_b32_e32 v122, 16
	ds_write_b64 v0, v[86:87]
	s_waitcnt lgkmcnt(0)
	s_barrier
	buffer_gl0_inv
	ds_read_b64 v[0:1], v128 offset:128
	s_cmp_lt_i32 s7, 18
	s_cbranch_scc1 .LBB114_270
; %bb.268:
	v_add3_u32 v123, v129, 0, 0x88
	v_mov_b32_e32 v122, 16
	s_mov_b32 s0, 17
.LBB114_269:                            ; =>This Inner Loop Header: Depth=1
	ds_read_b64 v[132:133], v123
	v_add_nc_u32_e32 v123, 8, v123
	s_waitcnt lgkmcnt(0)
	v_cmp_lt_f64_e64 vcc_lo, |v[0:1]|, |v[132:133]|
	v_cndmask_b32_e32 v1, v1, v133, vcc_lo
	v_cndmask_b32_e32 v0, v0, v132, vcc_lo
	v_cndmask_b32_e64 v122, v122, s0, vcc_lo
	s_add_i32 s0, s0, 1
	s_cmp_lg_u32 s7, s0
	s_cbranch_scc1 .LBB114_269
.LBB114_270:
	s_mov_b32 s0, exec_lo
	s_waitcnt lgkmcnt(0)
	v_cmpx_eq_f64_e32 0, v[0:1]
	s_xor_b32 s0, exec_lo, s0
; %bb.271:
	v_cmp_ne_u32_e32 vcc_lo, 0, v125
	v_cndmask_b32_e32 v125, 17, v125, vcc_lo
; %bb.272:
	s_andn2_saveexec_b32 s0, s0
	s_cbranch_execz .LBB114_274
; %bb.273:
	v_div_scale_f64 v[123:124], null, v[0:1], v[0:1], 1.0
	v_rcp_f64_e32 v[132:133], v[123:124]
	v_fma_f64 v[134:135], -v[123:124], v[132:133], 1.0
	v_fma_f64 v[132:133], v[132:133], v[134:135], v[132:133]
	v_fma_f64 v[134:135], -v[123:124], v[132:133], 1.0
	v_fma_f64 v[132:133], v[132:133], v[134:135], v[132:133]
	v_div_scale_f64 v[134:135], vcc_lo, 1.0, v[0:1], 1.0
	v_mul_f64 v[136:137], v[134:135], v[132:133]
	v_fma_f64 v[123:124], -v[123:124], v[136:137], v[134:135]
	v_div_fmas_f64 v[123:124], v[123:124], v[132:133], v[136:137]
	v_div_fixup_f64 v[0:1], v[123:124], v[0:1], 1.0
.LBB114_274:
	s_or_b32 exec_lo, exec_lo, s0
	s_mov_b32 s0, exec_lo
	v_cmpx_ne_u32_e64 v131, v122
	s_xor_b32 s0, exec_lo, s0
	s_cbranch_execz .LBB114_280
; %bb.275:
	s_mov_b32 s1, exec_lo
	v_cmpx_eq_u32_e32 16, v131
	s_cbranch_execz .LBB114_279
; %bb.276:
	v_cmp_ne_u32_e32 vcc_lo, 16, v122
	s_xor_b32 s2, s6, -1
	s_and_b32 s3, s2, vcc_lo
	s_and_saveexec_b32 s2, s3
	s_cbranch_execz .LBB114_278
; %bb.277:
	v_ashrrev_i32_e32 v123, 31, v122
	v_lshlrev_b64 v[123:124], 2, v[122:123]
	v_add_co_u32 v123, vcc_lo, v4, v123
	v_add_co_ci_u32_e64 v124, null, v5, v124, vcc_lo
	s_clause 0x1
	global_load_dword v130, v[123:124], off
	global_load_dword v131, v[4:5], off offset:64
	s_waitcnt vmcnt(1)
	global_store_dword v[4:5], v130, off offset:64
	s_waitcnt vmcnt(0)
	global_store_dword v[123:124], v131, off
.LBB114_278:
	s_or_b32 exec_lo, exec_lo, s2
	v_mov_b32_e32 v130, v122
	v_mov_b32_e32 v131, v122
.LBB114_279:
	s_or_b32 exec_lo, exec_lo, s1
.LBB114_280:
	s_andn2_saveexec_b32 s0, s0
	s_cbranch_execz .LBB114_282
; %bb.281:
	v_mov_b32_e32 v131, 16
	ds_write2_b64 v128, v[84:85], v[82:83] offset0:17 offset1:18
	ds_write2_b64 v128, v[78:79], v[80:81] offset0:19 offset1:20
	;; [unrolled: 1-line block ×20, first 2 shown]
	ds_write_b64 v128, v[120:121] offset:456
.LBB114_282:
	s_or_b32 exec_lo, exec_lo, s0
	s_mov_b32 s0, exec_lo
	s_waitcnt lgkmcnt(0)
	s_waitcnt_vscnt null, 0x0
	s_barrier
	buffer_gl0_inv
	v_cmpx_lt_i32_e32 16, v131
	s_cbranch_execz .LBB114_284
; %bb.283:
	v_mul_f64 v[86:87], v[0:1], v[86:87]
	ds_read2_b64 v[132:135], v128 offset0:17 offset1:18
	ds_read2_b64 v[136:139], v128 offset0:19 offset1:20
	;; [unrolled: 1-line block ×11, first 2 shown]
	ds_read_b64 v[0:1], v128 offset:456
	s_waitcnt lgkmcnt(11)
	v_fma_f64 v[84:85], -v[86:87], v[132:133], v[84:85]
	v_fma_f64 v[82:83], -v[86:87], v[134:135], v[82:83]
	s_waitcnt lgkmcnt(10)
	v_fma_f64 v[78:79], -v[86:87], v[136:137], v[78:79]
	v_fma_f64 v[80:81], -v[86:87], v[138:139], v[80:81]
	;; [unrolled: 3-line block ×6, first 2 shown]
	ds_read2_b64 v[132:135], v128 offset0:39 offset1:40
	ds_read2_b64 v[136:139], v128 offset0:41 offset1:42
	s_waitcnt lgkmcnt(7)
	v_fma_f64 v[58:59], -v[86:87], v[156:157], v[58:59]
	v_fma_f64 v[60:61], -v[86:87], v[158:159], v[60:61]
	ds_read2_b64 v[140:143], v128 offset0:43 offset1:44
	ds_read2_b64 v[144:147], v128 offset0:45 offset1:46
	s_waitcnt lgkmcnt(8)
	v_fma_f64 v[54:55], -v[86:87], v[160:161], v[54:55]
	v_fma_f64 v[56:57], -v[86:87], v[162:163], v[56:57]
	;; [unrolled: 5-line block ×3, first 2 shown]
	ds_read2_b64 v[156:159], v128 offset0:51 offset1:52
	ds_read2_b64 v[160:163], v128 offset0:53 offset1:54
	;; [unrolled: 1-line block ×3, first 2 shown]
	s_waitcnt lgkmcnt(11)
	v_fma_f64 v[48:49], -v[86:87], v[168:169], v[48:49]
	v_fma_f64 v[46:47], -v[86:87], v[170:171], v[46:47]
	s_waitcnt lgkmcnt(10)
	v_fma_f64 v[44:45], -v[86:87], v[172:173], v[44:45]
	v_fma_f64 v[42:43], -v[86:87], v[174:175], v[42:43]
	s_waitcnt lgkmcnt(9)
	v_fma_f64 v[120:121], -v[86:87], v[0:1], v[120:121]
	s_waitcnt lgkmcnt(8)
	v_fma_f64 v[38:39], -v[86:87], v[132:133], v[38:39]
	v_fma_f64 v[40:41], -v[86:87], v[134:135], v[40:41]
	s_waitcnt lgkmcnt(7)
	v_fma_f64 v[34:35], -v[86:87], v[136:137], v[34:35]
	;; [unrolled: 3-line block ×9, first 2 shown]
	v_fma_f64 v[10:11], -v[86:87], v[166:167], v[10:11]
.LBB114_284:
	s_or_b32 exec_lo, exec_lo, s0
	v_lshl_add_u32 v0, v131, 3, v128
	s_barrier
	buffer_gl0_inv
	v_mov_b32_e32 v122, 17
	ds_write_b64 v0, v[84:85]
	s_waitcnt lgkmcnt(0)
	s_barrier
	buffer_gl0_inv
	ds_read_b64 v[0:1], v128 offset:136
	s_cmp_lt_i32 s7, 19
	s_cbranch_scc1 .LBB114_287
; %bb.285:
	v_add3_u32 v123, v129, 0, 0x90
	v_mov_b32_e32 v122, 17
	s_mov_b32 s0, 18
.LBB114_286:                            ; =>This Inner Loop Header: Depth=1
	ds_read_b64 v[132:133], v123
	v_add_nc_u32_e32 v123, 8, v123
	s_waitcnt lgkmcnt(0)
	v_cmp_lt_f64_e64 vcc_lo, |v[0:1]|, |v[132:133]|
	v_cndmask_b32_e32 v1, v1, v133, vcc_lo
	v_cndmask_b32_e32 v0, v0, v132, vcc_lo
	v_cndmask_b32_e64 v122, v122, s0, vcc_lo
	s_add_i32 s0, s0, 1
	s_cmp_lg_u32 s7, s0
	s_cbranch_scc1 .LBB114_286
.LBB114_287:
	s_mov_b32 s0, exec_lo
	s_waitcnt lgkmcnt(0)
	v_cmpx_eq_f64_e32 0, v[0:1]
	s_xor_b32 s0, exec_lo, s0
; %bb.288:
	v_cmp_ne_u32_e32 vcc_lo, 0, v125
	v_cndmask_b32_e32 v125, 18, v125, vcc_lo
; %bb.289:
	s_andn2_saveexec_b32 s0, s0
	s_cbranch_execz .LBB114_291
; %bb.290:
	v_div_scale_f64 v[123:124], null, v[0:1], v[0:1], 1.0
	v_rcp_f64_e32 v[132:133], v[123:124]
	v_fma_f64 v[134:135], -v[123:124], v[132:133], 1.0
	v_fma_f64 v[132:133], v[132:133], v[134:135], v[132:133]
	v_fma_f64 v[134:135], -v[123:124], v[132:133], 1.0
	v_fma_f64 v[132:133], v[132:133], v[134:135], v[132:133]
	v_div_scale_f64 v[134:135], vcc_lo, 1.0, v[0:1], 1.0
	v_mul_f64 v[136:137], v[134:135], v[132:133]
	v_fma_f64 v[123:124], -v[123:124], v[136:137], v[134:135]
	v_div_fmas_f64 v[123:124], v[123:124], v[132:133], v[136:137]
	v_div_fixup_f64 v[0:1], v[123:124], v[0:1], 1.0
.LBB114_291:
	s_or_b32 exec_lo, exec_lo, s0
	s_mov_b32 s0, exec_lo
	v_cmpx_ne_u32_e64 v131, v122
	s_xor_b32 s0, exec_lo, s0
	s_cbranch_execz .LBB114_297
; %bb.292:
	s_mov_b32 s1, exec_lo
	v_cmpx_eq_u32_e32 17, v131
	s_cbranch_execz .LBB114_296
; %bb.293:
	v_cmp_ne_u32_e32 vcc_lo, 17, v122
	s_xor_b32 s2, s6, -1
	s_and_b32 s3, s2, vcc_lo
	s_and_saveexec_b32 s2, s3
	s_cbranch_execz .LBB114_295
; %bb.294:
	v_ashrrev_i32_e32 v123, 31, v122
	v_lshlrev_b64 v[123:124], 2, v[122:123]
	v_add_co_u32 v123, vcc_lo, v4, v123
	v_add_co_ci_u32_e64 v124, null, v5, v124, vcc_lo
	s_clause 0x1
	global_load_dword v130, v[123:124], off
	global_load_dword v131, v[4:5], off offset:68
	s_waitcnt vmcnt(1)
	global_store_dword v[4:5], v130, off offset:68
	s_waitcnt vmcnt(0)
	global_store_dword v[123:124], v131, off
.LBB114_295:
	s_or_b32 exec_lo, exec_lo, s2
	v_mov_b32_e32 v130, v122
	v_mov_b32_e32 v131, v122
.LBB114_296:
	s_or_b32 exec_lo, exec_lo, s1
.LBB114_297:
	s_andn2_saveexec_b32 s0, s0
	s_cbranch_execz .LBB114_299
; %bb.298:
	v_mov_b32_e32 v122, v82
	v_mov_b32_e32 v123, v83
	;; [unrolled: 1-line block ×8, first 2 shown]
	ds_write2_b64 v128, v[122:123], v[131:132] offset0:18 offset1:19
	v_mov_b32_e32 v122, v74
	v_mov_b32_e32 v123, v75
	v_mov_b32_e32 v131, v76
	v_mov_b32_e32 v132, v77
	v_mov_b32_e32 v137, v70
	v_mov_b32_e32 v138, v71
	v_mov_b32_e32 v139, v68
	v_mov_b32_e32 v140, v69
	v_mov_b32_e32 v141, v66
	v_mov_b32_e32 v142, v67
	v_mov_b32_e32 v143, v64
	v_mov_b32_e32 v144, v65
	v_mov_b32_e32 v145, v62
	v_mov_b32_e32 v146, v63
	v_mov_b32_e32 v147, v58
	v_mov_b32_e32 v148, v59
	ds_write2_b64 v128, v[133:134], v[122:123] offset0:20 offset1:21
	ds_write2_b64 v128, v[131:132], v[135:136] offset0:22 offset1:23
	ds_write2_b64 v128, v[137:138], v[139:140] offset0:24 offset1:25
	ds_write2_b64 v128, v[141:142], v[143:144] offset0:26 offset1:27
	ds_write2_b64 v128, v[145:146], v[147:148] offset0:28 offset1:29
	v_mov_b32_e32 v122, v60
	v_mov_b32_e32 v123, v61
	v_mov_b32_e32 v131, v54
	v_mov_b32_e32 v132, v55
	v_mov_b32_e32 v133, v56
	v_mov_b32_e32 v134, v57
	v_mov_b32_e32 v135, v52
	v_mov_b32_e32 v136, v53
	v_mov_b32_e32 v137, v50
	v_mov_b32_e32 v138, v51
	v_mov_b32_e32 v139, v48
	v_mov_b32_e32 v140, v49
	v_mov_b32_e32 v141, v46
	v_mov_b32_e32 v142, v47
	v_mov_b32_e32 v143, v44
	v_mov_b32_e32 v144, v45
	v_mov_b32_e32 v145, v42
	v_mov_b32_e32 v146, v43
	v_mov_b32_e32 v147, v38
	v_mov_b32_e32 v148, v39
	ds_write2_b64 v128, v[122:123], v[131:132] offset0:30 offset1:31
	ds_write2_b64 v128, v[133:134], v[135:136] offset0:32 offset1:33
	ds_write2_b64 v128, v[137:138], v[139:140] offset0:34 offset1:35
	ds_write2_b64 v128, v[141:142], v[143:144] offset0:36 offset1:37
	ds_write2_b64 v128, v[145:146], v[147:148] offset0:38 offset1:39
	v_mov_b32_e32 v122, v40
	v_mov_b32_e32 v123, v41
	v_mov_b32_e32 v131, v34
	v_mov_b32_e32 v132, v35
	;; [unrolled: 25-line block ×3, first 2 shown]
	v_mov_b32_e32 v131, 17
	v_mov_b32_e32 v134, v14
	v_mov_b32_e32 v135, v15
	v_mov_b32_e32 v136, v8
	v_mov_b32_e32 v137, v9
	v_mov_b32_e32 v138, v12
	v_mov_b32_e32 v139, v13
	v_mov_b32_e32 v140, v6
	v_mov_b32_e32 v141, v7
	v_mov_b32_e32 v142, v10
	v_mov_b32_e32 v143, v11
	ds_write2_b64 v128, v[122:123], v[132:133] offset0:50 offset1:51
	ds_write2_b64 v128, v[134:135], v[136:137] offset0:52 offset1:53
	;; [unrolled: 1-line block ×4, first 2 shown]
.LBB114_299:
	s_or_b32 exec_lo, exec_lo, s0
	s_mov_b32 s0, exec_lo
	s_waitcnt lgkmcnt(0)
	s_waitcnt_vscnt null, 0x0
	s_barrier
	buffer_gl0_inv
	v_cmpx_lt_i32_e32 17, v131
	s_cbranch_execz .LBB114_301
; %bb.300:
	v_mul_f64 v[84:85], v[0:1], v[84:85]
	ds_read2_b64 v[132:135], v128 offset0:18 offset1:19
	ds_read2_b64 v[136:139], v128 offset0:20 offset1:21
	;; [unrolled: 1-line block ×11, first 2 shown]
	s_waitcnt lgkmcnt(10)
	v_fma_f64 v[82:83], -v[84:85], v[132:133], v[82:83]
	v_fma_f64 v[78:79], -v[84:85], v[134:135], v[78:79]
	s_waitcnt lgkmcnt(9)
	v_fma_f64 v[80:81], -v[84:85], v[136:137], v[80:81]
	v_fma_f64 v[74:75], -v[84:85], v[138:139], v[74:75]
	;; [unrolled: 3-line block ×5, first 2 shown]
	s_waitcnt lgkmcnt(5)
	v_fma_f64 v[62:63], -v[84:85], v[152:153], v[62:63]
	ds_read2_b64 v[132:135], v128 offset0:40 offset1:41
	ds_read2_b64 v[136:139], v128 offset0:42 offset1:43
	v_fma_f64 v[58:59], -v[84:85], v[154:155], v[58:59]
	s_waitcnt lgkmcnt(6)
	v_fma_f64 v[60:61], -v[84:85], v[156:157], v[60:61]
	ds_read2_b64 v[140:143], v128 offset0:44 offset1:45
	ds_read2_b64 v[144:147], v128 offset0:46 offset1:47
	v_fma_f64 v[54:55], -v[84:85], v[158:159], v[54:55]
	;; [unrolled: 5-line block ×4, first 2 shown]
	ds_read2_b64 v[164:167], v128 offset0:56 offset1:57
	s_waitcnt lgkmcnt(10)
	v_fma_f64 v[46:47], -v[84:85], v[168:169], v[46:47]
	v_fma_f64 v[44:45], -v[84:85], v[170:171], v[44:45]
	s_waitcnt lgkmcnt(9)
	v_fma_f64 v[42:43], -v[84:85], v[172:173], v[42:43]
	v_fma_f64 v[38:39], -v[84:85], v[174:175], v[38:39]
	;; [unrolled: 3-line block ×11, first 2 shown]
.LBB114_301:
	s_or_b32 exec_lo, exec_lo, s0
	v_lshl_add_u32 v0, v131, 3, v128
	s_barrier
	buffer_gl0_inv
	v_mov_b32_e32 v122, 18
	ds_write_b64 v0, v[82:83]
	s_waitcnt lgkmcnt(0)
	s_barrier
	buffer_gl0_inv
	ds_read_b64 v[0:1], v128 offset:144
	s_cmp_lt_i32 s7, 20
	s_cbranch_scc1 .LBB114_304
; %bb.302:
	v_add3_u32 v123, v129, 0, 0x98
	v_mov_b32_e32 v122, 18
	s_mov_b32 s0, 19
.LBB114_303:                            ; =>This Inner Loop Header: Depth=1
	ds_read_b64 v[132:133], v123
	v_add_nc_u32_e32 v123, 8, v123
	s_waitcnt lgkmcnt(0)
	v_cmp_lt_f64_e64 vcc_lo, |v[0:1]|, |v[132:133]|
	v_cndmask_b32_e32 v1, v1, v133, vcc_lo
	v_cndmask_b32_e32 v0, v0, v132, vcc_lo
	v_cndmask_b32_e64 v122, v122, s0, vcc_lo
	s_add_i32 s0, s0, 1
	s_cmp_lg_u32 s7, s0
	s_cbranch_scc1 .LBB114_303
.LBB114_304:
	s_mov_b32 s0, exec_lo
	s_waitcnt lgkmcnt(0)
	v_cmpx_eq_f64_e32 0, v[0:1]
	s_xor_b32 s0, exec_lo, s0
; %bb.305:
	v_cmp_ne_u32_e32 vcc_lo, 0, v125
	v_cndmask_b32_e32 v125, 19, v125, vcc_lo
; %bb.306:
	s_andn2_saveexec_b32 s0, s0
	s_cbranch_execz .LBB114_308
; %bb.307:
	v_div_scale_f64 v[123:124], null, v[0:1], v[0:1], 1.0
	v_rcp_f64_e32 v[132:133], v[123:124]
	v_fma_f64 v[134:135], -v[123:124], v[132:133], 1.0
	v_fma_f64 v[132:133], v[132:133], v[134:135], v[132:133]
	v_fma_f64 v[134:135], -v[123:124], v[132:133], 1.0
	v_fma_f64 v[132:133], v[132:133], v[134:135], v[132:133]
	v_div_scale_f64 v[134:135], vcc_lo, 1.0, v[0:1], 1.0
	v_mul_f64 v[136:137], v[134:135], v[132:133]
	v_fma_f64 v[123:124], -v[123:124], v[136:137], v[134:135]
	v_div_fmas_f64 v[123:124], v[123:124], v[132:133], v[136:137]
	v_div_fixup_f64 v[0:1], v[123:124], v[0:1], 1.0
.LBB114_308:
	s_or_b32 exec_lo, exec_lo, s0
	s_mov_b32 s0, exec_lo
	v_cmpx_ne_u32_e64 v131, v122
	s_xor_b32 s0, exec_lo, s0
	s_cbranch_execz .LBB114_314
; %bb.309:
	s_mov_b32 s1, exec_lo
	v_cmpx_eq_u32_e32 18, v131
	s_cbranch_execz .LBB114_313
; %bb.310:
	v_cmp_ne_u32_e32 vcc_lo, 18, v122
	s_xor_b32 s2, s6, -1
	s_and_b32 s3, s2, vcc_lo
	s_and_saveexec_b32 s2, s3
	s_cbranch_execz .LBB114_312
; %bb.311:
	v_ashrrev_i32_e32 v123, 31, v122
	v_lshlrev_b64 v[123:124], 2, v[122:123]
	v_add_co_u32 v123, vcc_lo, v4, v123
	v_add_co_ci_u32_e64 v124, null, v5, v124, vcc_lo
	s_clause 0x1
	global_load_dword v130, v[123:124], off
	global_load_dword v131, v[4:5], off offset:72
	s_waitcnt vmcnt(1)
	global_store_dword v[4:5], v130, off offset:72
	s_waitcnt vmcnt(0)
	global_store_dword v[123:124], v131, off
.LBB114_312:
	s_or_b32 exec_lo, exec_lo, s2
	v_mov_b32_e32 v130, v122
	v_mov_b32_e32 v131, v122
.LBB114_313:
	s_or_b32 exec_lo, exec_lo, s1
.LBB114_314:
	s_andn2_saveexec_b32 s0, s0
	s_cbranch_execz .LBB114_316
; %bb.315:
	v_mov_b32_e32 v131, 18
	ds_write2_b64 v128, v[78:79], v[80:81] offset0:19 offset1:20
	ds_write2_b64 v128, v[74:75], v[76:77] offset0:21 offset1:22
	;; [unrolled: 1-line block ×19, first 2 shown]
	ds_write_b64 v128, v[120:121] offset:456
.LBB114_316:
	s_or_b32 exec_lo, exec_lo, s0
	s_mov_b32 s0, exec_lo
	s_waitcnt lgkmcnt(0)
	s_waitcnt_vscnt null, 0x0
	s_barrier
	buffer_gl0_inv
	v_cmpx_lt_i32_e32 18, v131
	s_cbranch_execz .LBB114_318
; %bb.317:
	v_mul_f64 v[82:83], v[0:1], v[82:83]
	ds_read2_b64 v[132:135], v128 offset0:19 offset1:20
	ds_read2_b64 v[136:139], v128 offset0:21 offset1:22
	;; [unrolled: 1-line block ×11, first 2 shown]
	ds_read_b64 v[0:1], v128 offset:456
	s_waitcnt lgkmcnt(11)
	v_fma_f64 v[78:79], -v[82:83], v[132:133], v[78:79]
	v_fma_f64 v[80:81], -v[82:83], v[134:135], v[80:81]
	s_waitcnt lgkmcnt(10)
	v_fma_f64 v[74:75], -v[82:83], v[136:137], v[74:75]
	v_fma_f64 v[76:77], -v[82:83], v[138:139], v[76:77]
	;; [unrolled: 3-line block ×5, first 2 shown]
	s_waitcnt lgkmcnt(6)
	v_fma_f64 v[58:59], -v[82:83], v[152:153], v[58:59]
	ds_read2_b64 v[132:135], v128 offset0:41 offset1:42
	ds_read2_b64 v[136:139], v128 offset0:43 offset1:44
	v_fma_f64 v[60:61], -v[82:83], v[154:155], v[60:61]
	s_waitcnt lgkmcnt(7)
	v_fma_f64 v[54:55], -v[82:83], v[156:157], v[54:55]
	ds_read2_b64 v[140:143], v128 offset0:45 offset1:46
	ds_read2_b64 v[144:147], v128 offset0:47 offset1:48
	v_fma_f64 v[56:57], -v[82:83], v[158:159], v[56:57]
	s_waitcnt lgkmcnt(8)
	v_fma_f64 v[52:53], -v[82:83], v[160:161], v[52:53]
	ds_read2_b64 v[148:151], v128 offset0:49 offset1:50
	ds_read2_b64 v[152:155], v128 offset0:51 offset1:52
	v_fma_f64 v[50:51], -v[82:83], v[162:163], v[50:51]
	ds_read2_b64 v[156:159], v128 offset0:53 offset1:54
	ds_read2_b64 v[160:163], v128 offset0:55 offset1:56
	s_waitcnt lgkmcnt(11)
	v_fma_f64 v[48:49], -v[82:83], v[164:165], v[48:49]
	v_fma_f64 v[46:47], -v[82:83], v[166:167], v[46:47]
	s_waitcnt lgkmcnt(10)
	v_fma_f64 v[44:45], -v[82:83], v[168:169], v[44:45]
	v_fma_f64 v[42:43], -v[82:83], v[170:171], v[42:43]
	;; [unrolled: 3-line block ×3, first 2 shown]
	s_waitcnt lgkmcnt(8)
	v_fma_f64 v[120:121], -v[82:83], v[0:1], v[120:121]
	s_waitcnt lgkmcnt(7)
	v_fma_f64 v[34:35], -v[82:83], v[132:133], v[34:35]
	v_fma_f64 v[36:37], -v[82:83], v[134:135], v[36:37]
	s_waitcnt lgkmcnt(6)
	v_fma_f64 v[32:33], -v[82:83], v[136:137], v[32:33]
	;; [unrolled: 3-line block ×8, first 2 shown]
	v_fma_f64 v[10:11], -v[82:83], v[162:163], v[10:11]
.LBB114_318:
	s_or_b32 exec_lo, exec_lo, s0
	v_lshl_add_u32 v0, v131, 3, v128
	s_barrier
	buffer_gl0_inv
	v_mov_b32_e32 v122, 19
	ds_write_b64 v0, v[78:79]
	s_waitcnt lgkmcnt(0)
	s_barrier
	buffer_gl0_inv
	ds_read_b64 v[0:1], v128 offset:152
	s_cmp_lt_i32 s7, 21
	s_cbranch_scc1 .LBB114_321
; %bb.319:
	v_add3_u32 v123, v129, 0, 0xa0
	v_mov_b32_e32 v122, 19
	s_mov_b32 s0, 20
.LBB114_320:                            ; =>This Inner Loop Header: Depth=1
	ds_read_b64 v[132:133], v123
	v_add_nc_u32_e32 v123, 8, v123
	s_waitcnt lgkmcnt(0)
	v_cmp_lt_f64_e64 vcc_lo, |v[0:1]|, |v[132:133]|
	v_cndmask_b32_e32 v1, v1, v133, vcc_lo
	v_cndmask_b32_e32 v0, v0, v132, vcc_lo
	v_cndmask_b32_e64 v122, v122, s0, vcc_lo
	s_add_i32 s0, s0, 1
	s_cmp_lg_u32 s7, s0
	s_cbranch_scc1 .LBB114_320
.LBB114_321:
	s_mov_b32 s0, exec_lo
	s_waitcnt lgkmcnt(0)
	v_cmpx_eq_f64_e32 0, v[0:1]
	s_xor_b32 s0, exec_lo, s0
; %bb.322:
	v_cmp_ne_u32_e32 vcc_lo, 0, v125
	v_cndmask_b32_e32 v125, 20, v125, vcc_lo
; %bb.323:
	s_andn2_saveexec_b32 s0, s0
	s_cbranch_execz .LBB114_325
; %bb.324:
	v_div_scale_f64 v[123:124], null, v[0:1], v[0:1], 1.0
	v_rcp_f64_e32 v[132:133], v[123:124]
	v_fma_f64 v[134:135], -v[123:124], v[132:133], 1.0
	v_fma_f64 v[132:133], v[132:133], v[134:135], v[132:133]
	v_fma_f64 v[134:135], -v[123:124], v[132:133], 1.0
	v_fma_f64 v[132:133], v[132:133], v[134:135], v[132:133]
	v_div_scale_f64 v[134:135], vcc_lo, 1.0, v[0:1], 1.0
	v_mul_f64 v[136:137], v[134:135], v[132:133]
	v_fma_f64 v[123:124], -v[123:124], v[136:137], v[134:135]
	v_div_fmas_f64 v[123:124], v[123:124], v[132:133], v[136:137]
	v_div_fixup_f64 v[0:1], v[123:124], v[0:1], 1.0
.LBB114_325:
	s_or_b32 exec_lo, exec_lo, s0
	s_mov_b32 s0, exec_lo
	v_cmpx_ne_u32_e64 v131, v122
	s_xor_b32 s0, exec_lo, s0
	s_cbranch_execz .LBB114_331
; %bb.326:
	s_mov_b32 s1, exec_lo
	v_cmpx_eq_u32_e32 19, v131
	s_cbranch_execz .LBB114_330
; %bb.327:
	v_cmp_ne_u32_e32 vcc_lo, 19, v122
	s_xor_b32 s2, s6, -1
	s_and_b32 s3, s2, vcc_lo
	s_and_saveexec_b32 s2, s3
	s_cbranch_execz .LBB114_329
; %bb.328:
	v_ashrrev_i32_e32 v123, 31, v122
	v_lshlrev_b64 v[123:124], 2, v[122:123]
	v_add_co_u32 v123, vcc_lo, v4, v123
	v_add_co_ci_u32_e64 v124, null, v5, v124, vcc_lo
	s_clause 0x1
	global_load_dword v130, v[123:124], off
	global_load_dword v131, v[4:5], off offset:76
	s_waitcnt vmcnt(1)
	global_store_dword v[4:5], v130, off offset:76
	s_waitcnt vmcnt(0)
	global_store_dword v[123:124], v131, off
.LBB114_329:
	s_or_b32 exec_lo, exec_lo, s2
	v_mov_b32_e32 v130, v122
	v_mov_b32_e32 v131, v122
.LBB114_330:
	s_or_b32 exec_lo, exec_lo, s1
.LBB114_331:
	s_andn2_saveexec_b32 s0, s0
	s_cbranch_execz .LBB114_333
; %bb.332:
	v_mov_b32_e32 v122, v80
	v_mov_b32_e32 v123, v81
	v_mov_b32_e32 v131, v74
	v_mov_b32_e32 v132, v75
	v_mov_b32_e32 v133, v76
	v_mov_b32_e32 v134, v77
	v_mov_b32_e32 v135, v72
	v_mov_b32_e32 v136, v73
	v_mov_b32_e32 v137, v70
	v_mov_b32_e32 v138, v71
	v_mov_b32_e32 v139, v68
	v_mov_b32_e32 v140, v69
	v_mov_b32_e32 v141, v66
	v_mov_b32_e32 v142, v67
	v_mov_b32_e32 v143, v64
	v_mov_b32_e32 v144, v65
	v_mov_b32_e32 v145, v62
	v_mov_b32_e32 v146, v63
	v_mov_b32_e32 v147, v58
	v_mov_b32_e32 v148, v59
	ds_write2_b64 v128, v[122:123], v[131:132] offset0:20 offset1:21
	ds_write2_b64 v128, v[133:134], v[135:136] offset0:22 offset1:23
	ds_write2_b64 v128, v[137:138], v[139:140] offset0:24 offset1:25
	ds_write2_b64 v128, v[141:142], v[143:144] offset0:26 offset1:27
	ds_write2_b64 v128, v[145:146], v[147:148] offset0:28 offset1:29
	v_mov_b32_e32 v122, v60
	v_mov_b32_e32 v123, v61
	v_mov_b32_e32 v131, v54
	v_mov_b32_e32 v132, v55
	v_mov_b32_e32 v133, v56
	v_mov_b32_e32 v134, v57
	v_mov_b32_e32 v135, v52
	v_mov_b32_e32 v136, v53
	v_mov_b32_e32 v137, v50
	v_mov_b32_e32 v138, v51
	v_mov_b32_e32 v139, v48
	v_mov_b32_e32 v140, v49
	v_mov_b32_e32 v141, v46
	v_mov_b32_e32 v142, v47
	v_mov_b32_e32 v143, v44
	v_mov_b32_e32 v144, v45
	v_mov_b32_e32 v145, v42
	v_mov_b32_e32 v146, v43
	v_mov_b32_e32 v147, v38
	v_mov_b32_e32 v148, v39
	ds_write2_b64 v128, v[122:123], v[131:132] offset0:30 offset1:31
	ds_write2_b64 v128, v[133:134], v[135:136] offset0:32 offset1:33
	ds_write2_b64 v128, v[137:138], v[139:140] offset0:34 offset1:35
	ds_write2_b64 v128, v[141:142], v[143:144] offset0:36 offset1:37
	ds_write2_b64 v128, v[145:146], v[147:148] offset0:38 offset1:39
	;; [unrolled: 25-line block ×3, first 2 shown]
	v_mov_b32_e32 v122, v20
	v_mov_b32_e32 v123, v21
	;; [unrolled: 1-line block ×15, first 2 shown]
	ds_write2_b64 v128, v[122:123], v[132:133] offset0:50 offset1:51
	ds_write2_b64 v128, v[134:135], v[136:137] offset0:52 offset1:53
	;; [unrolled: 1-line block ×4, first 2 shown]
.LBB114_333:
	s_or_b32 exec_lo, exec_lo, s0
	s_mov_b32 s0, exec_lo
	s_waitcnt lgkmcnt(0)
	s_waitcnt_vscnt null, 0x0
	s_barrier
	buffer_gl0_inv
	v_cmpx_lt_i32_e32 19, v131
	s_cbranch_execz .LBB114_335
; %bb.334:
	v_mul_f64 v[78:79], v[0:1], v[78:79]
	ds_read2_b64 v[132:135], v128 offset0:20 offset1:21
	ds_read2_b64 v[136:139], v128 offset0:22 offset1:23
	ds_read2_b64 v[140:143], v128 offset0:24 offset1:25
	ds_read2_b64 v[144:147], v128 offset0:26 offset1:27
	ds_read2_b64 v[148:151], v128 offset0:28 offset1:29
	ds_read2_b64 v[152:155], v128 offset0:30 offset1:31
	ds_read2_b64 v[156:159], v128 offset0:32 offset1:33
	ds_read2_b64 v[160:163], v128 offset0:34 offset1:35
	ds_read2_b64 v[164:167], v128 offset0:36 offset1:37
	ds_read2_b64 v[168:171], v128 offset0:38 offset1:39
	ds_read2_b64 v[172:175], v128 offset0:40 offset1:41
	ds_read2_b64 v[176:179], v128 offset0:42 offset1:43
	s_waitcnt lgkmcnt(11)
	v_fma_f64 v[80:81], -v[78:79], v[132:133], v[80:81]
	v_fma_f64 v[74:75], -v[78:79], v[134:135], v[74:75]
	s_waitcnt lgkmcnt(10)
	v_fma_f64 v[76:77], -v[78:79], v[136:137], v[76:77]
	v_fma_f64 v[72:73], -v[78:79], v[138:139], v[72:73]
	;; [unrolled: 3-line block ×5, first 2 shown]
	s_waitcnt lgkmcnt(6)
	v_fma_f64 v[60:61], -v[78:79], v[152:153], v[60:61]
	ds_read2_b64 v[132:135], v128 offset0:44 offset1:45
	ds_read2_b64 v[136:139], v128 offset0:46 offset1:47
	v_fma_f64 v[54:55], -v[78:79], v[154:155], v[54:55]
	s_waitcnt lgkmcnt(7)
	v_fma_f64 v[56:57], -v[78:79], v[156:157], v[56:57]
	ds_read2_b64 v[140:143], v128 offset0:48 offset1:49
	ds_read2_b64 v[144:147], v128 offset0:50 offset1:51
	v_fma_f64 v[52:53], -v[78:79], v[158:159], v[52:53]
	ds_read2_b64 v[148:151], v128 offset0:52 offset1:53
	ds_read2_b64 v[152:155], v128 offset0:54 offset1:55
	;; [unrolled: 1-line block ×3, first 2 shown]
	s_waitcnt lgkmcnt(11)
	v_fma_f64 v[50:51], -v[78:79], v[160:161], v[50:51]
	v_fma_f64 v[48:49], -v[78:79], v[162:163], v[48:49]
	s_waitcnt lgkmcnt(10)
	v_fma_f64 v[46:47], -v[78:79], v[164:165], v[46:47]
	v_fma_f64 v[44:45], -v[78:79], v[166:167], v[44:45]
	;; [unrolled: 3-line block ×12, first 2 shown]
.LBB114_335:
	s_or_b32 exec_lo, exec_lo, s0
	v_lshl_add_u32 v0, v131, 3, v128
	s_barrier
	buffer_gl0_inv
	v_mov_b32_e32 v122, 20
	ds_write_b64 v0, v[80:81]
	s_waitcnt lgkmcnt(0)
	s_barrier
	buffer_gl0_inv
	ds_read_b64 v[0:1], v128 offset:160
	s_cmp_lt_i32 s7, 22
	s_cbranch_scc1 .LBB114_338
; %bb.336:
	v_add3_u32 v123, v129, 0, 0xa8
	v_mov_b32_e32 v122, 20
	s_mov_b32 s0, 21
.LBB114_337:                            ; =>This Inner Loop Header: Depth=1
	ds_read_b64 v[132:133], v123
	v_add_nc_u32_e32 v123, 8, v123
	s_waitcnt lgkmcnt(0)
	v_cmp_lt_f64_e64 vcc_lo, |v[0:1]|, |v[132:133]|
	v_cndmask_b32_e32 v1, v1, v133, vcc_lo
	v_cndmask_b32_e32 v0, v0, v132, vcc_lo
	v_cndmask_b32_e64 v122, v122, s0, vcc_lo
	s_add_i32 s0, s0, 1
	s_cmp_lg_u32 s7, s0
	s_cbranch_scc1 .LBB114_337
.LBB114_338:
	s_mov_b32 s0, exec_lo
	s_waitcnt lgkmcnt(0)
	v_cmpx_eq_f64_e32 0, v[0:1]
	s_xor_b32 s0, exec_lo, s0
; %bb.339:
	v_cmp_ne_u32_e32 vcc_lo, 0, v125
	v_cndmask_b32_e32 v125, 21, v125, vcc_lo
; %bb.340:
	s_andn2_saveexec_b32 s0, s0
	s_cbranch_execz .LBB114_342
; %bb.341:
	v_div_scale_f64 v[123:124], null, v[0:1], v[0:1], 1.0
	v_rcp_f64_e32 v[132:133], v[123:124]
	v_fma_f64 v[134:135], -v[123:124], v[132:133], 1.0
	v_fma_f64 v[132:133], v[132:133], v[134:135], v[132:133]
	v_fma_f64 v[134:135], -v[123:124], v[132:133], 1.0
	v_fma_f64 v[132:133], v[132:133], v[134:135], v[132:133]
	v_div_scale_f64 v[134:135], vcc_lo, 1.0, v[0:1], 1.0
	v_mul_f64 v[136:137], v[134:135], v[132:133]
	v_fma_f64 v[123:124], -v[123:124], v[136:137], v[134:135]
	v_div_fmas_f64 v[123:124], v[123:124], v[132:133], v[136:137]
	v_div_fixup_f64 v[0:1], v[123:124], v[0:1], 1.0
.LBB114_342:
	s_or_b32 exec_lo, exec_lo, s0
	s_mov_b32 s0, exec_lo
	v_cmpx_ne_u32_e64 v131, v122
	s_xor_b32 s0, exec_lo, s0
	s_cbranch_execz .LBB114_348
; %bb.343:
	s_mov_b32 s1, exec_lo
	v_cmpx_eq_u32_e32 20, v131
	s_cbranch_execz .LBB114_347
; %bb.344:
	v_cmp_ne_u32_e32 vcc_lo, 20, v122
	s_xor_b32 s2, s6, -1
	s_and_b32 s3, s2, vcc_lo
	s_and_saveexec_b32 s2, s3
	s_cbranch_execz .LBB114_346
; %bb.345:
	v_ashrrev_i32_e32 v123, 31, v122
	v_lshlrev_b64 v[123:124], 2, v[122:123]
	v_add_co_u32 v123, vcc_lo, v4, v123
	v_add_co_ci_u32_e64 v124, null, v5, v124, vcc_lo
	s_clause 0x1
	global_load_dword v130, v[123:124], off
	global_load_dword v131, v[4:5], off offset:80
	s_waitcnt vmcnt(1)
	global_store_dword v[4:5], v130, off offset:80
	s_waitcnt vmcnt(0)
	global_store_dword v[123:124], v131, off
.LBB114_346:
	s_or_b32 exec_lo, exec_lo, s2
	v_mov_b32_e32 v130, v122
	v_mov_b32_e32 v131, v122
.LBB114_347:
	s_or_b32 exec_lo, exec_lo, s1
.LBB114_348:
	s_andn2_saveexec_b32 s0, s0
	s_cbranch_execz .LBB114_350
; %bb.349:
	v_mov_b32_e32 v131, 20
	ds_write2_b64 v128, v[74:75], v[76:77] offset0:21 offset1:22
	ds_write2_b64 v128, v[72:73], v[70:71] offset0:23 offset1:24
	;; [unrolled: 1-line block ×18, first 2 shown]
	ds_write_b64 v128, v[120:121] offset:456
.LBB114_350:
	s_or_b32 exec_lo, exec_lo, s0
	s_mov_b32 s0, exec_lo
	s_waitcnt lgkmcnt(0)
	s_waitcnt_vscnt null, 0x0
	s_barrier
	buffer_gl0_inv
	v_cmpx_lt_i32_e32 20, v131
	s_cbranch_execz .LBB114_352
; %bb.351:
	v_mul_f64 v[80:81], v[0:1], v[80:81]
	ds_read2_b64 v[132:135], v128 offset0:21 offset1:22
	ds_read2_b64 v[136:139], v128 offset0:23 offset1:24
	;; [unrolled: 1-line block ×12, first 2 shown]
	ds_read_b64 v[0:1], v128 offset:456
	s_waitcnt lgkmcnt(12)
	v_fma_f64 v[74:75], -v[80:81], v[132:133], v[74:75]
	v_fma_f64 v[76:77], -v[80:81], v[134:135], v[76:77]
	s_waitcnt lgkmcnt(11)
	v_fma_f64 v[72:73], -v[80:81], v[136:137], v[72:73]
	v_fma_f64 v[70:71], -v[80:81], v[138:139], v[70:71]
	;; [unrolled: 3-line block ×5, first 2 shown]
	s_waitcnt lgkmcnt(7)
	v_fma_f64 v[54:55], -v[80:81], v[152:153], v[54:55]
	ds_read2_b64 v[132:135], v128 offset0:45 offset1:46
	ds_read2_b64 v[136:139], v128 offset0:47 offset1:48
	v_fma_f64 v[56:57], -v[80:81], v[154:155], v[56:57]
	ds_read2_b64 v[140:143], v128 offset0:49 offset1:50
	ds_read2_b64 v[144:147], v128 offset0:51 offset1:52
	;; [unrolled: 1-line block ×4, first 2 shown]
	s_waitcnt lgkmcnt(12)
	v_fma_f64 v[52:53], -v[80:81], v[156:157], v[52:53]
	v_fma_f64 v[50:51], -v[80:81], v[158:159], v[50:51]
	s_waitcnt lgkmcnt(11)
	v_fma_f64 v[48:49], -v[80:81], v[160:161], v[48:49]
	v_fma_f64 v[46:47], -v[80:81], v[162:163], v[46:47]
	;; [unrolled: 3-line block ×6, first 2 shown]
	s_waitcnt lgkmcnt(6)
	v_fma_f64 v[120:121], -v[80:81], v[0:1], v[120:121]
	s_waitcnt lgkmcnt(5)
	v_fma_f64 v[28:29], -v[80:81], v[132:133], v[28:29]
	v_fma_f64 v[26:27], -v[80:81], v[134:135], v[26:27]
	s_waitcnt lgkmcnt(4)
	v_fma_f64 v[24:25], -v[80:81], v[136:137], v[24:25]
	v_fma_f64 v[22:23], -v[80:81], v[138:139], v[22:23]
	s_waitcnt lgkmcnt(3)
	v_fma_f64 v[18:19], -v[80:81], v[140:141], v[18:19]
	v_fma_f64 v[20:21], -v[80:81], v[142:143], v[20:21]
	s_waitcnt lgkmcnt(2)
	v_fma_f64 v[16:17], -v[80:81], v[144:145], v[16:17]
	v_fma_f64 v[14:15], -v[80:81], v[146:147], v[14:15]
	s_waitcnt lgkmcnt(1)
	v_fma_f64 v[8:9], -v[80:81], v[148:149], v[8:9]
	v_fma_f64 v[12:13], -v[80:81], v[150:151], v[12:13]
	s_waitcnt lgkmcnt(0)
	v_fma_f64 v[6:7], -v[80:81], v[152:153], v[6:7]
	v_fma_f64 v[10:11], -v[80:81], v[154:155], v[10:11]
.LBB114_352:
	s_or_b32 exec_lo, exec_lo, s0
	v_lshl_add_u32 v0, v131, 3, v128
	s_barrier
	buffer_gl0_inv
	v_mov_b32_e32 v122, 21
	ds_write_b64 v0, v[74:75]
	s_waitcnt lgkmcnt(0)
	s_barrier
	buffer_gl0_inv
	ds_read_b64 v[0:1], v128 offset:168
	s_cmp_lt_i32 s7, 23
	s_cbranch_scc1 .LBB114_355
; %bb.353:
	v_add3_u32 v123, v129, 0, 0xb0
	v_mov_b32_e32 v122, 21
	s_mov_b32 s0, 22
.LBB114_354:                            ; =>This Inner Loop Header: Depth=1
	ds_read_b64 v[132:133], v123
	v_add_nc_u32_e32 v123, 8, v123
	s_waitcnt lgkmcnt(0)
	v_cmp_lt_f64_e64 vcc_lo, |v[0:1]|, |v[132:133]|
	v_cndmask_b32_e32 v1, v1, v133, vcc_lo
	v_cndmask_b32_e32 v0, v0, v132, vcc_lo
	v_cndmask_b32_e64 v122, v122, s0, vcc_lo
	s_add_i32 s0, s0, 1
	s_cmp_lg_u32 s7, s0
	s_cbranch_scc1 .LBB114_354
.LBB114_355:
	s_mov_b32 s0, exec_lo
	s_waitcnt lgkmcnt(0)
	v_cmpx_eq_f64_e32 0, v[0:1]
	s_xor_b32 s0, exec_lo, s0
; %bb.356:
	v_cmp_ne_u32_e32 vcc_lo, 0, v125
	v_cndmask_b32_e32 v125, 22, v125, vcc_lo
; %bb.357:
	s_andn2_saveexec_b32 s0, s0
	s_cbranch_execz .LBB114_359
; %bb.358:
	v_div_scale_f64 v[123:124], null, v[0:1], v[0:1], 1.0
	v_rcp_f64_e32 v[132:133], v[123:124]
	v_fma_f64 v[134:135], -v[123:124], v[132:133], 1.0
	v_fma_f64 v[132:133], v[132:133], v[134:135], v[132:133]
	v_fma_f64 v[134:135], -v[123:124], v[132:133], 1.0
	v_fma_f64 v[132:133], v[132:133], v[134:135], v[132:133]
	v_div_scale_f64 v[134:135], vcc_lo, 1.0, v[0:1], 1.0
	v_mul_f64 v[136:137], v[134:135], v[132:133]
	v_fma_f64 v[123:124], -v[123:124], v[136:137], v[134:135]
	v_div_fmas_f64 v[123:124], v[123:124], v[132:133], v[136:137]
	v_div_fixup_f64 v[0:1], v[123:124], v[0:1], 1.0
.LBB114_359:
	s_or_b32 exec_lo, exec_lo, s0
	s_mov_b32 s0, exec_lo
	v_cmpx_ne_u32_e64 v131, v122
	s_xor_b32 s0, exec_lo, s0
	s_cbranch_execz .LBB114_365
; %bb.360:
	s_mov_b32 s1, exec_lo
	v_cmpx_eq_u32_e32 21, v131
	s_cbranch_execz .LBB114_364
; %bb.361:
	v_cmp_ne_u32_e32 vcc_lo, 21, v122
	s_xor_b32 s2, s6, -1
	s_and_b32 s3, s2, vcc_lo
	s_and_saveexec_b32 s2, s3
	s_cbranch_execz .LBB114_363
; %bb.362:
	v_ashrrev_i32_e32 v123, 31, v122
	v_lshlrev_b64 v[123:124], 2, v[122:123]
	v_add_co_u32 v123, vcc_lo, v4, v123
	v_add_co_ci_u32_e64 v124, null, v5, v124, vcc_lo
	s_clause 0x1
	global_load_dword v130, v[123:124], off
	global_load_dword v131, v[4:5], off offset:84
	s_waitcnt vmcnt(1)
	global_store_dword v[4:5], v130, off offset:84
	s_waitcnt vmcnt(0)
	global_store_dword v[123:124], v131, off
.LBB114_363:
	s_or_b32 exec_lo, exec_lo, s2
	v_mov_b32_e32 v130, v122
	v_mov_b32_e32 v131, v122
.LBB114_364:
	s_or_b32 exec_lo, exec_lo, s1
.LBB114_365:
	s_andn2_saveexec_b32 s0, s0
	s_cbranch_execz .LBB114_367
; %bb.366:
	v_mov_b32_e32 v122, v76
	v_mov_b32_e32 v123, v77
	;; [unrolled: 1-line block ×16, first 2 shown]
	ds_write2_b64 v128, v[122:123], v[131:132] offset0:22 offset1:23
	ds_write2_b64 v128, v[133:134], v[135:136] offset0:24 offset1:25
	;; [unrolled: 1-line block ×4, first 2 shown]
	v_mov_b32_e32 v122, v60
	v_mov_b32_e32 v123, v61
	v_mov_b32_e32 v131, v54
	v_mov_b32_e32 v132, v55
	v_mov_b32_e32 v133, v56
	v_mov_b32_e32 v134, v57
	v_mov_b32_e32 v135, v52
	v_mov_b32_e32 v136, v53
	v_mov_b32_e32 v137, v50
	v_mov_b32_e32 v138, v51
	v_mov_b32_e32 v139, v48
	v_mov_b32_e32 v140, v49
	v_mov_b32_e32 v141, v46
	v_mov_b32_e32 v142, v47
	v_mov_b32_e32 v143, v44
	v_mov_b32_e32 v144, v45
	v_mov_b32_e32 v145, v42
	v_mov_b32_e32 v146, v43
	v_mov_b32_e32 v147, v38
	v_mov_b32_e32 v148, v39
	ds_write2_b64 v128, v[122:123], v[131:132] offset0:30 offset1:31
	ds_write2_b64 v128, v[133:134], v[135:136] offset0:32 offset1:33
	;; [unrolled: 1-line block ×5, first 2 shown]
	v_mov_b32_e32 v122, v40
	v_mov_b32_e32 v123, v41
	;; [unrolled: 1-line block ×20, first 2 shown]
	ds_write2_b64 v128, v[122:123], v[131:132] offset0:40 offset1:41
	ds_write2_b64 v128, v[133:134], v[135:136] offset0:42 offset1:43
	;; [unrolled: 1-line block ×5, first 2 shown]
	v_mov_b32_e32 v122, v20
	v_mov_b32_e32 v123, v21
	;; [unrolled: 1-line block ×15, first 2 shown]
	ds_write2_b64 v128, v[122:123], v[132:133] offset0:50 offset1:51
	ds_write2_b64 v128, v[134:135], v[136:137] offset0:52 offset1:53
	;; [unrolled: 1-line block ×4, first 2 shown]
.LBB114_367:
	s_or_b32 exec_lo, exec_lo, s0
	s_mov_b32 s0, exec_lo
	s_waitcnt lgkmcnt(0)
	s_waitcnt_vscnt null, 0x0
	s_barrier
	buffer_gl0_inv
	v_cmpx_lt_i32_e32 21, v131
	s_cbranch_execz .LBB114_369
; %bb.368:
	v_mul_f64 v[74:75], v[0:1], v[74:75]
	ds_read2_b64 v[132:135], v128 offset0:22 offset1:23
	ds_read2_b64 v[136:139], v128 offset0:24 offset1:25
	;; [unrolled: 1-line block ×12, first 2 shown]
	s_waitcnt lgkmcnt(11)
	v_fma_f64 v[76:77], -v[74:75], v[132:133], v[76:77]
	v_fma_f64 v[72:73], -v[74:75], v[134:135], v[72:73]
	s_waitcnt lgkmcnt(10)
	v_fma_f64 v[70:71], -v[74:75], v[136:137], v[70:71]
	v_fma_f64 v[68:69], -v[74:75], v[138:139], v[68:69]
	;; [unrolled: 3-line block ×5, first 2 shown]
	ds_read2_b64 v[132:135], v128 offset0:46 offset1:47
	ds_read2_b64 v[136:139], v128 offset0:48 offset1:49
	s_waitcnt lgkmcnt(8)
	v_fma_f64 v[56:57], -v[74:75], v[152:153], v[56:57]
	v_fma_f64 v[52:53], -v[74:75], v[154:155], v[52:53]
	ds_read2_b64 v[140:143], v128 offset0:50 offset1:51
	ds_read2_b64 v[144:147], v128 offset0:52 offset1:53
	;; [unrolled: 1-line block ×4, first 2 shown]
	s_waitcnt lgkmcnt(11)
	v_fma_f64 v[50:51], -v[74:75], v[156:157], v[50:51]
	v_fma_f64 v[48:49], -v[74:75], v[158:159], v[48:49]
	s_waitcnt lgkmcnt(10)
	v_fma_f64 v[46:47], -v[74:75], v[160:161], v[46:47]
	v_fma_f64 v[44:45], -v[74:75], v[162:163], v[44:45]
	;; [unrolled: 3-line block ×12, first 2 shown]
.LBB114_369:
	s_or_b32 exec_lo, exec_lo, s0
	v_lshl_add_u32 v0, v131, 3, v128
	s_barrier
	buffer_gl0_inv
	v_mov_b32_e32 v122, 22
	ds_write_b64 v0, v[76:77]
	s_waitcnt lgkmcnt(0)
	s_barrier
	buffer_gl0_inv
	ds_read_b64 v[0:1], v128 offset:176
	s_cmp_lt_i32 s7, 24
	s_cbranch_scc1 .LBB114_372
; %bb.370:
	v_add3_u32 v123, v129, 0, 0xb8
	v_mov_b32_e32 v122, 22
	s_mov_b32 s0, 23
.LBB114_371:                            ; =>This Inner Loop Header: Depth=1
	ds_read_b64 v[132:133], v123
	v_add_nc_u32_e32 v123, 8, v123
	s_waitcnt lgkmcnt(0)
	v_cmp_lt_f64_e64 vcc_lo, |v[0:1]|, |v[132:133]|
	v_cndmask_b32_e32 v1, v1, v133, vcc_lo
	v_cndmask_b32_e32 v0, v0, v132, vcc_lo
	v_cndmask_b32_e64 v122, v122, s0, vcc_lo
	s_add_i32 s0, s0, 1
	s_cmp_lg_u32 s7, s0
	s_cbranch_scc1 .LBB114_371
.LBB114_372:
	s_mov_b32 s0, exec_lo
	s_waitcnt lgkmcnt(0)
	v_cmpx_eq_f64_e32 0, v[0:1]
	s_xor_b32 s0, exec_lo, s0
; %bb.373:
	v_cmp_ne_u32_e32 vcc_lo, 0, v125
	v_cndmask_b32_e32 v125, 23, v125, vcc_lo
; %bb.374:
	s_andn2_saveexec_b32 s0, s0
	s_cbranch_execz .LBB114_376
; %bb.375:
	v_div_scale_f64 v[123:124], null, v[0:1], v[0:1], 1.0
	v_rcp_f64_e32 v[132:133], v[123:124]
	v_fma_f64 v[134:135], -v[123:124], v[132:133], 1.0
	v_fma_f64 v[132:133], v[132:133], v[134:135], v[132:133]
	v_fma_f64 v[134:135], -v[123:124], v[132:133], 1.0
	v_fma_f64 v[132:133], v[132:133], v[134:135], v[132:133]
	v_div_scale_f64 v[134:135], vcc_lo, 1.0, v[0:1], 1.0
	v_mul_f64 v[136:137], v[134:135], v[132:133]
	v_fma_f64 v[123:124], -v[123:124], v[136:137], v[134:135]
	v_div_fmas_f64 v[123:124], v[123:124], v[132:133], v[136:137]
	v_div_fixup_f64 v[0:1], v[123:124], v[0:1], 1.0
.LBB114_376:
	s_or_b32 exec_lo, exec_lo, s0
	s_mov_b32 s0, exec_lo
	v_cmpx_ne_u32_e64 v131, v122
	s_xor_b32 s0, exec_lo, s0
	s_cbranch_execz .LBB114_382
; %bb.377:
	s_mov_b32 s1, exec_lo
	v_cmpx_eq_u32_e32 22, v131
	s_cbranch_execz .LBB114_381
; %bb.378:
	v_cmp_ne_u32_e32 vcc_lo, 22, v122
	s_xor_b32 s2, s6, -1
	s_and_b32 s3, s2, vcc_lo
	s_and_saveexec_b32 s2, s3
	s_cbranch_execz .LBB114_380
; %bb.379:
	v_ashrrev_i32_e32 v123, 31, v122
	v_lshlrev_b64 v[123:124], 2, v[122:123]
	v_add_co_u32 v123, vcc_lo, v4, v123
	v_add_co_ci_u32_e64 v124, null, v5, v124, vcc_lo
	s_clause 0x1
	global_load_dword v130, v[123:124], off
	global_load_dword v131, v[4:5], off offset:88
	s_waitcnt vmcnt(1)
	global_store_dword v[4:5], v130, off offset:88
	s_waitcnt vmcnt(0)
	global_store_dword v[123:124], v131, off
.LBB114_380:
	s_or_b32 exec_lo, exec_lo, s2
	v_mov_b32_e32 v130, v122
	v_mov_b32_e32 v131, v122
.LBB114_381:
	s_or_b32 exec_lo, exec_lo, s1
.LBB114_382:
	s_andn2_saveexec_b32 s0, s0
	s_cbranch_execz .LBB114_384
; %bb.383:
	v_mov_b32_e32 v131, 22
	ds_write2_b64 v128, v[72:73], v[70:71] offset0:23 offset1:24
	ds_write2_b64 v128, v[68:69], v[66:67] offset0:25 offset1:26
	;; [unrolled: 1-line block ×17, first 2 shown]
	ds_write_b64 v128, v[120:121] offset:456
.LBB114_384:
	s_or_b32 exec_lo, exec_lo, s0
	s_mov_b32 s0, exec_lo
	s_waitcnt lgkmcnt(0)
	s_waitcnt_vscnt null, 0x0
	s_barrier
	buffer_gl0_inv
	v_cmpx_lt_i32_e32 22, v131
	s_cbranch_execz .LBB114_386
; %bb.385:
	v_mul_f64 v[76:77], v[0:1], v[76:77]
	ds_read2_b64 v[132:135], v128 offset0:23 offset1:24
	ds_read2_b64 v[136:139], v128 offset0:25 offset1:26
	;; [unrolled: 1-line block ×12, first 2 shown]
	ds_read_b64 v[0:1], v128 offset:456
	s_waitcnt lgkmcnt(12)
	v_fma_f64 v[72:73], -v[76:77], v[132:133], v[72:73]
	v_fma_f64 v[70:71], -v[76:77], v[134:135], v[70:71]
	s_waitcnt lgkmcnt(11)
	v_fma_f64 v[68:69], -v[76:77], v[136:137], v[68:69]
	v_fma_f64 v[66:67], -v[76:77], v[138:139], v[66:67]
	;; [unrolled: 3-line block ×5, first 2 shown]
	ds_read2_b64 v[132:135], v128 offset0:47 offset1:48
	ds_read2_b64 v[136:139], v128 offset0:49 offset1:50
	;; [unrolled: 1-line block ×5, first 2 shown]
	s_waitcnt lgkmcnt(12)
	v_fma_f64 v[52:53], -v[76:77], v[152:153], v[52:53]
	v_fma_f64 v[50:51], -v[76:77], v[154:155], v[50:51]
	s_waitcnt lgkmcnt(11)
	v_fma_f64 v[48:49], -v[76:77], v[156:157], v[48:49]
	v_fma_f64 v[46:47], -v[76:77], v[158:159], v[46:47]
	;; [unrolled: 3-line block ×7, first 2 shown]
	s_waitcnt lgkmcnt(5)
	v_fma_f64 v[120:121], -v[76:77], v[0:1], v[120:121]
	s_waitcnt lgkmcnt(4)
	v_fma_f64 v[24:25], -v[76:77], v[132:133], v[24:25]
	v_fma_f64 v[22:23], -v[76:77], v[134:135], v[22:23]
	s_waitcnt lgkmcnt(3)
	v_fma_f64 v[18:19], -v[76:77], v[136:137], v[18:19]
	;; [unrolled: 3-line block ×5, first 2 shown]
	v_fma_f64 v[10:11], -v[76:77], v[150:151], v[10:11]
.LBB114_386:
	s_or_b32 exec_lo, exec_lo, s0
	v_lshl_add_u32 v0, v131, 3, v128
	s_barrier
	buffer_gl0_inv
	v_mov_b32_e32 v122, 23
	ds_write_b64 v0, v[72:73]
	s_waitcnt lgkmcnt(0)
	s_barrier
	buffer_gl0_inv
	ds_read_b64 v[0:1], v128 offset:184
	s_cmp_lt_i32 s7, 25
	s_cbranch_scc1 .LBB114_389
; %bb.387:
	v_add3_u32 v123, v129, 0, 0xc0
	v_mov_b32_e32 v122, 23
	s_mov_b32 s0, 24
.LBB114_388:                            ; =>This Inner Loop Header: Depth=1
	ds_read_b64 v[132:133], v123
	v_add_nc_u32_e32 v123, 8, v123
	s_waitcnt lgkmcnt(0)
	v_cmp_lt_f64_e64 vcc_lo, |v[0:1]|, |v[132:133]|
	v_cndmask_b32_e32 v1, v1, v133, vcc_lo
	v_cndmask_b32_e32 v0, v0, v132, vcc_lo
	v_cndmask_b32_e64 v122, v122, s0, vcc_lo
	s_add_i32 s0, s0, 1
	s_cmp_lg_u32 s7, s0
	s_cbranch_scc1 .LBB114_388
.LBB114_389:
	s_mov_b32 s0, exec_lo
	s_waitcnt lgkmcnt(0)
	v_cmpx_eq_f64_e32 0, v[0:1]
	s_xor_b32 s0, exec_lo, s0
; %bb.390:
	v_cmp_ne_u32_e32 vcc_lo, 0, v125
	v_cndmask_b32_e32 v125, 24, v125, vcc_lo
; %bb.391:
	s_andn2_saveexec_b32 s0, s0
	s_cbranch_execz .LBB114_393
; %bb.392:
	v_div_scale_f64 v[123:124], null, v[0:1], v[0:1], 1.0
	v_rcp_f64_e32 v[132:133], v[123:124]
	v_fma_f64 v[134:135], -v[123:124], v[132:133], 1.0
	v_fma_f64 v[132:133], v[132:133], v[134:135], v[132:133]
	v_fma_f64 v[134:135], -v[123:124], v[132:133], 1.0
	v_fma_f64 v[132:133], v[132:133], v[134:135], v[132:133]
	v_div_scale_f64 v[134:135], vcc_lo, 1.0, v[0:1], 1.0
	v_mul_f64 v[136:137], v[134:135], v[132:133]
	v_fma_f64 v[123:124], -v[123:124], v[136:137], v[134:135]
	v_div_fmas_f64 v[123:124], v[123:124], v[132:133], v[136:137]
	v_div_fixup_f64 v[0:1], v[123:124], v[0:1], 1.0
.LBB114_393:
	s_or_b32 exec_lo, exec_lo, s0
	s_mov_b32 s0, exec_lo
	v_cmpx_ne_u32_e64 v131, v122
	s_xor_b32 s0, exec_lo, s0
	s_cbranch_execz .LBB114_399
; %bb.394:
	s_mov_b32 s1, exec_lo
	v_cmpx_eq_u32_e32 23, v131
	s_cbranch_execz .LBB114_398
; %bb.395:
	v_cmp_ne_u32_e32 vcc_lo, 23, v122
	s_xor_b32 s2, s6, -1
	s_and_b32 s3, s2, vcc_lo
	s_and_saveexec_b32 s2, s3
	s_cbranch_execz .LBB114_397
; %bb.396:
	v_ashrrev_i32_e32 v123, 31, v122
	v_lshlrev_b64 v[123:124], 2, v[122:123]
	v_add_co_u32 v123, vcc_lo, v4, v123
	v_add_co_ci_u32_e64 v124, null, v5, v124, vcc_lo
	s_clause 0x1
	global_load_dword v130, v[123:124], off
	global_load_dword v131, v[4:5], off offset:92
	s_waitcnt vmcnt(1)
	global_store_dword v[4:5], v130, off offset:92
	s_waitcnt vmcnt(0)
	global_store_dword v[123:124], v131, off
.LBB114_397:
	s_or_b32 exec_lo, exec_lo, s2
	v_mov_b32_e32 v130, v122
	v_mov_b32_e32 v131, v122
.LBB114_398:
	s_or_b32 exec_lo, exec_lo, s1
.LBB114_399:
	s_andn2_saveexec_b32 s0, s0
	s_cbranch_execz .LBB114_401
; %bb.400:
	v_mov_b32_e32 v122, v70
	v_mov_b32_e32 v123, v71
	;; [unrolled: 1-line block ×12, first 2 shown]
	ds_write2_b64 v128, v[122:123], v[131:132] offset0:24 offset1:25
	ds_write2_b64 v128, v[133:134], v[135:136] offset0:26 offset1:27
	;; [unrolled: 1-line block ×3, first 2 shown]
	v_mov_b32_e32 v122, v60
	v_mov_b32_e32 v123, v61
	;; [unrolled: 1-line block ×20, first 2 shown]
	ds_write2_b64 v128, v[122:123], v[131:132] offset0:30 offset1:31
	ds_write2_b64 v128, v[133:134], v[135:136] offset0:32 offset1:33
	;; [unrolled: 1-line block ×5, first 2 shown]
	v_mov_b32_e32 v122, v40
	v_mov_b32_e32 v123, v41
	;; [unrolled: 1-line block ×20, first 2 shown]
	ds_write2_b64 v128, v[122:123], v[131:132] offset0:40 offset1:41
	ds_write2_b64 v128, v[133:134], v[135:136] offset0:42 offset1:43
	;; [unrolled: 1-line block ×5, first 2 shown]
	v_mov_b32_e32 v122, v20
	v_mov_b32_e32 v123, v21
	;; [unrolled: 1-line block ×15, first 2 shown]
	ds_write2_b64 v128, v[122:123], v[132:133] offset0:50 offset1:51
	ds_write2_b64 v128, v[134:135], v[136:137] offset0:52 offset1:53
	;; [unrolled: 1-line block ×4, first 2 shown]
.LBB114_401:
	s_or_b32 exec_lo, exec_lo, s0
	s_mov_b32 s0, exec_lo
	s_waitcnt lgkmcnt(0)
	s_waitcnt_vscnt null, 0x0
	s_barrier
	buffer_gl0_inv
	v_cmpx_lt_i32_e32 23, v131
	s_cbranch_execz .LBB114_403
; %bb.402:
	v_mul_f64 v[72:73], v[0:1], v[72:73]
	ds_read2_b64 v[132:135], v128 offset0:24 offset1:25
	ds_read2_b64 v[136:139], v128 offset0:26 offset1:27
	;; [unrolled: 1-line block ×13, first 2 shown]
	s_waitcnt lgkmcnt(12)
	v_fma_f64 v[70:71], -v[72:73], v[132:133], v[70:71]
	v_fma_f64 v[68:69], -v[72:73], v[134:135], v[68:69]
	s_waitcnt lgkmcnt(11)
	v_fma_f64 v[66:67], -v[72:73], v[136:137], v[66:67]
	v_fma_f64 v[64:65], -v[72:73], v[138:139], v[64:65]
	;; [unrolled: 3-line block ×4, first 2 shown]
	ds_read2_b64 v[132:135], v128 offset0:50 offset1:51
	ds_read2_b64 v[136:139], v128 offset0:52 offset1:53
	;; [unrolled: 1-line block ×4, first 2 shown]
	s_waitcnt lgkmcnt(12)
	v_fma_f64 v[56:57], -v[72:73], v[148:149], v[56:57]
	v_fma_f64 v[52:53], -v[72:73], v[150:151], v[52:53]
	s_waitcnt lgkmcnt(11)
	v_fma_f64 v[50:51], -v[72:73], v[152:153], v[50:51]
	v_fma_f64 v[48:49], -v[72:73], v[154:155], v[48:49]
	;; [unrolled: 3-line block ×13, first 2 shown]
.LBB114_403:
	s_or_b32 exec_lo, exec_lo, s0
	v_lshl_add_u32 v0, v131, 3, v128
	s_barrier
	buffer_gl0_inv
	v_mov_b32_e32 v122, 24
	ds_write_b64 v0, v[70:71]
	s_waitcnt lgkmcnt(0)
	s_barrier
	buffer_gl0_inv
	ds_read_b64 v[0:1], v128 offset:192
	s_cmp_lt_i32 s7, 26
	s_cbranch_scc1 .LBB114_406
; %bb.404:
	v_add3_u32 v123, v129, 0, 0xc8
	v_mov_b32_e32 v122, 24
	s_mov_b32 s0, 25
.LBB114_405:                            ; =>This Inner Loop Header: Depth=1
	ds_read_b64 v[132:133], v123
	v_add_nc_u32_e32 v123, 8, v123
	s_waitcnt lgkmcnt(0)
	v_cmp_lt_f64_e64 vcc_lo, |v[0:1]|, |v[132:133]|
	v_cndmask_b32_e32 v1, v1, v133, vcc_lo
	v_cndmask_b32_e32 v0, v0, v132, vcc_lo
	v_cndmask_b32_e64 v122, v122, s0, vcc_lo
	s_add_i32 s0, s0, 1
	s_cmp_lg_u32 s7, s0
	s_cbranch_scc1 .LBB114_405
.LBB114_406:
	s_mov_b32 s0, exec_lo
	s_waitcnt lgkmcnt(0)
	v_cmpx_eq_f64_e32 0, v[0:1]
	s_xor_b32 s0, exec_lo, s0
; %bb.407:
	v_cmp_ne_u32_e32 vcc_lo, 0, v125
	v_cndmask_b32_e32 v125, 25, v125, vcc_lo
; %bb.408:
	s_andn2_saveexec_b32 s0, s0
	s_cbranch_execz .LBB114_410
; %bb.409:
	v_div_scale_f64 v[123:124], null, v[0:1], v[0:1], 1.0
	v_rcp_f64_e32 v[132:133], v[123:124]
	v_fma_f64 v[134:135], -v[123:124], v[132:133], 1.0
	v_fma_f64 v[132:133], v[132:133], v[134:135], v[132:133]
	v_fma_f64 v[134:135], -v[123:124], v[132:133], 1.0
	v_fma_f64 v[132:133], v[132:133], v[134:135], v[132:133]
	v_div_scale_f64 v[134:135], vcc_lo, 1.0, v[0:1], 1.0
	v_mul_f64 v[136:137], v[134:135], v[132:133]
	v_fma_f64 v[123:124], -v[123:124], v[136:137], v[134:135]
	v_div_fmas_f64 v[123:124], v[123:124], v[132:133], v[136:137]
	v_div_fixup_f64 v[0:1], v[123:124], v[0:1], 1.0
.LBB114_410:
	s_or_b32 exec_lo, exec_lo, s0
	s_mov_b32 s0, exec_lo
	v_cmpx_ne_u32_e64 v131, v122
	s_xor_b32 s0, exec_lo, s0
	s_cbranch_execz .LBB114_416
; %bb.411:
	s_mov_b32 s1, exec_lo
	v_cmpx_eq_u32_e32 24, v131
	s_cbranch_execz .LBB114_415
; %bb.412:
	v_cmp_ne_u32_e32 vcc_lo, 24, v122
	s_xor_b32 s2, s6, -1
	s_and_b32 s3, s2, vcc_lo
	s_and_saveexec_b32 s2, s3
	s_cbranch_execz .LBB114_414
; %bb.413:
	v_ashrrev_i32_e32 v123, 31, v122
	v_lshlrev_b64 v[123:124], 2, v[122:123]
	v_add_co_u32 v123, vcc_lo, v4, v123
	v_add_co_ci_u32_e64 v124, null, v5, v124, vcc_lo
	s_clause 0x1
	global_load_dword v130, v[123:124], off
	global_load_dword v131, v[4:5], off offset:96
	s_waitcnt vmcnt(1)
	global_store_dword v[4:5], v130, off offset:96
	s_waitcnt vmcnt(0)
	global_store_dword v[123:124], v131, off
.LBB114_414:
	s_or_b32 exec_lo, exec_lo, s2
	v_mov_b32_e32 v130, v122
	v_mov_b32_e32 v131, v122
.LBB114_415:
	s_or_b32 exec_lo, exec_lo, s1
.LBB114_416:
	s_andn2_saveexec_b32 s0, s0
	s_cbranch_execz .LBB114_418
; %bb.417:
	v_mov_b32_e32 v131, 24
	ds_write2_b64 v128, v[68:69], v[66:67] offset0:25 offset1:26
	ds_write2_b64 v128, v[64:65], v[62:63] offset0:27 offset1:28
	;; [unrolled: 1-line block ×16, first 2 shown]
	ds_write_b64 v128, v[120:121] offset:456
.LBB114_418:
	s_or_b32 exec_lo, exec_lo, s0
	s_mov_b32 s0, exec_lo
	s_waitcnt lgkmcnt(0)
	s_waitcnt_vscnt null, 0x0
	s_barrier
	buffer_gl0_inv
	v_cmpx_lt_i32_e32 24, v131
	s_cbranch_execz .LBB114_420
; %bb.419:
	v_mul_f64 v[70:71], v[0:1], v[70:71]
	ds_read2_b64 v[132:135], v128 offset0:25 offset1:26
	ds_read2_b64 v[136:139], v128 offset0:27 offset1:28
	;; [unrolled: 1-line block ×13, first 2 shown]
	ds_read_b64 v[0:1], v128 offset:456
	s_waitcnt lgkmcnt(13)
	v_fma_f64 v[68:69], -v[70:71], v[132:133], v[68:69]
	v_fma_f64 v[66:67], -v[70:71], v[134:135], v[66:67]
	s_waitcnt lgkmcnt(12)
	v_fma_f64 v[64:65], -v[70:71], v[136:137], v[64:65]
	v_fma_f64 v[62:63], -v[70:71], v[138:139], v[62:63]
	;; [unrolled: 3-line block ×3, first 2 shown]
	ds_read2_b64 v[132:135], v128 offset0:51 offset1:52
	ds_read2_b64 v[136:139], v128 offset0:53 offset1:54
	;; [unrolled: 1-line block ×3, first 2 shown]
	s_waitcnt lgkmcnt(13)
	v_fma_f64 v[54:55], -v[70:71], v[144:145], v[54:55]
	v_fma_f64 v[56:57], -v[70:71], v[146:147], v[56:57]
	s_waitcnt lgkmcnt(12)
	v_fma_f64 v[52:53], -v[70:71], v[148:149], v[52:53]
	v_fma_f64 v[50:51], -v[70:71], v[150:151], v[50:51]
	;; [unrolled: 3-line block ×13, first 2 shown]
	v_fma_f64 v[120:121], -v[70:71], v[0:1], v[120:121]
.LBB114_420:
	s_or_b32 exec_lo, exec_lo, s0
	v_lshl_add_u32 v0, v131, 3, v128
	s_barrier
	buffer_gl0_inv
	v_mov_b32_e32 v122, 25
	ds_write_b64 v0, v[68:69]
	s_waitcnt lgkmcnt(0)
	s_barrier
	buffer_gl0_inv
	ds_read_b64 v[0:1], v128 offset:200
	s_cmp_lt_i32 s7, 27
	s_cbranch_scc1 .LBB114_423
; %bb.421:
	v_add3_u32 v123, v129, 0, 0xd0
	v_mov_b32_e32 v122, 25
	s_mov_b32 s0, 26
.LBB114_422:                            ; =>This Inner Loop Header: Depth=1
	ds_read_b64 v[132:133], v123
	v_add_nc_u32_e32 v123, 8, v123
	s_waitcnt lgkmcnt(0)
	v_cmp_lt_f64_e64 vcc_lo, |v[0:1]|, |v[132:133]|
	v_cndmask_b32_e32 v1, v1, v133, vcc_lo
	v_cndmask_b32_e32 v0, v0, v132, vcc_lo
	v_cndmask_b32_e64 v122, v122, s0, vcc_lo
	s_add_i32 s0, s0, 1
	s_cmp_lg_u32 s7, s0
	s_cbranch_scc1 .LBB114_422
.LBB114_423:
	s_mov_b32 s0, exec_lo
	s_waitcnt lgkmcnt(0)
	v_cmpx_eq_f64_e32 0, v[0:1]
	s_xor_b32 s0, exec_lo, s0
; %bb.424:
	v_cmp_ne_u32_e32 vcc_lo, 0, v125
	v_cndmask_b32_e32 v125, 26, v125, vcc_lo
; %bb.425:
	s_andn2_saveexec_b32 s0, s0
	s_cbranch_execz .LBB114_427
; %bb.426:
	v_div_scale_f64 v[123:124], null, v[0:1], v[0:1], 1.0
	v_rcp_f64_e32 v[132:133], v[123:124]
	v_fma_f64 v[134:135], -v[123:124], v[132:133], 1.0
	v_fma_f64 v[132:133], v[132:133], v[134:135], v[132:133]
	v_fma_f64 v[134:135], -v[123:124], v[132:133], 1.0
	v_fma_f64 v[132:133], v[132:133], v[134:135], v[132:133]
	v_div_scale_f64 v[134:135], vcc_lo, 1.0, v[0:1], 1.0
	v_mul_f64 v[136:137], v[134:135], v[132:133]
	v_fma_f64 v[123:124], -v[123:124], v[136:137], v[134:135]
	v_div_fmas_f64 v[123:124], v[123:124], v[132:133], v[136:137]
	v_div_fixup_f64 v[0:1], v[123:124], v[0:1], 1.0
.LBB114_427:
	s_or_b32 exec_lo, exec_lo, s0
	s_mov_b32 s0, exec_lo
	v_cmpx_ne_u32_e64 v131, v122
	s_xor_b32 s0, exec_lo, s0
	s_cbranch_execz .LBB114_433
; %bb.428:
	s_mov_b32 s1, exec_lo
	v_cmpx_eq_u32_e32 25, v131
	s_cbranch_execz .LBB114_432
; %bb.429:
	v_cmp_ne_u32_e32 vcc_lo, 25, v122
	s_xor_b32 s2, s6, -1
	s_and_b32 s3, s2, vcc_lo
	s_and_saveexec_b32 s2, s3
	s_cbranch_execz .LBB114_431
; %bb.430:
	v_ashrrev_i32_e32 v123, 31, v122
	v_lshlrev_b64 v[123:124], 2, v[122:123]
	v_add_co_u32 v123, vcc_lo, v4, v123
	v_add_co_ci_u32_e64 v124, null, v5, v124, vcc_lo
	s_clause 0x1
	global_load_dword v130, v[123:124], off
	global_load_dword v131, v[4:5], off offset:100
	s_waitcnt vmcnt(1)
	global_store_dword v[4:5], v130, off offset:100
	s_waitcnt vmcnt(0)
	global_store_dword v[123:124], v131, off
.LBB114_431:
	s_or_b32 exec_lo, exec_lo, s2
	v_mov_b32_e32 v130, v122
	v_mov_b32_e32 v131, v122
.LBB114_432:
	s_or_b32 exec_lo, exec_lo, s1
.LBB114_433:
	s_andn2_saveexec_b32 s0, s0
	s_cbranch_execz .LBB114_435
; %bb.434:
	v_mov_b32_e32 v122, v66
	v_mov_b32_e32 v123, v67
	;; [unrolled: 1-line block ×8, first 2 shown]
	ds_write2_b64 v128, v[122:123], v[131:132] offset0:26 offset1:27
	ds_write2_b64 v128, v[133:134], v[135:136] offset0:28 offset1:29
	v_mov_b32_e32 v122, v60
	v_mov_b32_e32 v123, v61
	;; [unrolled: 1-line block ×20, first 2 shown]
	ds_write2_b64 v128, v[122:123], v[131:132] offset0:30 offset1:31
	ds_write2_b64 v128, v[133:134], v[135:136] offset0:32 offset1:33
	;; [unrolled: 1-line block ×5, first 2 shown]
	v_mov_b32_e32 v122, v40
	v_mov_b32_e32 v123, v41
	;; [unrolled: 1-line block ×20, first 2 shown]
	ds_write2_b64 v128, v[122:123], v[131:132] offset0:40 offset1:41
	ds_write2_b64 v128, v[133:134], v[135:136] offset0:42 offset1:43
	;; [unrolled: 1-line block ×5, first 2 shown]
	v_mov_b32_e32 v122, v20
	v_mov_b32_e32 v123, v21
	;; [unrolled: 1-line block ×15, first 2 shown]
	ds_write2_b64 v128, v[122:123], v[132:133] offset0:50 offset1:51
	ds_write2_b64 v128, v[134:135], v[136:137] offset0:52 offset1:53
	;; [unrolled: 1-line block ×4, first 2 shown]
.LBB114_435:
	s_or_b32 exec_lo, exec_lo, s0
	s_mov_b32 s0, exec_lo
	s_waitcnt lgkmcnt(0)
	s_waitcnt_vscnt null, 0x0
	s_barrier
	buffer_gl0_inv
	v_cmpx_lt_i32_e32 25, v131
	s_cbranch_execz .LBB114_437
; %bb.436:
	v_mul_f64 v[68:69], v[0:1], v[68:69]
	ds_read2_b64 v[132:135], v128 offset0:26 offset1:27
	ds_read2_b64 v[136:139], v128 offset0:28 offset1:29
	;; [unrolled: 1-line block ×13, first 2 shown]
	s_waitcnt lgkmcnt(12)
	v_fma_f64 v[66:67], -v[68:69], v[132:133], v[66:67]
	v_fma_f64 v[64:65], -v[68:69], v[134:135], v[64:65]
	s_waitcnt lgkmcnt(11)
	v_fma_f64 v[62:63], -v[68:69], v[136:137], v[62:63]
	v_fma_f64 v[58:59], -v[68:69], v[138:139], v[58:59]
	;; [unrolled: 3-line block ×3, first 2 shown]
	ds_read2_b64 v[132:135], v128 offset0:52 offset1:53
	ds_read2_b64 v[136:139], v128 offset0:54 offset1:55
	;; [unrolled: 1-line block ×3, first 2 shown]
	s_waitcnt lgkmcnt(12)
	v_fma_f64 v[56:57], -v[68:69], v[144:145], v[56:57]
	v_fma_f64 v[52:53], -v[68:69], v[146:147], v[52:53]
	s_waitcnt lgkmcnt(11)
	v_fma_f64 v[50:51], -v[68:69], v[148:149], v[50:51]
	v_fma_f64 v[48:49], -v[68:69], v[150:151], v[48:49]
	;; [unrolled: 3-line block ×13, first 2 shown]
.LBB114_437:
	s_or_b32 exec_lo, exec_lo, s0
	v_lshl_add_u32 v0, v131, 3, v128
	s_barrier
	buffer_gl0_inv
	v_mov_b32_e32 v122, 26
	ds_write_b64 v0, v[66:67]
	s_waitcnt lgkmcnt(0)
	s_barrier
	buffer_gl0_inv
	ds_read_b64 v[0:1], v128 offset:208
	s_cmp_lt_i32 s7, 28
	s_cbranch_scc1 .LBB114_440
; %bb.438:
	v_add3_u32 v123, v129, 0, 0xd8
	v_mov_b32_e32 v122, 26
	s_mov_b32 s0, 27
.LBB114_439:                            ; =>This Inner Loop Header: Depth=1
	ds_read_b64 v[132:133], v123
	v_add_nc_u32_e32 v123, 8, v123
	s_waitcnt lgkmcnt(0)
	v_cmp_lt_f64_e64 vcc_lo, |v[0:1]|, |v[132:133]|
	v_cndmask_b32_e32 v1, v1, v133, vcc_lo
	v_cndmask_b32_e32 v0, v0, v132, vcc_lo
	v_cndmask_b32_e64 v122, v122, s0, vcc_lo
	s_add_i32 s0, s0, 1
	s_cmp_lg_u32 s7, s0
	s_cbranch_scc1 .LBB114_439
.LBB114_440:
	s_mov_b32 s0, exec_lo
	s_waitcnt lgkmcnt(0)
	v_cmpx_eq_f64_e32 0, v[0:1]
	s_xor_b32 s0, exec_lo, s0
; %bb.441:
	v_cmp_ne_u32_e32 vcc_lo, 0, v125
	v_cndmask_b32_e32 v125, 27, v125, vcc_lo
; %bb.442:
	s_andn2_saveexec_b32 s0, s0
	s_cbranch_execz .LBB114_444
; %bb.443:
	v_div_scale_f64 v[123:124], null, v[0:1], v[0:1], 1.0
	v_rcp_f64_e32 v[132:133], v[123:124]
	v_fma_f64 v[134:135], -v[123:124], v[132:133], 1.0
	v_fma_f64 v[132:133], v[132:133], v[134:135], v[132:133]
	v_fma_f64 v[134:135], -v[123:124], v[132:133], 1.0
	v_fma_f64 v[132:133], v[132:133], v[134:135], v[132:133]
	v_div_scale_f64 v[134:135], vcc_lo, 1.0, v[0:1], 1.0
	v_mul_f64 v[136:137], v[134:135], v[132:133]
	v_fma_f64 v[123:124], -v[123:124], v[136:137], v[134:135]
	v_div_fmas_f64 v[123:124], v[123:124], v[132:133], v[136:137]
	v_div_fixup_f64 v[0:1], v[123:124], v[0:1], 1.0
.LBB114_444:
	s_or_b32 exec_lo, exec_lo, s0
	s_mov_b32 s0, exec_lo
	v_cmpx_ne_u32_e64 v131, v122
	s_xor_b32 s0, exec_lo, s0
	s_cbranch_execz .LBB114_450
; %bb.445:
	s_mov_b32 s1, exec_lo
	v_cmpx_eq_u32_e32 26, v131
	s_cbranch_execz .LBB114_449
; %bb.446:
	v_cmp_ne_u32_e32 vcc_lo, 26, v122
	s_xor_b32 s2, s6, -1
	s_and_b32 s3, s2, vcc_lo
	s_and_saveexec_b32 s2, s3
	s_cbranch_execz .LBB114_448
; %bb.447:
	v_ashrrev_i32_e32 v123, 31, v122
	v_lshlrev_b64 v[123:124], 2, v[122:123]
	v_add_co_u32 v123, vcc_lo, v4, v123
	v_add_co_ci_u32_e64 v124, null, v5, v124, vcc_lo
	s_clause 0x1
	global_load_dword v130, v[123:124], off
	global_load_dword v131, v[4:5], off offset:104
	s_waitcnt vmcnt(1)
	global_store_dword v[4:5], v130, off offset:104
	s_waitcnt vmcnt(0)
	global_store_dword v[123:124], v131, off
.LBB114_448:
	s_or_b32 exec_lo, exec_lo, s2
	v_mov_b32_e32 v130, v122
	v_mov_b32_e32 v131, v122
.LBB114_449:
	s_or_b32 exec_lo, exec_lo, s1
.LBB114_450:
	s_andn2_saveexec_b32 s0, s0
	s_cbranch_execz .LBB114_452
; %bb.451:
	v_mov_b32_e32 v131, 26
	ds_write2_b64 v128, v[64:65], v[62:63] offset0:27 offset1:28
	ds_write2_b64 v128, v[58:59], v[60:61] offset0:29 offset1:30
	;; [unrolled: 1-line block ×15, first 2 shown]
	ds_write_b64 v128, v[120:121] offset:456
.LBB114_452:
	s_or_b32 exec_lo, exec_lo, s0
	s_mov_b32 s0, exec_lo
	s_waitcnt lgkmcnt(0)
	s_waitcnt_vscnt null, 0x0
	s_barrier
	buffer_gl0_inv
	v_cmpx_lt_i32_e32 26, v131
	s_cbranch_execz .LBB114_454
; %bb.453:
	v_mul_f64 v[66:67], v[0:1], v[66:67]
	ds_read2_b64 v[132:135], v128 offset0:27 offset1:28
	ds_read2_b64 v[136:139], v128 offset0:29 offset1:30
	;; [unrolled: 1-line block ×13, first 2 shown]
	ds_read_b64 v[0:1], v128 offset:456
	s_waitcnt lgkmcnt(13)
	v_fma_f64 v[64:65], -v[66:67], v[132:133], v[64:65]
	v_fma_f64 v[62:63], -v[66:67], v[134:135], v[62:63]
	s_waitcnt lgkmcnt(12)
	v_fma_f64 v[58:59], -v[66:67], v[136:137], v[58:59]
	v_fma_f64 v[60:61], -v[66:67], v[138:139], v[60:61]
	ds_read2_b64 v[132:135], v128 offset0:53 offset1:54
	ds_read2_b64 v[136:139], v128 offset0:55 offset1:56
	s_waitcnt lgkmcnt(13)
	v_fma_f64 v[54:55], -v[66:67], v[140:141], v[54:55]
	v_fma_f64 v[56:57], -v[66:67], v[142:143], v[56:57]
	s_waitcnt lgkmcnt(12)
	v_fma_f64 v[52:53], -v[66:67], v[144:145], v[52:53]
	v_fma_f64 v[50:51], -v[66:67], v[146:147], v[50:51]
	;; [unrolled: 3-line block ×13, first 2 shown]
	v_fma_f64 v[120:121], -v[66:67], v[0:1], v[120:121]
.LBB114_454:
	s_or_b32 exec_lo, exec_lo, s0
	v_lshl_add_u32 v0, v131, 3, v128
	s_barrier
	buffer_gl0_inv
	v_mov_b32_e32 v122, 27
	ds_write_b64 v0, v[64:65]
	s_waitcnt lgkmcnt(0)
	s_barrier
	buffer_gl0_inv
	ds_read_b64 v[0:1], v128 offset:216
	s_cmp_lt_i32 s7, 29
	s_cbranch_scc1 .LBB114_457
; %bb.455:
	v_add3_u32 v123, v129, 0, 0xe0
	v_mov_b32_e32 v122, 27
	s_mov_b32 s0, 28
.LBB114_456:                            ; =>This Inner Loop Header: Depth=1
	ds_read_b64 v[132:133], v123
	v_add_nc_u32_e32 v123, 8, v123
	s_waitcnt lgkmcnt(0)
	v_cmp_lt_f64_e64 vcc_lo, |v[0:1]|, |v[132:133]|
	v_cndmask_b32_e32 v1, v1, v133, vcc_lo
	v_cndmask_b32_e32 v0, v0, v132, vcc_lo
	v_cndmask_b32_e64 v122, v122, s0, vcc_lo
	s_add_i32 s0, s0, 1
	s_cmp_lg_u32 s7, s0
	s_cbranch_scc1 .LBB114_456
.LBB114_457:
	s_mov_b32 s0, exec_lo
	s_waitcnt lgkmcnt(0)
	v_cmpx_eq_f64_e32 0, v[0:1]
	s_xor_b32 s0, exec_lo, s0
; %bb.458:
	v_cmp_ne_u32_e32 vcc_lo, 0, v125
	v_cndmask_b32_e32 v125, 28, v125, vcc_lo
; %bb.459:
	s_andn2_saveexec_b32 s0, s0
	s_cbranch_execz .LBB114_461
; %bb.460:
	v_div_scale_f64 v[123:124], null, v[0:1], v[0:1], 1.0
	v_rcp_f64_e32 v[132:133], v[123:124]
	v_fma_f64 v[134:135], -v[123:124], v[132:133], 1.0
	v_fma_f64 v[132:133], v[132:133], v[134:135], v[132:133]
	v_fma_f64 v[134:135], -v[123:124], v[132:133], 1.0
	v_fma_f64 v[132:133], v[132:133], v[134:135], v[132:133]
	v_div_scale_f64 v[134:135], vcc_lo, 1.0, v[0:1], 1.0
	v_mul_f64 v[136:137], v[134:135], v[132:133]
	v_fma_f64 v[123:124], -v[123:124], v[136:137], v[134:135]
	v_div_fmas_f64 v[123:124], v[123:124], v[132:133], v[136:137]
	v_div_fixup_f64 v[0:1], v[123:124], v[0:1], 1.0
.LBB114_461:
	s_or_b32 exec_lo, exec_lo, s0
	s_mov_b32 s0, exec_lo
	v_cmpx_ne_u32_e64 v131, v122
	s_xor_b32 s0, exec_lo, s0
	s_cbranch_execz .LBB114_467
; %bb.462:
	s_mov_b32 s1, exec_lo
	v_cmpx_eq_u32_e32 27, v131
	s_cbranch_execz .LBB114_466
; %bb.463:
	v_cmp_ne_u32_e32 vcc_lo, 27, v122
	s_xor_b32 s2, s6, -1
	s_and_b32 s3, s2, vcc_lo
	s_and_saveexec_b32 s2, s3
	s_cbranch_execz .LBB114_465
; %bb.464:
	v_ashrrev_i32_e32 v123, 31, v122
	v_lshlrev_b64 v[123:124], 2, v[122:123]
	v_add_co_u32 v123, vcc_lo, v4, v123
	v_add_co_ci_u32_e64 v124, null, v5, v124, vcc_lo
	s_clause 0x1
	global_load_dword v130, v[123:124], off
	global_load_dword v131, v[4:5], off offset:108
	s_waitcnt vmcnt(1)
	global_store_dword v[4:5], v130, off offset:108
	s_waitcnt vmcnt(0)
	global_store_dword v[123:124], v131, off
.LBB114_465:
	s_or_b32 exec_lo, exec_lo, s2
	v_mov_b32_e32 v130, v122
	v_mov_b32_e32 v131, v122
.LBB114_466:
	s_or_b32 exec_lo, exec_lo, s1
.LBB114_467:
	s_andn2_saveexec_b32 s0, s0
	s_cbranch_execz .LBB114_469
; %bb.468:
	v_mov_b32_e32 v122, v62
	v_mov_b32_e32 v123, v63
	;; [unrolled: 1-line block ×8, first 2 shown]
	ds_write2_b64 v128, v[122:123], v[131:132] offset0:28 offset1:29
	v_mov_b32_e32 v122, v54
	v_mov_b32_e32 v123, v55
	;; [unrolled: 1-line block ×16, first 2 shown]
	ds_write2_b64 v128, v[133:134], v[122:123] offset0:30 offset1:31
	ds_write2_b64 v128, v[131:132], v[135:136] offset0:32 offset1:33
	ds_write2_b64 v128, v[137:138], v[139:140] offset0:34 offset1:35
	ds_write2_b64 v128, v[141:142], v[143:144] offset0:36 offset1:37
	ds_write2_b64 v128, v[145:146], v[147:148] offset0:38 offset1:39
	v_mov_b32_e32 v122, v40
	v_mov_b32_e32 v123, v41
	;; [unrolled: 1-line block ×20, first 2 shown]
	ds_write2_b64 v128, v[122:123], v[131:132] offset0:40 offset1:41
	ds_write2_b64 v128, v[133:134], v[135:136] offset0:42 offset1:43
	;; [unrolled: 1-line block ×5, first 2 shown]
	v_mov_b32_e32 v122, v20
	v_mov_b32_e32 v123, v21
	;; [unrolled: 1-line block ×15, first 2 shown]
	ds_write2_b64 v128, v[122:123], v[132:133] offset0:50 offset1:51
	ds_write2_b64 v128, v[134:135], v[136:137] offset0:52 offset1:53
	;; [unrolled: 1-line block ×4, first 2 shown]
.LBB114_469:
	s_or_b32 exec_lo, exec_lo, s0
	s_mov_b32 s0, exec_lo
	s_waitcnt lgkmcnt(0)
	s_waitcnt_vscnt null, 0x0
	s_barrier
	buffer_gl0_inv
	v_cmpx_lt_i32_e32 27, v131
	s_cbranch_execz .LBB114_471
; %bb.470:
	v_mul_f64 v[64:65], v[0:1], v[64:65]
	ds_read2_b64 v[132:135], v128 offset0:28 offset1:29
	ds_read2_b64 v[136:139], v128 offset0:30 offset1:31
	;; [unrolled: 1-line block ×14, first 2 shown]
	s_waitcnt lgkmcnt(13)
	v_fma_f64 v[62:63], -v[64:65], v[132:133], v[62:63]
	v_fma_f64 v[58:59], -v[64:65], v[134:135], v[58:59]
	ds_read2_b64 v[132:135], v128 offset0:56 offset1:57
	s_waitcnt lgkmcnt(13)
	v_fma_f64 v[60:61], -v[64:65], v[136:137], v[60:61]
	v_fma_f64 v[54:55], -v[64:65], v[138:139], v[54:55]
	s_waitcnt lgkmcnt(12)
	v_fma_f64 v[56:57], -v[64:65], v[140:141], v[56:57]
	v_fma_f64 v[52:53], -v[64:65], v[142:143], v[52:53]
	;; [unrolled: 3-line block ×14, first 2 shown]
.LBB114_471:
	s_or_b32 exec_lo, exec_lo, s0
	v_lshl_add_u32 v0, v131, 3, v128
	s_barrier
	buffer_gl0_inv
	v_mov_b32_e32 v122, 28
	ds_write_b64 v0, v[62:63]
	s_waitcnt lgkmcnt(0)
	s_barrier
	buffer_gl0_inv
	ds_read_b64 v[0:1], v128 offset:224
	s_cmp_lt_i32 s7, 30
	s_cbranch_scc1 .LBB114_474
; %bb.472:
	v_add3_u32 v123, v129, 0, 0xe8
	v_mov_b32_e32 v122, 28
	s_mov_b32 s0, 29
.LBB114_473:                            ; =>This Inner Loop Header: Depth=1
	ds_read_b64 v[132:133], v123
	v_add_nc_u32_e32 v123, 8, v123
	s_waitcnt lgkmcnt(0)
	v_cmp_lt_f64_e64 vcc_lo, |v[0:1]|, |v[132:133]|
	v_cndmask_b32_e32 v1, v1, v133, vcc_lo
	v_cndmask_b32_e32 v0, v0, v132, vcc_lo
	v_cndmask_b32_e64 v122, v122, s0, vcc_lo
	s_add_i32 s0, s0, 1
	s_cmp_lg_u32 s7, s0
	s_cbranch_scc1 .LBB114_473
.LBB114_474:
	s_mov_b32 s0, exec_lo
	s_waitcnt lgkmcnt(0)
	v_cmpx_eq_f64_e32 0, v[0:1]
	s_xor_b32 s0, exec_lo, s0
; %bb.475:
	v_cmp_ne_u32_e32 vcc_lo, 0, v125
	v_cndmask_b32_e32 v125, 29, v125, vcc_lo
; %bb.476:
	s_andn2_saveexec_b32 s0, s0
	s_cbranch_execz .LBB114_478
; %bb.477:
	v_div_scale_f64 v[123:124], null, v[0:1], v[0:1], 1.0
	v_rcp_f64_e32 v[132:133], v[123:124]
	v_fma_f64 v[134:135], -v[123:124], v[132:133], 1.0
	v_fma_f64 v[132:133], v[132:133], v[134:135], v[132:133]
	v_fma_f64 v[134:135], -v[123:124], v[132:133], 1.0
	v_fma_f64 v[132:133], v[132:133], v[134:135], v[132:133]
	v_div_scale_f64 v[134:135], vcc_lo, 1.0, v[0:1], 1.0
	v_mul_f64 v[136:137], v[134:135], v[132:133]
	v_fma_f64 v[123:124], -v[123:124], v[136:137], v[134:135]
	v_div_fmas_f64 v[123:124], v[123:124], v[132:133], v[136:137]
	v_div_fixup_f64 v[0:1], v[123:124], v[0:1], 1.0
.LBB114_478:
	s_or_b32 exec_lo, exec_lo, s0
	s_mov_b32 s0, exec_lo
	v_cmpx_ne_u32_e64 v131, v122
	s_xor_b32 s0, exec_lo, s0
	s_cbranch_execz .LBB114_484
; %bb.479:
	s_mov_b32 s1, exec_lo
	v_cmpx_eq_u32_e32 28, v131
	s_cbranch_execz .LBB114_483
; %bb.480:
	v_cmp_ne_u32_e32 vcc_lo, 28, v122
	s_xor_b32 s2, s6, -1
	s_and_b32 s3, s2, vcc_lo
	s_and_saveexec_b32 s2, s3
	s_cbranch_execz .LBB114_482
; %bb.481:
	v_ashrrev_i32_e32 v123, 31, v122
	v_lshlrev_b64 v[123:124], 2, v[122:123]
	v_add_co_u32 v123, vcc_lo, v4, v123
	v_add_co_ci_u32_e64 v124, null, v5, v124, vcc_lo
	s_clause 0x1
	global_load_dword v130, v[123:124], off
	global_load_dword v131, v[4:5], off offset:112
	s_waitcnt vmcnt(1)
	global_store_dword v[4:5], v130, off offset:112
	s_waitcnt vmcnt(0)
	global_store_dword v[123:124], v131, off
.LBB114_482:
	s_or_b32 exec_lo, exec_lo, s2
	v_mov_b32_e32 v130, v122
	v_mov_b32_e32 v131, v122
.LBB114_483:
	s_or_b32 exec_lo, exec_lo, s1
.LBB114_484:
	s_andn2_saveexec_b32 s0, s0
	s_cbranch_execz .LBB114_486
; %bb.485:
	v_mov_b32_e32 v131, 28
	ds_write2_b64 v128, v[58:59], v[60:61] offset0:29 offset1:30
	ds_write2_b64 v128, v[54:55], v[56:57] offset0:31 offset1:32
	;; [unrolled: 1-line block ×14, first 2 shown]
	ds_write_b64 v128, v[120:121] offset:456
.LBB114_486:
	s_or_b32 exec_lo, exec_lo, s0
	s_mov_b32 s0, exec_lo
	s_waitcnt lgkmcnt(0)
	s_waitcnt_vscnt null, 0x0
	s_barrier
	buffer_gl0_inv
	v_cmpx_lt_i32_e32 28, v131
	s_cbranch_execz .LBB114_488
; %bb.487:
	v_mul_f64 v[62:63], v[0:1], v[62:63]
	ds_read2_b64 v[132:135], v128 offset0:29 offset1:30
	ds_read2_b64 v[136:139], v128 offset0:31 offset1:32
	;; [unrolled: 1-line block ×14, first 2 shown]
	ds_read_b64 v[0:1], v128 offset:456
	s_waitcnt lgkmcnt(14)
	v_fma_f64 v[58:59], -v[62:63], v[132:133], v[58:59]
	v_fma_f64 v[60:61], -v[62:63], v[134:135], v[60:61]
	s_waitcnt lgkmcnt(13)
	v_fma_f64 v[54:55], -v[62:63], v[136:137], v[54:55]
	v_fma_f64 v[56:57], -v[62:63], v[138:139], v[56:57]
	s_waitcnt lgkmcnt(12)
	v_fma_f64 v[52:53], -v[62:63], v[140:141], v[52:53]
	v_fma_f64 v[50:51], -v[62:63], v[142:143], v[50:51]
	s_waitcnt lgkmcnt(11)
	v_fma_f64 v[48:49], -v[62:63], v[144:145], v[48:49]
	v_fma_f64 v[46:47], -v[62:63], v[146:147], v[46:47]
	s_waitcnt lgkmcnt(10)
	v_fma_f64 v[44:45], -v[62:63], v[148:149], v[44:45]
	v_fma_f64 v[42:43], -v[62:63], v[150:151], v[42:43]
	s_waitcnt lgkmcnt(9)
	v_fma_f64 v[38:39], -v[62:63], v[152:153], v[38:39]
	v_fma_f64 v[40:41], -v[62:63], v[154:155], v[40:41]
	s_waitcnt lgkmcnt(8)
	v_fma_f64 v[34:35], -v[62:63], v[156:157], v[34:35]
	v_fma_f64 v[36:37], -v[62:63], v[158:159], v[36:37]
	s_waitcnt lgkmcnt(7)
	v_fma_f64 v[32:33], -v[62:63], v[160:161], v[32:33]
	v_fma_f64 v[30:31], -v[62:63], v[162:163], v[30:31]
	s_waitcnt lgkmcnt(6)
	v_fma_f64 v[28:29], -v[62:63], v[164:165], v[28:29]
	v_fma_f64 v[26:27], -v[62:63], v[166:167], v[26:27]
	s_waitcnt lgkmcnt(5)
	v_fma_f64 v[24:25], -v[62:63], v[168:169], v[24:25]
	v_fma_f64 v[22:23], -v[62:63], v[170:171], v[22:23]
	s_waitcnt lgkmcnt(4)
	v_fma_f64 v[18:19], -v[62:63], v[172:173], v[18:19]
	v_fma_f64 v[20:21], -v[62:63], v[174:175], v[20:21]
	s_waitcnt lgkmcnt(3)
	v_fma_f64 v[16:17], -v[62:63], v[176:177], v[16:17]
	v_fma_f64 v[14:15], -v[62:63], v[178:179], v[14:15]
	s_waitcnt lgkmcnt(2)
	v_fma_f64 v[8:9], -v[62:63], v[180:181], v[8:9]
	v_fma_f64 v[12:13], -v[62:63], v[182:183], v[12:13]
	s_waitcnt lgkmcnt(1)
	v_fma_f64 v[6:7], -v[62:63], v[184:185], v[6:7]
	v_fma_f64 v[10:11], -v[62:63], v[186:187], v[10:11]
	s_waitcnt lgkmcnt(0)
	v_fma_f64 v[120:121], -v[62:63], v[0:1], v[120:121]
.LBB114_488:
	s_or_b32 exec_lo, exec_lo, s0
	v_lshl_add_u32 v0, v131, 3, v128
	s_barrier
	buffer_gl0_inv
	v_mov_b32_e32 v122, 29
	ds_write_b64 v0, v[58:59]
	s_waitcnt lgkmcnt(0)
	s_barrier
	buffer_gl0_inv
	ds_read_b64 v[0:1], v128 offset:232
	s_cmp_lt_i32 s7, 31
	s_cbranch_scc1 .LBB114_491
; %bb.489:
	v_add3_u32 v123, v129, 0, 0xf0
	v_mov_b32_e32 v122, 29
	s_mov_b32 s0, 30
.LBB114_490:                            ; =>This Inner Loop Header: Depth=1
	ds_read_b64 v[132:133], v123
	v_add_nc_u32_e32 v123, 8, v123
	s_waitcnt lgkmcnt(0)
	v_cmp_lt_f64_e64 vcc_lo, |v[0:1]|, |v[132:133]|
	v_cndmask_b32_e32 v1, v1, v133, vcc_lo
	v_cndmask_b32_e32 v0, v0, v132, vcc_lo
	v_cndmask_b32_e64 v122, v122, s0, vcc_lo
	s_add_i32 s0, s0, 1
	s_cmp_lg_u32 s7, s0
	s_cbranch_scc1 .LBB114_490
.LBB114_491:
	s_mov_b32 s0, exec_lo
	s_waitcnt lgkmcnt(0)
	v_cmpx_eq_f64_e32 0, v[0:1]
	s_xor_b32 s0, exec_lo, s0
; %bb.492:
	v_cmp_ne_u32_e32 vcc_lo, 0, v125
	v_cndmask_b32_e32 v125, 30, v125, vcc_lo
; %bb.493:
	s_andn2_saveexec_b32 s0, s0
	s_cbranch_execz .LBB114_495
; %bb.494:
	v_div_scale_f64 v[123:124], null, v[0:1], v[0:1], 1.0
	v_rcp_f64_e32 v[132:133], v[123:124]
	v_fma_f64 v[134:135], -v[123:124], v[132:133], 1.0
	v_fma_f64 v[132:133], v[132:133], v[134:135], v[132:133]
	v_fma_f64 v[134:135], -v[123:124], v[132:133], 1.0
	v_fma_f64 v[132:133], v[132:133], v[134:135], v[132:133]
	v_div_scale_f64 v[134:135], vcc_lo, 1.0, v[0:1], 1.0
	v_mul_f64 v[136:137], v[134:135], v[132:133]
	v_fma_f64 v[123:124], -v[123:124], v[136:137], v[134:135]
	v_div_fmas_f64 v[123:124], v[123:124], v[132:133], v[136:137]
	v_div_fixup_f64 v[0:1], v[123:124], v[0:1], 1.0
.LBB114_495:
	s_or_b32 exec_lo, exec_lo, s0
	s_mov_b32 s0, exec_lo
	v_cmpx_ne_u32_e64 v131, v122
	s_xor_b32 s0, exec_lo, s0
	s_cbranch_execz .LBB114_501
; %bb.496:
	s_mov_b32 s1, exec_lo
	v_cmpx_eq_u32_e32 29, v131
	s_cbranch_execz .LBB114_500
; %bb.497:
	v_cmp_ne_u32_e32 vcc_lo, 29, v122
	s_xor_b32 s2, s6, -1
	s_and_b32 s3, s2, vcc_lo
	s_and_saveexec_b32 s2, s3
	s_cbranch_execz .LBB114_499
; %bb.498:
	v_ashrrev_i32_e32 v123, 31, v122
	v_lshlrev_b64 v[123:124], 2, v[122:123]
	v_add_co_u32 v123, vcc_lo, v4, v123
	v_add_co_ci_u32_e64 v124, null, v5, v124, vcc_lo
	s_clause 0x1
	global_load_dword v130, v[123:124], off
	global_load_dword v131, v[4:5], off offset:116
	s_waitcnt vmcnt(1)
	global_store_dword v[4:5], v130, off offset:116
	s_waitcnt vmcnt(0)
	global_store_dword v[123:124], v131, off
.LBB114_499:
	s_or_b32 exec_lo, exec_lo, s2
	v_mov_b32_e32 v130, v122
	v_mov_b32_e32 v131, v122
.LBB114_500:
	s_or_b32 exec_lo, exec_lo, s1
.LBB114_501:
	s_andn2_saveexec_b32 s0, s0
	s_cbranch_execz .LBB114_503
; %bb.502:
	v_mov_b32_e32 v122, v60
	v_mov_b32_e32 v123, v61
	;; [unrolled: 1-line block ×20, first 2 shown]
	ds_write2_b64 v128, v[122:123], v[131:132] offset0:30 offset1:31
	ds_write2_b64 v128, v[133:134], v[135:136] offset0:32 offset1:33
	;; [unrolled: 1-line block ×5, first 2 shown]
	v_mov_b32_e32 v122, v40
	v_mov_b32_e32 v123, v41
	;; [unrolled: 1-line block ×20, first 2 shown]
	ds_write2_b64 v128, v[122:123], v[131:132] offset0:40 offset1:41
	ds_write2_b64 v128, v[133:134], v[135:136] offset0:42 offset1:43
	;; [unrolled: 1-line block ×5, first 2 shown]
	v_mov_b32_e32 v122, v20
	v_mov_b32_e32 v123, v21
	;; [unrolled: 1-line block ×15, first 2 shown]
	ds_write2_b64 v128, v[122:123], v[132:133] offset0:50 offset1:51
	ds_write2_b64 v128, v[134:135], v[136:137] offset0:52 offset1:53
	ds_write2_b64 v128, v[138:139], v[140:141] offset0:54 offset1:55
	ds_write2_b64 v128, v[142:143], v[120:121] offset0:56 offset1:57
.LBB114_503:
	s_or_b32 exec_lo, exec_lo, s0
	s_mov_b32 s0, exec_lo
	s_waitcnt lgkmcnt(0)
	s_waitcnt_vscnt null, 0x0
	s_barrier
	buffer_gl0_inv
	v_cmpx_lt_i32_e32 29, v131
	s_cbranch_execz .LBB114_505
; %bb.504:
	v_mul_f64 v[58:59], v[0:1], v[58:59]
	ds_read2_b64 v[132:135], v128 offset0:30 offset1:31
	ds_read2_b64 v[136:139], v128 offset0:32 offset1:33
	ds_read2_b64 v[140:143], v128 offset0:34 offset1:35
	ds_read2_b64 v[144:147], v128 offset0:36 offset1:37
	ds_read2_b64 v[148:151], v128 offset0:38 offset1:39
	ds_read2_b64 v[152:155], v128 offset0:40 offset1:41
	ds_read2_b64 v[156:159], v128 offset0:42 offset1:43
	ds_read2_b64 v[160:163], v128 offset0:44 offset1:45
	ds_read2_b64 v[164:167], v128 offset0:46 offset1:47
	ds_read2_b64 v[168:171], v128 offset0:48 offset1:49
	ds_read2_b64 v[172:175], v128 offset0:50 offset1:51
	ds_read2_b64 v[176:179], v128 offset0:52 offset1:53
	ds_read2_b64 v[180:183], v128 offset0:54 offset1:55
	ds_read2_b64 v[184:187], v128 offset0:56 offset1:57
	s_waitcnt lgkmcnt(13)
	v_fma_f64 v[60:61], -v[58:59], v[132:133], v[60:61]
	v_fma_f64 v[54:55], -v[58:59], v[134:135], v[54:55]
	s_waitcnt lgkmcnt(12)
	v_fma_f64 v[56:57], -v[58:59], v[136:137], v[56:57]
	v_fma_f64 v[52:53], -v[58:59], v[138:139], v[52:53]
	;; [unrolled: 3-line block ×14, first 2 shown]
.LBB114_505:
	s_or_b32 exec_lo, exec_lo, s0
	v_lshl_add_u32 v0, v131, 3, v128
	s_barrier
	buffer_gl0_inv
	v_mov_b32_e32 v122, 30
	ds_write_b64 v0, v[60:61]
	s_waitcnt lgkmcnt(0)
	s_barrier
	buffer_gl0_inv
	ds_read_b64 v[0:1], v128 offset:240
	s_cmp_lt_i32 s7, 32
	s_cbranch_scc1 .LBB114_508
; %bb.506:
	v_add3_u32 v123, v129, 0, 0xf8
	v_mov_b32_e32 v122, 30
	s_mov_b32 s0, 31
.LBB114_507:                            ; =>This Inner Loop Header: Depth=1
	ds_read_b64 v[132:133], v123
	v_add_nc_u32_e32 v123, 8, v123
	s_waitcnt lgkmcnt(0)
	v_cmp_lt_f64_e64 vcc_lo, |v[0:1]|, |v[132:133]|
	v_cndmask_b32_e32 v1, v1, v133, vcc_lo
	v_cndmask_b32_e32 v0, v0, v132, vcc_lo
	v_cndmask_b32_e64 v122, v122, s0, vcc_lo
	s_add_i32 s0, s0, 1
	s_cmp_lg_u32 s7, s0
	s_cbranch_scc1 .LBB114_507
.LBB114_508:
	s_mov_b32 s0, exec_lo
	s_waitcnt lgkmcnt(0)
	v_cmpx_eq_f64_e32 0, v[0:1]
	s_xor_b32 s0, exec_lo, s0
; %bb.509:
	v_cmp_ne_u32_e32 vcc_lo, 0, v125
	v_cndmask_b32_e32 v125, 31, v125, vcc_lo
; %bb.510:
	s_andn2_saveexec_b32 s0, s0
	s_cbranch_execz .LBB114_512
; %bb.511:
	v_div_scale_f64 v[123:124], null, v[0:1], v[0:1], 1.0
	v_rcp_f64_e32 v[132:133], v[123:124]
	v_fma_f64 v[134:135], -v[123:124], v[132:133], 1.0
	v_fma_f64 v[132:133], v[132:133], v[134:135], v[132:133]
	v_fma_f64 v[134:135], -v[123:124], v[132:133], 1.0
	v_fma_f64 v[132:133], v[132:133], v[134:135], v[132:133]
	v_div_scale_f64 v[134:135], vcc_lo, 1.0, v[0:1], 1.0
	v_mul_f64 v[136:137], v[134:135], v[132:133]
	v_fma_f64 v[123:124], -v[123:124], v[136:137], v[134:135]
	v_div_fmas_f64 v[123:124], v[123:124], v[132:133], v[136:137]
	v_div_fixup_f64 v[0:1], v[123:124], v[0:1], 1.0
.LBB114_512:
	s_or_b32 exec_lo, exec_lo, s0
	s_mov_b32 s0, exec_lo
	v_cmpx_ne_u32_e64 v131, v122
	s_xor_b32 s0, exec_lo, s0
	s_cbranch_execz .LBB114_518
; %bb.513:
	s_mov_b32 s1, exec_lo
	v_cmpx_eq_u32_e32 30, v131
	s_cbranch_execz .LBB114_517
; %bb.514:
	v_cmp_ne_u32_e32 vcc_lo, 30, v122
	s_xor_b32 s2, s6, -1
	s_and_b32 s3, s2, vcc_lo
	s_and_saveexec_b32 s2, s3
	s_cbranch_execz .LBB114_516
; %bb.515:
	v_ashrrev_i32_e32 v123, 31, v122
	v_lshlrev_b64 v[123:124], 2, v[122:123]
	v_add_co_u32 v123, vcc_lo, v4, v123
	v_add_co_ci_u32_e64 v124, null, v5, v124, vcc_lo
	s_clause 0x1
	global_load_dword v130, v[123:124], off
	global_load_dword v131, v[4:5], off offset:120
	s_waitcnt vmcnt(1)
	global_store_dword v[4:5], v130, off offset:120
	s_waitcnt vmcnt(0)
	global_store_dword v[123:124], v131, off
.LBB114_516:
	s_or_b32 exec_lo, exec_lo, s2
	v_mov_b32_e32 v130, v122
	v_mov_b32_e32 v131, v122
.LBB114_517:
	s_or_b32 exec_lo, exec_lo, s1
.LBB114_518:
	s_andn2_saveexec_b32 s0, s0
	s_cbranch_execz .LBB114_520
; %bb.519:
	v_mov_b32_e32 v131, 30
	ds_write2_b64 v128, v[54:55], v[56:57] offset0:31 offset1:32
	ds_write2_b64 v128, v[52:53], v[50:51] offset0:33 offset1:34
	;; [unrolled: 1-line block ×13, first 2 shown]
	ds_write_b64 v128, v[120:121] offset:456
.LBB114_520:
	s_or_b32 exec_lo, exec_lo, s0
	s_mov_b32 s0, exec_lo
	s_waitcnt lgkmcnt(0)
	s_waitcnt_vscnt null, 0x0
	s_barrier
	buffer_gl0_inv
	v_cmpx_lt_i32_e32 30, v131
	s_cbranch_execz .LBB114_522
; %bb.521:
	v_mul_f64 v[60:61], v[0:1], v[60:61]
	ds_read2_b64 v[132:135], v128 offset0:31 offset1:32
	ds_read2_b64 v[136:139], v128 offset0:33 offset1:34
	;; [unrolled: 1-line block ×13, first 2 shown]
	ds_read_b64 v[0:1], v128 offset:456
	s_waitcnt lgkmcnt(13)
	v_fma_f64 v[54:55], -v[60:61], v[132:133], v[54:55]
	v_fma_f64 v[56:57], -v[60:61], v[134:135], v[56:57]
	s_waitcnt lgkmcnt(12)
	v_fma_f64 v[52:53], -v[60:61], v[136:137], v[52:53]
	v_fma_f64 v[50:51], -v[60:61], v[138:139], v[50:51]
	;; [unrolled: 3-line block ×13, first 2 shown]
	s_waitcnt lgkmcnt(0)
	v_fma_f64 v[120:121], -v[60:61], v[0:1], v[120:121]
.LBB114_522:
	s_or_b32 exec_lo, exec_lo, s0
	v_lshl_add_u32 v0, v131, 3, v128
	s_barrier
	buffer_gl0_inv
	v_mov_b32_e32 v122, 31
	ds_write_b64 v0, v[54:55]
	s_waitcnt lgkmcnt(0)
	s_barrier
	buffer_gl0_inv
	ds_read_b64 v[0:1], v128 offset:248
	s_cmp_lt_i32 s7, 33
	s_cbranch_scc1 .LBB114_525
; %bb.523:
	v_add3_u32 v123, v129, 0, 0x100
	v_mov_b32_e32 v122, 31
	s_mov_b32 s0, 32
.LBB114_524:                            ; =>This Inner Loop Header: Depth=1
	ds_read_b64 v[132:133], v123
	v_add_nc_u32_e32 v123, 8, v123
	s_waitcnt lgkmcnt(0)
	v_cmp_lt_f64_e64 vcc_lo, |v[0:1]|, |v[132:133]|
	v_cndmask_b32_e32 v1, v1, v133, vcc_lo
	v_cndmask_b32_e32 v0, v0, v132, vcc_lo
	v_cndmask_b32_e64 v122, v122, s0, vcc_lo
	s_add_i32 s0, s0, 1
	s_cmp_lg_u32 s7, s0
	s_cbranch_scc1 .LBB114_524
.LBB114_525:
	s_mov_b32 s0, exec_lo
	s_waitcnt lgkmcnt(0)
	v_cmpx_eq_f64_e32 0, v[0:1]
	s_xor_b32 s0, exec_lo, s0
; %bb.526:
	v_cmp_ne_u32_e32 vcc_lo, 0, v125
	v_cndmask_b32_e32 v125, 32, v125, vcc_lo
; %bb.527:
	s_andn2_saveexec_b32 s0, s0
	s_cbranch_execz .LBB114_529
; %bb.528:
	v_div_scale_f64 v[123:124], null, v[0:1], v[0:1], 1.0
	v_rcp_f64_e32 v[132:133], v[123:124]
	v_fma_f64 v[134:135], -v[123:124], v[132:133], 1.0
	v_fma_f64 v[132:133], v[132:133], v[134:135], v[132:133]
	v_fma_f64 v[134:135], -v[123:124], v[132:133], 1.0
	v_fma_f64 v[132:133], v[132:133], v[134:135], v[132:133]
	v_div_scale_f64 v[134:135], vcc_lo, 1.0, v[0:1], 1.0
	v_mul_f64 v[136:137], v[134:135], v[132:133]
	v_fma_f64 v[123:124], -v[123:124], v[136:137], v[134:135]
	v_div_fmas_f64 v[123:124], v[123:124], v[132:133], v[136:137]
	v_div_fixup_f64 v[0:1], v[123:124], v[0:1], 1.0
.LBB114_529:
	s_or_b32 exec_lo, exec_lo, s0
	s_mov_b32 s0, exec_lo
	v_cmpx_ne_u32_e64 v131, v122
	s_xor_b32 s0, exec_lo, s0
	s_cbranch_execz .LBB114_535
; %bb.530:
	s_mov_b32 s1, exec_lo
	v_cmpx_eq_u32_e32 31, v131
	s_cbranch_execz .LBB114_534
; %bb.531:
	v_cmp_ne_u32_e32 vcc_lo, 31, v122
	s_xor_b32 s2, s6, -1
	s_and_b32 s3, s2, vcc_lo
	s_and_saveexec_b32 s2, s3
	s_cbranch_execz .LBB114_533
; %bb.532:
	v_ashrrev_i32_e32 v123, 31, v122
	v_lshlrev_b64 v[123:124], 2, v[122:123]
	v_add_co_u32 v123, vcc_lo, v4, v123
	v_add_co_ci_u32_e64 v124, null, v5, v124, vcc_lo
	s_clause 0x1
	global_load_dword v130, v[123:124], off
	global_load_dword v131, v[4:5], off offset:124
	s_waitcnt vmcnt(1)
	global_store_dword v[4:5], v130, off offset:124
	s_waitcnt vmcnt(0)
	global_store_dword v[123:124], v131, off
.LBB114_533:
	s_or_b32 exec_lo, exec_lo, s2
	v_mov_b32_e32 v130, v122
	v_mov_b32_e32 v131, v122
.LBB114_534:
	s_or_b32 exec_lo, exec_lo, s1
.LBB114_535:
	s_andn2_saveexec_b32 s0, s0
	s_cbranch_execz .LBB114_537
; %bb.536:
	v_mov_b32_e32 v122, v56
	v_mov_b32_e32 v123, v57
	;; [unrolled: 1-line block ×16, first 2 shown]
	ds_write2_b64 v128, v[122:123], v[131:132] offset0:32 offset1:33
	ds_write2_b64 v128, v[133:134], v[135:136] offset0:34 offset1:35
	;; [unrolled: 1-line block ×4, first 2 shown]
	v_mov_b32_e32 v122, v40
	v_mov_b32_e32 v123, v41
	;; [unrolled: 1-line block ×20, first 2 shown]
	ds_write2_b64 v128, v[122:123], v[131:132] offset0:40 offset1:41
	ds_write2_b64 v128, v[133:134], v[135:136] offset0:42 offset1:43
	;; [unrolled: 1-line block ×5, first 2 shown]
	v_mov_b32_e32 v122, v20
	v_mov_b32_e32 v123, v21
	;; [unrolled: 1-line block ×15, first 2 shown]
	ds_write2_b64 v128, v[122:123], v[132:133] offset0:50 offset1:51
	ds_write2_b64 v128, v[134:135], v[136:137] offset0:52 offset1:53
	;; [unrolled: 1-line block ×4, first 2 shown]
.LBB114_537:
	s_or_b32 exec_lo, exec_lo, s0
	s_mov_b32 s0, exec_lo
	s_waitcnt lgkmcnt(0)
	s_waitcnt_vscnt null, 0x0
	s_barrier
	buffer_gl0_inv
	v_cmpx_lt_i32_e32 31, v131
	s_cbranch_execz .LBB114_539
; %bb.538:
	v_mul_f64 v[54:55], v[0:1], v[54:55]
	ds_read2_b64 v[132:135], v128 offset0:32 offset1:33
	ds_read2_b64 v[136:139], v128 offset0:34 offset1:35
	;; [unrolled: 1-line block ×13, first 2 shown]
	s_waitcnt lgkmcnt(12)
	v_fma_f64 v[56:57], -v[54:55], v[132:133], v[56:57]
	v_fma_f64 v[52:53], -v[54:55], v[134:135], v[52:53]
	s_waitcnt lgkmcnt(11)
	v_fma_f64 v[50:51], -v[54:55], v[136:137], v[50:51]
	v_fma_f64 v[48:49], -v[54:55], v[138:139], v[48:49]
	;; [unrolled: 3-line block ×13, first 2 shown]
.LBB114_539:
	s_or_b32 exec_lo, exec_lo, s0
	v_lshl_add_u32 v0, v131, 3, v128
	s_barrier
	buffer_gl0_inv
	v_mov_b32_e32 v122, 32
	ds_write_b64 v0, v[56:57]
	s_waitcnt lgkmcnt(0)
	s_barrier
	buffer_gl0_inv
	ds_read_b64 v[0:1], v128 offset:256
	s_cmp_lt_i32 s7, 34
	s_cbranch_scc1 .LBB114_542
; %bb.540:
	v_add3_u32 v123, v129, 0, 0x108
	v_mov_b32_e32 v122, 32
	s_mov_b32 s0, 33
.LBB114_541:                            ; =>This Inner Loop Header: Depth=1
	ds_read_b64 v[132:133], v123
	v_add_nc_u32_e32 v123, 8, v123
	s_waitcnt lgkmcnt(0)
	v_cmp_lt_f64_e64 vcc_lo, |v[0:1]|, |v[132:133]|
	v_cndmask_b32_e32 v1, v1, v133, vcc_lo
	v_cndmask_b32_e32 v0, v0, v132, vcc_lo
	v_cndmask_b32_e64 v122, v122, s0, vcc_lo
	s_add_i32 s0, s0, 1
	s_cmp_lg_u32 s7, s0
	s_cbranch_scc1 .LBB114_541
.LBB114_542:
	s_mov_b32 s0, exec_lo
	s_waitcnt lgkmcnt(0)
	v_cmpx_eq_f64_e32 0, v[0:1]
	s_xor_b32 s0, exec_lo, s0
; %bb.543:
	v_cmp_ne_u32_e32 vcc_lo, 0, v125
	v_cndmask_b32_e32 v125, 33, v125, vcc_lo
; %bb.544:
	s_andn2_saveexec_b32 s0, s0
	s_cbranch_execz .LBB114_546
; %bb.545:
	v_div_scale_f64 v[123:124], null, v[0:1], v[0:1], 1.0
	v_rcp_f64_e32 v[132:133], v[123:124]
	v_fma_f64 v[134:135], -v[123:124], v[132:133], 1.0
	v_fma_f64 v[132:133], v[132:133], v[134:135], v[132:133]
	v_fma_f64 v[134:135], -v[123:124], v[132:133], 1.0
	v_fma_f64 v[132:133], v[132:133], v[134:135], v[132:133]
	v_div_scale_f64 v[134:135], vcc_lo, 1.0, v[0:1], 1.0
	v_mul_f64 v[136:137], v[134:135], v[132:133]
	v_fma_f64 v[123:124], -v[123:124], v[136:137], v[134:135]
	v_div_fmas_f64 v[123:124], v[123:124], v[132:133], v[136:137]
	v_div_fixup_f64 v[0:1], v[123:124], v[0:1], 1.0
.LBB114_546:
	s_or_b32 exec_lo, exec_lo, s0
	s_mov_b32 s0, exec_lo
	v_cmpx_ne_u32_e64 v131, v122
	s_xor_b32 s0, exec_lo, s0
	s_cbranch_execz .LBB114_552
; %bb.547:
	s_mov_b32 s1, exec_lo
	v_cmpx_eq_u32_e32 32, v131
	s_cbranch_execz .LBB114_551
; %bb.548:
	v_cmp_ne_u32_e32 vcc_lo, 32, v122
	s_xor_b32 s2, s6, -1
	s_and_b32 s3, s2, vcc_lo
	s_and_saveexec_b32 s2, s3
	s_cbranch_execz .LBB114_550
; %bb.549:
	v_ashrrev_i32_e32 v123, 31, v122
	v_lshlrev_b64 v[123:124], 2, v[122:123]
	v_add_co_u32 v123, vcc_lo, v4, v123
	v_add_co_ci_u32_e64 v124, null, v5, v124, vcc_lo
	s_clause 0x1
	global_load_dword v130, v[123:124], off
	global_load_dword v131, v[4:5], off offset:128
	s_waitcnt vmcnt(1)
	global_store_dword v[4:5], v130, off offset:128
	s_waitcnt vmcnt(0)
	global_store_dword v[123:124], v131, off
.LBB114_550:
	s_or_b32 exec_lo, exec_lo, s2
	v_mov_b32_e32 v130, v122
	v_mov_b32_e32 v131, v122
.LBB114_551:
	s_or_b32 exec_lo, exec_lo, s1
.LBB114_552:
	s_andn2_saveexec_b32 s0, s0
	s_cbranch_execz .LBB114_554
; %bb.553:
	v_mov_b32_e32 v131, 32
	ds_write2_b64 v128, v[52:53], v[50:51] offset0:33 offset1:34
	ds_write2_b64 v128, v[48:49], v[46:47] offset0:35 offset1:36
	;; [unrolled: 1-line block ×12, first 2 shown]
	ds_write_b64 v128, v[120:121] offset:456
.LBB114_554:
	s_or_b32 exec_lo, exec_lo, s0
	s_mov_b32 s0, exec_lo
	s_waitcnt lgkmcnt(0)
	s_waitcnt_vscnt null, 0x0
	s_barrier
	buffer_gl0_inv
	v_cmpx_lt_i32_e32 32, v131
	s_cbranch_execz .LBB114_556
; %bb.555:
	v_mul_f64 v[56:57], v[0:1], v[56:57]
	ds_read2_b64 v[132:135], v128 offset0:33 offset1:34
	ds_read2_b64 v[136:139], v128 offset0:35 offset1:36
	;; [unrolled: 1-line block ×12, first 2 shown]
	ds_read_b64 v[0:1], v128 offset:456
	s_waitcnt lgkmcnt(12)
	v_fma_f64 v[52:53], -v[56:57], v[132:133], v[52:53]
	v_fma_f64 v[50:51], -v[56:57], v[134:135], v[50:51]
	s_waitcnt lgkmcnt(11)
	v_fma_f64 v[48:49], -v[56:57], v[136:137], v[48:49]
	v_fma_f64 v[46:47], -v[56:57], v[138:139], v[46:47]
	;; [unrolled: 3-line block ×12, first 2 shown]
	s_waitcnt lgkmcnt(0)
	v_fma_f64 v[120:121], -v[56:57], v[0:1], v[120:121]
.LBB114_556:
	s_or_b32 exec_lo, exec_lo, s0
	v_lshl_add_u32 v0, v131, 3, v128
	s_barrier
	buffer_gl0_inv
	v_mov_b32_e32 v122, 33
	ds_write_b64 v0, v[52:53]
	s_waitcnt lgkmcnt(0)
	s_barrier
	buffer_gl0_inv
	ds_read_b64 v[0:1], v128 offset:264
	s_cmp_lt_i32 s7, 35
	s_cbranch_scc1 .LBB114_559
; %bb.557:
	v_add3_u32 v123, v129, 0, 0x110
	v_mov_b32_e32 v122, 33
	s_mov_b32 s0, 34
.LBB114_558:                            ; =>This Inner Loop Header: Depth=1
	ds_read_b64 v[132:133], v123
	v_add_nc_u32_e32 v123, 8, v123
	s_waitcnt lgkmcnt(0)
	v_cmp_lt_f64_e64 vcc_lo, |v[0:1]|, |v[132:133]|
	v_cndmask_b32_e32 v1, v1, v133, vcc_lo
	v_cndmask_b32_e32 v0, v0, v132, vcc_lo
	v_cndmask_b32_e64 v122, v122, s0, vcc_lo
	s_add_i32 s0, s0, 1
	s_cmp_lg_u32 s7, s0
	s_cbranch_scc1 .LBB114_558
.LBB114_559:
	s_mov_b32 s0, exec_lo
	s_waitcnt lgkmcnt(0)
	v_cmpx_eq_f64_e32 0, v[0:1]
	s_xor_b32 s0, exec_lo, s0
; %bb.560:
	v_cmp_ne_u32_e32 vcc_lo, 0, v125
	v_cndmask_b32_e32 v125, 34, v125, vcc_lo
; %bb.561:
	s_andn2_saveexec_b32 s0, s0
	s_cbranch_execz .LBB114_563
; %bb.562:
	v_div_scale_f64 v[123:124], null, v[0:1], v[0:1], 1.0
	v_rcp_f64_e32 v[132:133], v[123:124]
	v_fma_f64 v[134:135], -v[123:124], v[132:133], 1.0
	v_fma_f64 v[132:133], v[132:133], v[134:135], v[132:133]
	v_fma_f64 v[134:135], -v[123:124], v[132:133], 1.0
	v_fma_f64 v[132:133], v[132:133], v[134:135], v[132:133]
	v_div_scale_f64 v[134:135], vcc_lo, 1.0, v[0:1], 1.0
	v_mul_f64 v[136:137], v[134:135], v[132:133]
	v_fma_f64 v[123:124], -v[123:124], v[136:137], v[134:135]
	v_div_fmas_f64 v[123:124], v[123:124], v[132:133], v[136:137]
	v_div_fixup_f64 v[0:1], v[123:124], v[0:1], 1.0
.LBB114_563:
	s_or_b32 exec_lo, exec_lo, s0
	s_mov_b32 s0, exec_lo
	v_cmpx_ne_u32_e64 v131, v122
	s_xor_b32 s0, exec_lo, s0
	s_cbranch_execz .LBB114_569
; %bb.564:
	s_mov_b32 s1, exec_lo
	v_cmpx_eq_u32_e32 33, v131
	s_cbranch_execz .LBB114_568
; %bb.565:
	v_cmp_ne_u32_e32 vcc_lo, 33, v122
	s_xor_b32 s2, s6, -1
	s_and_b32 s3, s2, vcc_lo
	s_and_saveexec_b32 s2, s3
	s_cbranch_execz .LBB114_567
; %bb.566:
	v_ashrrev_i32_e32 v123, 31, v122
	v_lshlrev_b64 v[123:124], 2, v[122:123]
	v_add_co_u32 v123, vcc_lo, v4, v123
	v_add_co_ci_u32_e64 v124, null, v5, v124, vcc_lo
	s_clause 0x1
	global_load_dword v130, v[123:124], off
	global_load_dword v131, v[4:5], off offset:132
	s_waitcnt vmcnt(1)
	global_store_dword v[4:5], v130, off offset:132
	s_waitcnt vmcnt(0)
	global_store_dword v[123:124], v131, off
.LBB114_567:
	s_or_b32 exec_lo, exec_lo, s2
	v_mov_b32_e32 v130, v122
	v_mov_b32_e32 v131, v122
.LBB114_568:
	s_or_b32 exec_lo, exec_lo, s1
.LBB114_569:
	s_andn2_saveexec_b32 s0, s0
	s_cbranch_execz .LBB114_571
; %bb.570:
	v_mov_b32_e32 v122, v50
	v_mov_b32_e32 v123, v51
	;; [unrolled: 1-line block ×12, first 2 shown]
	ds_write2_b64 v128, v[122:123], v[131:132] offset0:34 offset1:35
	ds_write2_b64 v128, v[133:134], v[135:136] offset0:36 offset1:37
	;; [unrolled: 1-line block ×3, first 2 shown]
	v_mov_b32_e32 v122, v40
	v_mov_b32_e32 v123, v41
	;; [unrolled: 1-line block ×20, first 2 shown]
	ds_write2_b64 v128, v[122:123], v[131:132] offset0:40 offset1:41
	ds_write2_b64 v128, v[133:134], v[135:136] offset0:42 offset1:43
	;; [unrolled: 1-line block ×5, first 2 shown]
	v_mov_b32_e32 v122, v20
	v_mov_b32_e32 v123, v21
	;; [unrolled: 1-line block ×15, first 2 shown]
	ds_write2_b64 v128, v[122:123], v[132:133] offset0:50 offset1:51
	ds_write2_b64 v128, v[134:135], v[136:137] offset0:52 offset1:53
	;; [unrolled: 1-line block ×4, first 2 shown]
.LBB114_571:
	s_or_b32 exec_lo, exec_lo, s0
	s_mov_b32 s0, exec_lo
	s_waitcnt lgkmcnt(0)
	s_waitcnt_vscnt null, 0x0
	s_barrier
	buffer_gl0_inv
	v_cmpx_lt_i32_e32 33, v131
	s_cbranch_execz .LBB114_573
; %bb.572:
	v_mul_f64 v[52:53], v[0:1], v[52:53]
	ds_read2_b64 v[132:135], v128 offset0:34 offset1:35
	ds_read2_b64 v[136:139], v128 offset0:36 offset1:37
	;; [unrolled: 1-line block ×12, first 2 shown]
	s_waitcnt lgkmcnt(11)
	v_fma_f64 v[50:51], -v[52:53], v[132:133], v[50:51]
	v_fma_f64 v[48:49], -v[52:53], v[134:135], v[48:49]
	s_waitcnt lgkmcnt(10)
	v_fma_f64 v[46:47], -v[52:53], v[136:137], v[46:47]
	v_fma_f64 v[44:45], -v[52:53], v[138:139], v[44:45]
	;; [unrolled: 3-line block ×12, first 2 shown]
.LBB114_573:
	s_or_b32 exec_lo, exec_lo, s0
	v_lshl_add_u32 v0, v131, 3, v128
	s_barrier
	buffer_gl0_inv
	v_mov_b32_e32 v122, 34
	ds_write_b64 v0, v[50:51]
	s_waitcnt lgkmcnt(0)
	s_barrier
	buffer_gl0_inv
	ds_read_b64 v[0:1], v128 offset:272
	s_cmp_lt_i32 s7, 36
	s_cbranch_scc1 .LBB114_576
; %bb.574:
	v_add3_u32 v123, v129, 0, 0x118
	v_mov_b32_e32 v122, 34
	s_mov_b32 s0, 35
.LBB114_575:                            ; =>This Inner Loop Header: Depth=1
	ds_read_b64 v[132:133], v123
	v_add_nc_u32_e32 v123, 8, v123
	s_waitcnt lgkmcnt(0)
	v_cmp_lt_f64_e64 vcc_lo, |v[0:1]|, |v[132:133]|
	v_cndmask_b32_e32 v1, v1, v133, vcc_lo
	v_cndmask_b32_e32 v0, v0, v132, vcc_lo
	v_cndmask_b32_e64 v122, v122, s0, vcc_lo
	s_add_i32 s0, s0, 1
	s_cmp_lg_u32 s7, s0
	s_cbranch_scc1 .LBB114_575
.LBB114_576:
	s_mov_b32 s0, exec_lo
	s_waitcnt lgkmcnt(0)
	v_cmpx_eq_f64_e32 0, v[0:1]
	s_xor_b32 s0, exec_lo, s0
; %bb.577:
	v_cmp_ne_u32_e32 vcc_lo, 0, v125
	v_cndmask_b32_e32 v125, 35, v125, vcc_lo
; %bb.578:
	s_andn2_saveexec_b32 s0, s0
	s_cbranch_execz .LBB114_580
; %bb.579:
	v_div_scale_f64 v[123:124], null, v[0:1], v[0:1], 1.0
	v_rcp_f64_e32 v[132:133], v[123:124]
	v_fma_f64 v[134:135], -v[123:124], v[132:133], 1.0
	v_fma_f64 v[132:133], v[132:133], v[134:135], v[132:133]
	v_fma_f64 v[134:135], -v[123:124], v[132:133], 1.0
	v_fma_f64 v[132:133], v[132:133], v[134:135], v[132:133]
	v_div_scale_f64 v[134:135], vcc_lo, 1.0, v[0:1], 1.0
	v_mul_f64 v[136:137], v[134:135], v[132:133]
	v_fma_f64 v[123:124], -v[123:124], v[136:137], v[134:135]
	v_div_fmas_f64 v[123:124], v[123:124], v[132:133], v[136:137]
	v_div_fixup_f64 v[0:1], v[123:124], v[0:1], 1.0
.LBB114_580:
	s_or_b32 exec_lo, exec_lo, s0
	s_mov_b32 s0, exec_lo
	v_cmpx_ne_u32_e64 v131, v122
	s_xor_b32 s0, exec_lo, s0
	s_cbranch_execz .LBB114_586
; %bb.581:
	s_mov_b32 s1, exec_lo
	v_cmpx_eq_u32_e32 34, v131
	s_cbranch_execz .LBB114_585
; %bb.582:
	v_cmp_ne_u32_e32 vcc_lo, 34, v122
	s_xor_b32 s2, s6, -1
	s_and_b32 s3, s2, vcc_lo
	s_and_saveexec_b32 s2, s3
	s_cbranch_execz .LBB114_584
; %bb.583:
	v_ashrrev_i32_e32 v123, 31, v122
	v_lshlrev_b64 v[123:124], 2, v[122:123]
	v_add_co_u32 v123, vcc_lo, v4, v123
	v_add_co_ci_u32_e64 v124, null, v5, v124, vcc_lo
	s_clause 0x1
	global_load_dword v130, v[123:124], off
	global_load_dword v131, v[4:5], off offset:136
	s_waitcnt vmcnt(1)
	global_store_dword v[4:5], v130, off offset:136
	s_waitcnt vmcnt(0)
	global_store_dword v[123:124], v131, off
.LBB114_584:
	s_or_b32 exec_lo, exec_lo, s2
	v_mov_b32_e32 v130, v122
	v_mov_b32_e32 v131, v122
.LBB114_585:
	s_or_b32 exec_lo, exec_lo, s1
.LBB114_586:
	s_andn2_saveexec_b32 s0, s0
	s_cbranch_execz .LBB114_588
; %bb.587:
	v_mov_b32_e32 v131, 34
	ds_write2_b64 v128, v[48:49], v[46:47] offset0:35 offset1:36
	ds_write2_b64 v128, v[44:45], v[42:43] offset0:37 offset1:38
	;; [unrolled: 1-line block ×11, first 2 shown]
	ds_write_b64 v128, v[120:121] offset:456
.LBB114_588:
	s_or_b32 exec_lo, exec_lo, s0
	s_mov_b32 s0, exec_lo
	s_waitcnt lgkmcnt(0)
	s_waitcnt_vscnt null, 0x0
	s_barrier
	buffer_gl0_inv
	v_cmpx_lt_i32_e32 34, v131
	s_cbranch_execz .LBB114_590
; %bb.589:
	v_mul_f64 v[50:51], v[0:1], v[50:51]
	ds_read2_b64 v[132:135], v128 offset0:35 offset1:36
	ds_read2_b64 v[136:139], v128 offset0:37 offset1:38
	;; [unrolled: 1-line block ×11, first 2 shown]
	ds_read_b64 v[0:1], v128 offset:456
	s_waitcnt lgkmcnt(11)
	v_fma_f64 v[48:49], -v[50:51], v[132:133], v[48:49]
	v_fma_f64 v[46:47], -v[50:51], v[134:135], v[46:47]
	s_waitcnt lgkmcnt(10)
	v_fma_f64 v[44:45], -v[50:51], v[136:137], v[44:45]
	v_fma_f64 v[42:43], -v[50:51], v[138:139], v[42:43]
	;; [unrolled: 3-line block ×11, first 2 shown]
	s_waitcnt lgkmcnt(0)
	v_fma_f64 v[120:121], -v[50:51], v[0:1], v[120:121]
.LBB114_590:
	s_or_b32 exec_lo, exec_lo, s0
	v_lshl_add_u32 v0, v131, 3, v128
	s_barrier
	buffer_gl0_inv
	v_mov_b32_e32 v122, 35
	ds_write_b64 v0, v[48:49]
	s_waitcnt lgkmcnt(0)
	s_barrier
	buffer_gl0_inv
	ds_read_b64 v[0:1], v128 offset:280
	s_cmp_lt_i32 s7, 37
	s_cbranch_scc1 .LBB114_593
; %bb.591:
	v_add3_u32 v123, v129, 0, 0x120
	v_mov_b32_e32 v122, 35
	s_mov_b32 s0, 36
.LBB114_592:                            ; =>This Inner Loop Header: Depth=1
	ds_read_b64 v[132:133], v123
	v_add_nc_u32_e32 v123, 8, v123
	s_waitcnt lgkmcnt(0)
	v_cmp_lt_f64_e64 vcc_lo, |v[0:1]|, |v[132:133]|
	v_cndmask_b32_e32 v1, v1, v133, vcc_lo
	v_cndmask_b32_e32 v0, v0, v132, vcc_lo
	v_cndmask_b32_e64 v122, v122, s0, vcc_lo
	s_add_i32 s0, s0, 1
	s_cmp_lg_u32 s7, s0
	s_cbranch_scc1 .LBB114_592
.LBB114_593:
	s_mov_b32 s0, exec_lo
	s_waitcnt lgkmcnt(0)
	v_cmpx_eq_f64_e32 0, v[0:1]
	s_xor_b32 s0, exec_lo, s0
; %bb.594:
	v_cmp_ne_u32_e32 vcc_lo, 0, v125
	v_cndmask_b32_e32 v125, 36, v125, vcc_lo
; %bb.595:
	s_andn2_saveexec_b32 s0, s0
	s_cbranch_execz .LBB114_597
; %bb.596:
	v_div_scale_f64 v[123:124], null, v[0:1], v[0:1], 1.0
	v_rcp_f64_e32 v[132:133], v[123:124]
	v_fma_f64 v[134:135], -v[123:124], v[132:133], 1.0
	v_fma_f64 v[132:133], v[132:133], v[134:135], v[132:133]
	v_fma_f64 v[134:135], -v[123:124], v[132:133], 1.0
	v_fma_f64 v[132:133], v[132:133], v[134:135], v[132:133]
	v_div_scale_f64 v[134:135], vcc_lo, 1.0, v[0:1], 1.0
	v_mul_f64 v[136:137], v[134:135], v[132:133]
	v_fma_f64 v[123:124], -v[123:124], v[136:137], v[134:135]
	v_div_fmas_f64 v[123:124], v[123:124], v[132:133], v[136:137]
	v_div_fixup_f64 v[0:1], v[123:124], v[0:1], 1.0
.LBB114_597:
	s_or_b32 exec_lo, exec_lo, s0
	s_mov_b32 s0, exec_lo
	v_cmpx_ne_u32_e64 v131, v122
	s_xor_b32 s0, exec_lo, s0
	s_cbranch_execz .LBB114_603
; %bb.598:
	s_mov_b32 s1, exec_lo
	v_cmpx_eq_u32_e32 35, v131
	s_cbranch_execz .LBB114_602
; %bb.599:
	v_cmp_ne_u32_e32 vcc_lo, 35, v122
	s_xor_b32 s2, s6, -1
	s_and_b32 s3, s2, vcc_lo
	s_and_saveexec_b32 s2, s3
	s_cbranch_execz .LBB114_601
; %bb.600:
	v_ashrrev_i32_e32 v123, 31, v122
	v_lshlrev_b64 v[123:124], 2, v[122:123]
	v_add_co_u32 v123, vcc_lo, v4, v123
	v_add_co_ci_u32_e64 v124, null, v5, v124, vcc_lo
	s_clause 0x1
	global_load_dword v130, v[123:124], off
	global_load_dword v131, v[4:5], off offset:140
	s_waitcnt vmcnt(1)
	global_store_dword v[4:5], v130, off offset:140
	s_waitcnt vmcnt(0)
	global_store_dword v[123:124], v131, off
.LBB114_601:
	s_or_b32 exec_lo, exec_lo, s2
	v_mov_b32_e32 v130, v122
	v_mov_b32_e32 v131, v122
.LBB114_602:
	s_or_b32 exec_lo, exec_lo, s1
.LBB114_603:
	s_andn2_saveexec_b32 s0, s0
	s_cbranch_execz .LBB114_605
; %bb.604:
	v_mov_b32_e32 v122, v46
	v_mov_b32_e32 v123, v47
	;; [unrolled: 1-line block ×8, first 2 shown]
	ds_write2_b64 v128, v[122:123], v[131:132] offset0:36 offset1:37
	ds_write2_b64 v128, v[133:134], v[135:136] offset0:38 offset1:39
	v_mov_b32_e32 v122, v40
	v_mov_b32_e32 v123, v41
	;; [unrolled: 1-line block ×20, first 2 shown]
	ds_write2_b64 v128, v[122:123], v[131:132] offset0:40 offset1:41
	ds_write2_b64 v128, v[133:134], v[135:136] offset0:42 offset1:43
	;; [unrolled: 1-line block ×5, first 2 shown]
	v_mov_b32_e32 v122, v20
	v_mov_b32_e32 v123, v21
	;; [unrolled: 1-line block ×15, first 2 shown]
	ds_write2_b64 v128, v[122:123], v[132:133] offset0:50 offset1:51
	ds_write2_b64 v128, v[134:135], v[136:137] offset0:52 offset1:53
	;; [unrolled: 1-line block ×4, first 2 shown]
.LBB114_605:
	s_or_b32 exec_lo, exec_lo, s0
	s_mov_b32 s0, exec_lo
	s_waitcnt lgkmcnt(0)
	s_waitcnt_vscnt null, 0x0
	s_barrier
	buffer_gl0_inv
	v_cmpx_lt_i32_e32 35, v131
	s_cbranch_execz .LBB114_607
; %bb.606:
	v_mul_f64 v[48:49], v[0:1], v[48:49]
	ds_read2_b64 v[132:135], v128 offset0:36 offset1:37
	ds_read2_b64 v[136:139], v128 offset0:38 offset1:39
	;; [unrolled: 1-line block ×11, first 2 shown]
	s_waitcnt lgkmcnt(10)
	v_fma_f64 v[46:47], -v[48:49], v[132:133], v[46:47]
	v_fma_f64 v[44:45], -v[48:49], v[134:135], v[44:45]
	s_waitcnt lgkmcnt(9)
	v_fma_f64 v[42:43], -v[48:49], v[136:137], v[42:43]
	v_fma_f64 v[38:39], -v[48:49], v[138:139], v[38:39]
	;; [unrolled: 3-line block ×11, first 2 shown]
.LBB114_607:
	s_or_b32 exec_lo, exec_lo, s0
	v_lshl_add_u32 v0, v131, 3, v128
	s_barrier
	buffer_gl0_inv
	v_mov_b32_e32 v122, 36
	ds_write_b64 v0, v[46:47]
	s_waitcnt lgkmcnt(0)
	s_barrier
	buffer_gl0_inv
	ds_read_b64 v[0:1], v128 offset:288
	s_cmp_lt_i32 s7, 38
	s_cbranch_scc1 .LBB114_610
; %bb.608:
	v_add3_u32 v123, v129, 0, 0x128
	v_mov_b32_e32 v122, 36
	s_mov_b32 s0, 37
.LBB114_609:                            ; =>This Inner Loop Header: Depth=1
	ds_read_b64 v[132:133], v123
	v_add_nc_u32_e32 v123, 8, v123
	s_waitcnt lgkmcnt(0)
	v_cmp_lt_f64_e64 vcc_lo, |v[0:1]|, |v[132:133]|
	v_cndmask_b32_e32 v1, v1, v133, vcc_lo
	v_cndmask_b32_e32 v0, v0, v132, vcc_lo
	v_cndmask_b32_e64 v122, v122, s0, vcc_lo
	s_add_i32 s0, s0, 1
	s_cmp_lg_u32 s7, s0
	s_cbranch_scc1 .LBB114_609
.LBB114_610:
	s_mov_b32 s0, exec_lo
	s_waitcnt lgkmcnt(0)
	v_cmpx_eq_f64_e32 0, v[0:1]
	s_xor_b32 s0, exec_lo, s0
; %bb.611:
	v_cmp_ne_u32_e32 vcc_lo, 0, v125
	v_cndmask_b32_e32 v125, 37, v125, vcc_lo
; %bb.612:
	s_andn2_saveexec_b32 s0, s0
	s_cbranch_execz .LBB114_614
; %bb.613:
	v_div_scale_f64 v[123:124], null, v[0:1], v[0:1], 1.0
	v_rcp_f64_e32 v[132:133], v[123:124]
	v_fma_f64 v[134:135], -v[123:124], v[132:133], 1.0
	v_fma_f64 v[132:133], v[132:133], v[134:135], v[132:133]
	v_fma_f64 v[134:135], -v[123:124], v[132:133], 1.0
	v_fma_f64 v[132:133], v[132:133], v[134:135], v[132:133]
	v_div_scale_f64 v[134:135], vcc_lo, 1.0, v[0:1], 1.0
	v_mul_f64 v[136:137], v[134:135], v[132:133]
	v_fma_f64 v[123:124], -v[123:124], v[136:137], v[134:135]
	v_div_fmas_f64 v[123:124], v[123:124], v[132:133], v[136:137]
	v_div_fixup_f64 v[0:1], v[123:124], v[0:1], 1.0
.LBB114_614:
	s_or_b32 exec_lo, exec_lo, s0
	s_mov_b32 s0, exec_lo
	v_cmpx_ne_u32_e64 v131, v122
	s_xor_b32 s0, exec_lo, s0
	s_cbranch_execz .LBB114_620
; %bb.615:
	s_mov_b32 s1, exec_lo
	v_cmpx_eq_u32_e32 36, v131
	s_cbranch_execz .LBB114_619
; %bb.616:
	v_cmp_ne_u32_e32 vcc_lo, 36, v122
	s_xor_b32 s2, s6, -1
	s_and_b32 s3, s2, vcc_lo
	s_and_saveexec_b32 s2, s3
	s_cbranch_execz .LBB114_618
; %bb.617:
	v_ashrrev_i32_e32 v123, 31, v122
	v_lshlrev_b64 v[123:124], 2, v[122:123]
	v_add_co_u32 v123, vcc_lo, v4, v123
	v_add_co_ci_u32_e64 v124, null, v5, v124, vcc_lo
	s_clause 0x1
	global_load_dword v130, v[123:124], off
	global_load_dword v131, v[4:5], off offset:144
	s_waitcnt vmcnt(1)
	global_store_dword v[4:5], v130, off offset:144
	s_waitcnt vmcnt(0)
	global_store_dword v[123:124], v131, off
.LBB114_618:
	s_or_b32 exec_lo, exec_lo, s2
	v_mov_b32_e32 v130, v122
	v_mov_b32_e32 v131, v122
.LBB114_619:
	s_or_b32 exec_lo, exec_lo, s1
.LBB114_620:
	s_andn2_saveexec_b32 s0, s0
	s_cbranch_execz .LBB114_622
; %bb.621:
	v_mov_b32_e32 v131, 36
	ds_write2_b64 v128, v[44:45], v[42:43] offset0:37 offset1:38
	ds_write2_b64 v128, v[38:39], v[40:41] offset0:39 offset1:40
	;; [unrolled: 1-line block ×10, first 2 shown]
	ds_write_b64 v128, v[120:121] offset:456
.LBB114_622:
	s_or_b32 exec_lo, exec_lo, s0
	s_mov_b32 s0, exec_lo
	s_waitcnt lgkmcnt(0)
	s_waitcnt_vscnt null, 0x0
	s_barrier
	buffer_gl0_inv
	v_cmpx_lt_i32_e32 36, v131
	s_cbranch_execz .LBB114_624
; %bb.623:
	v_mul_f64 v[46:47], v[0:1], v[46:47]
	ds_read2_b64 v[132:135], v128 offset0:37 offset1:38
	ds_read2_b64 v[136:139], v128 offset0:39 offset1:40
	ds_read2_b64 v[140:143], v128 offset0:41 offset1:42
	ds_read2_b64 v[144:147], v128 offset0:43 offset1:44
	ds_read2_b64 v[148:151], v128 offset0:45 offset1:46
	ds_read2_b64 v[152:155], v128 offset0:47 offset1:48
	ds_read2_b64 v[156:159], v128 offset0:49 offset1:50
	ds_read2_b64 v[160:163], v128 offset0:51 offset1:52
	ds_read2_b64 v[164:167], v128 offset0:53 offset1:54
	ds_read2_b64 v[168:171], v128 offset0:55 offset1:56
	ds_read_b64 v[0:1], v128 offset:456
	s_waitcnt lgkmcnt(10)
	v_fma_f64 v[44:45], -v[46:47], v[132:133], v[44:45]
	v_fma_f64 v[42:43], -v[46:47], v[134:135], v[42:43]
	s_waitcnt lgkmcnt(9)
	v_fma_f64 v[38:39], -v[46:47], v[136:137], v[38:39]
	v_fma_f64 v[40:41], -v[46:47], v[138:139], v[40:41]
	;; [unrolled: 3-line block ×10, first 2 shown]
	s_waitcnt lgkmcnt(0)
	v_fma_f64 v[120:121], -v[46:47], v[0:1], v[120:121]
.LBB114_624:
	s_or_b32 exec_lo, exec_lo, s0
	v_lshl_add_u32 v0, v131, 3, v128
	s_barrier
	buffer_gl0_inv
	v_mov_b32_e32 v122, 37
	ds_write_b64 v0, v[44:45]
	s_waitcnt lgkmcnt(0)
	s_barrier
	buffer_gl0_inv
	ds_read_b64 v[0:1], v128 offset:296
	s_cmp_lt_i32 s7, 39
	s_cbranch_scc1 .LBB114_627
; %bb.625:
	v_add3_u32 v123, v129, 0, 0x130
	v_mov_b32_e32 v122, 37
	s_mov_b32 s0, 38
.LBB114_626:                            ; =>This Inner Loop Header: Depth=1
	ds_read_b64 v[132:133], v123
	v_add_nc_u32_e32 v123, 8, v123
	s_waitcnt lgkmcnt(0)
	v_cmp_lt_f64_e64 vcc_lo, |v[0:1]|, |v[132:133]|
	v_cndmask_b32_e32 v1, v1, v133, vcc_lo
	v_cndmask_b32_e32 v0, v0, v132, vcc_lo
	v_cndmask_b32_e64 v122, v122, s0, vcc_lo
	s_add_i32 s0, s0, 1
	s_cmp_lg_u32 s7, s0
	s_cbranch_scc1 .LBB114_626
.LBB114_627:
	s_mov_b32 s0, exec_lo
	s_waitcnt lgkmcnt(0)
	v_cmpx_eq_f64_e32 0, v[0:1]
	s_xor_b32 s0, exec_lo, s0
; %bb.628:
	v_cmp_ne_u32_e32 vcc_lo, 0, v125
	v_cndmask_b32_e32 v125, 38, v125, vcc_lo
; %bb.629:
	s_andn2_saveexec_b32 s0, s0
	s_cbranch_execz .LBB114_631
; %bb.630:
	v_div_scale_f64 v[123:124], null, v[0:1], v[0:1], 1.0
	v_rcp_f64_e32 v[132:133], v[123:124]
	v_fma_f64 v[134:135], -v[123:124], v[132:133], 1.0
	v_fma_f64 v[132:133], v[132:133], v[134:135], v[132:133]
	v_fma_f64 v[134:135], -v[123:124], v[132:133], 1.0
	v_fma_f64 v[132:133], v[132:133], v[134:135], v[132:133]
	v_div_scale_f64 v[134:135], vcc_lo, 1.0, v[0:1], 1.0
	v_mul_f64 v[136:137], v[134:135], v[132:133]
	v_fma_f64 v[123:124], -v[123:124], v[136:137], v[134:135]
	v_div_fmas_f64 v[123:124], v[123:124], v[132:133], v[136:137]
	v_div_fixup_f64 v[0:1], v[123:124], v[0:1], 1.0
.LBB114_631:
	s_or_b32 exec_lo, exec_lo, s0
	s_mov_b32 s0, exec_lo
	v_cmpx_ne_u32_e64 v131, v122
	s_xor_b32 s0, exec_lo, s0
	s_cbranch_execz .LBB114_637
; %bb.632:
	s_mov_b32 s1, exec_lo
	v_cmpx_eq_u32_e32 37, v131
	s_cbranch_execz .LBB114_636
; %bb.633:
	v_cmp_ne_u32_e32 vcc_lo, 37, v122
	s_xor_b32 s2, s6, -1
	s_and_b32 s3, s2, vcc_lo
	s_and_saveexec_b32 s2, s3
	s_cbranch_execz .LBB114_635
; %bb.634:
	v_ashrrev_i32_e32 v123, 31, v122
	v_lshlrev_b64 v[123:124], 2, v[122:123]
	v_add_co_u32 v123, vcc_lo, v4, v123
	v_add_co_ci_u32_e64 v124, null, v5, v124, vcc_lo
	s_clause 0x1
	global_load_dword v130, v[123:124], off
	global_load_dword v131, v[4:5], off offset:148
	s_waitcnt vmcnt(1)
	global_store_dword v[4:5], v130, off offset:148
	s_waitcnt vmcnt(0)
	global_store_dword v[123:124], v131, off
.LBB114_635:
	s_or_b32 exec_lo, exec_lo, s2
	v_mov_b32_e32 v130, v122
	v_mov_b32_e32 v131, v122
.LBB114_636:
	s_or_b32 exec_lo, exec_lo, s1
.LBB114_637:
	s_andn2_saveexec_b32 s0, s0
	s_cbranch_execz .LBB114_639
; %bb.638:
	v_mov_b32_e32 v122, v42
	v_mov_b32_e32 v123, v43
	;; [unrolled: 1-line block ×8, first 2 shown]
	ds_write2_b64 v128, v[122:123], v[131:132] offset0:38 offset1:39
	v_mov_b32_e32 v122, v34
	v_mov_b32_e32 v123, v35
	;; [unrolled: 1-line block ×16, first 2 shown]
	ds_write2_b64 v128, v[133:134], v[122:123] offset0:40 offset1:41
	ds_write2_b64 v128, v[131:132], v[135:136] offset0:42 offset1:43
	;; [unrolled: 1-line block ×5, first 2 shown]
	v_mov_b32_e32 v122, v20
	v_mov_b32_e32 v123, v21
	;; [unrolled: 1-line block ×15, first 2 shown]
	ds_write2_b64 v128, v[122:123], v[132:133] offset0:50 offset1:51
	ds_write2_b64 v128, v[134:135], v[136:137] offset0:52 offset1:53
	;; [unrolled: 1-line block ×4, first 2 shown]
.LBB114_639:
	s_or_b32 exec_lo, exec_lo, s0
	s_mov_b32 s0, exec_lo
	s_waitcnt lgkmcnt(0)
	s_waitcnt_vscnt null, 0x0
	s_barrier
	buffer_gl0_inv
	v_cmpx_lt_i32_e32 37, v131
	s_cbranch_execz .LBB114_641
; %bb.640:
	v_mul_f64 v[44:45], v[0:1], v[44:45]
	ds_read2_b64 v[132:135], v128 offset0:38 offset1:39
	ds_read2_b64 v[136:139], v128 offset0:40 offset1:41
	;; [unrolled: 1-line block ×10, first 2 shown]
	s_waitcnt lgkmcnt(9)
	v_fma_f64 v[42:43], -v[44:45], v[132:133], v[42:43]
	v_fma_f64 v[38:39], -v[44:45], v[134:135], v[38:39]
	s_waitcnt lgkmcnt(8)
	v_fma_f64 v[40:41], -v[44:45], v[136:137], v[40:41]
	v_fma_f64 v[34:35], -v[44:45], v[138:139], v[34:35]
	s_waitcnt lgkmcnt(7)
	v_fma_f64 v[36:37], -v[44:45], v[140:141], v[36:37]
	v_fma_f64 v[32:33], -v[44:45], v[142:143], v[32:33]
	s_waitcnt lgkmcnt(6)
	v_fma_f64 v[30:31], -v[44:45], v[144:145], v[30:31]
	v_fma_f64 v[28:29], -v[44:45], v[146:147], v[28:29]
	s_waitcnt lgkmcnt(5)
	v_fma_f64 v[26:27], -v[44:45], v[148:149], v[26:27]
	v_fma_f64 v[24:25], -v[44:45], v[150:151], v[24:25]
	s_waitcnt lgkmcnt(4)
	v_fma_f64 v[22:23], -v[44:45], v[152:153], v[22:23]
	v_fma_f64 v[18:19], -v[44:45], v[154:155], v[18:19]
	s_waitcnt lgkmcnt(3)
	v_fma_f64 v[20:21], -v[44:45], v[156:157], v[20:21]
	v_fma_f64 v[16:17], -v[44:45], v[158:159], v[16:17]
	s_waitcnt lgkmcnt(2)
	v_fma_f64 v[14:15], -v[44:45], v[160:161], v[14:15]
	v_fma_f64 v[8:9], -v[44:45], v[162:163], v[8:9]
	s_waitcnt lgkmcnt(1)
	v_fma_f64 v[12:13], -v[44:45], v[164:165], v[12:13]
	v_fma_f64 v[6:7], -v[44:45], v[166:167], v[6:7]
	s_waitcnt lgkmcnt(0)
	v_fma_f64 v[10:11], -v[44:45], v[168:169], v[10:11]
	v_fma_f64 v[120:121], -v[44:45], v[170:171], v[120:121]
.LBB114_641:
	s_or_b32 exec_lo, exec_lo, s0
	v_lshl_add_u32 v0, v131, 3, v128
	s_barrier
	buffer_gl0_inv
	v_mov_b32_e32 v122, 38
	ds_write_b64 v0, v[42:43]
	s_waitcnt lgkmcnt(0)
	s_barrier
	buffer_gl0_inv
	ds_read_b64 v[0:1], v128 offset:304
	s_cmp_lt_i32 s7, 40
	s_cbranch_scc1 .LBB114_644
; %bb.642:
	v_add3_u32 v123, v129, 0, 0x138
	v_mov_b32_e32 v122, 38
	s_mov_b32 s0, 39
.LBB114_643:                            ; =>This Inner Loop Header: Depth=1
	ds_read_b64 v[132:133], v123
	v_add_nc_u32_e32 v123, 8, v123
	s_waitcnt lgkmcnt(0)
	v_cmp_lt_f64_e64 vcc_lo, |v[0:1]|, |v[132:133]|
	v_cndmask_b32_e32 v1, v1, v133, vcc_lo
	v_cndmask_b32_e32 v0, v0, v132, vcc_lo
	v_cndmask_b32_e64 v122, v122, s0, vcc_lo
	s_add_i32 s0, s0, 1
	s_cmp_lg_u32 s7, s0
	s_cbranch_scc1 .LBB114_643
.LBB114_644:
	s_mov_b32 s0, exec_lo
	s_waitcnt lgkmcnt(0)
	v_cmpx_eq_f64_e32 0, v[0:1]
	s_xor_b32 s0, exec_lo, s0
; %bb.645:
	v_cmp_ne_u32_e32 vcc_lo, 0, v125
	v_cndmask_b32_e32 v125, 39, v125, vcc_lo
; %bb.646:
	s_andn2_saveexec_b32 s0, s0
	s_cbranch_execz .LBB114_648
; %bb.647:
	v_div_scale_f64 v[123:124], null, v[0:1], v[0:1], 1.0
	v_rcp_f64_e32 v[132:133], v[123:124]
	v_fma_f64 v[134:135], -v[123:124], v[132:133], 1.0
	v_fma_f64 v[132:133], v[132:133], v[134:135], v[132:133]
	v_fma_f64 v[134:135], -v[123:124], v[132:133], 1.0
	v_fma_f64 v[132:133], v[132:133], v[134:135], v[132:133]
	v_div_scale_f64 v[134:135], vcc_lo, 1.0, v[0:1], 1.0
	v_mul_f64 v[136:137], v[134:135], v[132:133]
	v_fma_f64 v[123:124], -v[123:124], v[136:137], v[134:135]
	v_div_fmas_f64 v[123:124], v[123:124], v[132:133], v[136:137]
	v_div_fixup_f64 v[0:1], v[123:124], v[0:1], 1.0
.LBB114_648:
	s_or_b32 exec_lo, exec_lo, s0
	s_mov_b32 s0, exec_lo
	v_cmpx_ne_u32_e64 v131, v122
	s_xor_b32 s0, exec_lo, s0
	s_cbranch_execz .LBB114_654
; %bb.649:
	s_mov_b32 s1, exec_lo
	v_cmpx_eq_u32_e32 38, v131
	s_cbranch_execz .LBB114_653
; %bb.650:
	v_cmp_ne_u32_e32 vcc_lo, 38, v122
	s_xor_b32 s2, s6, -1
	s_and_b32 s3, s2, vcc_lo
	s_and_saveexec_b32 s2, s3
	s_cbranch_execz .LBB114_652
; %bb.651:
	v_ashrrev_i32_e32 v123, 31, v122
	v_lshlrev_b64 v[123:124], 2, v[122:123]
	v_add_co_u32 v123, vcc_lo, v4, v123
	v_add_co_ci_u32_e64 v124, null, v5, v124, vcc_lo
	s_clause 0x1
	global_load_dword v130, v[123:124], off
	global_load_dword v131, v[4:5], off offset:152
	s_waitcnt vmcnt(1)
	global_store_dword v[4:5], v130, off offset:152
	s_waitcnt vmcnt(0)
	global_store_dword v[123:124], v131, off
.LBB114_652:
	s_or_b32 exec_lo, exec_lo, s2
	v_mov_b32_e32 v130, v122
	v_mov_b32_e32 v131, v122
.LBB114_653:
	s_or_b32 exec_lo, exec_lo, s1
.LBB114_654:
	s_andn2_saveexec_b32 s0, s0
	s_cbranch_execz .LBB114_656
; %bb.655:
	v_mov_b32_e32 v131, 38
	ds_write2_b64 v128, v[38:39], v[40:41] offset0:39 offset1:40
	ds_write2_b64 v128, v[34:35], v[36:37] offset0:41 offset1:42
	;; [unrolled: 1-line block ×9, first 2 shown]
	ds_write_b64 v128, v[120:121] offset:456
.LBB114_656:
	s_or_b32 exec_lo, exec_lo, s0
	s_mov_b32 s0, exec_lo
	s_waitcnt lgkmcnt(0)
	s_waitcnt_vscnt null, 0x0
	s_barrier
	buffer_gl0_inv
	v_cmpx_lt_i32_e32 38, v131
	s_cbranch_execz .LBB114_658
; %bb.657:
	v_mul_f64 v[42:43], v[0:1], v[42:43]
	ds_read2_b64 v[132:135], v128 offset0:39 offset1:40
	ds_read2_b64 v[136:139], v128 offset0:41 offset1:42
	;; [unrolled: 1-line block ×9, first 2 shown]
	ds_read_b64 v[0:1], v128 offset:456
	s_waitcnt lgkmcnt(9)
	v_fma_f64 v[38:39], -v[42:43], v[132:133], v[38:39]
	v_fma_f64 v[40:41], -v[42:43], v[134:135], v[40:41]
	s_waitcnt lgkmcnt(8)
	v_fma_f64 v[34:35], -v[42:43], v[136:137], v[34:35]
	v_fma_f64 v[36:37], -v[42:43], v[138:139], v[36:37]
	;; [unrolled: 3-line block ×9, first 2 shown]
	s_waitcnt lgkmcnt(0)
	v_fma_f64 v[120:121], -v[42:43], v[0:1], v[120:121]
.LBB114_658:
	s_or_b32 exec_lo, exec_lo, s0
	v_lshl_add_u32 v0, v131, 3, v128
	s_barrier
	buffer_gl0_inv
	v_mov_b32_e32 v122, 39
	ds_write_b64 v0, v[38:39]
	s_waitcnt lgkmcnt(0)
	s_barrier
	buffer_gl0_inv
	ds_read_b64 v[0:1], v128 offset:312
	s_cmp_lt_i32 s7, 41
	s_cbranch_scc1 .LBB114_661
; %bb.659:
	v_add3_u32 v123, v129, 0, 0x140
	v_mov_b32_e32 v122, 39
	s_mov_b32 s0, 40
.LBB114_660:                            ; =>This Inner Loop Header: Depth=1
	ds_read_b64 v[132:133], v123
	v_add_nc_u32_e32 v123, 8, v123
	s_waitcnt lgkmcnt(0)
	v_cmp_lt_f64_e64 vcc_lo, |v[0:1]|, |v[132:133]|
	v_cndmask_b32_e32 v1, v1, v133, vcc_lo
	v_cndmask_b32_e32 v0, v0, v132, vcc_lo
	v_cndmask_b32_e64 v122, v122, s0, vcc_lo
	s_add_i32 s0, s0, 1
	s_cmp_lg_u32 s7, s0
	s_cbranch_scc1 .LBB114_660
.LBB114_661:
	s_mov_b32 s0, exec_lo
	s_waitcnt lgkmcnt(0)
	v_cmpx_eq_f64_e32 0, v[0:1]
	s_xor_b32 s0, exec_lo, s0
; %bb.662:
	v_cmp_ne_u32_e32 vcc_lo, 0, v125
	v_cndmask_b32_e32 v125, 40, v125, vcc_lo
; %bb.663:
	s_andn2_saveexec_b32 s0, s0
	s_cbranch_execz .LBB114_665
; %bb.664:
	v_div_scale_f64 v[123:124], null, v[0:1], v[0:1], 1.0
	v_rcp_f64_e32 v[132:133], v[123:124]
	v_fma_f64 v[134:135], -v[123:124], v[132:133], 1.0
	v_fma_f64 v[132:133], v[132:133], v[134:135], v[132:133]
	v_fma_f64 v[134:135], -v[123:124], v[132:133], 1.0
	v_fma_f64 v[132:133], v[132:133], v[134:135], v[132:133]
	v_div_scale_f64 v[134:135], vcc_lo, 1.0, v[0:1], 1.0
	v_mul_f64 v[136:137], v[134:135], v[132:133]
	v_fma_f64 v[123:124], -v[123:124], v[136:137], v[134:135]
	v_div_fmas_f64 v[123:124], v[123:124], v[132:133], v[136:137]
	v_div_fixup_f64 v[0:1], v[123:124], v[0:1], 1.0
.LBB114_665:
	s_or_b32 exec_lo, exec_lo, s0
	s_mov_b32 s0, exec_lo
	v_cmpx_ne_u32_e64 v131, v122
	s_xor_b32 s0, exec_lo, s0
	s_cbranch_execz .LBB114_671
; %bb.666:
	s_mov_b32 s1, exec_lo
	v_cmpx_eq_u32_e32 39, v131
	s_cbranch_execz .LBB114_670
; %bb.667:
	v_cmp_ne_u32_e32 vcc_lo, 39, v122
	s_xor_b32 s2, s6, -1
	s_and_b32 s3, s2, vcc_lo
	s_and_saveexec_b32 s2, s3
	s_cbranch_execz .LBB114_669
; %bb.668:
	v_ashrrev_i32_e32 v123, 31, v122
	v_lshlrev_b64 v[123:124], 2, v[122:123]
	v_add_co_u32 v123, vcc_lo, v4, v123
	v_add_co_ci_u32_e64 v124, null, v5, v124, vcc_lo
	s_clause 0x1
	global_load_dword v130, v[123:124], off
	global_load_dword v131, v[4:5], off offset:156
	s_waitcnt vmcnt(1)
	global_store_dword v[4:5], v130, off offset:156
	s_waitcnt vmcnt(0)
	global_store_dword v[123:124], v131, off
.LBB114_669:
	s_or_b32 exec_lo, exec_lo, s2
	v_mov_b32_e32 v130, v122
	v_mov_b32_e32 v131, v122
.LBB114_670:
	s_or_b32 exec_lo, exec_lo, s1
.LBB114_671:
	s_andn2_saveexec_b32 s0, s0
	s_cbranch_execz .LBB114_673
; %bb.672:
	v_mov_b32_e32 v122, v40
	v_mov_b32_e32 v123, v41
	;; [unrolled: 1-line block ×20, first 2 shown]
	ds_write2_b64 v128, v[122:123], v[131:132] offset0:40 offset1:41
	ds_write2_b64 v128, v[133:134], v[135:136] offset0:42 offset1:43
	;; [unrolled: 1-line block ×5, first 2 shown]
	v_mov_b32_e32 v122, v20
	v_mov_b32_e32 v123, v21
	;; [unrolled: 1-line block ×15, first 2 shown]
	ds_write2_b64 v128, v[122:123], v[132:133] offset0:50 offset1:51
	ds_write2_b64 v128, v[134:135], v[136:137] offset0:52 offset1:53
	ds_write2_b64 v128, v[138:139], v[140:141] offset0:54 offset1:55
	ds_write2_b64 v128, v[142:143], v[120:121] offset0:56 offset1:57
.LBB114_673:
	s_or_b32 exec_lo, exec_lo, s0
	s_mov_b32 s0, exec_lo
	s_waitcnt lgkmcnt(0)
	s_waitcnt_vscnt null, 0x0
	s_barrier
	buffer_gl0_inv
	v_cmpx_lt_i32_e32 39, v131
	s_cbranch_execz .LBB114_675
; %bb.674:
	v_mul_f64 v[38:39], v[0:1], v[38:39]
	ds_read2_b64 v[132:135], v128 offset0:40 offset1:41
	ds_read2_b64 v[136:139], v128 offset0:42 offset1:43
	ds_read2_b64 v[140:143], v128 offset0:44 offset1:45
	ds_read2_b64 v[144:147], v128 offset0:46 offset1:47
	ds_read2_b64 v[148:151], v128 offset0:48 offset1:49
	ds_read2_b64 v[152:155], v128 offset0:50 offset1:51
	ds_read2_b64 v[156:159], v128 offset0:52 offset1:53
	ds_read2_b64 v[160:163], v128 offset0:54 offset1:55
	ds_read2_b64 v[164:167], v128 offset0:56 offset1:57
	s_waitcnt lgkmcnt(8)
	v_fma_f64 v[40:41], -v[38:39], v[132:133], v[40:41]
	v_fma_f64 v[34:35], -v[38:39], v[134:135], v[34:35]
	s_waitcnt lgkmcnt(7)
	v_fma_f64 v[36:37], -v[38:39], v[136:137], v[36:37]
	v_fma_f64 v[32:33], -v[38:39], v[138:139], v[32:33]
	;; [unrolled: 3-line block ×9, first 2 shown]
.LBB114_675:
	s_or_b32 exec_lo, exec_lo, s0
	v_lshl_add_u32 v0, v131, 3, v128
	s_barrier
	buffer_gl0_inv
	v_mov_b32_e32 v122, 40
	ds_write_b64 v0, v[40:41]
	s_waitcnt lgkmcnt(0)
	s_barrier
	buffer_gl0_inv
	ds_read_b64 v[0:1], v128 offset:320
	s_cmp_lt_i32 s7, 42
	s_cbranch_scc1 .LBB114_678
; %bb.676:
	v_add3_u32 v123, v129, 0, 0x148
	v_mov_b32_e32 v122, 40
	s_mov_b32 s0, 41
.LBB114_677:                            ; =>This Inner Loop Header: Depth=1
	ds_read_b64 v[132:133], v123
	v_add_nc_u32_e32 v123, 8, v123
	s_waitcnt lgkmcnt(0)
	v_cmp_lt_f64_e64 vcc_lo, |v[0:1]|, |v[132:133]|
	v_cndmask_b32_e32 v1, v1, v133, vcc_lo
	v_cndmask_b32_e32 v0, v0, v132, vcc_lo
	v_cndmask_b32_e64 v122, v122, s0, vcc_lo
	s_add_i32 s0, s0, 1
	s_cmp_lg_u32 s7, s0
	s_cbranch_scc1 .LBB114_677
.LBB114_678:
	s_mov_b32 s0, exec_lo
	s_waitcnt lgkmcnt(0)
	v_cmpx_eq_f64_e32 0, v[0:1]
	s_xor_b32 s0, exec_lo, s0
; %bb.679:
	v_cmp_ne_u32_e32 vcc_lo, 0, v125
	v_cndmask_b32_e32 v125, 41, v125, vcc_lo
; %bb.680:
	s_andn2_saveexec_b32 s0, s0
	s_cbranch_execz .LBB114_682
; %bb.681:
	v_div_scale_f64 v[123:124], null, v[0:1], v[0:1], 1.0
	v_rcp_f64_e32 v[132:133], v[123:124]
	v_fma_f64 v[134:135], -v[123:124], v[132:133], 1.0
	v_fma_f64 v[132:133], v[132:133], v[134:135], v[132:133]
	v_fma_f64 v[134:135], -v[123:124], v[132:133], 1.0
	v_fma_f64 v[132:133], v[132:133], v[134:135], v[132:133]
	v_div_scale_f64 v[134:135], vcc_lo, 1.0, v[0:1], 1.0
	v_mul_f64 v[136:137], v[134:135], v[132:133]
	v_fma_f64 v[123:124], -v[123:124], v[136:137], v[134:135]
	v_div_fmas_f64 v[123:124], v[123:124], v[132:133], v[136:137]
	v_div_fixup_f64 v[0:1], v[123:124], v[0:1], 1.0
.LBB114_682:
	s_or_b32 exec_lo, exec_lo, s0
	s_mov_b32 s0, exec_lo
	v_cmpx_ne_u32_e64 v131, v122
	s_xor_b32 s0, exec_lo, s0
	s_cbranch_execz .LBB114_688
; %bb.683:
	s_mov_b32 s1, exec_lo
	v_cmpx_eq_u32_e32 40, v131
	s_cbranch_execz .LBB114_687
; %bb.684:
	v_cmp_ne_u32_e32 vcc_lo, 40, v122
	s_xor_b32 s2, s6, -1
	s_and_b32 s3, s2, vcc_lo
	s_and_saveexec_b32 s2, s3
	s_cbranch_execz .LBB114_686
; %bb.685:
	v_ashrrev_i32_e32 v123, 31, v122
	v_lshlrev_b64 v[123:124], 2, v[122:123]
	v_add_co_u32 v123, vcc_lo, v4, v123
	v_add_co_ci_u32_e64 v124, null, v5, v124, vcc_lo
	s_clause 0x1
	global_load_dword v130, v[123:124], off
	global_load_dword v131, v[4:5], off offset:160
	s_waitcnt vmcnt(1)
	global_store_dword v[4:5], v130, off offset:160
	s_waitcnt vmcnt(0)
	global_store_dword v[123:124], v131, off
.LBB114_686:
	s_or_b32 exec_lo, exec_lo, s2
	v_mov_b32_e32 v130, v122
	v_mov_b32_e32 v131, v122
.LBB114_687:
	s_or_b32 exec_lo, exec_lo, s1
.LBB114_688:
	s_andn2_saveexec_b32 s0, s0
	s_cbranch_execz .LBB114_690
; %bb.689:
	v_mov_b32_e32 v131, 40
	ds_write2_b64 v128, v[34:35], v[36:37] offset0:41 offset1:42
	ds_write2_b64 v128, v[32:33], v[30:31] offset0:43 offset1:44
	;; [unrolled: 1-line block ×8, first 2 shown]
	ds_write_b64 v128, v[120:121] offset:456
.LBB114_690:
	s_or_b32 exec_lo, exec_lo, s0
	s_mov_b32 s0, exec_lo
	s_waitcnt lgkmcnt(0)
	s_waitcnt_vscnt null, 0x0
	s_barrier
	buffer_gl0_inv
	v_cmpx_lt_i32_e32 40, v131
	s_cbranch_execz .LBB114_692
; %bb.691:
	v_mul_f64 v[40:41], v[0:1], v[40:41]
	ds_read2_b64 v[132:135], v128 offset0:41 offset1:42
	ds_read2_b64 v[136:139], v128 offset0:43 offset1:44
	;; [unrolled: 1-line block ×8, first 2 shown]
	ds_read_b64 v[0:1], v128 offset:456
	s_waitcnt lgkmcnt(8)
	v_fma_f64 v[34:35], -v[40:41], v[132:133], v[34:35]
	v_fma_f64 v[36:37], -v[40:41], v[134:135], v[36:37]
	s_waitcnt lgkmcnt(7)
	v_fma_f64 v[32:33], -v[40:41], v[136:137], v[32:33]
	v_fma_f64 v[30:31], -v[40:41], v[138:139], v[30:31]
	;; [unrolled: 3-line block ×8, first 2 shown]
	s_waitcnt lgkmcnt(0)
	v_fma_f64 v[120:121], -v[40:41], v[0:1], v[120:121]
.LBB114_692:
	s_or_b32 exec_lo, exec_lo, s0
	v_lshl_add_u32 v0, v131, 3, v128
	s_barrier
	buffer_gl0_inv
	v_mov_b32_e32 v122, 41
	ds_write_b64 v0, v[34:35]
	s_waitcnt lgkmcnt(0)
	s_barrier
	buffer_gl0_inv
	ds_read_b64 v[0:1], v128 offset:328
	s_cmp_lt_i32 s7, 43
	s_cbranch_scc1 .LBB114_695
; %bb.693:
	v_add3_u32 v123, v129, 0, 0x150
	v_mov_b32_e32 v122, 41
	s_mov_b32 s0, 42
.LBB114_694:                            ; =>This Inner Loop Header: Depth=1
	ds_read_b64 v[132:133], v123
	v_add_nc_u32_e32 v123, 8, v123
	s_waitcnt lgkmcnt(0)
	v_cmp_lt_f64_e64 vcc_lo, |v[0:1]|, |v[132:133]|
	v_cndmask_b32_e32 v1, v1, v133, vcc_lo
	v_cndmask_b32_e32 v0, v0, v132, vcc_lo
	v_cndmask_b32_e64 v122, v122, s0, vcc_lo
	s_add_i32 s0, s0, 1
	s_cmp_lg_u32 s7, s0
	s_cbranch_scc1 .LBB114_694
.LBB114_695:
	s_mov_b32 s0, exec_lo
	s_waitcnt lgkmcnt(0)
	v_cmpx_eq_f64_e32 0, v[0:1]
	s_xor_b32 s0, exec_lo, s0
; %bb.696:
	v_cmp_ne_u32_e32 vcc_lo, 0, v125
	v_cndmask_b32_e32 v125, 42, v125, vcc_lo
; %bb.697:
	s_andn2_saveexec_b32 s0, s0
	s_cbranch_execz .LBB114_699
; %bb.698:
	v_div_scale_f64 v[123:124], null, v[0:1], v[0:1], 1.0
	v_rcp_f64_e32 v[132:133], v[123:124]
	v_fma_f64 v[134:135], -v[123:124], v[132:133], 1.0
	v_fma_f64 v[132:133], v[132:133], v[134:135], v[132:133]
	v_fma_f64 v[134:135], -v[123:124], v[132:133], 1.0
	v_fma_f64 v[132:133], v[132:133], v[134:135], v[132:133]
	v_div_scale_f64 v[134:135], vcc_lo, 1.0, v[0:1], 1.0
	v_mul_f64 v[136:137], v[134:135], v[132:133]
	v_fma_f64 v[123:124], -v[123:124], v[136:137], v[134:135]
	v_div_fmas_f64 v[123:124], v[123:124], v[132:133], v[136:137]
	v_div_fixup_f64 v[0:1], v[123:124], v[0:1], 1.0
.LBB114_699:
	s_or_b32 exec_lo, exec_lo, s0
	s_mov_b32 s0, exec_lo
	v_cmpx_ne_u32_e64 v131, v122
	s_xor_b32 s0, exec_lo, s0
	s_cbranch_execz .LBB114_705
; %bb.700:
	s_mov_b32 s1, exec_lo
	v_cmpx_eq_u32_e32 41, v131
	s_cbranch_execz .LBB114_704
; %bb.701:
	v_cmp_ne_u32_e32 vcc_lo, 41, v122
	s_xor_b32 s2, s6, -1
	s_and_b32 s3, s2, vcc_lo
	s_and_saveexec_b32 s2, s3
	s_cbranch_execz .LBB114_703
; %bb.702:
	v_ashrrev_i32_e32 v123, 31, v122
	v_lshlrev_b64 v[123:124], 2, v[122:123]
	v_add_co_u32 v123, vcc_lo, v4, v123
	v_add_co_ci_u32_e64 v124, null, v5, v124, vcc_lo
	s_clause 0x1
	global_load_dword v130, v[123:124], off
	global_load_dword v131, v[4:5], off offset:164
	s_waitcnt vmcnt(1)
	global_store_dword v[4:5], v130, off offset:164
	s_waitcnt vmcnt(0)
	global_store_dword v[123:124], v131, off
.LBB114_703:
	s_or_b32 exec_lo, exec_lo, s2
	v_mov_b32_e32 v130, v122
	v_mov_b32_e32 v131, v122
.LBB114_704:
	s_or_b32 exec_lo, exec_lo, s1
.LBB114_705:
	s_andn2_saveexec_b32 s0, s0
	s_cbranch_execz .LBB114_707
; %bb.706:
	v_mov_b32_e32 v122, v36
	v_mov_b32_e32 v123, v37
	;; [unrolled: 1-line block ×16, first 2 shown]
	ds_write2_b64 v128, v[122:123], v[131:132] offset0:42 offset1:43
	ds_write2_b64 v128, v[133:134], v[135:136] offset0:44 offset1:45
	ds_write2_b64 v128, v[137:138], v[139:140] offset0:46 offset1:47
	ds_write2_b64 v128, v[141:142], v[143:144] offset0:48 offset1:49
	v_mov_b32_e32 v122, v20
	v_mov_b32_e32 v123, v21
	;; [unrolled: 1-line block ×15, first 2 shown]
	ds_write2_b64 v128, v[122:123], v[132:133] offset0:50 offset1:51
	ds_write2_b64 v128, v[134:135], v[136:137] offset0:52 offset1:53
	;; [unrolled: 1-line block ×4, first 2 shown]
.LBB114_707:
	s_or_b32 exec_lo, exec_lo, s0
	s_mov_b32 s0, exec_lo
	s_waitcnt lgkmcnt(0)
	s_waitcnt_vscnt null, 0x0
	s_barrier
	buffer_gl0_inv
	v_cmpx_lt_i32_e32 41, v131
	s_cbranch_execz .LBB114_709
; %bb.708:
	v_mul_f64 v[34:35], v[0:1], v[34:35]
	ds_read2_b64 v[132:135], v128 offset0:42 offset1:43
	ds_read2_b64 v[136:139], v128 offset0:44 offset1:45
	;; [unrolled: 1-line block ×8, first 2 shown]
	s_waitcnt lgkmcnt(7)
	v_fma_f64 v[36:37], -v[34:35], v[132:133], v[36:37]
	v_fma_f64 v[32:33], -v[34:35], v[134:135], v[32:33]
	s_waitcnt lgkmcnt(6)
	v_fma_f64 v[30:31], -v[34:35], v[136:137], v[30:31]
	v_fma_f64 v[28:29], -v[34:35], v[138:139], v[28:29]
	;; [unrolled: 3-line block ×8, first 2 shown]
.LBB114_709:
	s_or_b32 exec_lo, exec_lo, s0
	v_lshl_add_u32 v0, v131, 3, v128
	s_barrier
	buffer_gl0_inv
	v_mov_b32_e32 v122, 42
	ds_write_b64 v0, v[36:37]
	s_waitcnt lgkmcnt(0)
	s_barrier
	buffer_gl0_inv
	ds_read_b64 v[0:1], v128 offset:336
	s_cmp_lt_i32 s7, 44
	s_cbranch_scc1 .LBB114_712
; %bb.710:
	v_add3_u32 v123, v129, 0, 0x158
	v_mov_b32_e32 v122, 42
	s_mov_b32 s0, 43
.LBB114_711:                            ; =>This Inner Loop Header: Depth=1
	ds_read_b64 v[132:133], v123
	v_add_nc_u32_e32 v123, 8, v123
	s_waitcnt lgkmcnt(0)
	v_cmp_lt_f64_e64 vcc_lo, |v[0:1]|, |v[132:133]|
	v_cndmask_b32_e32 v1, v1, v133, vcc_lo
	v_cndmask_b32_e32 v0, v0, v132, vcc_lo
	v_cndmask_b32_e64 v122, v122, s0, vcc_lo
	s_add_i32 s0, s0, 1
	s_cmp_lg_u32 s7, s0
	s_cbranch_scc1 .LBB114_711
.LBB114_712:
	s_mov_b32 s0, exec_lo
	s_waitcnt lgkmcnt(0)
	v_cmpx_eq_f64_e32 0, v[0:1]
	s_xor_b32 s0, exec_lo, s0
; %bb.713:
	v_cmp_ne_u32_e32 vcc_lo, 0, v125
	v_cndmask_b32_e32 v125, 43, v125, vcc_lo
; %bb.714:
	s_andn2_saveexec_b32 s0, s0
	s_cbranch_execz .LBB114_716
; %bb.715:
	v_div_scale_f64 v[123:124], null, v[0:1], v[0:1], 1.0
	v_rcp_f64_e32 v[132:133], v[123:124]
	v_fma_f64 v[134:135], -v[123:124], v[132:133], 1.0
	v_fma_f64 v[132:133], v[132:133], v[134:135], v[132:133]
	v_fma_f64 v[134:135], -v[123:124], v[132:133], 1.0
	v_fma_f64 v[132:133], v[132:133], v[134:135], v[132:133]
	v_div_scale_f64 v[134:135], vcc_lo, 1.0, v[0:1], 1.0
	v_mul_f64 v[136:137], v[134:135], v[132:133]
	v_fma_f64 v[123:124], -v[123:124], v[136:137], v[134:135]
	v_div_fmas_f64 v[123:124], v[123:124], v[132:133], v[136:137]
	v_div_fixup_f64 v[0:1], v[123:124], v[0:1], 1.0
.LBB114_716:
	s_or_b32 exec_lo, exec_lo, s0
	s_mov_b32 s0, exec_lo
	v_cmpx_ne_u32_e64 v131, v122
	s_xor_b32 s0, exec_lo, s0
	s_cbranch_execz .LBB114_722
; %bb.717:
	s_mov_b32 s1, exec_lo
	v_cmpx_eq_u32_e32 42, v131
	s_cbranch_execz .LBB114_721
; %bb.718:
	v_cmp_ne_u32_e32 vcc_lo, 42, v122
	s_xor_b32 s2, s6, -1
	s_and_b32 s3, s2, vcc_lo
	s_and_saveexec_b32 s2, s3
	s_cbranch_execz .LBB114_720
; %bb.719:
	v_ashrrev_i32_e32 v123, 31, v122
	v_lshlrev_b64 v[123:124], 2, v[122:123]
	v_add_co_u32 v123, vcc_lo, v4, v123
	v_add_co_ci_u32_e64 v124, null, v5, v124, vcc_lo
	s_clause 0x1
	global_load_dword v130, v[123:124], off
	global_load_dword v131, v[4:5], off offset:168
	s_waitcnt vmcnt(1)
	global_store_dword v[4:5], v130, off offset:168
	s_waitcnt vmcnt(0)
	global_store_dword v[123:124], v131, off
.LBB114_720:
	s_or_b32 exec_lo, exec_lo, s2
	v_mov_b32_e32 v130, v122
	v_mov_b32_e32 v131, v122
.LBB114_721:
	s_or_b32 exec_lo, exec_lo, s1
.LBB114_722:
	s_andn2_saveexec_b32 s0, s0
	s_cbranch_execz .LBB114_724
; %bb.723:
	v_mov_b32_e32 v131, 42
	ds_write2_b64 v128, v[32:33], v[30:31] offset0:43 offset1:44
	ds_write2_b64 v128, v[28:29], v[26:27] offset0:45 offset1:46
	;; [unrolled: 1-line block ×7, first 2 shown]
	ds_write_b64 v128, v[120:121] offset:456
.LBB114_724:
	s_or_b32 exec_lo, exec_lo, s0
	s_mov_b32 s0, exec_lo
	s_waitcnt lgkmcnt(0)
	s_waitcnt_vscnt null, 0x0
	s_barrier
	buffer_gl0_inv
	v_cmpx_lt_i32_e32 42, v131
	s_cbranch_execz .LBB114_726
; %bb.725:
	v_mul_f64 v[36:37], v[0:1], v[36:37]
	ds_read2_b64 v[132:135], v128 offset0:43 offset1:44
	ds_read2_b64 v[136:139], v128 offset0:45 offset1:46
	;; [unrolled: 1-line block ×7, first 2 shown]
	ds_read_b64 v[0:1], v128 offset:456
	s_waitcnt lgkmcnt(7)
	v_fma_f64 v[32:33], -v[36:37], v[132:133], v[32:33]
	v_fma_f64 v[30:31], -v[36:37], v[134:135], v[30:31]
	s_waitcnt lgkmcnt(6)
	v_fma_f64 v[28:29], -v[36:37], v[136:137], v[28:29]
	v_fma_f64 v[26:27], -v[36:37], v[138:139], v[26:27]
	;; [unrolled: 3-line block ×7, first 2 shown]
	s_waitcnt lgkmcnt(0)
	v_fma_f64 v[120:121], -v[36:37], v[0:1], v[120:121]
.LBB114_726:
	s_or_b32 exec_lo, exec_lo, s0
	v_lshl_add_u32 v0, v131, 3, v128
	s_barrier
	buffer_gl0_inv
	v_mov_b32_e32 v122, 43
	ds_write_b64 v0, v[32:33]
	s_waitcnt lgkmcnt(0)
	s_barrier
	buffer_gl0_inv
	ds_read_b64 v[0:1], v128 offset:344
	s_cmp_lt_i32 s7, 45
	s_cbranch_scc1 .LBB114_729
; %bb.727:
	v_add3_u32 v123, v129, 0, 0x160
	v_mov_b32_e32 v122, 43
	s_mov_b32 s0, 44
.LBB114_728:                            ; =>This Inner Loop Header: Depth=1
	ds_read_b64 v[132:133], v123
	v_add_nc_u32_e32 v123, 8, v123
	s_waitcnt lgkmcnt(0)
	v_cmp_lt_f64_e64 vcc_lo, |v[0:1]|, |v[132:133]|
	v_cndmask_b32_e32 v1, v1, v133, vcc_lo
	v_cndmask_b32_e32 v0, v0, v132, vcc_lo
	v_cndmask_b32_e64 v122, v122, s0, vcc_lo
	s_add_i32 s0, s0, 1
	s_cmp_lg_u32 s7, s0
	s_cbranch_scc1 .LBB114_728
.LBB114_729:
	s_mov_b32 s0, exec_lo
	s_waitcnt lgkmcnt(0)
	v_cmpx_eq_f64_e32 0, v[0:1]
	s_xor_b32 s0, exec_lo, s0
; %bb.730:
	v_cmp_ne_u32_e32 vcc_lo, 0, v125
	v_cndmask_b32_e32 v125, 44, v125, vcc_lo
; %bb.731:
	s_andn2_saveexec_b32 s0, s0
	s_cbranch_execz .LBB114_733
; %bb.732:
	v_div_scale_f64 v[123:124], null, v[0:1], v[0:1], 1.0
	v_rcp_f64_e32 v[132:133], v[123:124]
	v_fma_f64 v[134:135], -v[123:124], v[132:133], 1.0
	v_fma_f64 v[132:133], v[132:133], v[134:135], v[132:133]
	v_fma_f64 v[134:135], -v[123:124], v[132:133], 1.0
	v_fma_f64 v[132:133], v[132:133], v[134:135], v[132:133]
	v_div_scale_f64 v[134:135], vcc_lo, 1.0, v[0:1], 1.0
	v_mul_f64 v[136:137], v[134:135], v[132:133]
	v_fma_f64 v[123:124], -v[123:124], v[136:137], v[134:135]
	v_div_fmas_f64 v[123:124], v[123:124], v[132:133], v[136:137]
	v_div_fixup_f64 v[0:1], v[123:124], v[0:1], 1.0
.LBB114_733:
	s_or_b32 exec_lo, exec_lo, s0
	s_mov_b32 s0, exec_lo
	v_cmpx_ne_u32_e64 v131, v122
	s_xor_b32 s0, exec_lo, s0
	s_cbranch_execz .LBB114_739
; %bb.734:
	s_mov_b32 s1, exec_lo
	v_cmpx_eq_u32_e32 43, v131
	s_cbranch_execz .LBB114_738
; %bb.735:
	v_cmp_ne_u32_e32 vcc_lo, 43, v122
	s_xor_b32 s2, s6, -1
	s_and_b32 s3, s2, vcc_lo
	s_and_saveexec_b32 s2, s3
	s_cbranch_execz .LBB114_737
; %bb.736:
	v_ashrrev_i32_e32 v123, 31, v122
	v_lshlrev_b64 v[123:124], 2, v[122:123]
	v_add_co_u32 v123, vcc_lo, v4, v123
	v_add_co_ci_u32_e64 v124, null, v5, v124, vcc_lo
	s_clause 0x1
	global_load_dword v130, v[123:124], off
	global_load_dword v131, v[4:5], off offset:172
	s_waitcnt vmcnt(1)
	global_store_dword v[4:5], v130, off offset:172
	s_waitcnt vmcnt(0)
	global_store_dword v[123:124], v131, off
.LBB114_737:
	s_or_b32 exec_lo, exec_lo, s2
	v_mov_b32_e32 v130, v122
	v_mov_b32_e32 v131, v122
.LBB114_738:
	s_or_b32 exec_lo, exec_lo, s1
.LBB114_739:
	s_andn2_saveexec_b32 s0, s0
	s_cbranch_execz .LBB114_741
; %bb.740:
	v_mov_b32_e32 v122, v30
	v_mov_b32_e32 v123, v31
	;; [unrolled: 1-line block ×12, first 2 shown]
	ds_write2_b64 v128, v[122:123], v[131:132] offset0:44 offset1:45
	ds_write2_b64 v128, v[133:134], v[135:136] offset0:46 offset1:47
	;; [unrolled: 1-line block ×3, first 2 shown]
	v_mov_b32_e32 v122, v20
	v_mov_b32_e32 v123, v21
	;; [unrolled: 1-line block ×15, first 2 shown]
	ds_write2_b64 v128, v[122:123], v[132:133] offset0:50 offset1:51
	ds_write2_b64 v128, v[134:135], v[136:137] offset0:52 offset1:53
	;; [unrolled: 1-line block ×4, first 2 shown]
.LBB114_741:
	s_or_b32 exec_lo, exec_lo, s0
	s_mov_b32 s0, exec_lo
	s_waitcnt lgkmcnt(0)
	s_waitcnt_vscnt null, 0x0
	s_barrier
	buffer_gl0_inv
	v_cmpx_lt_i32_e32 43, v131
	s_cbranch_execz .LBB114_743
; %bb.742:
	v_mul_f64 v[32:33], v[0:1], v[32:33]
	ds_read2_b64 v[132:135], v128 offset0:44 offset1:45
	ds_read2_b64 v[136:139], v128 offset0:46 offset1:47
	;; [unrolled: 1-line block ×7, first 2 shown]
	s_waitcnt lgkmcnt(6)
	v_fma_f64 v[30:31], -v[32:33], v[132:133], v[30:31]
	v_fma_f64 v[28:29], -v[32:33], v[134:135], v[28:29]
	s_waitcnt lgkmcnt(5)
	v_fma_f64 v[26:27], -v[32:33], v[136:137], v[26:27]
	v_fma_f64 v[24:25], -v[32:33], v[138:139], v[24:25]
	;; [unrolled: 3-line block ×7, first 2 shown]
.LBB114_743:
	s_or_b32 exec_lo, exec_lo, s0
	v_lshl_add_u32 v0, v131, 3, v128
	s_barrier
	buffer_gl0_inv
	v_mov_b32_e32 v122, 44
	ds_write_b64 v0, v[30:31]
	s_waitcnt lgkmcnt(0)
	s_barrier
	buffer_gl0_inv
	ds_read_b64 v[0:1], v128 offset:352
	s_cmp_lt_i32 s7, 46
	s_cbranch_scc1 .LBB114_746
; %bb.744:
	v_add3_u32 v123, v129, 0, 0x168
	v_mov_b32_e32 v122, 44
	s_mov_b32 s0, 45
.LBB114_745:                            ; =>This Inner Loop Header: Depth=1
	ds_read_b64 v[132:133], v123
	v_add_nc_u32_e32 v123, 8, v123
	s_waitcnt lgkmcnt(0)
	v_cmp_lt_f64_e64 vcc_lo, |v[0:1]|, |v[132:133]|
	v_cndmask_b32_e32 v1, v1, v133, vcc_lo
	v_cndmask_b32_e32 v0, v0, v132, vcc_lo
	v_cndmask_b32_e64 v122, v122, s0, vcc_lo
	s_add_i32 s0, s0, 1
	s_cmp_lg_u32 s7, s0
	s_cbranch_scc1 .LBB114_745
.LBB114_746:
	s_mov_b32 s0, exec_lo
	s_waitcnt lgkmcnt(0)
	v_cmpx_eq_f64_e32 0, v[0:1]
	s_xor_b32 s0, exec_lo, s0
; %bb.747:
	v_cmp_ne_u32_e32 vcc_lo, 0, v125
	v_cndmask_b32_e32 v125, 45, v125, vcc_lo
; %bb.748:
	s_andn2_saveexec_b32 s0, s0
	s_cbranch_execz .LBB114_750
; %bb.749:
	v_div_scale_f64 v[123:124], null, v[0:1], v[0:1], 1.0
	v_rcp_f64_e32 v[132:133], v[123:124]
	v_fma_f64 v[134:135], -v[123:124], v[132:133], 1.0
	v_fma_f64 v[132:133], v[132:133], v[134:135], v[132:133]
	v_fma_f64 v[134:135], -v[123:124], v[132:133], 1.0
	v_fma_f64 v[132:133], v[132:133], v[134:135], v[132:133]
	v_div_scale_f64 v[134:135], vcc_lo, 1.0, v[0:1], 1.0
	v_mul_f64 v[136:137], v[134:135], v[132:133]
	v_fma_f64 v[123:124], -v[123:124], v[136:137], v[134:135]
	v_div_fmas_f64 v[123:124], v[123:124], v[132:133], v[136:137]
	v_div_fixup_f64 v[0:1], v[123:124], v[0:1], 1.0
.LBB114_750:
	s_or_b32 exec_lo, exec_lo, s0
	s_mov_b32 s0, exec_lo
	v_cmpx_ne_u32_e64 v131, v122
	s_xor_b32 s0, exec_lo, s0
	s_cbranch_execz .LBB114_756
; %bb.751:
	s_mov_b32 s1, exec_lo
	v_cmpx_eq_u32_e32 44, v131
	s_cbranch_execz .LBB114_755
; %bb.752:
	v_cmp_ne_u32_e32 vcc_lo, 44, v122
	s_xor_b32 s2, s6, -1
	s_and_b32 s3, s2, vcc_lo
	s_and_saveexec_b32 s2, s3
	s_cbranch_execz .LBB114_754
; %bb.753:
	v_ashrrev_i32_e32 v123, 31, v122
	v_lshlrev_b64 v[123:124], 2, v[122:123]
	v_add_co_u32 v123, vcc_lo, v4, v123
	v_add_co_ci_u32_e64 v124, null, v5, v124, vcc_lo
	s_clause 0x1
	global_load_dword v130, v[123:124], off
	global_load_dword v131, v[4:5], off offset:176
	s_waitcnt vmcnt(1)
	global_store_dword v[4:5], v130, off offset:176
	s_waitcnt vmcnt(0)
	global_store_dword v[123:124], v131, off
.LBB114_754:
	s_or_b32 exec_lo, exec_lo, s2
	v_mov_b32_e32 v130, v122
	v_mov_b32_e32 v131, v122
.LBB114_755:
	s_or_b32 exec_lo, exec_lo, s1
.LBB114_756:
	s_andn2_saveexec_b32 s0, s0
	s_cbranch_execz .LBB114_758
; %bb.757:
	v_mov_b32_e32 v131, 44
	ds_write2_b64 v128, v[28:29], v[26:27] offset0:45 offset1:46
	ds_write2_b64 v128, v[24:25], v[22:23] offset0:47 offset1:48
	;; [unrolled: 1-line block ×6, first 2 shown]
	ds_write_b64 v128, v[120:121] offset:456
.LBB114_758:
	s_or_b32 exec_lo, exec_lo, s0
	s_mov_b32 s0, exec_lo
	s_waitcnt lgkmcnt(0)
	s_waitcnt_vscnt null, 0x0
	s_barrier
	buffer_gl0_inv
	v_cmpx_lt_i32_e32 44, v131
	s_cbranch_execz .LBB114_760
; %bb.759:
	v_mul_f64 v[30:31], v[0:1], v[30:31]
	ds_read2_b64 v[132:135], v128 offset0:45 offset1:46
	ds_read2_b64 v[136:139], v128 offset0:47 offset1:48
	ds_read2_b64 v[140:143], v128 offset0:49 offset1:50
	ds_read2_b64 v[144:147], v128 offset0:51 offset1:52
	ds_read2_b64 v[148:151], v128 offset0:53 offset1:54
	ds_read2_b64 v[152:155], v128 offset0:55 offset1:56
	ds_read_b64 v[0:1], v128 offset:456
	s_waitcnt lgkmcnt(6)
	v_fma_f64 v[28:29], -v[30:31], v[132:133], v[28:29]
	v_fma_f64 v[26:27], -v[30:31], v[134:135], v[26:27]
	s_waitcnt lgkmcnt(5)
	v_fma_f64 v[24:25], -v[30:31], v[136:137], v[24:25]
	v_fma_f64 v[22:23], -v[30:31], v[138:139], v[22:23]
	;; [unrolled: 3-line block ×6, first 2 shown]
	s_waitcnt lgkmcnt(0)
	v_fma_f64 v[120:121], -v[30:31], v[0:1], v[120:121]
.LBB114_760:
	s_or_b32 exec_lo, exec_lo, s0
	v_lshl_add_u32 v0, v131, 3, v128
	s_barrier
	buffer_gl0_inv
	v_mov_b32_e32 v122, 45
	ds_write_b64 v0, v[28:29]
	s_waitcnt lgkmcnt(0)
	s_barrier
	buffer_gl0_inv
	ds_read_b64 v[0:1], v128 offset:360
	s_cmp_lt_i32 s7, 47
	s_cbranch_scc1 .LBB114_763
; %bb.761:
	v_add3_u32 v123, v129, 0, 0x170
	v_mov_b32_e32 v122, 45
	s_mov_b32 s0, 46
.LBB114_762:                            ; =>This Inner Loop Header: Depth=1
	ds_read_b64 v[132:133], v123
	v_add_nc_u32_e32 v123, 8, v123
	s_waitcnt lgkmcnt(0)
	v_cmp_lt_f64_e64 vcc_lo, |v[0:1]|, |v[132:133]|
	v_cndmask_b32_e32 v1, v1, v133, vcc_lo
	v_cndmask_b32_e32 v0, v0, v132, vcc_lo
	v_cndmask_b32_e64 v122, v122, s0, vcc_lo
	s_add_i32 s0, s0, 1
	s_cmp_lg_u32 s7, s0
	s_cbranch_scc1 .LBB114_762
.LBB114_763:
	s_mov_b32 s0, exec_lo
	s_waitcnt lgkmcnt(0)
	v_cmpx_eq_f64_e32 0, v[0:1]
	s_xor_b32 s0, exec_lo, s0
; %bb.764:
	v_cmp_ne_u32_e32 vcc_lo, 0, v125
	v_cndmask_b32_e32 v125, 46, v125, vcc_lo
; %bb.765:
	s_andn2_saveexec_b32 s0, s0
	s_cbranch_execz .LBB114_767
; %bb.766:
	v_div_scale_f64 v[123:124], null, v[0:1], v[0:1], 1.0
	v_rcp_f64_e32 v[132:133], v[123:124]
	v_fma_f64 v[134:135], -v[123:124], v[132:133], 1.0
	v_fma_f64 v[132:133], v[132:133], v[134:135], v[132:133]
	v_fma_f64 v[134:135], -v[123:124], v[132:133], 1.0
	v_fma_f64 v[132:133], v[132:133], v[134:135], v[132:133]
	v_div_scale_f64 v[134:135], vcc_lo, 1.0, v[0:1], 1.0
	v_mul_f64 v[136:137], v[134:135], v[132:133]
	v_fma_f64 v[123:124], -v[123:124], v[136:137], v[134:135]
	v_div_fmas_f64 v[123:124], v[123:124], v[132:133], v[136:137]
	v_div_fixup_f64 v[0:1], v[123:124], v[0:1], 1.0
.LBB114_767:
	s_or_b32 exec_lo, exec_lo, s0
	s_mov_b32 s0, exec_lo
	v_cmpx_ne_u32_e64 v131, v122
	s_xor_b32 s0, exec_lo, s0
	s_cbranch_execz .LBB114_773
; %bb.768:
	s_mov_b32 s1, exec_lo
	v_cmpx_eq_u32_e32 45, v131
	s_cbranch_execz .LBB114_772
; %bb.769:
	v_cmp_ne_u32_e32 vcc_lo, 45, v122
	s_xor_b32 s2, s6, -1
	s_and_b32 s3, s2, vcc_lo
	s_and_saveexec_b32 s2, s3
	s_cbranch_execz .LBB114_771
; %bb.770:
	v_ashrrev_i32_e32 v123, 31, v122
	v_lshlrev_b64 v[123:124], 2, v[122:123]
	v_add_co_u32 v123, vcc_lo, v4, v123
	v_add_co_ci_u32_e64 v124, null, v5, v124, vcc_lo
	s_clause 0x1
	global_load_dword v130, v[123:124], off
	global_load_dword v131, v[4:5], off offset:180
	s_waitcnt vmcnt(1)
	global_store_dword v[4:5], v130, off offset:180
	s_waitcnt vmcnt(0)
	global_store_dword v[123:124], v131, off
.LBB114_771:
	s_or_b32 exec_lo, exec_lo, s2
	v_mov_b32_e32 v130, v122
	v_mov_b32_e32 v131, v122
.LBB114_772:
	s_or_b32 exec_lo, exec_lo, s1
.LBB114_773:
	s_andn2_saveexec_b32 s0, s0
	s_cbranch_execz .LBB114_775
; %bb.774:
	v_mov_b32_e32 v122, v26
	v_mov_b32_e32 v123, v27
	v_mov_b32_e32 v131, v24
	v_mov_b32_e32 v132, v25
	v_mov_b32_e32 v133, v22
	v_mov_b32_e32 v134, v23
	v_mov_b32_e32 v135, v18
	v_mov_b32_e32 v136, v19
	ds_write2_b64 v128, v[122:123], v[131:132] offset0:46 offset1:47
	ds_write2_b64 v128, v[133:134], v[135:136] offset0:48 offset1:49
	v_mov_b32_e32 v122, v20
	v_mov_b32_e32 v123, v21
	;; [unrolled: 1-line block ×15, first 2 shown]
	ds_write2_b64 v128, v[122:123], v[132:133] offset0:50 offset1:51
	ds_write2_b64 v128, v[134:135], v[136:137] offset0:52 offset1:53
	;; [unrolled: 1-line block ×4, first 2 shown]
.LBB114_775:
	s_or_b32 exec_lo, exec_lo, s0
	s_mov_b32 s0, exec_lo
	s_waitcnt lgkmcnt(0)
	s_waitcnt_vscnt null, 0x0
	s_barrier
	buffer_gl0_inv
	v_cmpx_lt_i32_e32 45, v131
	s_cbranch_execz .LBB114_777
; %bb.776:
	v_mul_f64 v[28:29], v[0:1], v[28:29]
	ds_read2_b64 v[132:135], v128 offset0:46 offset1:47
	ds_read2_b64 v[136:139], v128 offset0:48 offset1:49
	;; [unrolled: 1-line block ×6, first 2 shown]
	s_waitcnt lgkmcnt(5)
	v_fma_f64 v[26:27], -v[28:29], v[132:133], v[26:27]
	v_fma_f64 v[24:25], -v[28:29], v[134:135], v[24:25]
	s_waitcnt lgkmcnt(4)
	v_fma_f64 v[22:23], -v[28:29], v[136:137], v[22:23]
	v_fma_f64 v[18:19], -v[28:29], v[138:139], v[18:19]
	;; [unrolled: 3-line block ×6, first 2 shown]
.LBB114_777:
	s_or_b32 exec_lo, exec_lo, s0
	v_lshl_add_u32 v0, v131, 3, v128
	s_barrier
	buffer_gl0_inv
	v_mov_b32_e32 v122, 46
	ds_write_b64 v0, v[26:27]
	s_waitcnt lgkmcnt(0)
	s_barrier
	buffer_gl0_inv
	ds_read_b64 v[0:1], v128 offset:368
	s_cmp_lt_i32 s7, 48
	s_cbranch_scc1 .LBB114_780
; %bb.778:
	v_add3_u32 v123, v129, 0, 0x178
	v_mov_b32_e32 v122, 46
	s_mov_b32 s0, 47
.LBB114_779:                            ; =>This Inner Loop Header: Depth=1
	ds_read_b64 v[132:133], v123
	v_add_nc_u32_e32 v123, 8, v123
	s_waitcnt lgkmcnt(0)
	v_cmp_lt_f64_e64 vcc_lo, |v[0:1]|, |v[132:133]|
	v_cndmask_b32_e32 v1, v1, v133, vcc_lo
	v_cndmask_b32_e32 v0, v0, v132, vcc_lo
	v_cndmask_b32_e64 v122, v122, s0, vcc_lo
	s_add_i32 s0, s0, 1
	s_cmp_lg_u32 s7, s0
	s_cbranch_scc1 .LBB114_779
.LBB114_780:
	s_mov_b32 s0, exec_lo
	s_waitcnt lgkmcnt(0)
	v_cmpx_eq_f64_e32 0, v[0:1]
	s_xor_b32 s0, exec_lo, s0
; %bb.781:
	v_cmp_ne_u32_e32 vcc_lo, 0, v125
	v_cndmask_b32_e32 v125, 47, v125, vcc_lo
; %bb.782:
	s_andn2_saveexec_b32 s0, s0
	s_cbranch_execz .LBB114_784
; %bb.783:
	v_div_scale_f64 v[123:124], null, v[0:1], v[0:1], 1.0
	v_rcp_f64_e32 v[132:133], v[123:124]
	v_fma_f64 v[134:135], -v[123:124], v[132:133], 1.0
	v_fma_f64 v[132:133], v[132:133], v[134:135], v[132:133]
	v_fma_f64 v[134:135], -v[123:124], v[132:133], 1.0
	v_fma_f64 v[132:133], v[132:133], v[134:135], v[132:133]
	v_div_scale_f64 v[134:135], vcc_lo, 1.0, v[0:1], 1.0
	v_mul_f64 v[136:137], v[134:135], v[132:133]
	v_fma_f64 v[123:124], -v[123:124], v[136:137], v[134:135]
	v_div_fmas_f64 v[123:124], v[123:124], v[132:133], v[136:137]
	v_div_fixup_f64 v[0:1], v[123:124], v[0:1], 1.0
.LBB114_784:
	s_or_b32 exec_lo, exec_lo, s0
	s_mov_b32 s0, exec_lo
	v_cmpx_ne_u32_e64 v131, v122
	s_xor_b32 s0, exec_lo, s0
	s_cbranch_execz .LBB114_790
; %bb.785:
	s_mov_b32 s1, exec_lo
	v_cmpx_eq_u32_e32 46, v131
	s_cbranch_execz .LBB114_789
; %bb.786:
	v_cmp_ne_u32_e32 vcc_lo, 46, v122
	s_xor_b32 s2, s6, -1
	s_and_b32 s3, s2, vcc_lo
	s_and_saveexec_b32 s2, s3
	s_cbranch_execz .LBB114_788
; %bb.787:
	v_ashrrev_i32_e32 v123, 31, v122
	v_lshlrev_b64 v[123:124], 2, v[122:123]
	v_add_co_u32 v123, vcc_lo, v4, v123
	v_add_co_ci_u32_e64 v124, null, v5, v124, vcc_lo
	s_clause 0x1
	global_load_dword v130, v[123:124], off
	global_load_dword v131, v[4:5], off offset:184
	s_waitcnt vmcnt(1)
	global_store_dword v[4:5], v130, off offset:184
	s_waitcnt vmcnt(0)
	global_store_dword v[123:124], v131, off
.LBB114_788:
	s_or_b32 exec_lo, exec_lo, s2
	v_mov_b32_e32 v130, v122
	v_mov_b32_e32 v131, v122
.LBB114_789:
	s_or_b32 exec_lo, exec_lo, s1
.LBB114_790:
	s_andn2_saveexec_b32 s0, s0
	s_cbranch_execz .LBB114_792
; %bb.791:
	v_mov_b32_e32 v131, 46
	ds_write2_b64 v128, v[24:25], v[22:23] offset0:47 offset1:48
	ds_write2_b64 v128, v[18:19], v[20:21] offset0:49 offset1:50
	;; [unrolled: 1-line block ×5, first 2 shown]
	ds_write_b64 v128, v[120:121] offset:456
.LBB114_792:
	s_or_b32 exec_lo, exec_lo, s0
	s_mov_b32 s0, exec_lo
	s_waitcnt lgkmcnt(0)
	s_waitcnt_vscnt null, 0x0
	s_barrier
	buffer_gl0_inv
	v_cmpx_lt_i32_e32 46, v131
	s_cbranch_execz .LBB114_794
; %bb.793:
	v_mul_f64 v[26:27], v[0:1], v[26:27]
	ds_read2_b64 v[132:135], v128 offset0:47 offset1:48
	ds_read2_b64 v[136:139], v128 offset0:49 offset1:50
	;; [unrolled: 1-line block ×5, first 2 shown]
	ds_read_b64 v[0:1], v128 offset:456
	s_waitcnt lgkmcnt(5)
	v_fma_f64 v[24:25], -v[26:27], v[132:133], v[24:25]
	v_fma_f64 v[22:23], -v[26:27], v[134:135], v[22:23]
	s_waitcnt lgkmcnt(4)
	v_fma_f64 v[18:19], -v[26:27], v[136:137], v[18:19]
	v_fma_f64 v[20:21], -v[26:27], v[138:139], v[20:21]
	;; [unrolled: 3-line block ×5, first 2 shown]
	s_waitcnt lgkmcnt(0)
	v_fma_f64 v[120:121], -v[26:27], v[0:1], v[120:121]
.LBB114_794:
	s_or_b32 exec_lo, exec_lo, s0
	v_lshl_add_u32 v0, v131, 3, v128
	s_barrier
	buffer_gl0_inv
	v_mov_b32_e32 v122, 47
	ds_write_b64 v0, v[24:25]
	s_waitcnt lgkmcnt(0)
	s_barrier
	buffer_gl0_inv
	ds_read_b64 v[0:1], v128 offset:376
	s_cmp_lt_i32 s7, 49
	s_cbranch_scc1 .LBB114_797
; %bb.795:
	v_add3_u32 v123, v129, 0, 0x180
	v_mov_b32_e32 v122, 47
	s_mov_b32 s0, 48
.LBB114_796:                            ; =>This Inner Loop Header: Depth=1
	ds_read_b64 v[132:133], v123
	v_add_nc_u32_e32 v123, 8, v123
	s_waitcnt lgkmcnt(0)
	v_cmp_lt_f64_e64 vcc_lo, |v[0:1]|, |v[132:133]|
	v_cndmask_b32_e32 v1, v1, v133, vcc_lo
	v_cndmask_b32_e32 v0, v0, v132, vcc_lo
	v_cndmask_b32_e64 v122, v122, s0, vcc_lo
	s_add_i32 s0, s0, 1
	s_cmp_lg_u32 s7, s0
	s_cbranch_scc1 .LBB114_796
.LBB114_797:
	s_mov_b32 s0, exec_lo
	s_waitcnt lgkmcnt(0)
	v_cmpx_eq_f64_e32 0, v[0:1]
	s_xor_b32 s0, exec_lo, s0
; %bb.798:
	v_cmp_ne_u32_e32 vcc_lo, 0, v125
	v_cndmask_b32_e32 v125, 48, v125, vcc_lo
; %bb.799:
	s_andn2_saveexec_b32 s0, s0
	s_cbranch_execz .LBB114_801
; %bb.800:
	v_div_scale_f64 v[123:124], null, v[0:1], v[0:1], 1.0
	v_rcp_f64_e32 v[132:133], v[123:124]
	v_fma_f64 v[134:135], -v[123:124], v[132:133], 1.0
	v_fma_f64 v[132:133], v[132:133], v[134:135], v[132:133]
	v_fma_f64 v[134:135], -v[123:124], v[132:133], 1.0
	v_fma_f64 v[132:133], v[132:133], v[134:135], v[132:133]
	v_div_scale_f64 v[134:135], vcc_lo, 1.0, v[0:1], 1.0
	v_mul_f64 v[136:137], v[134:135], v[132:133]
	v_fma_f64 v[123:124], -v[123:124], v[136:137], v[134:135]
	v_div_fmas_f64 v[123:124], v[123:124], v[132:133], v[136:137]
	v_div_fixup_f64 v[0:1], v[123:124], v[0:1], 1.0
.LBB114_801:
	s_or_b32 exec_lo, exec_lo, s0
	s_mov_b32 s0, exec_lo
	v_cmpx_ne_u32_e64 v131, v122
	s_xor_b32 s0, exec_lo, s0
	s_cbranch_execz .LBB114_807
; %bb.802:
	s_mov_b32 s1, exec_lo
	v_cmpx_eq_u32_e32 47, v131
	s_cbranch_execz .LBB114_806
; %bb.803:
	v_cmp_ne_u32_e32 vcc_lo, 47, v122
	s_xor_b32 s2, s6, -1
	s_and_b32 s3, s2, vcc_lo
	s_and_saveexec_b32 s2, s3
	s_cbranch_execz .LBB114_805
; %bb.804:
	v_ashrrev_i32_e32 v123, 31, v122
	v_lshlrev_b64 v[123:124], 2, v[122:123]
	v_add_co_u32 v123, vcc_lo, v4, v123
	v_add_co_ci_u32_e64 v124, null, v5, v124, vcc_lo
	s_clause 0x1
	global_load_dword v130, v[123:124], off
	global_load_dword v131, v[4:5], off offset:188
	s_waitcnt vmcnt(1)
	global_store_dword v[4:5], v130, off offset:188
	s_waitcnt vmcnt(0)
	global_store_dword v[123:124], v131, off
.LBB114_805:
	s_or_b32 exec_lo, exec_lo, s2
	v_mov_b32_e32 v130, v122
	v_mov_b32_e32 v131, v122
.LBB114_806:
	s_or_b32 exec_lo, exec_lo, s1
.LBB114_807:
	s_andn2_saveexec_b32 s0, s0
	s_cbranch_execz .LBB114_809
; %bb.808:
	v_mov_b32_e32 v122, v22
	v_mov_b32_e32 v123, v23
	;; [unrolled: 1-line block ×8, first 2 shown]
	ds_write2_b64 v128, v[122:123], v[131:132] offset0:48 offset1:49
	v_mov_b32_e32 v122, v16
	v_mov_b32_e32 v123, v17
	v_mov_b32_e32 v131, 47
	v_mov_b32_e32 v137, v8
	v_mov_b32_e32 v138, v9
	v_mov_b32_e32 v139, v12
	v_mov_b32_e32 v140, v13
	v_mov_b32_e32 v141, v6
	v_mov_b32_e32 v142, v7
	v_mov_b32_e32 v143, v10
	v_mov_b32_e32 v144, v11
	ds_write2_b64 v128, v[133:134], v[122:123] offset0:50 offset1:51
	ds_write2_b64 v128, v[135:136], v[137:138] offset0:52 offset1:53
	;; [unrolled: 1-line block ×4, first 2 shown]
.LBB114_809:
	s_or_b32 exec_lo, exec_lo, s0
	s_mov_b32 s0, exec_lo
	s_waitcnt lgkmcnt(0)
	s_waitcnt_vscnt null, 0x0
	s_barrier
	buffer_gl0_inv
	v_cmpx_lt_i32_e32 47, v131
	s_cbranch_execz .LBB114_811
; %bb.810:
	v_mul_f64 v[24:25], v[0:1], v[24:25]
	ds_read2_b64 v[132:135], v128 offset0:48 offset1:49
	ds_read2_b64 v[136:139], v128 offset0:50 offset1:51
	;; [unrolled: 1-line block ×5, first 2 shown]
	s_waitcnt lgkmcnt(4)
	v_fma_f64 v[22:23], -v[24:25], v[132:133], v[22:23]
	v_fma_f64 v[18:19], -v[24:25], v[134:135], v[18:19]
	s_waitcnt lgkmcnt(3)
	v_fma_f64 v[20:21], -v[24:25], v[136:137], v[20:21]
	v_fma_f64 v[16:17], -v[24:25], v[138:139], v[16:17]
	;; [unrolled: 3-line block ×5, first 2 shown]
.LBB114_811:
	s_or_b32 exec_lo, exec_lo, s0
	v_lshl_add_u32 v0, v131, 3, v128
	s_barrier
	buffer_gl0_inv
	v_mov_b32_e32 v122, 48
	ds_write_b64 v0, v[22:23]
	s_waitcnt lgkmcnt(0)
	s_barrier
	buffer_gl0_inv
	ds_read_b64 v[0:1], v128 offset:384
	s_cmp_lt_i32 s7, 50
	s_cbranch_scc1 .LBB114_814
; %bb.812:
	v_add3_u32 v123, v129, 0, 0x188
	v_mov_b32_e32 v122, 48
	s_mov_b32 s0, 49
.LBB114_813:                            ; =>This Inner Loop Header: Depth=1
	ds_read_b64 v[132:133], v123
	v_add_nc_u32_e32 v123, 8, v123
	s_waitcnt lgkmcnt(0)
	v_cmp_lt_f64_e64 vcc_lo, |v[0:1]|, |v[132:133]|
	v_cndmask_b32_e32 v1, v1, v133, vcc_lo
	v_cndmask_b32_e32 v0, v0, v132, vcc_lo
	v_cndmask_b32_e64 v122, v122, s0, vcc_lo
	s_add_i32 s0, s0, 1
	s_cmp_lg_u32 s7, s0
	s_cbranch_scc1 .LBB114_813
.LBB114_814:
	s_mov_b32 s0, exec_lo
	s_waitcnt lgkmcnt(0)
	v_cmpx_eq_f64_e32 0, v[0:1]
	s_xor_b32 s0, exec_lo, s0
; %bb.815:
	v_cmp_ne_u32_e32 vcc_lo, 0, v125
	v_cndmask_b32_e32 v125, 49, v125, vcc_lo
; %bb.816:
	s_andn2_saveexec_b32 s0, s0
	s_cbranch_execz .LBB114_818
; %bb.817:
	v_div_scale_f64 v[123:124], null, v[0:1], v[0:1], 1.0
	v_rcp_f64_e32 v[132:133], v[123:124]
	v_fma_f64 v[134:135], -v[123:124], v[132:133], 1.0
	v_fma_f64 v[132:133], v[132:133], v[134:135], v[132:133]
	v_fma_f64 v[134:135], -v[123:124], v[132:133], 1.0
	v_fma_f64 v[132:133], v[132:133], v[134:135], v[132:133]
	v_div_scale_f64 v[134:135], vcc_lo, 1.0, v[0:1], 1.0
	v_mul_f64 v[136:137], v[134:135], v[132:133]
	v_fma_f64 v[123:124], -v[123:124], v[136:137], v[134:135]
	v_div_fmas_f64 v[123:124], v[123:124], v[132:133], v[136:137]
	v_div_fixup_f64 v[0:1], v[123:124], v[0:1], 1.0
.LBB114_818:
	s_or_b32 exec_lo, exec_lo, s0
	s_mov_b32 s0, exec_lo
	v_cmpx_ne_u32_e64 v131, v122
	s_xor_b32 s0, exec_lo, s0
	s_cbranch_execz .LBB114_824
; %bb.819:
	s_mov_b32 s1, exec_lo
	v_cmpx_eq_u32_e32 48, v131
	s_cbranch_execz .LBB114_823
; %bb.820:
	v_cmp_ne_u32_e32 vcc_lo, 48, v122
	s_xor_b32 s2, s6, -1
	s_and_b32 s3, s2, vcc_lo
	s_and_saveexec_b32 s2, s3
	s_cbranch_execz .LBB114_822
; %bb.821:
	v_ashrrev_i32_e32 v123, 31, v122
	v_lshlrev_b64 v[123:124], 2, v[122:123]
	v_add_co_u32 v123, vcc_lo, v4, v123
	v_add_co_ci_u32_e64 v124, null, v5, v124, vcc_lo
	s_clause 0x1
	global_load_dword v130, v[123:124], off
	global_load_dword v131, v[4:5], off offset:192
	s_waitcnt vmcnt(1)
	global_store_dword v[4:5], v130, off offset:192
	s_waitcnt vmcnt(0)
	global_store_dword v[123:124], v131, off
.LBB114_822:
	s_or_b32 exec_lo, exec_lo, s2
	v_mov_b32_e32 v130, v122
	v_mov_b32_e32 v131, v122
.LBB114_823:
	s_or_b32 exec_lo, exec_lo, s1
.LBB114_824:
	s_andn2_saveexec_b32 s0, s0
	s_cbranch_execz .LBB114_826
; %bb.825:
	v_mov_b32_e32 v131, 48
	ds_write2_b64 v128, v[18:19], v[20:21] offset0:49 offset1:50
	ds_write2_b64 v128, v[16:17], v[14:15] offset0:51 offset1:52
	;; [unrolled: 1-line block ×4, first 2 shown]
	ds_write_b64 v128, v[120:121] offset:456
.LBB114_826:
	s_or_b32 exec_lo, exec_lo, s0
	s_mov_b32 s0, exec_lo
	s_waitcnt lgkmcnt(0)
	s_waitcnt_vscnt null, 0x0
	s_barrier
	buffer_gl0_inv
	v_cmpx_lt_i32_e32 48, v131
	s_cbranch_execz .LBB114_828
; %bb.827:
	v_mul_f64 v[22:23], v[0:1], v[22:23]
	ds_read2_b64 v[132:135], v128 offset0:49 offset1:50
	ds_read2_b64 v[136:139], v128 offset0:51 offset1:52
	;; [unrolled: 1-line block ×4, first 2 shown]
	ds_read_b64 v[0:1], v128 offset:456
	s_waitcnt lgkmcnt(4)
	v_fma_f64 v[18:19], -v[22:23], v[132:133], v[18:19]
	v_fma_f64 v[20:21], -v[22:23], v[134:135], v[20:21]
	s_waitcnt lgkmcnt(3)
	v_fma_f64 v[16:17], -v[22:23], v[136:137], v[16:17]
	v_fma_f64 v[14:15], -v[22:23], v[138:139], v[14:15]
	s_waitcnt lgkmcnt(2)
	v_fma_f64 v[8:9], -v[22:23], v[140:141], v[8:9]
	v_fma_f64 v[12:13], -v[22:23], v[142:143], v[12:13]
	s_waitcnt lgkmcnt(1)
	v_fma_f64 v[6:7], -v[22:23], v[144:145], v[6:7]
	v_fma_f64 v[10:11], -v[22:23], v[146:147], v[10:11]
	s_waitcnt lgkmcnt(0)
	v_fma_f64 v[120:121], -v[22:23], v[0:1], v[120:121]
.LBB114_828:
	s_or_b32 exec_lo, exec_lo, s0
	v_lshl_add_u32 v0, v131, 3, v128
	s_barrier
	buffer_gl0_inv
	v_mov_b32_e32 v122, 49
	ds_write_b64 v0, v[18:19]
	s_waitcnt lgkmcnt(0)
	s_barrier
	buffer_gl0_inv
	ds_read_b64 v[0:1], v128 offset:392
	s_cmp_lt_i32 s7, 51
	s_cbranch_scc1 .LBB114_831
; %bb.829:
	v_add3_u32 v123, v129, 0, 0x190
	v_mov_b32_e32 v122, 49
	s_mov_b32 s0, 50
.LBB114_830:                            ; =>This Inner Loop Header: Depth=1
	ds_read_b64 v[132:133], v123
	v_add_nc_u32_e32 v123, 8, v123
	s_waitcnt lgkmcnt(0)
	v_cmp_lt_f64_e64 vcc_lo, |v[0:1]|, |v[132:133]|
	v_cndmask_b32_e32 v1, v1, v133, vcc_lo
	v_cndmask_b32_e32 v0, v0, v132, vcc_lo
	v_cndmask_b32_e64 v122, v122, s0, vcc_lo
	s_add_i32 s0, s0, 1
	s_cmp_lg_u32 s7, s0
	s_cbranch_scc1 .LBB114_830
.LBB114_831:
	s_mov_b32 s0, exec_lo
	s_waitcnt lgkmcnt(0)
	v_cmpx_eq_f64_e32 0, v[0:1]
	s_xor_b32 s0, exec_lo, s0
; %bb.832:
	v_cmp_ne_u32_e32 vcc_lo, 0, v125
	v_cndmask_b32_e32 v125, 50, v125, vcc_lo
; %bb.833:
	s_andn2_saveexec_b32 s0, s0
	s_cbranch_execz .LBB114_835
; %bb.834:
	v_div_scale_f64 v[123:124], null, v[0:1], v[0:1], 1.0
	v_rcp_f64_e32 v[132:133], v[123:124]
	v_fma_f64 v[134:135], -v[123:124], v[132:133], 1.0
	v_fma_f64 v[132:133], v[132:133], v[134:135], v[132:133]
	v_fma_f64 v[134:135], -v[123:124], v[132:133], 1.0
	v_fma_f64 v[132:133], v[132:133], v[134:135], v[132:133]
	v_div_scale_f64 v[134:135], vcc_lo, 1.0, v[0:1], 1.0
	v_mul_f64 v[136:137], v[134:135], v[132:133]
	v_fma_f64 v[123:124], -v[123:124], v[136:137], v[134:135]
	v_div_fmas_f64 v[123:124], v[123:124], v[132:133], v[136:137]
	v_div_fixup_f64 v[0:1], v[123:124], v[0:1], 1.0
.LBB114_835:
	s_or_b32 exec_lo, exec_lo, s0
	s_mov_b32 s0, exec_lo
	v_cmpx_ne_u32_e64 v131, v122
	s_xor_b32 s0, exec_lo, s0
	s_cbranch_execz .LBB114_841
; %bb.836:
	s_mov_b32 s1, exec_lo
	v_cmpx_eq_u32_e32 49, v131
	s_cbranch_execz .LBB114_840
; %bb.837:
	v_cmp_ne_u32_e32 vcc_lo, 49, v122
	s_xor_b32 s2, s6, -1
	s_and_b32 s3, s2, vcc_lo
	s_and_saveexec_b32 s2, s3
	s_cbranch_execz .LBB114_839
; %bb.838:
	v_ashrrev_i32_e32 v123, 31, v122
	v_lshlrev_b64 v[123:124], 2, v[122:123]
	v_add_co_u32 v123, vcc_lo, v4, v123
	v_add_co_ci_u32_e64 v124, null, v5, v124, vcc_lo
	s_clause 0x1
	global_load_dword v130, v[123:124], off
	global_load_dword v131, v[4:5], off offset:196
	s_waitcnt vmcnt(1)
	global_store_dword v[4:5], v130, off offset:196
	s_waitcnt vmcnt(0)
	global_store_dword v[123:124], v131, off
.LBB114_839:
	s_or_b32 exec_lo, exec_lo, s2
	v_mov_b32_e32 v130, v122
	v_mov_b32_e32 v131, v122
.LBB114_840:
	s_or_b32 exec_lo, exec_lo, s1
.LBB114_841:
	s_andn2_saveexec_b32 s0, s0
	s_cbranch_execz .LBB114_843
; %bb.842:
	v_mov_b32_e32 v122, v20
	v_mov_b32_e32 v123, v21
	;; [unrolled: 1-line block ×15, first 2 shown]
	ds_write2_b64 v128, v[122:123], v[132:133] offset0:50 offset1:51
	ds_write2_b64 v128, v[134:135], v[136:137] offset0:52 offset1:53
	;; [unrolled: 1-line block ×4, first 2 shown]
.LBB114_843:
	s_or_b32 exec_lo, exec_lo, s0
	s_mov_b32 s0, exec_lo
	s_waitcnt lgkmcnt(0)
	s_waitcnt_vscnt null, 0x0
	s_barrier
	buffer_gl0_inv
	v_cmpx_lt_i32_e32 49, v131
	s_cbranch_execz .LBB114_845
; %bb.844:
	v_mul_f64 v[18:19], v[0:1], v[18:19]
	ds_read2_b64 v[132:135], v128 offset0:50 offset1:51
	ds_read2_b64 v[136:139], v128 offset0:52 offset1:53
	;; [unrolled: 1-line block ×4, first 2 shown]
	s_waitcnt lgkmcnt(3)
	v_fma_f64 v[20:21], -v[18:19], v[132:133], v[20:21]
	v_fma_f64 v[16:17], -v[18:19], v[134:135], v[16:17]
	s_waitcnt lgkmcnt(2)
	v_fma_f64 v[14:15], -v[18:19], v[136:137], v[14:15]
	v_fma_f64 v[8:9], -v[18:19], v[138:139], v[8:9]
	;; [unrolled: 3-line block ×4, first 2 shown]
.LBB114_845:
	s_or_b32 exec_lo, exec_lo, s0
	v_lshl_add_u32 v0, v131, 3, v128
	s_barrier
	buffer_gl0_inv
	v_mov_b32_e32 v122, 50
	ds_write_b64 v0, v[20:21]
	s_waitcnt lgkmcnt(0)
	s_barrier
	buffer_gl0_inv
	ds_read_b64 v[0:1], v128 offset:400
	s_cmp_lt_i32 s7, 52
	s_cbranch_scc1 .LBB114_848
; %bb.846:
	v_add3_u32 v123, v129, 0, 0x198
	v_mov_b32_e32 v122, 50
	s_mov_b32 s0, 51
.LBB114_847:                            ; =>This Inner Loop Header: Depth=1
	ds_read_b64 v[132:133], v123
	v_add_nc_u32_e32 v123, 8, v123
	s_waitcnt lgkmcnt(0)
	v_cmp_lt_f64_e64 vcc_lo, |v[0:1]|, |v[132:133]|
	v_cndmask_b32_e32 v1, v1, v133, vcc_lo
	v_cndmask_b32_e32 v0, v0, v132, vcc_lo
	v_cndmask_b32_e64 v122, v122, s0, vcc_lo
	s_add_i32 s0, s0, 1
	s_cmp_lg_u32 s7, s0
	s_cbranch_scc1 .LBB114_847
.LBB114_848:
	s_mov_b32 s0, exec_lo
	s_waitcnt lgkmcnt(0)
	v_cmpx_eq_f64_e32 0, v[0:1]
	s_xor_b32 s0, exec_lo, s0
; %bb.849:
	v_cmp_ne_u32_e32 vcc_lo, 0, v125
	v_cndmask_b32_e32 v125, 51, v125, vcc_lo
; %bb.850:
	s_andn2_saveexec_b32 s0, s0
	s_cbranch_execz .LBB114_852
; %bb.851:
	v_div_scale_f64 v[123:124], null, v[0:1], v[0:1], 1.0
	v_rcp_f64_e32 v[132:133], v[123:124]
	v_fma_f64 v[134:135], -v[123:124], v[132:133], 1.0
	v_fma_f64 v[132:133], v[132:133], v[134:135], v[132:133]
	v_fma_f64 v[134:135], -v[123:124], v[132:133], 1.0
	v_fma_f64 v[132:133], v[132:133], v[134:135], v[132:133]
	v_div_scale_f64 v[134:135], vcc_lo, 1.0, v[0:1], 1.0
	v_mul_f64 v[136:137], v[134:135], v[132:133]
	v_fma_f64 v[123:124], -v[123:124], v[136:137], v[134:135]
	v_div_fmas_f64 v[123:124], v[123:124], v[132:133], v[136:137]
	v_div_fixup_f64 v[0:1], v[123:124], v[0:1], 1.0
.LBB114_852:
	s_or_b32 exec_lo, exec_lo, s0
	s_mov_b32 s0, exec_lo
	v_cmpx_ne_u32_e64 v131, v122
	s_xor_b32 s0, exec_lo, s0
	s_cbranch_execz .LBB114_858
; %bb.853:
	s_mov_b32 s1, exec_lo
	v_cmpx_eq_u32_e32 50, v131
	s_cbranch_execz .LBB114_857
; %bb.854:
	v_cmp_ne_u32_e32 vcc_lo, 50, v122
	s_xor_b32 s2, s6, -1
	s_and_b32 s3, s2, vcc_lo
	s_and_saveexec_b32 s2, s3
	s_cbranch_execz .LBB114_856
; %bb.855:
	v_ashrrev_i32_e32 v123, 31, v122
	v_lshlrev_b64 v[123:124], 2, v[122:123]
	v_add_co_u32 v123, vcc_lo, v4, v123
	v_add_co_ci_u32_e64 v124, null, v5, v124, vcc_lo
	s_clause 0x1
	global_load_dword v130, v[123:124], off
	global_load_dword v131, v[4:5], off offset:200
	s_waitcnt vmcnt(1)
	global_store_dword v[4:5], v130, off offset:200
	s_waitcnt vmcnt(0)
	global_store_dword v[123:124], v131, off
.LBB114_856:
	s_or_b32 exec_lo, exec_lo, s2
	v_mov_b32_e32 v130, v122
	v_mov_b32_e32 v131, v122
.LBB114_857:
	s_or_b32 exec_lo, exec_lo, s1
.LBB114_858:
	s_andn2_saveexec_b32 s0, s0
	s_cbranch_execz .LBB114_860
; %bb.859:
	v_mov_b32_e32 v131, 50
	ds_write2_b64 v128, v[16:17], v[14:15] offset0:51 offset1:52
	ds_write2_b64 v128, v[8:9], v[12:13] offset0:53 offset1:54
	;; [unrolled: 1-line block ×3, first 2 shown]
	ds_write_b64 v128, v[120:121] offset:456
.LBB114_860:
	s_or_b32 exec_lo, exec_lo, s0
	s_mov_b32 s0, exec_lo
	s_waitcnt lgkmcnt(0)
	s_waitcnt_vscnt null, 0x0
	s_barrier
	buffer_gl0_inv
	v_cmpx_lt_i32_e32 50, v131
	s_cbranch_execz .LBB114_862
; %bb.861:
	v_mul_f64 v[20:21], v[0:1], v[20:21]
	ds_read2_b64 v[132:135], v128 offset0:51 offset1:52
	ds_read2_b64 v[136:139], v128 offset0:53 offset1:54
	;; [unrolled: 1-line block ×3, first 2 shown]
	ds_read_b64 v[0:1], v128 offset:456
	s_waitcnt lgkmcnt(3)
	v_fma_f64 v[16:17], -v[20:21], v[132:133], v[16:17]
	v_fma_f64 v[14:15], -v[20:21], v[134:135], v[14:15]
	s_waitcnt lgkmcnt(2)
	v_fma_f64 v[8:9], -v[20:21], v[136:137], v[8:9]
	v_fma_f64 v[12:13], -v[20:21], v[138:139], v[12:13]
	;; [unrolled: 3-line block ×3, first 2 shown]
	s_waitcnt lgkmcnt(0)
	v_fma_f64 v[120:121], -v[20:21], v[0:1], v[120:121]
.LBB114_862:
	s_or_b32 exec_lo, exec_lo, s0
	v_lshl_add_u32 v0, v131, 3, v128
	s_barrier
	buffer_gl0_inv
	v_mov_b32_e32 v122, 51
	ds_write_b64 v0, v[16:17]
	s_waitcnt lgkmcnt(0)
	s_barrier
	buffer_gl0_inv
	ds_read_b64 v[0:1], v128 offset:408
	s_cmp_lt_i32 s7, 53
	s_cbranch_scc1 .LBB114_865
; %bb.863:
	v_add3_u32 v123, v129, 0, 0x1a0
	v_mov_b32_e32 v122, 51
	s_mov_b32 s0, 52
.LBB114_864:                            ; =>This Inner Loop Header: Depth=1
	ds_read_b64 v[132:133], v123
	v_add_nc_u32_e32 v123, 8, v123
	s_waitcnt lgkmcnt(0)
	v_cmp_lt_f64_e64 vcc_lo, |v[0:1]|, |v[132:133]|
	v_cndmask_b32_e32 v1, v1, v133, vcc_lo
	v_cndmask_b32_e32 v0, v0, v132, vcc_lo
	v_cndmask_b32_e64 v122, v122, s0, vcc_lo
	s_add_i32 s0, s0, 1
	s_cmp_lg_u32 s7, s0
	s_cbranch_scc1 .LBB114_864
.LBB114_865:
	s_mov_b32 s0, exec_lo
	s_waitcnt lgkmcnt(0)
	v_cmpx_eq_f64_e32 0, v[0:1]
	s_xor_b32 s0, exec_lo, s0
; %bb.866:
	v_cmp_ne_u32_e32 vcc_lo, 0, v125
	v_cndmask_b32_e32 v125, 52, v125, vcc_lo
; %bb.867:
	s_andn2_saveexec_b32 s0, s0
	s_cbranch_execz .LBB114_869
; %bb.868:
	v_div_scale_f64 v[123:124], null, v[0:1], v[0:1], 1.0
	v_rcp_f64_e32 v[132:133], v[123:124]
	v_fma_f64 v[134:135], -v[123:124], v[132:133], 1.0
	v_fma_f64 v[132:133], v[132:133], v[134:135], v[132:133]
	v_fma_f64 v[134:135], -v[123:124], v[132:133], 1.0
	v_fma_f64 v[132:133], v[132:133], v[134:135], v[132:133]
	v_div_scale_f64 v[134:135], vcc_lo, 1.0, v[0:1], 1.0
	v_mul_f64 v[136:137], v[134:135], v[132:133]
	v_fma_f64 v[123:124], -v[123:124], v[136:137], v[134:135]
	v_div_fmas_f64 v[123:124], v[123:124], v[132:133], v[136:137]
	v_div_fixup_f64 v[0:1], v[123:124], v[0:1], 1.0
.LBB114_869:
	s_or_b32 exec_lo, exec_lo, s0
	s_mov_b32 s0, exec_lo
	v_cmpx_ne_u32_e64 v131, v122
	s_xor_b32 s0, exec_lo, s0
	s_cbranch_execz .LBB114_875
; %bb.870:
	s_mov_b32 s1, exec_lo
	v_cmpx_eq_u32_e32 51, v131
	s_cbranch_execz .LBB114_874
; %bb.871:
	v_cmp_ne_u32_e32 vcc_lo, 51, v122
	s_xor_b32 s2, s6, -1
	s_and_b32 s3, s2, vcc_lo
	s_and_saveexec_b32 s2, s3
	s_cbranch_execz .LBB114_873
; %bb.872:
	v_ashrrev_i32_e32 v123, 31, v122
	v_lshlrev_b64 v[123:124], 2, v[122:123]
	v_add_co_u32 v123, vcc_lo, v4, v123
	v_add_co_ci_u32_e64 v124, null, v5, v124, vcc_lo
	s_clause 0x1
	global_load_dword v130, v[123:124], off
	global_load_dword v131, v[4:5], off offset:204
	s_waitcnt vmcnt(1)
	global_store_dword v[4:5], v130, off offset:204
	s_waitcnt vmcnt(0)
	global_store_dword v[123:124], v131, off
.LBB114_873:
	s_or_b32 exec_lo, exec_lo, s2
	v_mov_b32_e32 v130, v122
	v_mov_b32_e32 v131, v122
.LBB114_874:
	s_or_b32 exec_lo, exec_lo, s1
.LBB114_875:
	s_andn2_saveexec_b32 s0, s0
	s_cbranch_execz .LBB114_877
; %bb.876:
	v_mov_b32_e32 v122, v14
	v_mov_b32_e32 v123, v15
	;; [unrolled: 1-line block ×11, first 2 shown]
	ds_write2_b64 v128, v[122:123], v[132:133] offset0:52 offset1:53
	ds_write2_b64 v128, v[134:135], v[136:137] offset0:54 offset1:55
	;; [unrolled: 1-line block ×3, first 2 shown]
.LBB114_877:
	s_or_b32 exec_lo, exec_lo, s0
	s_mov_b32 s0, exec_lo
	s_waitcnt lgkmcnt(0)
	s_waitcnt_vscnt null, 0x0
	s_barrier
	buffer_gl0_inv
	v_cmpx_lt_i32_e32 51, v131
	s_cbranch_execz .LBB114_879
; %bb.878:
	v_mul_f64 v[16:17], v[0:1], v[16:17]
	ds_read2_b64 v[132:135], v128 offset0:52 offset1:53
	ds_read2_b64 v[136:139], v128 offset0:54 offset1:55
	;; [unrolled: 1-line block ×3, first 2 shown]
	s_waitcnt lgkmcnt(2)
	v_fma_f64 v[14:15], -v[16:17], v[132:133], v[14:15]
	v_fma_f64 v[8:9], -v[16:17], v[134:135], v[8:9]
	s_waitcnt lgkmcnt(1)
	v_fma_f64 v[12:13], -v[16:17], v[136:137], v[12:13]
	v_fma_f64 v[6:7], -v[16:17], v[138:139], v[6:7]
	;; [unrolled: 3-line block ×3, first 2 shown]
.LBB114_879:
	s_or_b32 exec_lo, exec_lo, s0
	v_lshl_add_u32 v0, v131, 3, v128
	s_barrier
	buffer_gl0_inv
	v_mov_b32_e32 v122, 52
	ds_write_b64 v0, v[14:15]
	s_waitcnt lgkmcnt(0)
	s_barrier
	buffer_gl0_inv
	ds_read_b64 v[0:1], v128 offset:416
	s_cmp_lt_i32 s7, 54
	s_cbranch_scc1 .LBB114_882
; %bb.880:
	v_add3_u32 v123, v129, 0, 0x1a8
	v_mov_b32_e32 v122, 52
	s_mov_b32 s0, 53
.LBB114_881:                            ; =>This Inner Loop Header: Depth=1
	ds_read_b64 v[132:133], v123
	v_add_nc_u32_e32 v123, 8, v123
	s_waitcnt lgkmcnt(0)
	v_cmp_lt_f64_e64 vcc_lo, |v[0:1]|, |v[132:133]|
	v_cndmask_b32_e32 v1, v1, v133, vcc_lo
	v_cndmask_b32_e32 v0, v0, v132, vcc_lo
	v_cndmask_b32_e64 v122, v122, s0, vcc_lo
	s_add_i32 s0, s0, 1
	s_cmp_lg_u32 s7, s0
	s_cbranch_scc1 .LBB114_881
.LBB114_882:
	s_mov_b32 s0, exec_lo
	s_waitcnt lgkmcnt(0)
	v_cmpx_eq_f64_e32 0, v[0:1]
	s_xor_b32 s0, exec_lo, s0
; %bb.883:
	v_cmp_ne_u32_e32 vcc_lo, 0, v125
	v_cndmask_b32_e32 v125, 53, v125, vcc_lo
; %bb.884:
	s_andn2_saveexec_b32 s0, s0
	s_cbranch_execz .LBB114_886
; %bb.885:
	v_div_scale_f64 v[123:124], null, v[0:1], v[0:1], 1.0
	v_rcp_f64_e32 v[132:133], v[123:124]
	v_fma_f64 v[134:135], -v[123:124], v[132:133], 1.0
	v_fma_f64 v[132:133], v[132:133], v[134:135], v[132:133]
	v_fma_f64 v[134:135], -v[123:124], v[132:133], 1.0
	v_fma_f64 v[132:133], v[132:133], v[134:135], v[132:133]
	v_div_scale_f64 v[134:135], vcc_lo, 1.0, v[0:1], 1.0
	v_mul_f64 v[136:137], v[134:135], v[132:133]
	v_fma_f64 v[123:124], -v[123:124], v[136:137], v[134:135]
	v_div_fmas_f64 v[123:124], v[123:124], v[132:133], v[136:137]
	v_div_fixup_f64 v[0:1], v[123:124], v[0:1], 1.0
.LBB114_886:
	s_or_b32 exec_lo, exec_lo, s0
	s_mov_b32 s0, exec_lo
	v_cmpx_ne_u32_e64 v131, v122
	s_xor_b32 s0, exec_lo, s0
	s_cbranch_execz .LBB114_892
; %bb.887:
	s_mov_b32 s1, exec_lo
	v_cmpx_eq_u32_e32 52, v131
	s_cbranch_execz .LBB114_891
; %bb.888:
	v_cmp_ne_u32_e32 vcc_lo, 52, v122
	s_xor_b32 s2, s6, -1
	s_and_b32 s3, s2, vcc_lo
	s_and_saveexec_b32 s2, s3
	s_cbranch_execz .LBB114_890
; %bb.889:
	v_ashrrev_i32_e32 v123, 31, v122
	v_lshlrev_b64 v[123:124], 2, v[122:123]
	v_add_co_u32 v123, vcc_lo, v4, v123
	v_add_co_ci_u32_e64 v124, null, v5, v124, vcc_lo
	s_clause 0x1
	global_load_dword v130, v[123:124], off
	global_load_dword v131, v[4:5], off offset:208
	s_waitcnt vmcnt(1)
	global_store_dword v[4:5], v130, off offset:208
	s_waitcnt vmcnt(0)
	global_store_dword v[123:124], v131, off
.LBB114_890:
	s_or_b32 exec_lo, exec_lo, s2
	v_mov_b32_e32 v130, v122
	v_mov_b32_e32 v131, v122
.LBB114_891:
	s_or_b32 exec_lo, exec_lo, s1
.LBB114_892:
	s_andn2_saveexec_b32 s0, s0
	s_cbranch_execz .LBB114_894
; %bb.893:
	v_mov_b32_e32 v131, 52
	ds_write2_b64 v128, v[8:9], v[12:13] offset0:53 offset1:54
	ds_write2_b64 v128, v[6:7], v[10:11] offset0:55 offset1:56
	ds_write_b64 v128, v[120:121] offset:456
.LBB114_894:
	s_or_b32 exec_lo, exec_lo, s0
	s_mov_b32 s0, exec_lo
	s_waitcnt lgkmcnt(0)
	s_waitcnt_vscnt null, 0x0
	s_barrier
	buffer_gl0_inv
	v_cmpx_lt_i32_e32 52, v131
	s_cbranch_execz .LBB114_896
; %bb.895:
	v_mul_f64 v[14:15], v[0:1], v[14:15]
	ds_read2_b64 v[132:135], v128 offset0:53 offset1:54
	ds_read2_b64 v[136:139], v128 offset0:55 offset1:56
	ds_read_b64 v[0:1], v128 offset:456
	s_waitcnt lgkmcnt(2)
	v_fma_f64 v[8:9], -v[14:15], v[132:133], v[8:9]
	v_fma_f64 v[12:13], -v[14:15], v[134:135], v[12:13]
	s_waitcnt lgkmcnt(1)
	v_fma_f64 v[6:7], -v[14:15], v[136:137], v[6:7]
	v_fma_f64 v[10:11], -v[14:15], v[138:139], v[10:11]
	s_waitcnt lgkmcnt(0)
	v_fma_f64 v[120:121], -v[14:15], v[0:1], v[120:121]
.LBB114_896:
	s_or_b32 exec_lo, exec_lo, s0
	v_lshl_add_u32 v0, v131, 3, v128
	s_barrier
	buffer_gl0_inv
	v_mov_b32_e32 v122, 53
	ds_write_b64 v0, v[8:9]
	s_waitcnt lgkmcnt(0)
	s_barrier
	buffer_gl0_inv
	ds_read_b64 v[0:1], v128 offset:424
	s_cmp_lt_i32 s7, 55
	s_cbranch_scc1 .LBB114_899
; %bb.897:
	v_add3_u32 v123, v129, 0, 0x1b0
	v_mov_b32_e32 v122, 53
	s_mov_b32 s0, 54
.LBB114_898:                            ; =>This Inner Loop Header: Depth=1
	ds_read_b64 v[132:133], v123
	v_add_nc_u32_e32 v123, 8, v123
	s_waitcnt lgkmcnt(0)
	v_cmp_lt_f64_e64 vcc_lo, |v[0:1]|, |v[132:133]|
	v_cndmask_b32_e32 v1, v1, v133, vcc_lo
	v_cndmask_b32_e32 v0, v0, v132, vcc_lo
	v_cndmask_b32_e64 v122, v122, s0, vcc_lo
	s_add_i32 s0, s0, 1
	s_cmp_lg_u32 s7, s0
	s_cbranch_scc1 .LBB114_898
.LBB114_899:
	s_mov_b32 s0, exec_lo
	s_waitcnt lgkmcnt(0)
	v_cmpx_eq_f64_e32 0, v[0:1]
	s_xor_b32 s0, exec_lo, s0
; %bb.900:
	v_cmp_ne_u32_e32 vcc_lo, 0, v125
	v_cndmask_b32_e32 v125, 54, v125, vcc_lo
; %bb.901:
	s_andn2_saveexec_b32 s0, s0
	s_cbranch_execz .LBB114_903
; %bb.902:
	v_div_scale_f64 v[123:124], null, v[0:1], v[0:1], 1.0
	v_rcp_f64_e32 v[132:133], v[123:124]
	v_fma_f64 v[134:135], -v[123:124], v[132:133], 1.0
	v_fma_f64 v[132:133], v[132:133], v[134:135], v[132:133]
	v_fma_f64 v[134:135], -v[123:124], v[132:133], 1.0
	v_fma_f64 v[132:133], v[132:133], v[134:135], v[132:133]
	v_div_scale_f64 v[134:135], vcc_lo, 1.0, v[0:1], 1.0
	v_mul_f64 v[136:137], v[134:135], v[132:133]
	v_fma_f64 v[123:124], -v[123:124], v[136:137], v[134:135]
	v_div_fmas_f64 v[123:124], v[123:124], v[132:133], v[136:137]
	v_div_fixup_f64 v[0:1], v[123:124], v[0:1], 1.0
.LBB114_903:
	s_or_b32 exec_lo, exec_lo, s0
	s_mov_b32 s0, exec_lo
	v_cmpx_ne_u32_e64 v131, v122
	s_xor_b32 s0, exec_lo, s0
	s_cbranch_execz .LBB114_909
; %bb.904:
	s_mov_b32 s1, exec_lo
	v_cmpx_eq_u32_e32 53, v131
	s_cbranch_execz .LBB114_908
; %bb.905:
	v_cmp_ne_u32_e32 vcc_lo, 53, v122
	s_xor_b32 s2, s6, -1
	s_and_b32 s3, s2, vcc_lo
	s_and_saveexec_b32 s2, s3
	s_cbranch_execz .LBB114_907
; %bb.906:
	v_ashrrev_i32_e32 v123, 31, v122
	v_lshlrev_b64 v[123:124], 2, v[122:123]
	v_add_co_u32 v123, vcc_lo, v4, v123
	v_add_co_ci_u32_e64 v124, null, v5, v124, vcc_lo
	s_clause 0x1
	global_load_dword v130, v[123:124], off
	global_load_dword v131, v[4:5], off offset:212
	s_waitcnt vmcnt(1)
	global_store_dword v[4:5], v130, off offset:212
	s_waitcnt vmcnt(0)
	global_store_dword v[123:124], v131, off
.LBB114_907:
	s_or_b32 exec_lo, exec_lo, s2
	v_mov_b32_e32 v130, v122
	v_mov_b32_e32 v131, v122
.LBB114_908:
	s_or_b32 exec_lo, exec_lo, s1
.LBB114_909:
	s_andn2_saveexec_b32 s0, s0
	s_cbranch_execz .LBB114_911
; %bb.910:
	v_mov_b32_e32 v122, v12
	v_mov_b32_e32 v123, v13
	v_mov_b32_e32 v132, v6
	v_mov_b32_e32 v133, v7
	v_mov_b32_e32 v131, 53
	v_mov_b32_e32 v134, v10
	v_mov_b32_e32 v135, v11
	ds_write2_b64 v128, v[122:123], v[132:133] offset0:54 offset1:55
	ds_write2_b64 v128, v[134:135], v[120:121] offset0:56 offset1:57
.LBB114_911:
	s_or_b32 exec_lo, exec_lo, s0
	s_mov_b32 s0, exec_lo
	s_waitcnt lgkmcnt(0)
	s_waitcnt_vscnt null, 0x0
	s_barrier
	buffer_gl0_inv
	v_cmpx_lt_i32_e32 53, v131
	s_cbranch_execz .LBB114_913
; %bb.912:
	v_mul_f64 v[8:9], v[0:1], v[8:9]
	ds_read2_b64 v[132:135], v128 offset0:54 offset1:55
	ds_read2_b64 v[136:139], v128 offset0:56 offset1:57
	s_waitcnt lgkmcnt(1)
	v_fma_f64 v[12:13], -v[8:9], v[132:133], v[12:13]
	v_fma_f64 v[6:7], -v[8:9], v[134:135], v[6:7]
	s_waitcnt lgkmcnt(0)
	v_fma_f64 v[10:11], -v[8:9], v[136:137], v[10:11]
	v_fma_f64 v[120:121], -v[8:9], v[138:139], v[120:121]
.LBB114_913:
	s_or_b32 exec_lo, exec_lo, s0
	v_lshl_add_u32 v0, v131, 3, v128
	s_barrier
	buffer_gl0_inv
	v_mov_b32_e32 v122, 54
	ds_write_b64 v0, v[12:13]
	s_waitcnt lgkmcnt(0)
	s_barrier
	buffer_gl0_inv
	ds_read_b64 v[0:1], v128 offset:432
	s_cmp_lt_i32 s7, 56
	s_cbranch_scc1 .LBB114_916
; %bb.914:
	v_add3_u32 v123, v129, 0, 0x1b8
	v_mov_b32_e32 v122, 54
	s_mov_b32 s0, 55
.LBB114_915:                            ; =>This Inner Loop Header: Depth=1
	ds_read_b64 v[132:133], v123
	v_add_nc_u32_e32 v123, 8, v123
	s_waitcnt lgkmcnt(0)
	v_cmp_lt_f64_e64 vcc_lo, |v[0:1]|, |v[132:133]|
	v_cndmask_b32_e32 v1, v1, v133, vcc_lo
	v_cndmask_b32_e32 v0, v0, v132, vcc_lo
	v_cndmask_b32_e64 v122, v122, s0, vcc_lo
	s_add_i32 s0, s0, 1
	s_cmp_lg_u32 s7, s0
	s_cbranch_scc1 .LBB114_915
.LBB114_916:
	s_mov_b32 s0, exec_lo
	s_waitcnt lgkmcnt(0)
	v_cmpx_eq_f64_e32 0, v[0:1]
	s_xor_b32 s0, exec_lo, s0
; %bb.917:
	v_cmp_ne_u32_e32 vcc_lo, 0, v125
	v_cndmask_b32_e32 v125, 55, v125, vcc_lo
; %bb.918:
	s_andn2_saveexec_b32 s0, s0
	s_cbranch_execz .LBB114_920
; %bb.919:
	v_div_scale_f64 v[123:124], null, v[0:1], v[0:1], 1.0
	v_rcp_f64_e32 v[132:133], v[123:124]
	v_fma_f64 v[134:135], -v[123:124], v[132:133], 1.0
	v_fma_f64 v[132:133], v[132:133], v[134:135], v[132:133]
	v_fma_f64 v[134:135], -v[123:124], v[132:133], 1.0
	v_fma_f64 v[132:133], v[132:133], v[134:135], v[132:133]
	v_div_scale_f64 v[134:135], vcc_lo, 1.0, v[0:1], 1.0
	v_mul_f64 v[136:137], v[134:135], v[132:133]
	v_fma_f64 v[123:124], -v[123:124], v[136:137], v[134:135]
	v_div_fmas_f64 v[123:124], v[123:124], v[132:133], v[136:137]
	v_div_fixup_f64 v[0:1], v[123:124], v[0:1], 1.0
.LBB114_920:
	s_or_b32 exec_lo, exec_lo, s0
	s_mov_b32 s0, exec_lo
	v_cmpx_ne_u32_e64 v131, v122
	s_xor_b32 s0, exec_lo, s0
	s_cbranch_execz .LBB114_926
; %bb.921:
	s_mov_b32 s1, exec_lo
	v_cmpx_eq_u32_e32 54, v131
	s_cbranch_execz .LBB114_925
; %bb.922:
	v_cmp_ne_u32_e32 vcc_lo, 54, v122
	s_xor_b32 s2, s6, -1
	s_and_b32 s3, s2, vcc_lo
	s_and_saveexec_b32 s2, s3
	s_cbranch_execz .LBB114_924
; %bb.923:
	v_ashrrev_i32_e32 v123, 31, v122
	v_lshlrev_b64 v[123:124], 2, v[122:123]
	v_add_co_u32 v123, vcc_lo, v4, v123
	v_add_co_ci_u32_e64 v124, null, v5, v124, vcc_lo
	s_clause 0x1
	global_load_dword v130, v[123:124], off
	global_load_dword v131, v[4:5], off offset:216
	s_waitcnt vmcnt(1)
	global_store_dword v[4:5], v130, off offset:216
	s_waitcnt vmcnt(0)
	global_store_dword v[123:124], v131, off
.LBB114_924:
	s_or_b32 exec_lo, exec_lo, s2
	v_mov_b32_e32 v130, v122
	v_mov_b32_e32 v131, v122
.LBB114_925:
	s_or_b32 exec_lo, exec_lo, s1
.LBB114_926:
	s_andn2_saveexec_b32 s0, s0
	s_cbranch_execz .LBB114_928
; %bb.927:
	v_mov_b32_e32 v131, 54
	ds_write2_b64 v128, v[6:7], v[10:11] offset0:55 offset1:56
	ds_write_b64 v128, v[120:121] offset:456
.LBB114_928:
	s_or_b32 exec_lo, exec_lo, s0
	s_mov_b32 s0, exec_lo
	s_waitcnt lgkmcnt(0)
	s_waitcnt_vscnt null, 0x0
	s_barrier
	buffer_gl0_inv
	v_cmpx_lt_i32_e32 54, v131
	s_cbranch_execz .LBB114_930
; %bb.929:
	v_mul_f64 v[12:13], v[0:1], v[12:13]
	ds_read2_b64 v[132:135], v128 offset0:55 offset1:56
	ds_read_b64 v[0:1], v128 offset:456
	s_waitcnt lgkmcnt(1)
	v_fma_f64 v[6:7], -v[12:13], v[132:133], v[6:7]
	v_fma_f64 v[10:11], -v[12:13], v[134:135], v[10:11]
	s_waitcnt lgkmcnt(0)
	v_fma_f64 v[120:121], -v[12:13], v[0:1], v[120:121]
.LBB114_930:
	s_or_b32 exec_lo, exec_lo, s0
	v_lshl_add_u32 v0, v131, 3, v128
	s_barrier
	buffer_gl0_inv
	v_mov_b32_e32 v122, 55
	ds_write_b64 v0, v[6:7]
	s_waitcnt lgkmcnt(0)
	s_barrier
	buffer_gl0_inv
	ds_read_b64 v[0:1], v128 offset:440
	s_cmp_lt_i32 s7, 57
	s_cbranch_scc1 .LBB114_933
; %bb.931:
	v_add3_u32 v123, v129, 0, 0x1c0
	v_mov_b32_e32 v122, 55
	s_mov_b32 s0, 56
.LBB114_932:                            ; =>This Inner Loop Header: Depth=1
	ds_read_b64 v[132:133], v123
	v_add_nc_u32_e32 v123, 8, v123
	s_waitcnt lgkmcnt(0)
	v_cmp_lt_f64_e64 vcc_lo, |v[0:1]|, |v[132:133]|
	v_cndmask_b32_e32 v1, v1, v133, vcc_lo
	v_cndmask_b32_e32 v0, v0, v132, vcc_lo
	v_cndmask_b32_e64 v122, v122, s0, vcc_lo
	s_add_i32 s0, s0, 1
	s_cmp_lg_u32 s7, s0
	s_cbranch_scc1 .LBB114_932
.LBB114_933:
	s_mov_b32 s0, exec_lo
	s_waitcnt lgkmcnt(0)
	v_cmpx_eq_f64_e32 0, v[0:1]
	s_xor_b32 s0, exec_lo, s0
; %bb.934:
	v_cmp_ne_u32_e32 vcc_lo, 0, v125
	v_cndmask_b32_e32 v125, 56, v125, vcc_lo
; %bb.935:
	s_andn2_saveexec_b32 s0, s0
	s_cbranch_execz .LBB114_937
; %bb.936:
	v_div_scale_f64 v[123:124], null, v[0:1], v[0:1], 1.0
	v_rcp_f64_e32 v[132:133], v[123:124]
	v_fma_f64 v[134:135], -v[123:124], v[132:133], 1.0
	v_fma_f64 v[132:133], v[132:133], v[134:135], v[132:133]
	v_fma_f64 v[134:135], -v[123:124], v[132:133], 1.0
	v_fma_f64 v[132:133], v[132:133], v[134:135], v[132:133]
	v_div_scale_f64 v[134:135], vcc_lo, 1.0, v[0:1], 1.0
	v_mul_f64 v[136:137], v[134:135], v[132:133]
	v_fma_f64 v[123:124], -v[123:124], v[136:137], v[134:135]
	v_div_fmas_f64 v[123:124], v[123:124], v[132:133], v[136:137]
	v_div_fixup_f64 v[0:1], v[123:124], v[0:1], 1.0
.LBB114_937:
	s_or_b32 exec_lo, exec_lo, s0
	s_mov_b32 s0, exec_lo
	v_cmpx_ne_u32_e64 v131, v122
	s_xor_b32 s0, exec_lo, s0
	s_cbranch_execz .LBB114_943
; %bb.938:
	s_mov_b32 s1, exec_lo
	v_cmpx_eq_u32_e32 55, v131
	s_cbranch_execz .LBB114_942
; %bb.939:
	v_cmp_ne_u32_e32 vcc_lo, 55, v122
	s_xor_b32 s2, s6, -1
	s_and_b32 s3, s2, vcc_lo
	s_and_saveexec_b32 s2, s3
	s_cbranch_execz .LBB114_941
; %bb.940:
	v_ashrrev_i32_e32 v123, 31, v122
	v_lshlrev_b64 v[123:124], 2, v[122:123]
	v_add_co_u32 v123, vcc_lo, v4, v123
	v_add_co_ci_u32_e64 v124, null, v5, v124, vcc_lo
	s_clause 0x1
	global_load_dword v130, v[123:124], off
	global_load_dword v131, v[4:5], off offset:220
	s_waitcnt vmcnt(1)
	global_store_dword v[4:5], v130, off offset:220
	s_waitcnt vmcnt(0)
	global_store_dword v[123:124], v131, off
.LBB114_941:
	s_or_b32 exec_lo, exec_lo, s2
	v_mov_b32_e32 v130, v122
	v_mov_b32_e32 v131, v122
.LBB114_942:
	s_or_b32 exec_lo, exec_lo, s1
.LBB114_943:
	s_andn2_saveexec_b32 s0, s0
	s_cbranch_execz .LBB114_945
; %bb.944:
	v_mov_b32_e32 v122, v10
	v_mov_b32_e32 v123, v11
	;; [unrolled: 1-line block ×3, first 2 shown]
	ds_write2_b64 v128, v[122:123], v[120:121] offset0:56 offset1:57
.LBB114_945:
	s_or_b32 exec_lo, exec_lo, s0
	s_mov_b32 s0, exec_lo
	s_waitcnt lgkmcnt(0)
	s_waitcnt_vscnt null, 0x0
	s_barrier
	buffer_gl0_inv
	v_cmpx_lt_i32_e32 55, v131
	s_cbranch_execz .LBB114_947
; %bb.946:
	v_mul_f64 v[6:7], v[0:1], v[6:7]
	ds_read2_b64 v[132:135], v128 offset0:56 offset1:57
	s_waitcnt lgkmcnt(0)
	v_fma_f64 v[10:11], -v[6:7], v[132:133], v[10:11]
	v_fma_f64 v[120:121], -v[6:7], v[134:135], v[120:121]
.LBB114_947:
	s_or_b32 exec_lo, exec_lo, s0
	v_lshl_add_u32 v0, v131, 3, v128
	s_barrier
	buffer_gl0_inv
	v_mov_b32_e32 v122, 56
	ds_write_b64 v0, v[10:11]
	s_waitcnt lgkmcnt(0)
	s_barrier
	buffer_gl0_inv
	ds_read_b64 v[0:1], v128 offset:448
	s_cmp_lt_i32 s7, 58
	s_cbranch_scc1 .LBB114_950
; %bb.948:
	v_add3_u32 v123, v129, 0, 0x1c8
	v_mov_b32_e32 v122, 56
	s_mov_b32 s0, 57
.LBB114_949:                            ; =>This Inner Loop Header: Depth=1
	ds_read_b64 v[132:133], v123
	v_add_nc_u32_e32 v123, 8, v123
	s_waitcnt lgkmcnt(0)
	v_cmp_lt_f64_e64 vcc_lo, |v[0:1]|, |v[132:133]|
	v_cndmask_b32_e32 v1, v1, v133, vcc_lo
	v_cndmask_b32_e32 v0, v0, v132, vcc_lo
	v_cndmask_b32_e64 v122, v122, s0, vcc_lo
	s_add_i32 s0, s0, 1
	s_cmp_lg_u32 s7, s0
	s_cbranch_scc1 .LBB114_949
.LBB114_950:
	s_mov_b32 s0, exec_lo
	s_waitcnt lgkmcnt(0)
	v_cmpx_eq_f64_e32 0, v[0:1]
	s_xor_b32 s0, exec_lo, s0
; %bb.951:
	v_cmp_ne_u32_e32 vcc_lo, 0, v125
	v_cndmask_b32_e32 v125, 57, v125, vcc_lo
; %bb.952:
	s_andn2_saveexec_b32 s0, s0
	s_cbranch_execz .LBB114_954
; %bb.953:
	v_div_scale_f64 v[123:124], null, v[0:1], v[0:1], 1.0
	v_rcp_f64_e32 v[132:133], v[123:124]
	v_fma_f64 v[134:135], -v[123:124], v[132:133], 1.0
	v_fma_f64 v[132:133], v[132:133], v[134:135], v[132:133]
	v_fma_f64 v[134:135], -v[123:124], v[132:133], 1.0
	v_fma_f64 v[132:133], v[132:133], v[134:135], v[132:133]
	v_div_scale_f64 v[134:135], vcc_lo, 1.0, v[0:1], 1.0
	v_mul_f64 v[136:137], v[134:135], v[132:133]
	v_fma_f64 v[123:124], -v[123:124], v[136:137], v[134:135]
	v_div_fmas_f64 v[123:124], v[123:124], v[132:133], v[136:137]
	v_div_fixup_f64 v[0:1], v[123:124], v[0:1], 1.0
.LBB114_954:
	s_or_b32 exec_lo, exec_lo, s0
	s_mov_b32 s0, exec_lo
	v_cmpx_ne_u32_e64 v131, v122
	s_xor_b32 s0, exec_lo, s0
	s_cbranch_execz .LBB114_960
; %bb.955:
	s_mov_b32 s1, exec_lo
	v_cmpx_eq_u32_e32 56, v131
	s_cbranch_execz .LBB114_959
; %bb.956:
	v_cmp_ne_u32_e32 vcc_lo, 56, v122
	s_xor_b32 s2, s6, -1
	s_and_b32 s3, s2, vcc_lo
	s_and_saveexec_b32 s2, s3
	s_cbranch_execz .LBB114_958
; %bb.957:
	v_ashrrev_i32_e32 v123, 31, v122
	v_lshlrev_b64 v[123:124], 2, v[122:123]
	v_add_co_u32 v123, vcc_lo, v4, v123
	v_add_co_ci_u32_e64 v124, null, v5, v124, vcc_lo
	s_clause 0x1
	global_load_dword v130, v[123:124], off
	global_load_dword v131, v[4:5], off offset:224
	s_waitcnt vmcnt(1)
	global_store_dword v[4:5], v130, off offset:224
	s_waitcnt vmcnt(0)
	global_store_dword v[123:124], v131, off
.LBB114_958:
	s_or_b32 exec_lo, exec_lo, s2
	v_mov_b32_e32 v130, v122
	v_mov_b32_e32 v131, v122
.LBB114_959:
	s_or_b32 exec_lo, exec_lo, s1
.LBB114_960:
	s_andn2_saveexec_b32 s0, s0
; %bb.961:
	v_mov_b32_e32 v131, 56
	ds_write_b64 v128, v[120:121] offset:456
; %bb.962:
	s_or_b32 exec_lo, exec_lo, s0
	s_mov_b32 s0, exec_lo
	s_waitcnt lgkmcnt(0)
	s_waitcnt_vscnt null, 0x0
	s_barrier
	buffer_gl0_inv
	v_cmpx_lt_i32_e32 56, v131
	s_cbranch_execz .LBB114_964
; %bb.963:
	v_mul_f64 v[10:11], v[0:1], v[10:11]
	ds_read_b64 v[0:1], v128 offset:456
	s_waitcnt lgkmcnt(0)
	v_fma_f64 v[120:121], -v[10:11], v[0:1], v[120:121]
.LBB114_964:
	s_or_b32 exec_lo, exec_lo, s0
	v_lshl_add_u32 v0, v131, 3, v128
	s_barrier
	buffer_gl0_inv
	v_mov_b32_e32 v122, 57
	ds_write_b64 v0, v[120:121]
	s_waitcnt lgkmcnt(0)
	s_barrier
	buffer_gl0_inv
	ds_read_b64 v[0:1], v128 offset:456
	s_cmp_lt_i32 s7, 59
	s_cbranch_scc1 .LBB114_967
; %bb.965:
	v_add3_u32 v123, v129, 0, 0x1d0
	v_mov_b32_e32 v122, 57
	s_mov_b32 s0, 58
.LBB114_966:                            ; =>This Inner Loop Header: Depth=1
	ds_read_b64 v[128:129], v123
	v_add_nc_u32_e32 v123, 8, v123
	s_waitcnt lgkmcnt(0)
	v_cmp_lt_f64_e64 vcc_lo, |v[0:1]|, |v[128:129]|
	v_cndmask_b32_e32 v1, v1, v129, vcc_lo
	v_cndmask_b32_e32 v0, v0, v128, vcc_lo
	v_cndmask_b32_e64 v122, v122, s0, vcc_lo
	s_add_i32 s0, s0, 1
	s_cmp_lg_u32 s7, s0
	s_cbranch_scc1 .LBB114_966
.LBB114_967:
	s_mov_b32 s0, exec_lo
	s_waitcnt lgkmcnt(0)
	v_cmpx_eq_f64_e32 0, v[0:1]
	s_xor_b32 s0, exec_lo, s0
; %bb.968:
	v_cmp_ne_u32_e32 vcc_lo, 0, v125
	v_cndmask_b32_e32 v125, 58, v125, vcc_lo
; %bb.969:
	s_andn2_saveexec_b32 s0, s0
	s_cbranch_execz .LBB114_971
; %bb.970:
	v_div_scale_f64 v[123:124], null, v[0:1], v[0:1], 1.0
	v_rcp_f64_e32 v[128:129], v[123:124]
	v_fma_f64 v[132:133], -v[123:124], v[128:129], 1.0
	v_fma_f64 v[128:129], v[128:129], v[132:133], v[128:129]
	v_fma_f64 v[132:133], -v[123:124], v[128:129], 1.0
	v_fma_f64 v[128:129], v[128:129], v[132:133], v[128:129]
	v_div_scale_f64 v[132:133], vcc_lo, 1.0, v[0:1], 1.0
	v_mul_f64 v[134:135], v[132:133], v[128:129]
	v_fma_f64 v[123:124], -v[123:124], v[134:135], v[132:133]
	v_div_fmas_f64 v[123:124], v[123:124], v[128:129], v[134:135]
	v_div_fixup_f64 v[0:1], v[123:124], v[0:1], 1.0
.LBB114_971:
	s_or_b32 exec_lo, exec_lo, s0
	v_mov_b32_e32 v123, 57
	s_mov_b32 s0, exec_lo
	v_cmpx_ne_u32_e64 v131, v122
	s_cbranch_execz .LBB114_977
; %bb.972:
	s_mov_b32 s1, exec_lo
	v_cmpx_eq_u32_e32 57, v131
	s_cbranch_execz .LBB114_976
; %bb.973:
	v_cmp_ne_u32_e32 vcc_lo, 57, v122
	s_xor_b32 s2, s6, -1
	s_and_b32 s3, s2, vcc_lo
	s_and_saveexec_b32 s2, s3
	s_cbranch_execz .LBB114_975
; %bb.974:
	v_ashrrev_i32_e32 v123, 31, v122
	v_lshlrev_b64 v[123:124], 2, v[122:123]
	v_add_co_u32 v123, vcc_lo, v4, v123
	v_add_co_ci_u32_e64 v124, null, v5, v124, vcc_lo
	s_clause 0x1
	global_load_dword v128, v[123:124], off
	global_load_dword v129, v[4:5], off offset:228
	s_waitcnt vmcnt(1)
	global_store_dword v[4:5], v128, off offset:228
	s_waitcnt vmcnt(0)
	global_store_dword v[123:124], v129, off
.LBB114_975:
	s_or_b32 exec_lo, exec_lo, s2
	v_mov_b32_e32 v130, v122
	v_mov_b32_e32 v131, v122
.LBB114_976:
	s_or_b32 exec_lo, exec_lo, s1
	v_mov_b32_e32 v123, v131
.LBB114_977:
	s_or_b32 exec_lo, exec_lo, s0
	s_load_dwordx8 s[0:7], s[4:5], 0x28
	v_ashrrev_i32_e32 v124, 31, v123
	s_mov_b32 s9, exec_lo
	s_waitcnt lgkmcnt(0)
	s_waitcnt_vscnt null, 0x0
	s_barrier
	buffer_gl0_inv
	s_barrier
	buffer_gl0_inv
	v_cmpx_gt_i32_e32 58, v123
	s_cbranch_execz .LBB114_979
; %bb.978:
	v_mul_lo_u32 v122, s5, v2
	v_mul_lo_u32 v128, s4, v3
	v_mad_u64_u32 v[4:5], null, s4, v2, 0
	s_lshl_b64 s[2:3], s[2:3], 2
	v_add3_u32 v5, v5, v128, v122
	v_lshlrev_b64 v[4:5], 2, v[4:5]
	v_add_co_u32 v122, vcc_lo, s0, v4
	v_add_co_ci_u32_e64 v128, null, s1, v5, vcc_lo
	v_lshlrev_b64 v[4:5], 2, v[123:124]
	v_add_co_u32 v122, vcc_lo, v122, s2
	v_add_co_ci_u32_e64 v128, null, s3, v128, vcc_lo
	v_add_co_u32 v4, vcc_lo, v122, v4
	v_add_co_ci_u32_e64 v5, null, v128, v5, vcc_lo
	v_add3_u32 v122, v130, s13, 1
	global_store_dword v[4:5], v122, off
.LBB114_979:
	s_or_b32 exec_lo, exec_lo, s9
	s_mov_b32 s1, exec_lo
	v_cmpx_eq_u32_e32 0, v123
	s_cbranch_execz .LBB114_982
; %bb.980:
	v_lshlrev_b64 v[2:3], 2, v[2:3]
	v_cmp_ne_u32_e64 s0, 0, v125
	v_add_co_u32 v2, vcc_lo, s6, v2
	v_add_co_ci_u32_e64 v3, null, s7, v3, vcc_lo
	global_load_dword v4, v[2:3], off
	s_waitcnt vmcnt(0)
	v_cmp_eq_u32_e32 vcc_lo, 0, v4
	s_and_b32 s0, vcc_lo, s0
	s_and_b32 exec_lo, exec_lo, s0
	s_cbranch_execz .LBB114_982
; %bb.981:
	v_add_nc_u32_e32 v4, s13, v125
	global_store_dword v[2:3], v4, off
.LBB114_982:
	s_or_b32 exec_lo, exec_lo, s1
	v_mul_f64 v[0:1], v[0:1], v[120:121]
	v_add3_u32 v2, s8, s8, v123
	v_lshlrev_b64 v[4:5], 3, v[123:124]
	v_add_nc_u32_e32 v122, s8, v2
	v_ashrrev_i32_e32 v3, 31, v2
	v_add_co_u32 v4, vcc_lo, v126, v4
	v_add_co_ci_u32_e64 v5, null, v127, v5, vcc_lo
	v_add_nc_u32_e32 v124, s8, v122
	v_lshlrev_b64 v[2:3], 3, v[2:3]
	v_cmp_lt_i32_e32 vcc_lo, 57, v123
	flat_store_dwordx2 v[4:5], v[118:119]
	v_ashrrev_i32_e32 v123, 31, v122
	v_add_nc_u32_e32 v118, s8, v124
	v_add_co_u32 v4, s0, v4, s10
	v_add_co_ci_u32_e64 v5, null, s11, v5, s0
	v_cndmask_b32_e32 v1, v121, v1, vcc_lo
	v_cndmask_b32_e32 v0, v120, v0, vcc_lo
	v_add_co_u32 v2, vcc_lo, v126, v2
	v_ashrrev_i32_e32 v125, 31, v124
	v_add_co_ci_u32_e64 v3, null, v127, v3, vcc_lo
	v_ashrrev_i32_e32 v119, 31, v118
	v_lshlrev_b64 v[120:121], 3, v[122:123]
	flat_store_dwordx2 v[4:5], v[114:115]
	flat_store_dwordx2 v[2:3], v[116:117]
	v_lshlrev_b64 v[2:3], 3, v[124:125]
	v_add_nc_u32_e32 v116, s8, v118
	v_lshlrev_b64 v[114:115], 3, v[118:119]
	v_add_co_u32 v4, vcc_lo, v126, v120
	v_add_co_ci_u32_e64 v5, null, v127, v121, vcc_lo
	v_add_co_u32 v2, vcc_lo, v126, v2
	v_add_co_ci_u32_e64 v3, null, v127, v3, vcc_lo
	v_add_co_u32 v114, vcc_lo, v126, v114
	v_add_nc_u32_e32 v118, s8, v116
	v_add_co_ci_u32_e64 v115, null, v127, v115, vcc_lo
	v_ashrrev_i32_e32 v117, 31, v116
	flat_store_dwordx2 v[4:5], v[112:113]
	flat_store_dwordx2 v[2:3], v[110:111]
	flat_store_dwordx2 v[114:115], v[108:109]
	v_add_nc_u32_e32 v108, s8, v118
	v_ashrrev_i32_e32 v119, 31, v118
	v_lshlrev_b64 v[4:5], 3, v[116:117]
	v_add_nc_u32_e32 v110, s8, v108
	v_lshlrev_b64 v[2:3], 3, v[118:119]
	v_ashrrev_i32_e32 v109, 31, v108
	v_add_co_u32 v4, vcc_lo, v126, v4
	v_add_nc_u32_e32 v112, s8, v110
	v_add_co_ci_u32_e64 v5, null, v127, v5, vcc_lo
	v_add_co_u32 v2, vcc_lo, v126, v2
	v_ashrrev_i32_e32 v111, 31, v110
	v_add_co_ci_u32_e64 v3, null, v127, v3, vcc_lo
	v_ashrrev_i32_e32 v113, 31, v112
	v_lshlrev_b64 v[108:109], 3, v[108:109]
	flat_store_dwordx2 v[4:5], v[106:107]
	flat_store_dwordx2 v[2:3], v[104:105]
	v_lshlrev_b64 v[2:3], 3, v[110:111]
	v_add_nc_u32_e32 v106, s8, v112
	v_lshlrev_b64 v[104:105], 3, v[112:113]
	v_add_co_u32 v4, vcc_lo, v126, v108
	v_add_co_ci_u32_e64 v5, null, v127, v109, vcc_lo
	v_add_co_u32 v2, vcc_lo, v126, v2
	v_add_co_ci_u32_e64 v3, null, v127, v3, vcc_lo
	v_add_co_u32 v104, vcc_lo, v126, v104
	v_add_nc_u32_e32 v108, s8, v106
	v_add_co_ci_u32_e64 v105, null, v127, v105, vcc_lo
	v_ashrrev_i32_e32 v107, 31, v106
	flat_store_dwordx2 v[4:5], v[102:103]
	flat_store_dwordx2 v[2:3], v[98:99]
	flat_store_dwordx2 v[104:105], v[100:101]
	v_add_nc_u32_e32 v98, s8, v108
	v_ashrrev_i32_e32 v109, 31, v108
	v_lshlrev_b64 v[4:5], 3, v[106:107]
	v_add_nc_u32_e32 v100, s8, v98
	v_lshlrev_b64 v[2:3], 3, v[108:109]
	v_ashrrev_i32_e32 v99, 31, v98
	v_add_co_u32 v4, vcc_lo, v126, v4
	v_add_nc_u32_e32 v102, s8, v100
	v_add_co_ci_u32_e64 v5, null, v127, v5, vcc_lo
	;; [unrolled: 30-line block ×9, first 2 shown]
	v_add_co_u32 v2, vcc_lo, v126, v2
	v_ashrrev_i32_e32 v31, 31, v30
	v_add_co_ci_u32_e64 v3, null, v127, v3, vcc_lo
	v_ashrrev_i32_e32 v33, 31, v32
	v_lshlrev_b64 v[28:29], 3, v[28:29]
	flat_store_dwordx2 v[4:5], v[26:27]
	flat_store_dwordx2 v[2:3], v[24:25]
	v_lshlrev_b64 v[2:3], 3, v[30:31]
	v_add_nc_u32_e32 v26, s8, v32
	v_lshlrev_b64 v[24:25], 3, v[32:33]
	v_add_co_u32 v4, vcc_lo, v126, v28
	v_add_co_ci_u32_e64 v5, null, v127, v29, vcc_lo
	v_add_co_u32 v2, vcc_lo, v126, v2
	v_add_nc_u32_e32 v28, s8, v26
	v_add_co_ci_u32_e64 v3, null, v127, v3, vcc_lo
	v_add_co_u32 v24, vcc_lo, v126, v24
	v_ashrrev_i32_e32 v27, 31, v26
	v_add_co_ci_u32_e64 v25, null, v127, v25, vcc_lo
	v_ashrrev_i32_e32 v29, 31, v28
	flat_store_dwordx2 v[4:5], v[22:23]
	v_lshlrev_b64 v[4:5], 3, v[26:27]
	flat_store_dwordx2 v[2:3], v[18:19]
	flat_store_dwordx2 v[24:25], v[20:21]
	v_add_nc_u32_e32 v18, s8, v28
	v_lshlrev_b64 v[2:3], 3, v[28:29]
	v_add_co_u32 v4, vcc_lo, v126, v4
	v_add_nc_u32_e32 v20, s8, v18
	v_add_co_ci_u32_e64 v5, null, v127, v5, vcc_lo
	v_add_co_u32 v2, vcc_lo, v126, v2
	v_add_co_ci_u32_e64 v3, null, v127, v3, vcc_lo
	v_add_nc_u32_e32 v22, s8, v20
	v_ashrrev_i32_e32 v19, 31, v18
	flat_store_dwordx2 v[4:5], v[16:17]
	flat_store_dwordx2 v[2:3], v[14:15]
	v_ashrrev_i32_e32 v21, 31, v20
	v_add_nc_u32_e32 v14, s8, v22
	v_lshlrev_b64 v[4:5], 3, v[18:19]
	v_ashrrev_i32_e32 v23, 31, v22
	v_lshlrev_b64 v[2:3], 3, v[20:21]
	v_add_nc_u32_e32 v18, s8, v14
	v_ashrrev_i32_e32 v15, 31, v14
	v_lshlrev_b64 v[16:17], 3, v[22:23]
	v_add_co_u32 v4, vcc_lo, v126, v4
	v_ashrrev_i32_e32 v19, 31, v18
	v_lshlrev_b64 v[14:15], 3, v[14:15]
	v_add_co_ci_u32_e64 v5, null, v127, v5, vcc_lo
	v_add_co_u32 v2, vcc_lo, v126, v2
	v_lshlrev_b64 v[18:19], 3, v[18:19]
	v_add_co_ci_u32_e64 v3, null, v127, v3, vcc_lo
	v_add_co_u32 v16, vcc_lo, v126, v16
	v_add_co_ci_u32_e64 v17, null, v127, v17, vcc_lo
	v_add_co_u32 v14, vcc_lo, v126, v14
	;; [unrolled: 2-line block ×3, first 2 shown]
	v_add_co_ci_u32_e64 v19, null, v127, v19, vcc_lo
	flat_store_dwordx2 v[4:5], v[8:9]
	flat_store_dwordx2 v[2:3], v[12:13]
	;; [unrolled: 1-line block ×5, first 2 shown]
.LBB114_983:
	s_endpgm
	.section	.rodata,"a",@progbits
	.p2align	6, 0x0
	.amdhsa_kernel _ZN9rocsolver6v33100L18getf2_small_kernelILi58EdiiPKPdEEvT1_T3_lS5_lPS5_llPT2_S5_S5_S7_l
		.amdhsa_group_segment_fixed_size 0
		.amdhsa_private_segment_fixed_size 0
		.amdhsa_kernarg_size 352
		.amdhsa_user_sgpr_count 6
		.amdhsa_user_sgpr_private_segment_buffer 1
		.amdhsa_user_sgpr_dispatch_ptr 0
		.amdhsa_user_sgpr_queue_ptr 0
		.amdhsa_user_sgpr_kernarg_segment_ptr 1
		.amdhsa_user_sgpr_dispatch_id 0
		.amdhsa_user_sgpr_flat_scratch_init 0
		.amdhsa_user_sgpr_private_segment_size 0
		.amdhsa_wavefront_size32 1
		.amdhsa_uses_dynamic_stack 0
		.amdhsa_system_sgpr_private_segment_wavefront_offset 0
		.amdhsa_system_sgpr_workgroup_id_x 1
		.amdhsa_system_sgpr_workgroup_id_y 1
		.amdhsa_system_sgpr_workgroup_id_z 0
		.amdhsa_system_sgpr_workgroup_info 0
		.amdhsa_system_vgpr_workitem_id 1
		.amdhsa_next_free_vgpr 240
		.amdhsa_next_free_sgpr 14
		.amdhsa_reserve_vcc 1
		.amdhsa_reserve_flat_scratch 1
		.amdhsa_float_round_mode_32 0
		.amdhsa_float_round_mode_16_64 0
		.amdhsa_float_denorm_mode_32 3
		.amdhsa_float_denorm_mode_16_64 3
		.amdhsa_dx10_clamp 1
		.amdhsa_ieee_mode 1
		.amdhsa_fp16_overflow 0
		.amdhsa_workgroup_processor_mode 1
		.amdhsa_memory_ordered 1
		.amdhsa_forward_progress 1
		.amdhsa_shared_vgpr_count 0
		.amdhsa_exception_fp_ieee_invalid_op 0
		.amdhsa_exception_fp_denorm_src 0
		.amdhsa_exception_fp_ieee_div_zero 0
		.amdhsa_exception_fp_ieee_overflow 0
		.amdhsa_exception_fp_ieee_underflow 0
		.amdhsa_exception_fp_ieee_inexact 0
		.amdhsa_exception_int_div_zero 0
	.end_amdhsa_kernel
	.section	.text._ZN9rocsolver6v33100L18getf2_small_kernelILi58EdiiPKPdEEvT1_T3_lS5_lPS5_llPT2_S5_S5_S7_l,"axG",@progbits,_ZN9rocsolver6v33100L18getf2_small_kernelILi58EdiiPKPdEEvT1_T3_lS5_lPS5_llPT2_S5_S5_S7_l,comdat
.Lfunc_end114:
	.size	_ZN9rocsolver6v33100L18getf2_small_kernelILi58EdiiPKPdEEvT1_T3_lS5_lPS5_llPT2_S5_S5_S7_l, .Lfunc_end114-_ZN9rocsolver6v33100L18getf2_small_kernelILi58EdiiPKPdEEvT1_T3_lS5_lPS5_llPT2_S5_S5_S7_l
                                        ; -- End function
	.set _ZN9rocsolver6v33100L18getf2_small_kernelILi58EdiiPKPdEEvT1_T3_lS5_lPS5_llPT2_S5_S5_S7_l.num_vgpr, 240
	.set _ZN9rocsolver6v33100L18getf2_small_kernelILi58EdiiPKPdEEvT1_T3_lS5_lPS5_llPT2_S5_S5_S7_l.num_agpr, 0
	.set _ZN9rocsolver6v33100L18getf2_small_kernelILi58EdiiPKPdEEvT1_T3_lS5_lPS5_llPT2_S5_S5_S7_l.numbered_sgpr, 14
	.set _ZN9rocsolver6v33100L18getf2_small_kernelILi58EdiiPKPdEEvT1_T3_lS5_lPS5_llPT2_S5_S5_S7_l.num_named_barrier, 0
	.set _ZN9rocsolver6v33100L18getf2_small_kernelILi58EdiiPKPdEEvT1_T3_lS5_lPS5_llPT2_S5_S5_S7_l.private_seg_size, 0
	.set _ZN9rocsolver6v33100L18getf2_small_kernelILi58EdiiPKPdEEvT1_T3_lS5_lPS5_llPT2_S5_S5_S7_l.uses_vcc, 1
	.set _ZN9rocsolver6v33100L18getf2_small_kernelILi58EdiiPKPdEEvT1_T3_lS5_lPS5_llPT2_S5_S5_S7_l.uses_flat_scratch, 1
	.set _ZN9rocsolver6v33100L18getf2_small_kernelILi58EdiiPKPdEEvT1_T3_lS5_lPS5_llPT2_S5_S5_S7_l.has_dyn_sized_stack, 0
	.set _ZN9rocsolver6v33100L18getf2_small_kernelILi58EdiiPKPdEEvT1_T3_lS5_lPS5_llPT2_S5_S5_S7_l.has_recursion, 0
	.set _ZN9rocsolver6v33100L18getf2_small_kernelILi58EdiiPKPdEEvT1_T3_lS5_lPS5_llPT2_S5_S5_S7_l.has_indirect_call, 0
	.section	.AMDGPU.csdata,"",@progbits
; Kernel info:
; codeLenInByte = 67724
; TotalNumSgprs: 16
; NumVgprs: 240
; ScratchSize: 0
; MemoryBound: 0
; FloatMode: 240
; IeeeMode: 1
; LDSByteSize: 0 bytes/workgroup (compile time only)
; SGPRBlocks: 0
; VGPRBlocks: 29
; NumSGPRsForWavesPerEU: 16
; NumVGPRsForWavesPerEU: 240
; Occupancy: 4
; WaveLimiterHint : 1
; COMPUTE_PGM_RSRC2:SCRATCH_EN: 0
; COMPUTE_PGM_RSRC2:USER_SGPR: 6
; COMPUTE_PGM_RSRC2:TRAP_HANDLER: 0
; COMPUTE_PGM_RSRC2:TGID_X_EN: 1
; COMPUTE_PGM_RSRC2:TGID_Y_EN: 1
; COMPUTE_PGM_RSRC2:TGID_Z_EN: 0
; COMPUTE_PGM_RSRC2:TIDIG_COMP_CNT: 1
	.section	.text._ZN9rocsolver6v33100L23getf2_npvt_small_kernelILi58EdiiPKPdEEvT1_T3_lS5_lPT2_S5_S5_,"axG",@progbits,_ZN9rocsolver6v33100L23getf2_npvt_small_kernelILi58EdiiPKPdEEvT1_T3_lS5_lPT2_S5_S5_,comdat
	.globl	_ZN9rocsolver6v33100L23getf2_npvt_small_kernelILi58EdiiPKPdEEvT1_T3_lS5_lPT2_S5_S5_ ; -- Begin function _ZN9rocsolver6v33100L23getf2_npvt_small_kernelILi58EdiiPKPdEEvT1_T3_lS5_lPT2_S5_S5_
	.p2align	8
	.type	_ZN9rocsolver6v33100L23getf2_npvt_small_kernelILi58EdiiPKPdEEvT1_T3_lS5_lPT2_S5_S5_,@function
_ZN9rocsolver6v33100L23getf2_npvt_small_kernelILi58EdiiPKPdEEvT1_T3_lS5_lPT2_S5_S5_: ; @_ZN9rocsolver6v33100L23getf2_npvt_small_kernelILi58EdiiPKPdEEvT1_T3_lS5_lPT2_S5_S5_
; %bb.0:
	s_mov_b64 s[14:15], s[2:3]
	s_mov_b64 s[12:13], s[0:1]
	s_add_u32 s12, s12, s8
	s_clause 0x1
	s_load_dword s0, s[4:5], 0x44
	s_load_dwordx2 s[8:9], s[4:5], 0x30
	s_addc_u32 s13, s13, 0
	s_waitcnt lgkmcnt(0)
	s_lshr_b32 s10, s0, 16
	s_mov_b32 s0, exec_lo
	v_mad_u64_u32 v[2:3], null, s7, s10, v[1:2]
	v_cmpx_gt_i32_e64 s8, v2
	s_cbranch_execz .LBB115_293
; %bb.1:
	s_clause 0x1
	s_load_dwordx4 s[0:3], s[4:5], 0x8
	s_load_dword s6, s[4:5], 0x18
	v_ashrrev_i32_e32 v3, 31, v2
	s_mulk_i32 s10, 0x1d0
	v_lshlrev_b64 v[4:5], 3, v[2:3]
	s_waitcnt lgkmcnt(0)
	v_add_co_u32 v4, vcc_lo, s0, v4
	v_add_co_ci_u32_e64 v5, null, s1, v5, vcc_lo
	v_add3_u32 v6, s6, s6, v0
	s_lshl_b64 s[0:1], s[2:3], 3
	s_ashr_i32 s7, s6, 31
	global_load_dwordx2 v[4:5], v[4:5], off
	v_add_nc_u32_e32 v8, s6, v6
	v_ashrrev_i32_e32 v7, 31, v6
	v_add_nc_u32_e32 v10, s6, v8
	v_ashrrev_i32_e32 v9, 31, v8
	v_lshlrev_b64 v[6:7], 3, v[6:7]
	v_add_nc_u32_e32 v12, s6, v10
	v_ashrrev_i32_e32 v11, 31, v10
	v_lshlrev_b64 v[8:9], 3, v[8:9]
	;; [unrolled: 3-line block ×48, first 2 shown]
	v_ashrrev_i32_e32 v105, 31, v104
	v_lshlrev_b64 v[102:103], 3, v[102:103]
	s_waitcnt vmcnt(0)
	v_add_co_u32 v114, vcc_lo, v4, s0
	v_add_co_ci_u32_e64 v115, null, s1, v5, vcc_lo
	s_lshl_b64 s[0:1], s[6:7], 3
	v_add_co_u32 v4, vcc_lo, v114, v6
	v_add_co_ci_u32_e64 v5, null, v115, v7, vcc_lo
	v_add_co_u32 v6, vcc_lo, v114, v8
	v_add_co_ci_u32_e64 v7, null, v115, v9, vcc_lo
	;; [unrolled: 2-line block ×41, first 2 shown]
	v_add_co_u32 v71, vcc_lo, v114, v88
	v_mov_b32_e32 v53, v5
	v_add_co_ci_u32_e64 v72, null, v115, v89, vcc_lo
	v_add_co_u32 v73, vcc_lo, v114, v90
	v_mov_b32_e32 v52, v4
	v_add_nc_u32_e32 v4, s6, v104
	v_add_co_ci_u32_e64 v74, null, v115, v91, vcc_lo
	v_add_co_u32 v75, vcc_lo, v114, v92
	v_add_co_ci_u32_e64 v76, null, v115, v93, vcc_lo
	v_add_co_u32 v77, vcc_lo, v114, v94
	v_mov_b32_e32 v57, v9
	v_mov_b32_e32 v56, v8
	v_add_co_ci_u32_e64 v78, null, v115, v95, vcc_lo
	v_add_co_u32 v79, vcc_lo, v114, v96
	v_add_nc_u32_e32 v8, s6, v4
	v_mov_b32_e32 v55, v7
	v_mov_b32_e32 v54, v6
	v_add_co_ci_u32_e64 v80, null, v115, v97, vcc_lo
	v_add_co_u32 v81, vcc_lo, v114, v98
	v_lshlrev_b64 v[6:7], 3, v[104:105]
	v_ashrrev_i32_e32 v5, 31, v4
	v_mov_b32_e32 v59, v11
	v_add_co_ci_u32_e64 v82, null, v115, v99, vcc_lo
	v_add_co_u32 v83, vcc_lo, v114, v100
	v_mov_b32_e32 v58, v10
	v_ashrrev_i32_e32 v9, 31, v8
	v_add_nc_u32_e32 v10, s6, v8
	v_add_co_ci_u32_e64 v84, null, v115, v101, vcc_lo
	v_add_co_u32 v85, vcc_lo, v114, v102
	v_lshlrev_b64 v[4:5], 3, v[4:5]
	v_add_co_ci_u32_e64 v86, null, v115, v103, vcc_lo
	v_add_co_u32 v87, vcc_lo, v114, v6
	v_add_co_ci_u32_e64 v88, null, v115, v7, vcc_lo
	v_lshlrev_b64 v[6:7], 3, v[8:9]
	v_ashrrev_i32_e32 v11, 31, v10
	v_add_nc_u32_e32 v8, s6, v10
	v_add_co_u32 v89, vcc_lo, v114, v4
	v_add_co_ci_u32_e64 v90, null, v115, v5, vcc_lo
	v_lshlrev_b64 v[4:5], 3, v[10:11]
	v_add_nc_u32_e32 v10, s6, v8
	v_ashrrev_i32_e32 v9, 31, v8
	v_add_co_u32 v91, vcc_lo, v114, v6
	v_add_co_ci_u32_e64 v92, null, v115, v7, vcc_lo
	v_ashrrev_i32_e32 v11, 31, v10
	v_lshlrev_b64 v[6:7], 3, v[8:9]
	v_add_co_u32 v93, vcc_lo, v114, v4
	v_add_co_ci_u32_e64 v94, null, v115, v5, vcc_lo
	v_lshlrev_b64 v[4:5], 3, v[10:11]
	v_add_co_u32 v95, vcc_lo, v114, v6
	v_lshlrev_b32_e32 v6, 3, v0
	v_add_co_ci_u32_e64 v96, null, v115, v7, vcc_lo
	v_add_co_u32 v97, vcc_lo, v114, v4
	v_add_co_ci_u32_e64 v98, null, v115, v5, vcc_lo
	v_add_co_u32 v101, vcc_lo, v114, v6
	v_add_co_ci_u32_e64 v102, null, 0, v115, vcc_lo
	v_add_nc_u32_e32 v8, s6, v10
	v_add_co_u32 v63, vcc_lo, v101, s0
	v_add_co_ci_u32_e64 v64, null, s1, v102, vcc_lo
	s_clause 0x1
	flat_load_dwordx2 v[196:197], v[101:102]
	flat_load_dwordx2 v[214:215], v[63:64]
	buffer_store_dword v52, off, s[12:15], 0 ; 4-byte Folded Spill
	buffer_store_dword v53, off, s[12:15], 0 offset:4 ; 4-byte Folded Spill
	v_ashrrev_i32_e32 v9, 31, v8
	v_cmp_ne_u32_e64 s1, 0, v0
	v_cmp_eq_u32_e64 s0, 0, v0
	v_lshlrev_b64 v[4:5], 3, v[8:9]
	v_add_co_u32 v99, vcc_lo, v114, v4
	v_add_co_ci_u32_e64 v100, null, v115, v5, vcc_lo
	v_lshlrev_b32_e32 v4, 3, v1
	flat_load_dwordx2 v[232:233], v[52:53]
	buffer_store_dword v54, off, s[12:15], 0 offset:8 ; 4-byte Folded Spill
	buffer_store_dword v55, off, s[12:15], 0 offset:12 ; 4-byte Folded Spill
	flat_load_dwordx2 v[212:213], v[54:55]
	buffer_store_dword v56, off, s[12:15], 0 offset:16 ; 4-byte Folded Spill
	buffer_store_dword v57, off, s[12:15], 0 offset:20 ; 4-byte Folded Spill
	v_mad_u32_u24 v54, 0x1d0, v1, 0
	v_add3_u32 v1, 0, s10, v4
	flat_load_dwordx2 v[230:231], v[56:57]
	buffer_store_dword v58, off, s[12:15], 0 offset:24 ; 4-byte Folded Spill
	buffer_store_dword v59, off, s[12:15], 0 offset:28 ; 4-byte Folded Spill
	flat_load_dwordx2 v[210:211], v[58:59]
	buffer_store_dword v12, off, s[12:15], 0 offset:32 ; 4-byte Folded Spill
	buffer_store_dword v13, off, s[12:15], 0 offset:36 ; 4-byte Folded Spill
	;; [unrolled: 3-line block ×50, first 2 shown]
	s_clause 0x3
	flat_load_dwordx2 v[160:161], v[93:94]
	flat_load_dwordx2 v[120:121], v[95:96]
	;; [unrolled: 1-line block ×4, first 2 shown]
	s_and_saveexec_b32 s2, s0
	s_cbranch_execz .LBB115_4
; %bb.2:
	s_waitcnt vmcnt(57) lgkmcnt(57)
	ds_write_b64 v1, v[196:197]
	s_waitcnt vmcnt(55) lgkmcnt(56)
	ds_write2_b64 v54, v[214:215], v[232:233] offset0:1 offset1:2
	s_waitcnt vmcnt(53) lgkmcnt(55)
	ds_write2_b64 v54, v[212:213], v[230:231] offset0:3 offset1:4
	;; [unrolled: 2-line block ×28, first 2 shown]
	s_waitcnt vmcnt(0) lgkmcnt(29)
	ds_write_b64 v54, v[234:235] offset:456
	ds_read_b64 v[4:5], v1
	s_waitcnt lgkmcnt(0)
	v_cmp_neq_f64_e32 vcc_lo, 0, v[4:5]
	s_and_b32 exec_lo, exec_lo, vcc_lo
	s_cbranch_execz .LBB115_4
; %bb.3:
	v_div_scale_f64 v[6:7], null, v[4:5], v[4:5], 1.0
	v_rcp_f64_e32 v[8:9], v[6:7]
	v_fma_f64 v[10:11], -v[6:7], v[8:9], 1.0
	v_fma_f64 v[8:9], v[8:9], v[10:11], v[8:9]
	v_fma_f64 v[10:11], -v[6:7], v[8:9], 1.0
	v_fma_f64 v[8:9], v[8:9], v[10:11], v[8:9]
	v_div_scale_f64 v[10:11], vcc_lo, 1.0, v[4:5], 1.0
	v_mul_f64 v[12:13], v[10:11], v[8:9]
	v_fma_f64 v[6:7], -v[6:7], v[12:13], v[10:11]
	v_div_fmas_f64 v[6:7], v[6:7], v[8:9], v[12:13]
	v_div_fixup_f64 v[4:5], v[6:7], v[4:5], 1.0
	ds_write_b64 v1, v[4:5]
.LBB115_4:
	s_or_b32 exec_lo, exec_lo, s2
	s_waitcnt vmcnt(0) lgkmcnt(0)
	s_waitcnt_vscnt null, 0x0
	s_barrier
	buffer_gl0_inv
	ds_read_b64 v[103:104], v1
	s_and_saveexec_b32 s2, s1
	s_cbranch_execz .LBB115_6
; %bb.5:
	s_waitcnt lgkmcnt(0)
	v_mul_f64 v[196:197], v[103:104], v[196:197]
	ds_read2_b64 v[4:7], v54 offset0:1 offset1:2
	s_waitcnt lgkmcnt(0)
	v_fma_f64 v[214:215], -v[196:197], v[4:5], v[214:215]
	v_fma_f64 v[232:233], -v[196:197], v[6:7], v[232:233]
	ds_read2_b64 v[4:7], v54 offset0:3 offset1:4
	s_waitcnt lgkmcnt(0)
	v_fma_f64 v[212:213], -v[196:197], v[4:5], v[212:213]
	v_fma_f64 v[230:231], -v[196:197], v[6:7], v[230:231]
	ds_read2_b64 v[4:7], v54 offset0:5 offset1:6
	s_waitcnt lgkmcnt(0)
	v_fma_f64 v[210:211], -v[196:197], v[4:5], v[210:211]
	v_fma_f64 v[228:229], -v[196:197], v[6:7], v[228:229]
	ds_read2_b64 v[4:7], v54 offset0:7 offset1:8
	s_waitcnt lgkmcnt(0)
	v_fma_f64 v[208:209], -v[196:197], v[4:5], v[208:209]
	v_fma_f64 v[226:227], -v[196:197], v[6:7], v[226:227]
	ds_read2_b64 v[4:7], v54 offset0:9 offset1:10
	s_waitcnt lgkmcnt(0)
	v_fma_f64 v[206:207], -v[196:197], v[4:5], v[206:207]
	v_fma_f64 v[224:225], -v[196:197], v[6:7], v[224:225]
	ds_read2_b64 v[4:7], v54 offset0:11 offset1:12
	s_waitcnt lgkmcnt(0)
	v_fma_f64 v[204:205], -v[196:197], v[4:5], v[204:205]
	v_fma_f64 v[222:223], -v[196:197], v[6:7], v[222:223]
	ds_read2_b64 v[4:7], v54 offset0:13 offset1:14
	s_waitcnt lgkmcnt(0)
	v_fma_f64 v[202:203], -v[196:197], v[4:5], v[202:203]
	v_fma_f64 v[220:221], -v[196:197], v[6:7], v[220:221]
	ds_read2_b64 v[4:7], v54 offset0:15 offset1:16
	s_waitcnt lgkmcnt(0)
	v_fma_f64 v[200:201], -v[196:197], v[4:5], v[200:201]
	v_fma_f64 v[218:219], -v[196:197], v[6:7], v[218:219]
	ds_read2_b64 v[4:7], v54 offset0:17 offset1:18
	s_waitcnt lgkmcnt(0)
	v_fma_f64 v[198:199], -v[196:197], v[4:5], v[198:199]
	v_fma_f64 v[216:217], -v[196:197], v[6:7], v[216:217]
	ds_read2_b64 v[4:7], v54 offset0:19 offset1:20
	s_waitcnt lgkmcnt(0)
	v_fma_f64 v[156:157], -v[196:197], v[4:5], v[156:157]
	v_fma_f64 v[194:195], -v[196:197], v[6:7], v[194:195]
	ds_read2_b64 v[4:7], v54 offset0:21 offset1:22
	s_waitcnt lgkmcnt(0)
	v_fma_f64 v[154:155], -v[196:197], v[4:5], v[154:155]
	v_fma_f64 v[192:193], -v[196:197], v[6:7], v[192:193]
	ds_read2_b64 v[4:7], v54 offset0:23 offset1:24
	s_waitcnt lgkmcnt(0)
	v_fma_f64 v[152:153], -v[196:197], v[4:5], v[152:153]
	v_fma_f64 v[190:191], -v[196:197], v[6:7], v[190:191]
	ds_read2_b64 v[4:7], v54 offset0:25 offset1:26
	s_waitcnt lgkmcnt(0)
	v_fma_f64 v[150:151], -v[196:197], v[4:5], v[150:151]
	v_fma_f64 v[188:189], -v[196:197], v[6:7], v[188:189]
	ds_read2_b64 v[4:7], v54 offset0:27 offset1:28
	s_waitcnt lgkmcnt(0)
	v_fma_f64 v[148:149], -v[196:197], v[4:5], v[148:149]
	v_fma_f64 v[186:187], -v[196:197], v[6:7], v[186:187]
	ds_read2_b64 v[4:7], v54 offset0:29 offset1:30
	s_waitcnt lgkmcnt(0)
	v_fma_f64 v[146:147], -v[196:197], v[4:5], v[146:147]
	v_fma_f64 v[184:185], -v[196:197], v[6:7], v[184:185]
	ds_read2_b64 v[4:7], v54 offset0:31 offset1:32
	s_waitcnt lgkmcnt(0)
	v_fma_f64 v[144:145], -v[196:197], v[4:5], v[144:145]
	v_fma_f64 v[182:183], -v[196:197], v[6:7], v[182:183]
	ds_read2_b64 v[4:7], v54 offset0:33 offset1:34
	s_waitcnt lgkmcnt(0)
	v_fma_f64 v[142:143], -v[196:197], v[4:5], v[142:143]
	v_fma_f64 v[180:181], -v[196:197], v[6:7], v[180:181]
	ds_read2_b64 v[4:7], v54 offset0:35 offset1:36
	s_waitcnt lgkmcnt(0)
	v_fma_f64 v[140:141], -v[196:197], v[4:5], v[140:141]
	v_fma_f64 v[178:179], -v[196:197], v[6:7], v[178:179]
	ds_read2_b64 v[4:7], v54 offset0:37 offset1:38
	s_waitcnt lgkmcnt(0)
	v_fma_f64 v[138:139], -v[196:197], v[4:5], v[138:139]
	v_fma_f64 v[176:177], -v[196:197], v[6:7], v[176:177]
	ds_read2_b64 v[4:7], v54 offset0:39 offset1:40
	s_waitcnt lgkmcnt(0)
	v_fma_f64 v[136:137], -v[196:197], v[4:5], v[136:137]
	v_fma_f64 v[174:175], -v[196:197], v[6:7], v[174:175]
	ds_read2_b64 v[4:7], v54 offset0:41 offset1:42
	s_waitcnt lgkmcnt(0)
	v_fma_f64 v[134:135], -v[196:197], v[4:5], v[134:135]
	v_fma_f64 v[172:173], -v[196:197], v[6:7], v[172:173]
	ds_read2_b64 v[4:7], v54 offset0:43 offset1:44
	s_waitcnt lgkmcnt(0)
	v_fma_f64 v[132:133], -v[196:197], v[4:5], v[132:133]
	v_fma_f64 v[170:171], -v[196:197], v[6:7], v[170:171]
	ds_read2_b64 v[4:7], v54 offset0:45 offset1:46
	s_waitcnt lgkmcnt(0)
	v_fma_f64 v[130:131], -v[196:197], v[4:5], v[130:131]
	v_fma_f64 v[168:169], -v[196:197], v[6:7], v[168:169]
	ds_read2_b64 v[4:7], v54 offset0:47 offset1:48
	s_waitcnt lgkmcnt(0)
	v_fma_f64 v[128:129], -v[196:197], v[4:5], v[128:129]
	v_fma_f64 v[166:167], -v[196:197], v[6:7], v[166:167]
	ds_read2_b64 v[4:7], v54 offset0:49 offset1:50
	s_waitcnt lgkmcnt(0)
	v_fma_f64 v[126:127], -v[196:197], v[4:5], v[126:127]
	v_fma_f64 v[164:165], -v[196:197], v[6:7], v[164:165]
	ds_read2_b64 v[4:7], v54 offset0:51 offset1:52
	s_waitcnt lgkmcnt(0)
	v_fma_f64 v[124:125], -v[196:197], v[4:5], v[124:125]
	v_fma_f64 v[162:163], -v[196:197], v[6:7], v[162:163]
	ds_read2_b64 v[4:7], v54 offset0:53 offset1:54
	s_waitcnt lgkmcnt(0)
	v_fma_f64 v[122:123], -v[196:197], v[4:5], v[122:123]
	v_fma_f64 v[160:161], -v[196:197], v[6:7], v[160:161]
	ds_read2_b64 v[4:7], v54 offset0:55 offset1:56
	s_waitcnt lgkmcnt(0)
	v_fma_f64 v[120:121], -v[196:197], v[4:5], v[120:121]
	ds_read_b64 v[4:5], v54 offset:456
	v_fma_f64 v[158:159], -v[196:197], v[6:7], v[158:159]
	s_waitcnt lgkmcnt(0)
	v_fma_f64 v[234:235], -v[196:197], v[4:5], v[234:235]
.LBB115_6:
	s_or_b32 exec_lo, exec_lo, s2
	s_mov_b32 s1, exec_lo
	s_waitcnt lgkmcnt(0)
	s_barrier
	buffer_gl0_inv
	v_cmpx_eq_u32_e32 1, v0
	s_cbranch_execz .LBB115_9
; %bb.7:
	v_mov_b32_e32 v4, v232
	v_mov_b32_e32 v5, v233
	;; [unrolled: 1-line block ×4, first 2 shown]
	ds_write_b64 v1, v[214:215]
	ds_write2_b64 v54, v[4:5], v[6:7] offset0:2 offset1:3
	v_mov_b32_e32 v4, v230
	v_mov_b32_e32 v5, v231
	v_mov_b32_e32 v6, v210
	v_mov_b32_e32 v7, v211
	ds_write2_b64 v54, v[4:5], v[6:7] offset0:4 offset1:5
	v_mov_b32_e32 v4, v228
	v_mov_b32_e32 v5, v229
	v_mov_b32_e32 v6, v208
	v_mov_b32_e32 v7, v209
	;; [unrolled: 5-line block ×26, first 2 shown]
	ds_write2_b64 v54, v[4:5], v[6:7] offset0:54 offset1:55
	v_mov_b32_e32 v4, v158
	v_mov_b32_e32 v5, v159
	ds_write2_b64 v54, v[4:5], v[234:235] offset0:56 offset1:57
	ds_read_b64 v[4:5], v1
	s_waitcnt lgkmcnt(0)
	v_cmp_neq_f64_e32 vcc_lo, 0, v[4:5]
	s_and_b32 exec_lo, exec_lo, vcc_lo
	s_cbranch_execz .LBB115_9
; %bb.8:
	v_div_scale_f64 v[6:7], null, v[4:5], v[4:5], 1.0
	v_rcp_f64_e32 v[8:9], v[6:7]
	v_fma_f64 v[10:11], -v[6:7], v[8:9], 1.0
	v_fma_f64 v[8:9], v[8:9], v[10:11], v[8:9]
	v_fma_f64 v[10:11], -v[6:7], v[8:9], 1.0
	v_fma_f64 v[8:9], v[8:9], v[10:11], v[8:9]
	v_div_scale_f64 v[10:11], vcc_lo, 1.0, v[4:5], 1.0
	v_mul_f64 v[12:13], v[10:11], v[8:9]
	v_fma_f64 v[6:7], -v[6:7], v[12:13], v[10:11]
	v_div_fmas_f64 v[6:7], v[6:7], v[8:9], v[12:13]
	v_div_fixup_f64 v[4:5], v[6:7], v[4:5], 1.0
	ds_write_b64 v1, v[4:5]
.LBB115_9:
	s_or_b32 exec_lo, exec_lo, s1
	s_waitcnt lgkmcnt(0)
	s_barrier
	buffer_gl0_inv
	ds_read_b64 v[105:106], v1
	s_mov_b32 s1, exec_lo
	v_cmpx_lt_u32_e32 1, v0
	s_cbranch_execz .LBB115_11
; %bb.10:
	s_waitcnt lgkmcnt(0)
	v_mul_f64 v[214:215], v[105:106], v[214:215]
	ds_read2_b64 v[4:7], v54 offset0:2 offset1:3
	s_waitcnt lgkmcnt(0)
	v_fma_f64 v[232:233], -v[214:215], v[4:5], v[232:233]
	v_fma_f64 v[212:213], -v[214:215], v[6:7], v[212:213]
	ds_read2_b64 v[4:7], v54 offset0:4 offset1:5
	s_waitcnt lgkmcnt(0)
	v_fma_f64 v[230:231], -v[214:215], v[4:5], v[230:231]
	v_fma_f64 v[210:211], -v[214:215], v[6:7], v[210:211]
	;; [unrolled: 4-line block ×28, first 2 shown]
.LBB115_11:
	s_or_b32 exec_lo, exec_lo, s1
	s_mov_b32 s1, exec_lo
	s_waitcnt lgkmcnt(0)
	s_barrier
	buffer_gl0_inv
	v_cmpx_eq_u32_e32 2, v0
	s_cbranch_execz .LBB115_14
; %bb.12:
	ds_write_b64 v1, v[232:233]
	ds_write2_b64 v54, v[212:213], v[230:231] offset0:3 offset1:4
	ds_write2_b64 v54, v[210:211], v[228:229] offset0:5 offset1:6
	;; [unrolled: 1-line block ×27, first 2 shown]
	ds_write_b64 v54, v[234:235] offset:456
	ds_read_b64 v[4:5], v1
	s_waitcnt lgkmcnt(0)
	v_cmp_neq_f64_e32 vcc_lo, 0, v[4:5]
	s_and_b32 exec_lo, exec_lo, vcc_lo
	s_cbranch_execz .LBB115_14
; %bb.13:
	v_div_scale_f64 v[6:7], null, v[4:5], v[4:5], 1.0
	v_rcp_f64_e32 v[8:9], v[6:7]
	v_fma_f64 v[10:11], -v[6:7], v[8:9], 1.0
	v_fma_f64 v[8:9], v[8:9], v[10:11], v[8:9]
	v_fma_f64 v[10:11], -v[6:7], v[8:9], 1.0
	v_fma_f64 v[8:9], v[8:9], v[10:11], v[8:9]
	v_div_scale_f64 v[10:11], vcc_lo, 1.0, v[4:5], 1.0
	v_mul_f64 v[12:13], v[10:11], v[8:9]
	v_fma_f64 v[6:7], -v[6:7], v[12:13], v[10:11]
	v_div_fmas_f64 v[6:7], v[6:7], v[8:9], v[12:13]
	v_div_fixup_f64 v[4:5], v[6:7], v[4:5], 1.0
	ds_write_b64 v1, v[4:5]
.LBB115_14:
	s_or_b32 exec_lo, exec_lo, s1
	s_waitcnt lgkmcnt(0)
	s_barrier
	buffer_gl0_inv
	ds_read_b64 v[107:108], v1
	s_mov_b32 s1, exec_lo
	v_cmpx_lt_u32_e32 2, v0
	s_cbranch_execz .LBB115_16
; %bb.15:
	s_waitcnt lgkmcnt(0)
	v_mul_f64 v[232:233], v[107:108], v[232:233]
	ds_read2_b64 v[4:7], v54 offset0:3 offset1:4
	s_waitcnt lgkmcnt(0)
	v_fma_f64 v[212:213], -v[232:233], v[4:5], v[212:213]
	v_fma_f64 v[230:231], -v[232:233], v[6:7], v[230:231]
	ds_read2_b64 v[4:7], v54 offset0:5 offset1:6
	s_waitcnt lgkmcnt(0)
	v_fma_f64 v[210:211], -v[232:233], v[4:5], v[210:211]
	v_fma_f64 v[228:229], -v[232:233], v[6:7], v[228:229]
	;; [unrolled: 4-line block ×26, first 2 shown]
	ds_read2_b64 v[4:7], v54 offset0:55 offset1:56
	s_waitcnt lgkmcnt(0)
	v_fma_f64 v[120:121], -v[232:233], v[4:5], v[120:121]
	ds_read_b64 v[4:5], v54 offset:456
	v_fma_f64 v[158:159], -v[232:233], v[6:7], v[158:159]
	s_waitcnt lgkmcnt(0)
	v_fma_f64 v[234:235], -v[232:233], v[4:5], v[234:235]
.LBB115_16:
	s_or_b32 exec_lo, exec_lo, s1
	s_mov_b32 s1, exec_lo
	s_waitcnt lgkmcnt(0)
	s_barrier
	buffer_gl0_inv
	v_cmpx_eq_u32_e32 3, v0
	s_cbranch_execz .LBB115_19
; %bb.17:
	v_mov_b32_e32 v4, v230
	v_mov_b32_e32 v5, v231
	;; [unrolled: 1-line block ×4, first 2 shown]
	ds_write_b64 v1, v[212:213]
	ds_write2_b64 v54, v[4:5], v[6:7] offset0:4 offset1:5
	v_mov_b32_e32 v4, v228
	v_mov_b32_e32 v5, v229
	v_mov_b32_e32 v6, v208
	v_mov_b32_e32 v7, v209
	ds_write2_b64 v54, v[4:5], v[6:7] offset0:6 offset1:7
	v_mov_b32_e32 v4, v226
	v_mov_b32_e32 v5, v227
	v_mov_b32_e32 v6, v206
	v_mov_b32_e32 v7, v207
	;; [unrolled: 5-line block ×25, first 2 shown]
	ds_write2_b64 v54, v[4:5], v[6:7] offset0:54 offset1:55
	v_mov_b32_e32 v4, v158
	v_mov_b32_e32 v5, v159
	ds_write2_b64 v54, v[4:5], v[234:235] offset0:56 offset1:57
	ds_read_b64 v[4:5], v1
	s_waitcnt lgkmcnt(0)
	v_cmp_neq_f64_e32 vcc_lo, 0, v[4:5]
	s_and_b32 exec_lo, exec_lo, vcc_lo
	s_cbranch_execz .LBB115_19
; %bb.18:
	v_div_scale_f64 v[6:7], null, v[4:5], v[4:5], 1.0
	v_rcp_f64_e32 v[8:9], v[6:7]
	v_fma_f64 v[10:11], -v[6:7], v[8:9], 1.0
	v_fma_f64 v[8:9], v[8:9], v[10:11], v[8:9]
	v_fma_f64 v[10:11], -v[6:7], v[8:9], 1.0
	v_fma_f64 v[8:9], v[8:9], v[10:11], v[8:9]
	v_div_scale_f64 v[10:11], vcc_lo, 1.0, v[4:5], 1.0
	v_mul_f64 v[12:13], v[10:11], v[8:9]
	v_fma_f64 v[6:7], -v[6:7], v[12:13], v[10:11]
	v_div_fmas_f64 v[6:7], v[6:7], v[8:9], v[12:13]
	v_div_fixup_f64 v[4:5], v[6:7], v[4:5], 1.0
	ds_write_b64 v1, v[4:5]
.LBB115_19:
	s_or_b32 exec_lo, exec_lo, s1
	s_waitcnt lgkmcnt(0)
	s_barrier
	buffer_gl0_inv
	ds_read_b64 v[109:110], v1
	s_mov_b32 s1, exec_lo
	v_cmpx_lt_u32_e32 3, v0
	s_cbranch_execz .LBB115_21
; %bb.20:
	s_waitcnt lgkmcnt(0)
	v_mul_f64 v[212:213], v[109:110], v[212:213]
	ds_read2_b64 v[4:7], v54 offset0:4 offset1:5
	s_waitcnt lgkmcnt(0)
	v_fma_f64 v[230:231], -v[212:213], v[4:5], v[230:231]
	v_fma_f64 v[210:211], -v[212:213], v[6:7], v[210:211]
	ds_read2_b64 v[4:7], v54 offset0:6 offset1:7
	s_waitcnt lgkmcnt(0)
	v_fma_f64 v[228:229], -v[212:213], v[4:5], v[228:229]
	v_fma_f64 v[208:209], -v[212:213], v[6:7], v[208:209]
	;; [unrolled: 4-line block ×27, first 2 shown]
.LBB115_21:
	s_or_b32 exec_lo, exec_lo, s1
	s_mov_b32 s1, exec_lo
	s_waitcnt lgkmcnt(0)
	s_barrier
	buffer_gl0_inv
	v_cmpx_eq_u32_e32 4, v0
	s_cbranch_execz .LBB115_24
; %bb.22:
	ds_write_b64 v1, v[230:231]
	ds_write2_b64 v54, v[210:211], v[228:229] offset0:5 offset1:6
	ds_write2_b64 v54, v[208:209], v[226:227] offset0:7 offset1:8
	;; [unrolled: 1-line block ×26, first 2 shown]
	ds_write_b64 v54, v[234:235] offset:456
	ds_read_b64 v[4:5], v1
	s_waitcnt lgkmcnt(0)
	v_cmp_neq_f64_e32 vcc_lo, 0, v[4:5]
	s_and_b32 exec_lo, exec_lo, vcc_lo
	s_cbranch_execz .LBB115_24
; %bb.23:
	v_div_scale_f64 v[6:7], null, v[4:5], v[4:5], 1.0
	v_rcp_f64_e32 v[8:9], v[6:7]
	v_fma_f64 v[10:11], -v[6:7], v[8:9], 1.0
	v_fma_f64 v[8:9], v[8:9], v[10:11], v[8:9]
	v_fma_f64 v[10:11], -v[6:7], v[8:9], 1.0
	v_fma_f64 v[8:9], v[8:9], v[10:11], v[8:9]
	v_div_scale_f64 v[10:11], vcc_lo, 1.0, v[4:5], 1.0
	v_mul_f64 v[12:13], v[10:11], v[8:9]
	v_fma_f64 v[6:7], -v[6:7], v[12:13], v[10:11]
	v_div_fmas_f64 v[6:7], v[6:7], v[8:9], v[12:13]
	v_div_fixup_f64 v[4:5], v[6:7], v[4:5], 1.0
	ds_write_b64 v1, v[4:5]
.LBB115_24:
	s_or_b32 exec_lo, exec_lo, s1
	s_waitcnt lgkmcnt(0)
	s_barrier
	buffer_gl0_inv
	ds_read_b64 v[111:112], v1
	s_mov_b32 s1, exec_lo
	v_cmpx_lt_u32_e32 4, v0
	s_cbranch_execz .LBB115_26
; %bb.25:
	s_waitcnt lgkmcnt(0)
	v_mul_f64 v[230:231], v[111:112], v[230:231]
	ds_read2_b64 v[4:7], v54 offset0:5 offset1:6
	s_waitcnt lgkmcnt(0)
	v_fma_f64 v[210:211], -v[230:231], v[4:5], v[210:211]
	v_fma_f64 v[228:229], -v[230:231], v[6:7], v[228:229]
	ds_read2_b64 v[4:7], v54 offset0:7 offset1:8
	s_waitcnt lgkmcnt(0)
	v_fma_f64 v[208:209], -v[230:231], v[4:5], v[208:209]
	v_fma_f64 v[226:227], -v[230:231], v[6:7], v[226:227]
	;; [unrolled: 4-line block ×25, first 2 shown]
	ds_read2_b64 v[4:7], v54 offset0:55 offset1:56
	s_waitcnt lgkmcnt(0)
	v_fma_f64 v[120:121], -v[230:231], v[4:5], v[120:121]
	ds_read_b64 v[4:5], v54 offset:456
	v_fma_f64 v[158:159], -v[230:231], v[6:7], v[158:159]
	s_waitcnt lgkmcnt(0)
	v_fma_f64 v[234:235], -v[230:231], v[4:5], v[234:235]
.LBB115_26:
	s_or_b32 exec_lo, exec_lo, s1
	s_mov_b32 s1, exec_lo
	s_waitcnt lgkmcnt(0)
	s_barrier
	buffer_gl0_inv
	v_cmpx_eq_u32_e32 5, v0
	s_cbranch_execz .LBB115_29
; %bb.27:
	v_mov_b32_e32 v4, v228
	v_mov_b32_e32 v5, v229
	;; [unrolled: 1-line block ×4, first 2 shown]
	ds_write_b64 v1, v[210:211]
	ds_write2_b64 v54, v[4:5], v[6:7] offset0:6 offset1:7
	v_mov_b32_e32 v4, v226
	v_mov_b32_e32 v5, v227
	v_mov_b32_e32 v6, v206
	v_mov_b32_e32 v7, v207
	ds_write2_b64 v54, v[4:5], v[6:7] offset0:8 offset1:9
	v_mov_b32_e32 v4, v224
	v_mov_b32_e32 v5, v225
	v_mov_b32_e32 v6, v204
	v_mov_b32_e32 v7, v205
	ds_write2_b64 v54, v[4:5], v[6:7] offset0:10 offset1:11
	v_mov_b32_e32 v4, v222
	v_mov_b32_e32 v5, v223
	v_mov_b32_e32 v6, v202
	v_mov_b32_e32 v7, v203
	ds_write2_b64 v54, v[4:5], v[6:7] offset0:12 offset1:13
	v_mov_b32_e32 v4, v220
	v_mov_b32_e32 v5, v221
	v_mov_b32_e32 v6, v200
	v_mov_b32_e32 v7, v201
	ds_write2_b64 v54, v[4:5], v[6:7] offset0:14 offset1:15
	v_mov_b32_e32 v4, v218
	v_mov_b32_e32 v5, v219
	v_mov_b32_e32 v6, v198
	v_mov_b32_e32 v7, v199
	ds_write2_b64 v54, v[4:5], v[6:7] offset0:16 offset1:17
	v_mov_b32_e32 v4, v216
	v_mov_b32_e32 v5, v217
	v_mov_b32_e32 v6, v156
	v_mov_b32_e32 v7, v157
	ds_write2_b64 v54, v[4:5], v[6:7] offset0:18 offset1:19
	v_mov_b32_e32 v4, v194
	v_mov_b32_e32 v5, v195
	v_mov_b32_e32 v6, v154
	v_mov_b32_e32 v7, v155
	ds_write2_b64 v54, v[4:5], v[6:7] offset0:20 offset1:21
	v_mov_b32_e32 v4, v192
	v_mov_b32_e32 v5, v193
	v_mov_b32_e32 v6, v152
	v_mov_b32_e32 v7, v153
	ds_write2_b64 v54, v[4:5], v[6:7] offset0:22 offset1:23
	v_mov_b32_e32 v4, v190
	v_mov_b32_e32 v5, v191
	v_mov_b32_e32 v6, v150
	v_mov_b32_e32 v7, v151
	ds_write2_b64 v54, v[4:5], v[6:7] offset0:24 offset1:25
	v_mov_b32_e32 v4, v188
	v_mov_b32_e32 v5, v189
	v_mov_b32_e32 v6, v148
	v_mov_b32_e32 v7, v149
	ds_write2_b64 v54, v[4:5], v[6:7] offset0:26 offset1:27
	v_mov_b32_e32 v4, v186
	v_mov_b32_e32 v5, v187
	v_mov_b32_e32 v6, v146
	v_mov_b32_e32 v7, v147
	ds_write2_b64 v54, v[4:5], v[6:7] offset0:28 offset1:29
	v_mov_b32_e32 v4, v184
	v_mov_b32_e32 v5, v185
	v_mov_b32_e32 v6, v144
	v_mov_b32_e32 v7, v145
	ds_write2_b64 v54, v[4:5], v[6:7] offset0:30 offset1:31
	v_mov_b32_e32 v4, v182
	v_mov_b32_e32 v5, v183
	v_mov_b32_e32 v6, v142
	v_mov_b32_e32 v7, v143
	ds_write2_b64 v54, v[4:5], v[6:7] offset0:32 offset1:33
	v_mov_b32_e32 v4, v180
	v_mov_b32_e32 v5, v181
	v_mov_b32_e32 v6, v140
	v_mov_b32_e32 v7, v141
	ds_write2_b64 v54, v[4:5], v[6:7] offset0:34 offset1:35
	v_mov_b32_e32 v4, v178
	v_mov_b32_e32 v5, v179
	v_mov_b32_e32 v6, v138
	v_mov_b32_e32 v7, v139
	ds_write2_b64 v54, v[4:5], v[6:7] offset0:36 offset1:37
	v_mov_b32_e32 v4, v176
	v_mov_b32_e32 v5, v177
	v_mov_b32_e32 v6, v136
	v_mov_b32_e32 v7, v137
	ds_write2_b64 v54, v[4:5], v[6:7] offset0:38 offset1:39
	v_mov_b32_e32 v4, v174
	v_mov_b32_e32 v5, v175
	v_mov_b32_e32 v6, v134
	v_mov_b32_e32 v7, v135
	ds_write2_b64 v54, v[4:5], v[6:7] offset0:40 offset1:41
	v_mov_b32_e32 v4, v172
	v_mov_b32_e32 v5, v173
	v_mov_b32_e32 v6, v132
	v_mov_b32_e32 v7, v133
	ds_write2_b64 v54, v[4:5], v[6:7] offset0:42 offset1:43
	v_mov_b32_e32 v4, v170
	v_mov_b32_e32 v5, v171
	v_mov_b32_e32 v6, v130
	v_mov_b32_e32 v7, v131
	ds_write2_b64 v54, v[4:5], v[6:7] offset0:44 offset1:45
	v_mov_b32_e32 v4, v168
	v_mov_b32_e32 v5, v169
	v_mov_b32_e32 v6, v128
	v_mov_b32_e32 v7, v129
	ds_write2_b64 v54, v[4:5], v[6:7] offset0:46 offset1:47
	v_mov_b32_e32 v4, v166
	v_mov_b32_e32 v5, v167
	v_mov_b32_e32 v6, v126
	v_mov_b32_e32 v7, v127
	ds_write2_b64 v54, v[4:5], v[6:7] offset0:48 offset1:49
	v_mov_b32_e32 v4, v164
	v_mov_b32_e32 v5, v165
	v_mov_b32_e32 v6, v124
	v_mov_b32_e32 v7, v125
	ds_write2_b64 v54, v[4:5], v[6:7] offset0:50 offset1:51
	v_mov_b32_e32 v4, v162
	v_mov_b32_e32 v5, v163
	v_mov_b32_e32 v6, v122
	v_mov_b32_e32 v7, v123
	ds_write2_b64 v54, v[4:5], v[6:7] offset0:52 offset1:53
	v_mov_b32_e32 v4, v160
	v_mov_b32_e32 v5, v161
	v_mov_b32_e32 v6, v120
	v_mov_b32_e32 v7, v121
	ds_write2_b64 v54, v[4:5], v[6:7] offset0:54 offset1:55
	v_mov_b32_e32 v4, v158
	v_mov_b32_e32 v5, v159
	ds_write2_b64 v54, v[4:5], v[234:235] offset0:56 offset1:57
	ds_read_b64 v[4:5], v1
	s_waitcnt lgkmcnt(0)
	v_cmp_neq_f64_e32 vcc_lo, 0, v[4:5]
	s_and_b32 exec_lo, exec_lo, vcc_lo
	s_cbranch_execz .LBB115_29
; %bb.28:
	v_div_scale_f64 v[6:7], null, v[4:5], v[4:5], 1.0
	v_rcp_f64_e32 v[8:9], v[6:7]
	v_fma_f64 v[10:11], -v[6:7], v[8:9], 1.0
	v_fma_f64 v[8:9], v[8:9], v[10:11], v[8:9]
	v_fma_f64 v[10:11], -v[6:7], v[8:9], 1.0
	v_fma_f64 v[8:9], v[8:9], v[10:11], v[8:9]
	v_div_scale_f64 v[10:11], vcc_lo, 1.0, v[4:5], 1.0
	v_mul_f64 v[12:13], v[10:11], v[8:9]
	v_fma_f64 v[6:7], -v[6:7], v[12:13], v[10:11]
	v_div_fmas_f64 v[6:7], v[6:7], v[8:9], v[12:13]
	v_div_fixup_f64 v[4:5], v[6:7], v[4:5], 1.0
	ds_write_b64 v1, v[4:5]
.LBB115_29:
	s_or_b32 exec_lo, exec_lo, s1
	s_waitcnt lgkmcnt(0)
	s_barrier
	buffer_gl0_inv
	ds_read_b64 v[118:119], v1
	s_mov_b32 s1, exec_lo
	v_cmpx_lt_u32_e32 5, v0
	s_cbranch_execz .LBB115_31
; %bb.30:
	s_waitcnt lgkmcnt(0)
	v_mul_f64 v[210:211], v[118:119], v[210:211]
	ds_read2_b64 v[4:7], v54 offset0:6 offset1:7
	s_waitcnt lgkmcnt(0)
	v_fma_f64 v[228:229], -v[210:211], v[4:5], v[228:229]
	v_fma_f64 v[208:209], -v[210:211], v[6:7], v[208:209]
	ds_read2_b64 v[4:7], v54 offset0:8 offset1:9
	s_waitcnt lgkmcnt(0)
	v_fma_f64 v[226:227], -v[210:211], v[4:5], v[226:227]
	v_fma_f64 v[206:207], -v[210:211], v[6:7], v[206:207]
	;; [unrolled: 4-line block ×26, first 2 shown]
.LBB115_31:
	s_or_b32 exec_lo, exec_lo, s1
	s_mov_b32 s1, exec_lo
	s_waitcnt lgkmcnt(0)
	s_barrier
	buffer_gl0_inv
	v_cmpx_eq_u32_e32 6, v0
	s_cbranch_execz .LBB115_34
; %bb.32:
	ds_write_b64 v1, v[228:229]
	ds_write2_b64 v54, v[208:209], v[226:227] offset0:7 offset1:8
	ds_write2_b64 v54, v[206:207], v[224:225] offset0:9 offset1:10
	;; [unrolled: 1-line block ×25, first 2 shown]
	ds_write_b64 v54, v[234:235] offset:456
	ds_read_b64 v[4:5], v1
	s_waitcnt lgkmcnt(0)
	v_cmp_neq_f64_e32 vcc_lo, 0, v[4:5]
	s_and_b32 exec_lo, exec_lo, vcc_lo
	s_cbranch_execz .LBB115_34
; %bb.33:
	v_div_scale_f64 v[6:7], null, v[4:5], v[4:5], 1.0
	v_rcp_f64_e32 v[8:9], v[6:7]
	v_fma_f64 v[10:11], -v[6:7], v[8:9], 1.0
	v_fma_f64 v[8:9], v[8:9], v[10:11], v[8:9]
	v_fma_f64 v[10:11], -v[6:7], v[8:9], 1.0
	v_fma_f64 v[8:9], v[8:9], v[10:11], v[8:9]
	v_div_scale_f64 v[10:11], vcc_lo, 1.0, v[4:5], 1.0
	v_mul_f64 v[12:13], v[10:11], v[8:9]
	v_fma_f64 v[6:7], -v[6:7], v[12:13], v[10:11]
	v_div_fmas_f64 v[6:7], v[6:7], v[8:9], v[12:13]
	v_div_fixup_f64 v[4:5], v[6:7], v[4:5], 1.0
	ds_write_b64 v1, v[4:5]
.LBB115_34:
	s_or_b32 exec_lo, exec_lo, s1
	s_waitcnt lgkmcnt(0)
	s_barrier
	buffer_gl0_inv
	ds_read_b64 v[113:114], v1
	s_mov_b32 s1, exec_lo
	v_cmpx_lt_u32_e32 6, v0
	s_cbranch_execz .LBB115_36
; %bb.35:
	s_waitcnt lgkmcnt(0)
	v_mul_f64 v[228:229], v[113:114], v[228:229]
	ds_read2_b64 v[4:7], v54 offset0:7 offset1:8
	s_waitcnt lgkmcnt(0)
	v_fma_f64 v[208:209], -v[228:229], v[4:5], v[208:209]
	v_fma_f64 v[226:227], -v[228:229], v[6:7], v[226:227]
	ds_read2_b64 v[4:7], v54 offset0:9 offset1:10
	s_waitcnt lgkmcnt(0)
	v_fma_f64 v[206:207], -v[228:229], v[4:5], v[206:207]
	v_fma_f64 v[224:225], -v[228:229], v[6:7], v[224:225]
	;; [unrolled: 4-line block ×24, first 2 shown]
	ds_read2_b64 v[4:7], v54 offset0:55 offset1:56
	s_waitcnt lgkmcnt(0)
	v_fma_f64 v[120:121], -v[228:229], v[4:5], v[120:121]
	ds_read_b64 v[4:5], v54 offset:456
	v_fma_f64 v[158:159], -v[228:229], v[6:7], v[158:159]
	s_waitcnt lgkmcnt(0)
	v_fma_f64 v[234:235], -v[228:229], v[4:5], v[234:235]
.LBB115_36:
	s_or_b32 exec_lo, exec_lo, s1
	s_mov_b32 s1, exec_lo
	s_waitcnt lgkmcnt(0)
	s_barrier
	buffer_gl0_inv
	v_cmpx_eq_u32_e32 7, v0
	s_cbranch_execz .LBB115_39
; %bb.37:
	v_mov_b32_e32 v4, v226
	v_mov_b32_e32 v5, v227
	;; [unrolled: 1-line block ×4, first 2 shown]
	ds_write_b64 v1, v[208:209]
	ds_write2_b64 v54, v[4:5], v[6:7] offset0:8 offset1:9
	v_mov_b32_e32 v4, v224
	v_mov_b32_e32 v5, v225
	v_mov_b32_e32 v6, v204
	v_mov_b32_e32 v7, v205
	ds_write2_b64 v54, v[4:5], v[6:7] offset0:10 offset1:11
	v_mov_b32_e32 v4, v222
	v_mov_b32_e32 v5, v223
	v_mov_b32_e32 v6, v202
	v_mov_b32_e32 v7, v203
	;; [unrolled: 5-line block ×23, first 2 shown]
	ds_write2_b64 v54, v[4:5], v[6:7] offset0:54 offset1:55
	v_mov_b32_e32 v4, v158
	v_mov_b32_e32 v5, v159
	ds_write2_b64 v54, v[4:5], v[234:235] offset0:56 offset1:57
	ds_read_b64 v[4:5], v1
	s_waitcnt lgkmcnt(0)
	v_cmp_neq_f64_e32 vcc_lo, 0, v[4:5]
	s_and_b32 exec_lo, exec_lo, vcc_lo
	s_cbranch_execz .LBB115_39
; %bb.38:
	v_div_scale_f64 v[6:7], null, v[4:5], v[4:5], 1.0
	v_rcp_f64_e32 v[8:9], v[6:7]
	v_fma_f64 v[10:11], -v[6:7], v[8:9], 1.0
	v_fma_f64 v[8:9], v[8:9], v[10:11], v[8:9]
	v_fma_f64 v[10:11], -v[6:7], v[8:9], 1.0
	v_fma_f64 v[8:9], v[8:9], v[10:11], v[8:9]
	v_div_scale_f64 v[10:11], vcc_lo, 1.0, v[4:5], 1.0
	v_mul_f64 v[12:13], v[10:11], v[8:9]
	v_fma_f64 v[6:7], -v[6:7], v[12:13], v[10:11]
	v_div_fmas_f64 v[6:7], v[6:7], v[8:9], v[12:13]
	v_div_fixup_f64 v[4:5], v[6:7], v[4:5], 1.0
	ds_write_b64 v1, v[4:5]
.LBB115_39:
	s_or_b32 exec_lo, exec_lo, s1
	s_waitcnt lgkmcnt(0)
	s_barrier
	buffer_gl0_inv
	ds_read_b64 v[242:243], v1
	s_mov_b32 s1, exec_lo
	v_cmpx_lt_u32_e32 7, v0
	s_cbranch_execz .LBB115_41
; %bb.40:
	s_waitcnt lgkmcnt(0)
	v_mul_f64 v[208:209], v[242:243], v[208:209]
	ds_read2_b64 v[4:7], v54 offset0:8 offset1:9
	s_waitcnt lgkmcnt(0)
	v_fma_f64 v[226:227], -v[208:209], v[4:5], v[226:227]
	v_fma_f64 v[206:207], -v[208:209], v[6:7], v[206:207]
	ds_read2_b64 v[4:7], v54 offset0:10 offset1:11
	s_waitcnt lgkmcnt(0)
	v_fma_f64 v[224:225], -v[208:209], v[4:5], v[224:225]
	v_fma_f64 v[204:205], -v[208:209], v[6:7], v[204:205]
	;; [unrolled: 4-line block ×25, first 2 shown]
.LBB115_41:
	s_or_b32 exec_lo, exec_lo, s1
	s_mov_b32 s1, exec_lo
	s_waitcnt lgkmcnt(0)
	s_barrier
	buffer_gl0_inv
	v_cmpx_eq_u32_e32 8, v0
	s_cbranch_execz .LBB115_44
; %bb.42:
	ds_write_b64 v1, v[226:227]
	ds_write2_b64 v54, v[206:207], v[224:225] offset0:9 offset1:10
	ds_write2_b64 v54, v[204:205], v[222:223] offset0:11 offset1:12
	;; [unrolled: 1-line block ×24, first 2 shown]
	ds_write_b64 v54, v[234:235] offset:456
	ds_read_b64 v[4:5], v1
	s_waitcnt lgkmcnt(0)
	v_cmp_neq_f64_e32 vcc_lo, 0, v[4:5]
	s_and_b32 exec_lo, exec_lo, vcc_lo
	s_cbranch_execz .LBB115_44
; %bb.43:
	v_div_scale_f64 v[6:7], null, v[4:5], v[4:5], 1.0
	v_rcp_f64_e32 v[8:9], v[6:7]
	v_fma_f64 v[10:11], -v[6:7], v[8:9], 1.0
	v_fma_f64 v[8:9], v[8:9], v[10:11], v[8:9]
	v_fma_f64 v[10:11], -v[6:7], v[8:9], 1.0
	v_fma_f64 v[8:9], v[8:9], v[10:11], v[8:9]
	v_div_scale_f64 v[10:11], vcc_lo, 1.0, v[4:5], 1.0
	v_mul_f64 v[12:13], v[10:11], v[8:9]
	v_fma_f64 v[6:7], -v[6:7], v[12:13], v[10:11]
	v_div_fmas_f64 v[6:7], v[6:7], v[8:9], v[12:13]
	v_div_fixup_f64 v[4:5], v[6:7], v[4:5], 1.0
	ds_write_b64 v1, v[4:5]
.LBB115_44:
	s_or_b32 exec_lo, exec_lo, s1
	s_waitcnt lgkmcnt(0)
	s_barrier
	buffer_gl0_inv
	ds_read_b64 v[244:245], v1
	s_mov_b32 s1, exec_lo
	v_cmpx_lt_u32_e32 8, v0
	s_cbranch_execz .LBB115_46
; %bb.45:
	s_waitcnt lgkmcnt(0)
	v_mul_f64 v[226:227], v[244:245], v[226:227]
	ds_read2_b64 v[4:7], v54 offset0:9 offset1:10
	s_waitcnt lgkmcnt(0)
	v_fma_f64 v[206:207], -v[226:227], v[4:5], v[206:207]
	v_fma_f64 v[224:225], -v[226:227], v[6:7], v[224:225]
	ds_read2_b64 v[4:7], v54 offset0:11 offset1:12
	s_waitcnt lgkmcnt(0)
	v_fma_f64 v[204:205], -v[226:227], v[4:5], v[204:205]
	v_fma_f64 v[222:223], -v[226:227], v[6:7], v[222:223]
	;; [unrolled: 4-line block ×23, first 2 shown]
	ds_read2_b64 v[4:7], v54 offset0:55 offset1:56
	s_waitcnt lgkmcnt(0)
	v_fma_f64 v[120:121], -v[226:227], v[4:5], v[120:121]
	ds_read_b64 v[4:5], v54 offset:456
	v_fma_f64 v[158:159], -v[226:227], v[6:7], v[158:159]
	s_waitcnt lgkmcnt(0)
	v_fma_f64 v[234:235], -v[226:227], v[4:5], v[234:235]
.LBB115_46:
	s_or_b32 exec_lo, exec_lo, s1
	s_mov_b32 s1, exec_lo
	s_waitcnt lgkmcnt(0)
	s_barrier
	buffer_gl0_inv
	v_cmpx_eq_u32_e32 9, v0
	s_cbranch_execz .LBB115_49
; %bb.47:
	v_mov_b32_e32 v4, v224
	v_mov_b32_e32 v5, v225
	;; [unrolled: 1-line block ×4, first 2 shown]
	ds_write_b64 v1, v[206:207]
	ds_write2_b64 v54, v[4:5], v[6:7] offset0:10 offset1:11
	v_mov_b32_e32 v4, v222
	v_mov_b32_e32 v5, v223
	v_mov_b32_e32 v6, v202
	v_mov_b32_e32 v7, v203
	ds_write2_b64 v54, v[4:5], v[6:7] offset0:12 offset1:13
	v_mov_b32_e32 v4, v220
	v_mov_b32_e32 v5, v221
	v_mov_b32_e32 v6, v200
	v_mov_b32_e32 v7, v201
	;; [unrolled: 5-line block ×22, first 2 shown]
	ds_write2_b64 v54, v[4:5], v[6:7] offset0:54 offset1:55
	v_mov_b32_e32 v4, v158
	v_mov_b32_e32 v5, v159
	ds_write2_b64 v54, v[4:5], v[234:235] offset0:56 offset1:57
	ds_read_b64 v[4:5], v1
	s_waitcnt lgkmcnt(0)
	v_cmp_neq_f64_e32 vcc_lo, 0, v[4:5]
	s_and_b32 exec_lo, exec_lo, vcc_lo
	s_cbranch_execz .LBB115_49
; %bb.48:
	v_div_scale_f64 v[6:7], null, v[4:5], v[4:5], 1.0
	v_rcp_f64_e32 v[8:9], v[6:7]
	v_fma_f64 v[10:11], -v[6:7], v[8:9], 1.0
	v_fma_f64 v[8:9], v[8:9], v[10:11], v[8:9]
	v_fma_f64 v[10:11], -v[6:7], v[8:9], 1.0
	v_fma_f64 v[8:9], v[8:9], v[10:11], v[8:9]
	v_div_scale_f64 v[10:11], vcc_lo, 1.0, v[4:5], 1.0
	v_mul_f64 v[12:13], v[10:11], v[8:9]
	v_fma_f64 v[6:7], -v[6:7], v[12:13], v[10:11]
	v_div_fmas_f64 v[6:7], v[6:7], v[8:9], v[12:13]
	v_div_fixup_f64 v[4:5], v[6:7], v[4:5], 1.0
	ds_write_b64 v1, v[4:5]
.LBB115_49:
	s_or_b32 exec_lo, exec_lo, s1
	s_waitcnt lgkmcnt(0)
	s_barrier
	buffer_gl0_inv
	ds_read_b64 v[246:247], v1
	s_mov_b32 s1, exec_lo
	v_cmpx_lt_u32_e32 9, v0
	s_cbranch_execz .LBB115_51
; %bb.50:
	s_waitcnt lgkmcnt(0)
	v_mul_f64 v[206:207], v[246:247], v[206:207]
	ds_read2_b64 v[4:7], v54 offset0:10 offset1:11
	s_waitcnt lgkmcnt(0)
	v_fma_f64 v[224:225], -v[206:207], v[4:5], v[224:225]
	v_fma_f64 v[204:205], -v[206:207], v[6:7], v[204:205]
	ds_read2_b64 v[4:7], v54 offset0:12 offset1:13
	s_waitcnt lgkmcnt(0)
	v_fma_f64 v[222:223], -v[206:207], v[4:5], v[222:223]
	v_fma_f64 v[202:203], -v[206:207], v[6:7], v[202:203]
	ds_read2_b64 v[4:7], v54 offset0:14 offset1:15
	s_waitcnt lgkmcnt(0)
	v_fma_f64 v[220:221], -v[206:207], v[4:5], v[220:221]
	v_fma_f64 v[200:201], -v[206:207], v[6:7], v[200:201]
	ds_read2_b64 v[4:7], v54 offset0:16 offset1:17
	s_waitcnt lgkmcnt(0)
	v_fma_f64 v[218:219], -v[206:207], v[4:5], v[218:219]
	v_fma_f64 v[198:199], -v[206:207], v[6:7], v[198:199]
	ds_read2_b64 v[4:7], v54 offset0:18 offset1:19
	s_waitcnt lgkmcnt(0)
	v_fma_f64 v[216:217], -v[206:207], v[4:5], v[216:217]
	v_fma_f64 v[156:157], -v[206:207], v[6:7], v[156:157]
	ds_read2_b64 v[4:7], v54 offset0:20 offset1:21
	s_waitcnt lgkmcnt(0)
	v_fma_f64 v[194:195], -v[206:207], v[4:5], v[194:195]
	v_fma_f64 v[154:155], -v[206:207], v[6:7], v[154:155]
	ds_read2_b64 v[4:7], v54 offset0:22 offset1:23
	s_waitcnt lgkmcnt(0)
	v_fma_f64 v[192:193], -v[206:207], v[4:5], v[192:193]
	v_fma_f64 v[152:153], -v[206:207], v[6:7], v[152:153]
	ds_read2_b64 v[4:7], v54 offset0:24 offset1:25
	s_waitcnt lgkmcnt(0)
	v_fma_f64 v[190:191], -v[206:207], v[4:5], v[190:191]
	v_fma_f64 v[150:151], -v[206:207], v[6:7], v[150:151]
	ds_read2_b64 v[4:7], v54 offset0:26 offset1:27
	s_waitcnt lgkmcnt(0)
	v_fma_f64 v[188:189], -v[206:207], v[4:5], v[188:189]
	v_fma_f64 v[148:149], -v[206:207], v[6:7], v[148:149]
	ds_read2_b64 v[4:7], v54 offset0:28 offset1:29
	s_waitcnt lgkmcnt(0)
	v_fma_f64 v[186:187], -v[206:207], v[4:5], v[186:187]
	v_fma_f64 v[146:147], -v[206:207], v[6:7], v[146:147]
	ds_read2_b64 v[4:7], v54 offset0:30 offset1:31
	s_waitcnt lgkmcnt(0)
	v_fma_f64 v[184:185], -v[206:207], v[4:5], v[184:185]
	v_fma_f64 v[144:145], -v[206:207], v[6:7], v[144:145]
	ds_read2_b64 v[4:7], v54 offset0:32 offset1:33
	s_waitcnt lgkmcnt(0)
	v_fma_f64 v[182:183], -v[206:207], v[4:5], v[182:183]
	v_fma_f64 v[142:143], -v[206:207], v[6:7], v[142:143]
	ds_read2_b64 v[4:7], v54 offset0:34 offset1:35
	s_waitcnt lgkmcnt(0)
	v_fma_f64 v[180:181], -v[206:207], v[4:5], v[180:181]
	v_fma_f64 v[140:141], -v[206:207], v[6:7], v[140:141]
	ds_read2_b64 v[4:7], v54 offset0:36 offset1:37
	s_waitcnt lgkmcnt(0)
	v_fma_f64 v[178:179], -v[206:207], v[4:5], v[178:179]
	v_fma_f64 v[138:139], -v[206:207], v[6:7], v[138:139]
	ds_read2_b64 v[4:7], v54 offset0:38 offset1:39
	s_waitcnt lgkmcnt(0)
	v_fma_f64 v[176:177], -v[206:207], v[4:5], v[176:177]
	v_fma_f64 v[136:137], -v[206:207], v[6:7], v[136:137]
	ds_read2_b64 v[4:7], v54 offset0:40 offset1:41
	s_waitcnt lgkmcnt(0)
	v_fma_f64 v[174:175], -v[206:207], v[4:5], v[174:175]
	v_fma_f64 v[134:135], -v[206:207], v[6:7], v[134:135]
	ds_read2_b64 v[4:7], v54 offset0:42 offset1:43
	s_waitcnt lgkmcnt(0)
	v_fma_f64 v[172:173], -v[206:207], v[4:5], v[172:173]
	v_fma_f64 v[132:133], -v[206:207], v[6:7], v[132:133]
	ds_read2_b64 v[4:7], v54 offset0:44 offset1:45
	s_waitcnt lgkmcnt(0)
	v_fma_f64 v[170:171], -v[206:207], v[4:5], v[170:171]
	v_fma_f64 v[130:131], -v[206:207], v[6:7], v[130:131]
	ds_read2_b64 v[4:7], v54 offset0:46 offset1:47
	s_waitcnt lgkmcnt(0)
	v_fma_f64 v[168:169], -v[206:207], v[4:5], v[168:169]
	v_fma_f64 v[128:129], -v[206:207], v[6:7], v[128:129]
	ds_read2_b64 v[4:7], v54 offset0:48 offset1:49
	s_waitcnt lgkmcnt(0)
	v_fma_f64 v[166:167], -v[206:207], v[4:5], v[166:167]
	v_fma_f64 v[126:127], -v[206:207], v[6:7], v[126:127]
	ds_read2_b64 v[4:7], v54 offset0:50 offset1:51
	s_waitcnt lgkmcnt(0)
	v_fma_f64 v[164:165], -v[206:207], v[4:5], v[164:165]
	v_fma_f64 v[124:125], -v[206:207], v[6:7], v[124:125]
	ds_read2_b64 v[4:7], v54 offset0:52 offset1:53
	s_waitcnt lgkmcnt(0)
	v_fma_f64 v[162:163], -v[206:207], v[4:5], v[162:163]
	v_fma_f64 v[122:123], -v[206:207], v[6:7], v[122:123]
	ds_read2_b64 v[4:7], v54 offset0:54 offset1:55
	s_waitcnt lgkmcnt(0)
	v_fma_f64 v[160:161], -v[206:207], v[4:5], v[160:161]
	v_fma_f64 v[120:121], -v[206:207], v[6:7], v[120:121]
	ds_read2_b64 v[4:7], v54 offset0:56 offset1:57
	s_waitcnt lgkmcnt(0)
	v_fma_f64 v[158:159], -v[206:207], v[4:5], v[158:159]
	v_fma_f64 v[234:235], -v[206:207], v[6:7], v[234:235]
.LBB115_51:
	s_or_b32 exec_lo, exec_lo, s1
	s_mov_b32 s1, exec_lo
	s_waitcnt lgkmcnt(0)
	s_barrier
	buffer_gl0_inv
	v_cmpx_eq_u32_e32 10, v0
	s_cbranch_execz .LBB115_54
; %bb.52:
	ds_write_b64 v1, v[224:225]
	ds_write2_b64 v54, v[204:205], v[222:223] offset0:11 offset1:12
	ds_write2_b64 v54, v[202:203], v[220:221] offset0:13 offset1:14
	;; [unrolled: 1-line block ×23, first 2 shown]
	ds_write_b64 v54, v[234:235] offset:456
	ds_read_b64 v[4:5], v1
	s_waitcnt lgkmcnt(0)
	v_cmp_neq_f64_e32 vcc_lo, 0, v[4:5]
	s_and_b32 exec_lo, exec_lo, vcc_lo
	s_cbranch_execz .LBB115_54
; %bb.53:
	v_div_scale_f64 v[6:7], null, v[4:5], v[4:5], 1.0
	v_rcp_f64_e32 v[8:9], v[6:7]
	v_fma_f64 v[10:11], -v[6:7], v[8:9], 1.0
	v_fma_f64 v[8:9], v[8:9], v[10:11], v[8:9]
	v_fma_f64 v[10:11], -v[6:7], v[8:9], 1.0
	v_fma_f64 v[8:9], v[8:9], v[10:11], v[8:9]
	v_div_scale_f64 v[10:11], vcc_lo, 1.0, v[4:5], 1.0
	v_mul_f64 v[12:13], v[10:11], v[8:9]
	v_fma_f64 v[6:7], -v[6:7], v[12:13], v[10:11]
	v_div_fmas_f64 v[6:7], v[6:7], v[8:9], v[12:13]
	v_div_fixup_f64 v[4:5], v[6:7], v[4:5], 1.0
	ds_write_b64 v1, v[4:5]
.LBB115_54:
	s_or_b32 exec_lo, exec_lo, s1
	s_waitcnt lgkmcnt(0)
	s_barrier
	buffer_gl0_inv
	ds_read_b64 v[248:249], v1
	s_mov_b32 s1, exec_lo
	v_cmpx_lt_u32_e32 10, v0
	s_cbranch_execz .LBB115_56
; %bb.55:
	s_waitcnt lgkmcnt(0)
	v_mul_f64 v[224:225], v[248:249], v[224:225]
	ds_read2_b64 v[4:7], v54 offset0:11 offset1:12
	s_waitcnt lgkmcnt(0)
	v_fma_f64 v[204:205], -v[224:225], v[4:5], v[204:205]
	v_fma_f64 v[222:223], -v[224:225], v[6:7], v[222:223]
	ds_read2_b64 v[4:7], v54 offset0:13 offset1:14
	s_waitcnt lgkmcnt(0)
	v_fma_f64 v[202:203], -v[224:225], v[4:5], v[202:203]
	v_fma_f64 v[220:221], -v[224:225], v[6:7], v[220:221]
	ds_read2_b64 v[4:7], v54 offset0:15 offset1:16
	s_waitcnt lgkmcnt(0)
	v_fma_f64 v[200:201], -v[224:225], v[4:5], v[200:201]
	v_fma_f64 v[218:219], -v[224:225], v[6:7], v[218:219]
	ds_read2_b64 v[4:7], v54 offset0:17 offset1:18
	s_waitcnt lgkmcnt(0)
	v_fma_f64 v[198:199], -v[224:225], v[4:5], v[198:199]
	v_fma_f64 v[216:217], -v[224:225], v[6:7], v[216:217]
	ds_read2_b64 v[4:7], v54 offset0:19 offset1:20
	s_waitcnt lgkmcnt(0)
	v_fma_f64 v[156:157], -v[224:225], v[4:5], v[156:157]
	v_fma_f64 v[194:195], -v[224:225], v[6:7], v[194:195]
	ds_read2_b64 v[4:7], v54 offset0:21 offset1:22
	s_waitcnt lgkmcnt(0)
	v_fma_f64 v[154:155], -v[224:225], v[4:5], v[154:155]
	v_fma_f64 v[192:193], -v[224:225], v[6:7], v[192:193]
	ds_read2_b64 v[4:7], v54 offset0:23 offset1:24
	s_waitcnt lgkmcnt(0)
	v_fma_f64 v[152:153], -v[224:225], v[4:5], v[152:153]
	v_fma_f64 v[190:191], -v[224:225], v[6:7], v[190:191]
	ds_read2_b64 v[4:7], v54 offset0:25 offset1:26
	s_waitcnt lgkmcnt(0)
	v_fma_f64 v[150:151], -v[224:225], v[4:5], v[150:151]
	v_fma_f64 v[188:189], -v[224:225], v[6:7], v[188:189]
	ds_read2_b64 v[4:7], v54 offset0:27 offset1:28
	s_waitcnt lgkmcnt(0)
	v_fma_f64 v[148:149], -v[224:225], v[4:5], v[148:149]
	v_fma_f64 v[186:187], -v[224:225], v[6:7], v[186:187]
	ds_read2_b64 v[4:7], v54 offset0:29 offset1:30
	s_waitcnt lgkmcnt(0)
	v_fma_f64 v[146:147], -v[224:225], v[4:5], v[146:147]
	v_fma_f64 v[184:185], -v[224:225], v[6:7], v[184:185]
	ds_read2_b64 v[4:7], v54 offset0:31 offset1:32
	s_waitcnt lgkmcnt(0)
	v_fma_f64 v[144:145], -v[224:225], v[4:5], v[144:145]
	v_fma_f64 v[182:183], -v[224:225], v[6:7], v[182:183]
	ds_read2_b64 v[4:7], v54 offset0:33 offset1:34
	s_waitcnt lgkmcnt(0)
	v_fma_f64 v[142:143], -v[224:225], v[4:5], v[142:143]
	v_fma_f64 v[180:181], -v[224:225], v[6:7], v[180:181]
	ds_read2_b64 v[4:7], v54 offset0:35 offset1:36
	s_waitcnt lgkmcnt(0)
	v_fma_f64 v[140:141], -v[224:225], v[4:5], v[140:141]
	v_fma_f64 v[178:179], -v[224:225], v[6:7], v[178:179]
	ds_read2_b64 v[4:7], v54 offset0:37 offset1:38
	s_waitcnt lgkmcnt(0)
	v_fma_f64 v[138:139], -v[224:225], v[4:5], v[138:139]
	v_fma_f64 v[176:177], -v[224:225], v[6:7], v[176:177]
	ds_read2_b64 v[4:7], v54 offset0:39 offset1:40
	s_waitcnt lgkmcnt(0)
	v_fma_f64 v[136:137], -v[224:225], v[4:5], v[136:137]
	v_fma_f64 v[174:175], -v[224:225], v[6:7], v[174:175]
	ds_read2_b64 v[4:7], v54 offset0:41 offset1:42
	s_waitcnt lgkmcnt(0)
	v_fma_f64 v[134:135], -v[224:225], v[4:5], v[134:135]
	v_fma_f64 v[172:173], -v[224:225], v[6:7], v[172:173]
	ds_read2_b64 v[4:7], v54 offset0:43 offset1:44
	s_waitcnt lgkmcnt(0)
	v_fma_f64 v[132:133], -v[224:225], v[4:5], v[132:133]
	v_fma_f64 v[170:171], -v[224:225], v[6:7], v[170:171]
	ds_read2_b64 v[4:7], v54 offset0:45 offset1:46
	s_waitcnt lgkmcnt(0)
	v_fma_f64 v[130:131], -v[224:225], v[4:5], v[130:131]
	v_fma_f64 v[168:169], -v[224:225], v[6:7], v[168:169]
	ds_read2_b64 v[4:7], v54 offset0:47 offset1:48
	s_waitcnt lgkmcnt(0)
	v_fma_f64 v[128:129], -v[224:225], v[4:5], v[128:129]
	v_fma_f64 v[166:167], -v[224:225], v[6:7], v[166:167]
	ds_read2_b64 v[4:7], v54 offset0:49 offset1:50
	s_waitcnt lgkmcnt(0)
	v_fma_f64 v[126:127], -v[224:225], v[4:5], v[126:127]
	v_fma_f64 v[164:165], -v[224:225], v[6:7], v[164:165]
	ds_read2_b64 v[4:7], v54 offset0:51 offset1:52
	s_waitcnt lgkmcnt(0)
	v_fma_f64 v[124:125], -v[224:225], v[4:5], v[124:125]
	v_fma_f64 v[162:163], -v[224:225], v[6:7], v[162:163]
	ds_read2_b64 v[4:7], v54 offset0:53 offset1:54
	s_waitcnt lgkmcnt(0)
	v_fma_f64 v[122:123], -v[224:225], v[4:5], v[122:123]
	v_fma_f64 v[160:161], -v[224:225], v[6:7], v[160:161]
	ds_read2_b64 v[4:7], v54 offset0:55 offset1:56
	s_waitcnt lgkmcnt(0)
	v_fma_f64 v[120:121], -v[224:225], v[4:5], v[120:121]
	ds_read_b64 v[4:5], v54 offset:456
	v_fma_f64 v[158:159], -v[224:225], v[6:7], v[158:159]
	s_waitcnt lgkmcnt(0)
	v_fma_f64 v[234:235], -v[224:225], v[4:5], v[234:235]
.LBB115_56:
	s_or_b32 exec_lo, exec_lo, s1
	s_mov_b32 s1, exec_lo
	s_waitcnt lgkmcnt(0)
	s_barrier
	buffer_gl0_inv
	v_cmpx_eq_u32_e32 11, v0
	s_cbranch_execz .LBB115_59
; %bb.57:
	v_mov_b32_e32 v4, v222
	v_mov_b32_e32 v5, v223
	;; [unrolled: 1-line block ×4, first 2 shown]
	ds_write_b64 v1, v[204:205]
	ds_write2_b64 v54, v[4:5], v[6:7] offset0:12 offset1:13
	v_mov_b32_e32 v4, v220
	v_mov_b32_e32 v5, v221
	v_mov_b32_e32 v6, v200
	v_mov_b32_e32 v7, v201
	ds_write2_b64 v54, v[4:5], v[6:7] offset0:14 offset1:15
	v_mov_b32_e32 v4, v218
	v_mov_b32_e32 v5, v219
	v_mov_b32_e32 v6, v198
	v_mov_b32_e32 v7, v199
	;; [unrolled: 5-line block ×21, first 2 shown]
	ds_write2_b64 v54, v[4:5], v[6:7] offset0:54 offset1:55
	v_mov_b32_e32 v4, v158
	v_mov_b32_e32 v5, v159
	ds_write2_b64 v54, v[4:5], v[234:235] offset0:56 offset1:57
	ds_read_b64 v[4:5], v1
	s_waitcnt lgkmcnt(0)
	v_cmp_neq_f64_e32 vcc_lo, 0, v[4:5]
	s_and_b32 exec_lo, exec_lo, vcc_lo
	s_cbranch_execz .LBB115_59
; %bb.58:
	v_div_scale_f64 v[6:7], null, v[4:5], v[4:5], 1.0
	v_rcp_f64_e32 v[8:9], v[6:7]
	v_fma_f64 v[10:11], -v[6:7], v[8:9], 1.0
	v_fma_f64 v[8:9], v[8:9], v[10:11], v[8:9]
	v_fma_f64 v[10:11], -v[6:7], v[8:9], 1.0
	v_fma_f64 v[8:9], v[8:9], v[10:11], v[8:9]
	v_div_scale_f64 v[10:11], vcc_lo, 1.0, v[4:5], 1.0
	v_mul_f64 v[12:13], v[10:11], v[8:9]
	v_fma_f64 v[6:7], -v[6:7], v[12:13], v[10:11]
	v_div_fmas_f64 v[6:7], v[6:7], v[8:9], v[12:13]
	v_div_fixup_f64 v[4:5], v[6:7], v[4:5], 1.0
	ds_write_b64 v1, v[4:5]
.LBB115_59:
	s_or_b32 exec_lo, exec_lo, s1
	s_waitcnt lgkmcnt(0)
	s_barrier
	buffer_gl0_inv
	ds_read_b64 v[250:251], v1
	s_mov_b32 s1, exec_lo
	v_cmpx_lt_u32_e32 11, v0
	s_cbranch_execz .LBB115_61
; %bb.60:
	s_waitcnt lgkmcnt(0)
	v_mul_f64 v[204:205], v[250:251], v[204:205]
	ds_read2_b64 v[4:7], v54 offset0:12 offset1:13
	s_waitcnt lgkmcnt(0)
	v_fma_f64 v[222:223], -v[204:205], v[4:5], v[222:223]
	v_fma_f64 v[202:203], -v[204:205], v[6:7], v[202:203]
	ds_read2_b64 v[4:7], v54 offset0:14 offset1:15
	s_waitcnt lgkmcnt(0)
	v_fma_f64 v[220:221], -v[204:205], v[4:5], v[220:221]
	v_fma_f64 v[200:201], -v[204:205], v[6:7], v[200:201]
	;; [unrolled: 4-line block ×23, first 2 shown]
.LBB115_61:
	s_or_b32 exec_lo, exec_lo, s1
	s_mov_b32 s1, exec_lo
	s_waitcnt lgkmcnt(0)
	s_barrier
	buffer_gl0_inv
	v_cmpx_eq_u32_e32 12, v0
	s_cbranch_execz .LBB115_64
; %bb.62:
	ds_write_b64 v1, v[222:223]
	ds_write2_b64 v54, v[202:203], v[220:221] offset0:13 offset1:14
	ds_write2_b64 v54, v[200:201], v[218:219] offset0:15 offset1:16
	;; [unrolled: 1-line block ×22, first 2 shown]
	ds_write_b64 v54, v[234:235] offset:456
	ds_read_b64 v[4:5], v1
	s_waitcnt lgkmcnt(0)
	v_cmp_neq_f64_e32 vcc_lo, 0, v[4:5]
	s_and_b32 exec_lo, exec_lo, vcc_lo
	s_cbranch_execz .LBB115_64
; %bb.63:
	v_div_scale_f64 v[6:7], null, v[4:5], v[4:5], 1.0
	v_rcp_f64_e32 v[8:9], v[6:7]
	v_fma_f64 v[10:11], -v[6:7], v[8:9], 1.0
	v_fma_f64 v[8:9], v[8:9], v[10:11], v[8:9]
	v_fma_f64 v[10:11], -v[6:7], v[8:9], 1.0
	v_fma_f64 v[8:9], v[8:9], v[10:11], v[8:9]
	v_div_scale_f64 v[10:11], vcc_lo, 1.0, v[4:5], 1.0
	v_mul_f64 v[12:13], v[10:11], v[8:9]
	v_fma_f64 v[6:7], -v[6:7], v[12:13], v[10:11]
	v_div_fmas_f64 v[6:7], v[6:7], v[8:9], v[12:13]
	v_div_fixup_f64 v[4:5], v[6:7], v[4:5], 1.0
	ds_write_b64 v1, v[4:5]
.LBB115_64:
	s_or_b32 exec_lo, exec_lo, s1
	s_waitcnt lgkmcnt(0)
	s_barrier
	buffer_gl0_inv
	ds_read_b64 v[252:253], v1
	s_mov_b32 s1, exec_lo
	v_cmpx_lt_u32_e32 12, v0
	s_cbranch_execz .LBB115_66
; %bb.65:
	s_waitcnt lgkmcnt(0)
	v_mul_f64 v[222:223], v[252:253], v[222:223]
	ds_read2_b64 v[4:7], v54 offset0:13 offset1:14
	s_waitcnt lgkmcnt(0)
	v_fma_f64 v[202:203], -v[222:223], v[4:5], v[202:203]
	v_fma_f64 v[220:221], -v[222:223], v[6:7], v[220:221]
	ds_read2_b64 v[4:7], v54 offset0:15 offset1:16
	s_waitcnt lgkmcnt(0)
	v_fma_f64 v[200:201], -v[222:223], v[4:5], v[200:201]
	v_fma_f64 v[218:219], -v[222:223], v[6:7], v[218:219]
	;; [unrolled: 4-line block ×21, first 2 shown]
	ds_read2_b64 v[4:7], v54 offset0:55 offset1:56
	s_waitcnt lgkmcnt(0)
	v_fma_f64 v[120:121], -v[222:223], v[4:5], v[120:121]
	ds_read_b64 v[4:5], v54 offset:456
	v_fma_f64 v[158:159], -v[222:223], v[6:7], v[158:159]
	s_waitcnt lgkmcnt(0)
	v_fma_f64 v[234:235], -v[222:223], v[4:5], v[234:235]
.LBB115_66:
	s_or_b32 exec_lo, exec_lo, s1
	s_mov_b32 s1, exec_lo
	s_waitcnt lgkmcnt(0)
	s_barrier
	buffer_gl0_inv
	v_cmpx_eq_u32_e32 13, v0
	s_cbranch_execz .LBB115_69
; %bb.67:
	v_mov_b32_e32 v4, v220
	v_mov_b32_e32 v5, v221
	v_mov_b32_e32 v6, v200
	v_mov_b32_e32 v7, v201
	ds_write_b64 v1, v[202:203]
	ds_write2_b64 v54, v[4:5], v[6:7] offset0:14 offset1:15
	v_mov_b32_e32 v4, v218
	v_mov_b32_e32 v5, v219
	v_mov_b32_e32 v6, v198
	v_mov_b32_e32 v7, v199
	ds_write2_b64 v54, v[4:5], v[6:7] offset0:16 offset1:17
	v_mov_b32_e32 v4, v216
	v_mov_b32_e32 v5, v217
	v_mov_b32_e32 v6, v156
	v_mov_b32_e32 v7, v157
	;; [unrolled: 5-line block ×20, first 2 shown]
	ds_write2_b64 v54, v[4:5], v[6:7] offset0:54 offset1:55
	v_mov_b32_e32 v4, v158
	v_mov_b32_e32 v5, v159
	ds_write2_b64 v54, v[4:5], v[234:235] offset0:56 offset1:57
	ds_read_b64 v[4:5], v1
	s_waitcnt lgkmcnt(0)
	v_cmp_neq_f64_e32 vcc_lo, 0, v[4:5]
	s_and_b32 exec_lo, exec_lo, vcc_lo
	s_cbranch_execz .LBB115_69
; %bb.68:
	v_div_scale_f64 v[6:7], null, v[4:5], v[4:5], 1.0
	v_rcp_f64_e32 v[8:9], v[6:7]
	v_fma_f64 v[10:11], -v[6:7], v[8:9], 1.0
	v_fma_f64 v[8:9], v[8:9], v[10:11], v[8:9]
	v_fma_f64 v[10:11], -v[6:7], v[8:9], 1.0
	v_fma_f64 v[8:9], v[8:9], v[10:11], v[8:9]
	v_div_scale_f64 v[10:11], vcc_lo, 1.0, v[4:5], 1.0
	v_mul_f64 v[12:13], v[10:11], v[8:9]
	v_fma_f64 v[6:7], -v[6:7], v[12:13], v[10:11]
	v_div_fmas_f64 v[6:7], v[6:7], v[8:9], v[12:13]
	v_div_fixup_f64 v[4:5], v[6:7], v[4:5], 1.0
	ds_write_b64 v1, v[4:5]
.LBB115_69:
	s_or_b32 exec_lo, exec_lo, s1
	s_waitcnt lgkmcnt(0)
	s_barrier
	buffer_gl0_inv
	ds_read_b64 v[254:255], v1
	s_mov_b32 s1, exec_lo
	v_cmpx_lt_u32_e32 13, v0
	s_cbranch_execz .LBB115_71
; %bb.70:
	s_waitcnt lgkmcnt(0)
	v_mul_f64 v[202:203], v[254:255], v[202:203]
	ds_read2_b64 v[4:7], v54 offset0:14 offset1:15
	s_waitcnt lgkmcnt(0)
	v_fma_f64 v[220:221], -v[202:203], v[4:5], v[220:221]
	v_fma_f64 v[200:201], -v[202:203], v[6:7], v[200:201]
	ds_read2_b64 v[4:7], v54 offset0:16 offset1:17
	s_waitcnt lgkmcnt(0)
	v_fma_f64 v[218:219], -v[202:203], v[4:5], v[218:219]
	v_fma_f64 v[198:199], -v[202:203], v[6:7], v[198:199]
	;; [unrolled: 4-line block ×22, first 2 shown]
.LBB115_71:
	s_or_b32 exec_lo, exec_lo, s1
	s_mov_b32 s1, exec_lo
	s_waitcnt lgkmcnt(0)
	s_barrier
	buffer_gl0_inv
	v_cmpx_eq_u32_e32 14, v0
	s_cbranch_execz .LBB115_74
; %bb.72:
	ds_write_b64 v1, v[220:221]
	ds_write2_b64 v54, v[200:201], v[218:219] offset0:15 offset1:16
	ds_write2_b64 v54, v[198:199], v[216:217] offset0:17 offset1:18
	;; [unrolled: 1-line block ×21, first 2 shown]
	ds_write_b64 v54, v[234:235] offset:456
	ds_read_b64 v[4:5], v1
	s_waitcnt lgkmcnt(0)
	v_cmp_neq_f64_e32 vcc_lo, 0, v[4:5]
	s_and_b32 exec_lo, exec_lo, vcc_lo
	s_cbranch_execz .LBB115_74
; %bb.73:
	v_div_scale_f64 v[6:7], null, v[4:5], v[4:5], 1.0
	v_rcp_f64_e32 v[8:9], v[6:7]
	v_fma_f64 v[10:11], -v[6:7], v[8:9], 1.0
	v_fma_f64 v[8:9], v[8:9], v[10:11], v[8:9]
	v_fma_f64 v[10:11], -v[6:7], v[8:9], 1.0
	v_fma_f64 v[8:9], v[8:9], v[10:11], v[8:9]
	v_div_scale_f64 v[10:11], vcc_lo, 1.0, v[4:5], 1.0
	v_mul_f64 v[12:13], v[10:11], v[8:9]
	v_fma_f64 v[6:7], -v[6:7], v[12:13], v[10:11]
	v_div_fmas_f64 v[6:7], v[6:7], v[8:9], v[12:13]
	v_div_fixup_f64 v[4:5], v[6:7], v[4:5], 1.0
	ds_write_b64 v1, v[4:5]
.LBB115_74:
	s_or_b32 exec_lo, exec_lo, s1
	s_waitcnt lgkmcnt(0)
	s_barrier
	buffer_gl0_inv
	ds_read_b64 v[115:116], v1
	s_mov_b32 s1, exec_lo
	v_cmpx_lt_u32_e32 14, v0
	s_cbranch_execz .LBB115_76
; %bb.75:
	s_waitcnt lgkmcnt(0)
	v_mul_f64 v[220:221], v[115:116], v[220:221]
	ds_read2_b64 v[4:7], v54 offset0:15 offset1:16
	s_waitcnt lgkmcnt(0)
	v_fma_f64 v[200:201], -v[220:221], v[4:5], v[200:201]
	v_fma_f64 v[218:219], -v[220:221], v[6:7], v[218:219]
	ds_read2_b64 v[4:7], v54 offset0:17 offset1:18
	s_waitcnt lgkmcnt(0)
	v_fma_f64 v[198:199], -v[220:221], v[4:5], v[198:199]
	v_fma_f64 v[216:217], -v[220:221], v[6:7], v[216:217]
	;; [unrolled: 4-line block ×20, first 2 shown]
	ds_read2_b64 v[4:7], v54 offset0:55 offset1:56
	s_waitcnt lgkmcnt(0)
	v_fma_f64 v[120:121], -v[220:221], v[4:5], v[120:121]
	ds_read_b64 v[4:5], v54 offset:456
	v_fma_f64 v[158:159], -v[220:221], v[6:7], v[158:159]
	s_waitcnt lgkmcnt(0)
	v_fma_f64 v[234:235], -v[220:221], v[4:5], v[234:235]
.LBB115_76:
	s_or_b32 exec_lo, exec_lo, s1
	s_mov_b32 s1, exec_lo
	s_waitcnt lgkmcnt(0)
	s_barrier
	buffer_gl0_inv
	v_cmpx_eq_u32_e32 15, v0
	s_cbranch_execz .LBB115_79
; %bb.77:
	v_mov_b32_e32 v4, v218
	v_mov_b32_e32 v5, v219
	;; [unrolled: 1-line block ×4, first 2 shown]
	ds_write_b64 v1, v[200:201]
	ds_write2_b64 v54, v[4:5], v[6:7] offset0:16 offset1:17
	v_mov_b32_e32 v4, v216
	v_mov_b32_e32 v5, v217
	v_mov_b32_e32 v6, v156
	v_mov_b32_e32 v7, v157
	ds_write2_b64 v54, v[4:5], v[6:7] offset0:18 offset1:19
	v_mov_b32_e32 v4, v194
	v_mov_b32_e32 v5, v195
	v_mov_b32_e32 v6, v154
	v_mov_b32_e32 v7, v155
	;; [unrolled: 5-line block ×19, first 2 shown]
	ds_write2_b64 v54, v[4:5], v[6:7] offset0:54 offset1:55
	v_mov_b32_e32 v4, v158
	v_mov_b32_e32 v5, v159
	ds_write2_b64 v54, v[4:5], v[234:235] offset0:56 offset1:57
	ds_read_b64 v[4:5], v1
	s_waitcnt lgkmcnt(0)
	v_cmp_neq_f64_e32 vcc_lo, 0, v[4:5]
	s_and_b32 exec_lo, exec_lo, vcc_lo
	s_cbranch_execz .LBB115_79
; %bb.78:
	v_div_scale_f64 v[6:7], null, v[4:5], v[4:5], 1.0
	v_rcp_f64_e32 v[8:9], v[6:7]
	v_fma_f64 v[10:11], -v[6:7], v[8:9], 1.0
	v_fma_f64 v[8:9], v[8:9], v[10:11], v[8:9]
	v_fma_f64 v[10:11], -v[6:7], v[8:9], 1.0
	v_fma_f64 v[8:9], v[8:9], v[10:11], v[8:9]
	v_div_scale_f64 v[10:11], vcc_lo, 1.0, v[4:5], 1.0
	v_mul_f64 v[12:13], v[10:11], v[8:9]
	v_fma_f64 v[6:7], -v[6:7], v[12:13], v[10:11]
	v_div_fmas_f64 v[6:7], v[6:7], v[8:9], v[12:13]
	v_div_fixup_f64 v[4:5], v[6:7], v[4:5], 1.0
	ds_write_b64 v1, v[4:5]
.LBB115_79:
	s_or_b32 exec_lo, exec_lo, s1
	s_waitcnt lgkmcnt(0)
	s_barrier
	buffer_gl0_inv
	ds_read_b64 v[60:61], v1
	s_mov_b32 s1, exec_lo
	v_cmpx_lt_u32_e32 15, v0
	s_cbranch_execz .LBB115_81
; %bb.80:
	s_waitcnt lgkmcnt(0)
	v_mul_f64 v[200:201], v[60:61], v[200:201]
	ds_read2_b64 v[4:7], v54 offset0:16 offset1:17
	s_waitcnt lgkmcnt(0)
	v_fma_f64 v[218:219], -v[200:201], v[4:5], v[218:219]
	v_fma_f64 v[198:199], -v[200:201], v[6:7], v[198:199]
	ds_read2_b64 v[4:7], v54 offset0:18 offset1:19
	s_waitcnt lgkmcnt(0)
	v_fma_f64 v[216:217], -v[200:201], v[4:5], v[216:217]
	v_fma_f64 v[156:157], -v[200:201], v[6:7], v[156:157]
	ds_read2_b64 v[4:7], v54 offset0:20 offset1:21
	s_waitcnt lgkmcnt(0)
	v_fma_f64 v[194:195], -v[200:201], v[4:5], v[194:195]
	v_fma_f64 v[154:155], -v[200:201], v[6:7], v[154:155]
	ds_read2_b64 v[4:7], v54 offset0:22 offset1:23
	s_waitcnt lgkmcnt(0)
	v_fma_f64 v[192:193], -v[200:201], v[4:5], v[192:193]
	v_fma_f64 v[152:153], -v[200:201], v[6:7], v[152:153]
	ds_read2_b64 v[4:7], v54 offset0:24 offset1:25
	s_waitcnt lgkmcnt(0)
	v_fma_f64 v[190:191], -v[200:201], v[4:5], v[190:191]
	v_fma_f64 v[150:151], -v[200:201], v[6:7], v[150:151]
	ds_read2_b64 v[4:7], v54 offset0:26 offset1:27
	s_waitcnt lgkmcnt(0)
	v_fma_f64 v[188:189], -v[200:201], v[4:5], v[188:189]
	v_fma_f64 v[148:149], -v[200:201], v[6:7], v[148:149]
	ds_read2_b64 v[4:7], v54 offset0:28 offset1:29
	s_waitcnt lgkmcnt(0)
	v_fma_f64 v[186:187], -v[200:201], v[4:5], v[186:187]
	v_fma_f64 v[146:147], -v[200:201], v[6:7], v[146:147]
	ds_read2_b64 v[4:7], v54 offset0:30 offset1:31
	s_waitcnt lgkmcnt(0)
	v_fma_f64 v[184:185], -v[200:201], v[4:5], v[184:185]
	v_fma_f64 v[144:145], -v[200:201], v[6:7], v[144:145]
	ds_read2_b64 v[4:7], v54 offset0:32 offset1:33
	s_waitcnt lgkmcnt(0)
	v_fma_f64 v[182:183], -v[200:201], v[4:5], v[182:183]
	v_fma_f64 v[142:143], -v[200:201], v[6:7], v[142:143]
	ds_read2_b64 v[4:7], v54 offset0:34 offset1:35
	s_waitcnt lgkmcnt(0)
	v_fma_f64 v[180:181], -v[200:201], v[4:5], v[180:181]
	v_fma_f64 v[140:141], -v[200:201], v[6:7], v[140:141]
	ds_read2_b64 v[4:7], v54 offset0:36 offset1:37
	s_waitcnt lgkmcnt(0)
	v_fma_f64 v[178:179], -v[200:201], v[4:5], v[178:179]
	v_fma_f64 v[138:139], -v[200:201], v[6:7], v[138:139]
	ds_read2_b64 v[4:7], v54 offset0:38 offset1:39
	s_waitcnt lgkmcnt(0)
	v_fma_f64 v[176:177], -v[200:201], v[4:5], v[176:177]
	v_fma_f64 v[136:137], -v[200:201], v[6:7], v[136:137]
	ds_read2_b64 v[4:7], v54 offset0:40 offset1:41
	s_waitcnt lgkmcnt(0)
	v_fma_f64 v[174:175], -v[200:201], v[4:5], v[174:175]
	v_fma_f64 v[134:135], -v[200:201], v[6:7], v[134:135]
	ds_read2_b64 v[4:7], v54 offset0:42 offset1:43
	s_waitcnt lgkmcnt(0)
	v_fma_f64 v[172:173], -v[200:201], v[4:5], v[172:173]
	v_fma_f64 v[132:133], -v[200:201], v[6:7], v[132:133]
	ds_read2_b64 v[4:7], v54 offset0:44 offset1:45
	s_waitcnt lgkmcnt(0)
	v_fma_f64 v[170:171], -v[200:201], v[4:5], v[170:171]
	v_fma_f64 v[130:131], -v[200:201], v[6:7], v[130:131]
	ds_read2_b64 v[4:7], v54 offset0:46 offset1:47
	s_waitcnt lgkmcnt(0)
	v_fma_f64 v[168:169], -v[200:201], v[4:5], v[168:169]
	v_fma_f64 v[128:129], -v[200:201], v[6:7], v[128:129]
	ds_read2_b64 v[4:7], v54 offset0:48 offset1:49
	s_waitcnt lgkmcnt(0)
	v_fma_f64 v[166:167], -v[200:201], v[4:5], v[166:167]
	v_fma_f64 v[126:127], -v[200:201], v[6:7], v[126:127]
	ds_read2_b64 v[4:7], v54 offset0:50 offset1:51
	s_waitcnt lgkmcnt(0)
	v_fma_f64 v[164:165], -v[200:201], v[4:5], v[164:165]
	v_fma_f64 v[124:125], -v[200:201], v[6:7], v[124:125]
	ds_read2_b64 v[4:7], v54 offset0:52 offset1:53
	s_waitcnt lgkmcnt(0)
	v_fma_f64 v[162:163], -v[200:201], v[4:5], v[162:163]
	v_fma_f64 v[122:123], -v[200:201], v[6:7], v[122:123]
	ds_read2_b64 v[4:7], v54 offset0:54 offset1:55
	s_waitcnt lgkmcnt(0)
	v_fma_f64 v[160:161], -v[200:201], v[4:5], v[160:161]
	v_fma_f64 v[120:121], -v[200:201], v[6:7], v[120:121]
	ds_read2_b64 v[4:7], v54 offset0:56 offset1:57
	s_waitcnt lgkmcnt(0)
	v_fma_f64 v[158:159], -v[200:201], v[4:5], v[158:159]
	v_fma_f64 v[234:235], -v[200:201], v[6:7], v[234:235]
.LBB115_81:
	s_or_b32 exec_lo, exec_lo, s1
	s_mov_b32 s1, exec_lo
	s_waitcnt lgkmcnt(0)
	s_barrier
	buffer_gl0_inv
	v_cmpx_eq_u32_e32 16, v0
	s_cbranch_execz .LBB115_84
; %bb.82:
	ds_write_b64 v1, v[218:219]
	ds_write2_b64 v54, v[198:199], v[216:217] offset0:17 offset1:18
	ds_write2_b64 v54, v[156:157], v[194:195] offset0:19 offset1:20
	;; [unrolled: 1-line block ×20, first 2 shown]
	ds_write_b64 v54, v[234:235] offset:456
	ds_read_b64 v[4:5], v1
	s_waitcnt lgkmcnt(0)
	v_cmp_neq_f64_e32 vcc_lo, 0, v[4:5]
	s_and_b32 exec_lo, exec_lo, vcc_lo
	s_cbranch_execz .LBB115_84
; %bb.83:
	v_div_scale_f64 v[6:7], null, v[4:5], v[4:5], 1.0
	v_rcp_f64_e32 v[8:9], v[6:7]
	v_fma_f64 v[10:11], -v[6:7], v[8:9], 1.0
	v_fma_f64 v[8:9], v[8:9], v[10:11], v[8:9]
	v_fma_f64 v[10:11], -v[6:7], v[8:9], 1.0
	v_fma_f64 v[8:9], v[8:9], v[10:11], v[8:9]
	v_div_scale_f64 v[10:11], vcc_lo, 1.0, v[4:5], 1.0
	v_mul_f64 v[12:13], v[10:11], v[8:9]
	v_fma_f64 v[6:7], -v[6:7], v[12:13], v[10:11]
	v_div_fmas_f64 v[6:7], v[6:7], v[8:9], v[12:13]
	v_div_fixup_f64 v[4:5], v[6:7], v[4:5], 1.0
	ds_write_b64 v1, v[4:5]
.LBB115_84:
	s_or_b32 exec_lo, exec_lo, s1
	s_waitcnt lgkmcnt(0)
	s_barrier
	buffer_gl0_inv
	ds_read_b64 v[65:66], v1
	s_mov_b32 s1, exec_lo
	v_cmpx_lt_u32_e32 16, v0
	s_cbranch_execz .LBB115_86
; %bb.85:
	s_waitcnt lgkmcnt(0)
	v_mul_f64 v[218:219], v[65:66], v[218:219]
	ds_read2_b64 v[4:7], v54 offset0:17 offset1:18
	s_waitcnt lgkmcnt(0)
	v_fma_f64 v[198:199], -v[218:219], v[4:5], v[198:199]
	v_fma_f64 v[216:217], -v[218:219], v[6:7], v[216:217]
	ds_read2_b64 v[4:7], v54 offset0:19 offset1:20
	s_waitcnt lgkmcnt(0)
	v_fma_f64 v[156:157], -v[218:219], v[4:5], v[156:157]
	v_fma_f64 v[194:195], -v[218:219], v[6:7], v[194:195]
	;; [unrolled: 4-line block ×19, first 2 shown]
	ds_read2_b64 v[4:7], v54 offset0:55 offset1:56
	s_waitcnt lgkmcnt(0)
	v_fma_f64 v[120:121], -v[218:219], v[4:5], v[120:121]
	ds_read_b64 v[4:5], v54 offset:456
	v_fma_f64 v[158:159], -v[218:219], v[6:7], v[158:159]
	s_waitcnt lgkmcnt(0)
	v_fma_f64 v[234:235], -v[218:219], v[4:5], v[234:235]
.LBB115_86:
	s_or_b32 exec_lo, exec_lo, s1
	s_mov_b32 s1, exec_lo
	s_waitcnt lgkmcnt(0)
	s_barrier
	buffer_gl0_inv
	v_cmpx_eq_u32_e32 17, v0
	s_cbranch_execz .LBB115_89
; %bb.87:
	v_mov_b32_e32 v4, v216
	v_mov_b32_e32 v5, v217
	;; [unrolled: 1-line block ×4, first 2 shown]
	ds_write_b64 v1, v[198:199]
	ds_write2_b64 v54, v[4:5], v[6:7] offset0:18 offset1:19
	v_mov_b32_e32 v4, v194
	v_mov_b32_e32 v5, v195
	v_mov_b32_e32 v6, v154
	v_mov_b32_e32 v7, v155
	ds_write2_b64 v54, v[4:5], v[6:7] offset0:20 offset1:21
	v_mov_b32_e32 v4, v192
	v_mov_b32_e32 v5, v193
	v_mov_b32_e32 v6, v152
	v_mov_b32_e32 v7, v153
	;; [unrolled: 5-line block ×18, first 2 shown]
	ds_write2_b64 v54, v[4:5], v[6:7] offset0:54 offset1:55
	v_mov_b32_e32 v4, v158
	v_mov_b32_e32 v5, v159
	ds_write2_b64 v54, v[4:5], v[234:235] offset0:56 offset1:57
	ds_read_b64 v[4:5], v1
	s_waitcnt lgkmcnt(0)
	v_cmp_neq_f64_e32 vcc_lo, 0, v[4:5]
	s_and_b32 exec_lo, exec_lo, vcc_lo
	s_cbranch_execz .LBB115_89
; %bb.88:
	v_div_scale_f64 v[6:7], null, v[4:5], v[4:5], 1.0
	v_rcp_f64_e32 v[8:9], v[6:7]
	v_fma_f64 v[10:11], -v[6:7], v[8:9], 1.0
	v_fma_f64 v[8:9], v[8:9], v[10:11], v[8:9]
	v_fma_f64 v[10:11], -v[6:7], v[8:9], 1.0
	v_fma_f64 v[8:9], v[8:9], v[10:11], v[8:9]
	v_div_scale_f64 v[10:11], vcc_lo, 1.0, v[4:5], 1.0
	v_mul_f64 v[12:13], v[10:11], v[8:9]
	v_fma_f64 v[6:7], -v[6:7], v[12:13], v[10:11]
	v_div_fmas_f64 v[6:7], v[6:7], v[8:9], v[12:13]
	v_div_fixup_f64 v[4:5], v[6:7], v[4:5], 1.0
	ds_write_b64 v1, v[4:5]
.LBB115_89:
	s_or_b32 exec_lo, exec_lo, s1
	s_waitcnt lgkmcnt(0)
	s_barrier
	buffer_gl0_inv
	ds_read_b64 v[67:68], v1
	s_mov_b32 s1, exec_lo
	v_cmpx_lt_u32_e32 17, v0
	s_cbranch_execz .LBB115_91
; %bb.90:
	s_waitcnt lgkmcnt(0)
	v_mul_f64 v[198:199], v[67:68], v[198:199]
	ds_read2_b64 v[4:7], v54 offset0:18 offset1:19
	s_waitcnt lgkmcnt(0)
	v_fma_f64 v[216:217], -v[198:199], v[4:5], v[216:217]
	v_fma_f64 v[156:157], -v[198:199], v[6:7], v[156:157]
	ds_read2_b64 v[4:7], v54 offset0:20 offset1:21
	s_waitcnt lgkmcnt(0)
	v_fma_f64 v[194:195], -v[198:199], v[4:5], v[194:195]
	v_fma_f64 v[154:155], -v[198:199], v[6:7], v[154:155]
	;; [unrolled: 4-line block ×20, first 2 shown]
.LBB115_91:
	s_or_b32 exec_lo, exec_lo, s1
	s_mov_b32 s1, exec_lo
	s_waitcnt lgkmcnt(0)
	s_barrier
	buffer_gl0_inv
	v_cmpx_eq_u32_e32 18, v0
	s_cbranch_execz .LBB115_94
; %bb.92:
	ds_write_b64 v1, v[216:217]
	ds_write2_b64 v54, v[156:157], v[194:195] offset0:19 offset1:20
	ds_write2_b64 v54, v[154:155], v[192:193] offset0:21 offset1:22
	;; [unrolled: 1-line block ×19, first 2 shown]
	ds_write_b64 v54, v[234:235] offset:456
	ds_read_b64 v[4:5], v1
	s_waitcnt lgkmcnt(0)
	v_cmp_neq_f64_e32 vcc_lo, 0, v[4:5]
	s_and_b32 exec_lo, exec_lo, vcc_lo
	s_cbranch_execz .LBB115_94
; %bb.93:
	v_div_scale_f64 v[6:7], null, v[4:5], v[4:5], 1.0
	v_rcp_f64_e32 v[8:9], v[6:7]
	v_fma_f64 v[10:11], -v[6:7], v[8:9], 1.0
	v_fma_f64 v[8:9], v[8:9], v[10:11], v[8:9]
	v_fma_f64 v[10:11], -v[6:7], v[8:9], 1.0
	v_fma_f64 v[8:9], v[8:9], v[10:11], v[8:9]
	v_div_scale_f64 v[10:11], vcc_lo, 1.0, v[4:5], 1.0
	v_mul_f64 v[12:13], v[10:11], v[8:9]
	v_fma_f64 v[6:7], -v[6:7], v[12:13], v[10:11]
	v_div_fmas_f64 v[6:7], v[6:7], v[8:9], v[12:13]
	v_div_fixup_f64 v[4:5], v[6:7], v[4:5], 1.0
	ds_write_b64 v1, v[4:5]
.LBB115_94:
	s_or_b32 exec_lo, exec_lo, s1
	s_waitcnt lgkmcnt(0)
	s_barrier
	buffer_gl0_inv
	ds_read_b64 v[69:70], v1
	s_mov_b32 s1, exec_lo
	v_cmpx_lt_u32_e32 18, v0
	s_cbranch_execz .LBB115_96
; %bb.95:
	s_waitcnt lgkmcnt(0)
	v_mul_f64 v[216:217], v[69:70], v[216:217]
	ds_read2_b64 v[4:7], v54 offset0:19 offset1:20
	s_waitcnt lgkmcnt(0)
	v_fma_f64 v[156:157], -v[216:217], v[4:5], v[156:157]
	v_fma_f64 v[194:195], -v[216:217], v[6:7], v[194:195]
	ds_read2_b64 v[4:7], v54 offset0:21 offset1:22
	s_waitcnt lgkmcnt(0)
	v_fma_f64 v[154:155], -v[216:217], v[4:5], v[154:155]
	v_fma_f64 v[192:193], -v[216:217], v[6:7], v[192:193]
	;; [unrolled: 4-line block ×18, first 2 shown]
	ds_read2_b64 v[4:7], v54 offset0:55 offset1:56
	s_waitcnt lgkmcnt(0)
	v_fma_f64 v[120:121], -v[216:217], v[4:5], v[120:121]
	ds_read_b64 v[4:5], v54 offset:456
	v_fma_f64 v[158:159], -v[216:217], v[6:7], v[158:159]
	s_waitcnt lgkmcnt(0)
	v_fma_f64 v[234:235], -v[216:217], v[4:5], v[234:235]
.LBB115_96:
	s_or_b32 exec_lo, exec_lo, s1
	s_mov_b32 s1, exec_lo
	s_waitcnt lgkmcnt(0)
	s_barrier
	buffer_gl0_inv
	v_cmpx_eq_u32_e32 19, v0
	s_cbranch_execz .LBB115_99
; %bb.97:
	v_mov_b32_e32 v4, v194
	v_mov_b32_e32 v5, v195
	;; [unrolled: 1-line block ×4, first 2 shown]
	ds_write_b64 v1, v[156:157]
	ds_write2_b64 v54, v[4:5], v[6:7] offset0:20 offset1:21
	v_mov_b32_e32 v4, v192
	v_mov_b32_e32 v5, v193
	v_mov_b32_e32 v6, v152
	v_mov_b32_e32 v7, v153
	ds_write2_b64 v54, v[4:5], v[6:7] offset0:22 offset1:23
	v_mov_b32_e32 v4, v190
	v_mov_b32_e32 v5, v191
	v_mov_b32_e32 v6, v150
	v_mov_b32_e32 v7, v151
	;; [unrolled: 5-line block ×17, first 2 shown]
	ds_write2_b64 v54, v[4:5], v[6:7] offset0:54 offset1:55
	v_mov_b32_e32 v4, v158
	v_mov_b32_e32 v5, v159
	ds_write2_b64 v54, v[4:5], v[234:235] offset0:56 offset1:57
	ds_read_b64 v[4:5], v1
	s_waitcnt lgkmcnt(0)
	v_cmp_neq_f64_e32 vcc_lo, 0, v[4:5]
	s_and_b32 exec_lo, exec_lo, vcc_lo
	s_cbranch_execz .LBB115_99
; %bb.98:
	v_div_scale_f64 v[6:7], null, v[4:5], v[4:5], 1.0
	v_rcp_f64_e32 v[8:9], v[6:7]
	v_fma_f64 v[10:11], -v[6:7], v[8:9], 1.0
	v_fma_f64 v[8:9], v[8:9], v[10:11], v[8:9]
	v_fma_f64 v[10:11], -v[6:7], v[8:9], 1.0
	v_fma_f64 v[8:9], v[8:9], v[10:11], v[8:9]
	v_div_scale_f64 v[10:11], vcc_lo, 1.0, v[4:5], 1.0
	v_mul_f64 v[12:13], v[10:11], v[8:9]
	v_fma_f64 v[6:7], -v[6:7], v[12:13], v[10:11]
	v_div_fmas_f64 v[6:7], v[6:7], v[8:9], v[12:13]
	v_div_fixup_f64 v[4:5], v[6:7], v[4:5], 1.0
	ds_write_b64 v1, v[4:5]
.LBB115_99:
	s_or_b32 exec_lo, exec_lo, s1
	s_waitcnt lgkmcnt(0)
	s_barrier
	buffer_gl0_inv
	ds_read_b64 v[71:72], v1
	s_mov_b32 s1, exec_lo
	v_cmpx_lt_u32_e32 19, v0
	s_cbranch_execz .LBB115_101
; %bb.100:
	s_waitcnt lgkmcnt(0)
	v_mul_f64 v[156:157], v[71:72], v[156:157]
	ds_read2_b64 v[4:7], v54 offset0:20 offset1:21
	s_waitcnt lgkmcnt(0)
	v_fma_f64 v[194:195], -v[156:157], v[4:5], v[194:195]
	v_fma_f64 v[154:155], -v[156:157], v[6:7], v[154:155]
	ds_read2_b64 v[4:7], v54 offset0:22 offset1:23
	s_waitcnt lgkmcnt(0)
	v_fma_f64 v[192:193], -v[156:157], v[4:5], v[192:193]
	v_fma_f64 v[152:153], -v[156:157], v[6:7], v[152:153]
	;; [unrolled: 4-line block ×19, first 2 shown]
.LBB115_101:
	s_or_b32 exec_lo, exec_lo, s1
	s_mov_b32 s1, exec_lo
	s_waitcnt lgkmcnt(0)
	s_barrier
	buffer_gl0_inv
	v_cmpx_eq_u32_e32 20, v0
	s_cbranch_execz .LBB115_104
; %bb.102:
	ds_write_b64 v1, v[194:195]
	ds_write2_b64 v54, v[154:155], v[192:193] offset0:21 offset1:22
	ds_write2_b64 v54, v[152:153], v[190:191] offset0:23 offset1:24
	;; [unrolled: 1-line block ×18, first 2 shown]
	ds_write_b64 v54, v[234:235] offset:456
	ds_read_b64 v[4:5], v1
	s_waitcnt lgkmcnt(0)
	v_cmp_neq_f64_e32 vcc_lo, 0, v[4:5]
	s_and_b32 exec_lo, exec_lo, vcc_lo
	s_cbranch_execz .LBB115_104
; %bb.103:
	v_div_scale_f64 v[6:7], null, v[4:5], v[4:5], 1.0
	v_rcp_f64_e32 v[8:9], v[6:7]
	v_fma_f64 v[10:11], -v[6:7], v[8:9], 1.0
	v_fma_f64 v[8:9], v[8:9], v[10:11], v[8:9]
	v_fma_f64 v[10:11], -v[6:7], v[8:9], 1.0
	v_fma_f64 v[8:9], v[8:9], v[10:11], v[8:9]
	v_div_scale_f64 v[10:11], vcc_lo, 1.0, v[4:5], 1.0
	v_mul_f64 v[12:13], v[10:11], v[8:9]
	v_fma_f64 v[6:7], -v[6:7], v[12:13], v[10:11]
	v_div_fmas_f64 v[6:7], v[6:7], v[8:9], v[12:13]
	v_div_fixup_f64 v[4:5], v[6:7], v[4:5], 1.0
	ds_write_b64 v1, v[4:5]
.LBB115_104:
	s_or_b32 exec_lo, exec_lo, s1
	s_waitcnt lgkmcnt(0)
	s_barrier
	buffer_gl0_inv
	ds_read_b64 v[73:74], v1
	s_mov_b32 s1, exec_lo
	v_cmpx_lt_u32_e32 20, v0
	s_cbranch_execz .LBB115_106
; %bb.105:
	s_waitcnt lgkmcnt(0)
	v_mul_f64 v[194:195], v[73:74], v[194:195]
	ds_read2_b64 v[4:7], v54 offset0:21 offset1:22
	s_waitcnt lgkmcnt(0)
	v_fma_f64 v[154:155], -v[194:195], v[4:5], v[154:155]
	v_fma_f64 v[192:193], -v[194:195], v[6:7], v[192:193]
	ds_read2_b64 v[4:7], v54 offset0:23 offset1:24
	s_waitcnt lgkmcnt(0)
	v_fma_f64 v[152:153], -v[194:195], v[4:5], v[152:153]
	v_fma_f64 v[190:191], -v[194:195], v[6:7], v[190:191]
	;; [unrolled: 4-line block ×17, first 2 shown]
	ds_read2_b64 v[4:7], v54 offset0:55 offset1:56
	s_waitcnt lgkmcnt(0)
	v_fma_f64 v[120:121], -v[194:195], v[4:5], v[120:121]
	ds_read_b64 v[4:5], v54 offset:456
	v_fma_f64 v[158:159], -v[194:195], v[6:7], v[158:159]
	s_waitcnt lgkmcnt(0)
	v_fma_f64 v[234:235], -v[194:195], v[4:5], v[234:235]
.LBB115_106:
	s_or_b32 exec_lo, exec_lo, s1
	s_mov_b32 s1, exec_lo
	s_waitcnt lgkmcnt(0)
	s_barrier
	buffer_gl0_inv
	v_cmpx_eq_u32_e32 21, v0
	s_cbranch_execz .LBB115_109
; %bb.107:
	v_mov_b32_e32 v4, v192
	v_mov_b32_e32 v5, v193
	;; [unrolled: 1-line block ×4, first 2 shown]
	ds_write_b64 v1, v[154:155]
	ds_write2_b64 v54, v[4:5], v[6:7] offset0:22 offset1:23
	v_mov_b32_e32 v4, v190
	v_mov_b32_e32 v5, v191
	v_mov_b32_e32 v6, v150
	v_mov_b32_e32 v7, v151
	ds_write2_b64 v54, v[4:5], v[6:7] offset0:24 offset1:25
	v_mov_b32_e32 v4, v188
	v_mov_b32_e32 v5, v189
	v_mov_b32_e32 v6, v148
	v_mov_b32_e32 v7, v149
	ds_write2_b64 v54, v[4:5], v[6:7] offset0:26 offset1:27
	v_mov_b32_e32 v4, v186
	v_mov_b32_e32 v5, v187
	v_mov_b32_e32 v6, v146
	v_mov_b32_e32 v7, v147
	ds_write2_b64 v54, v[4:5], v[6:7] offset0:28 offset1:29
	v_mov_b32_e32 v4, v184
	v_mov_b32_e32 v5, v185
	v_mov_b32_e32 v6, v144
	v_mov_b32_e32 v7, v145
	ds_write2_b64 v54, v[4:5], v[6:7] offset0:30 offset1:31
	v_mov_b32_e32 v4, v182
	v_mov_b32_e32 v5, v183
	v_mov_b32_e32 v6, v142
	v_mov_b32_e32 v7, v143
	ds_write2_b64 v54, v[4:5], v[6:7] offset0:32 offset1:33
	v_mov_b32_e32 v4, v180
	v_mov_b32_e32 v5, v181
	v_mov_b32_e32 v6, v140
	v_mov_b32_e32 v7, v141
	ds_write2_b64 v54, v[4:5], v[6:7] offset0:34 offset1:35
	v_mov_b32_e32 v4, v178
	v_mov_b32_e32 v5, v179
	v_mov_b32_e32 v6, v138
	v_mov_b32_e32 v7, v139
	ds_write2_b64 v54, v[4:5], v[6:7] offset0:36 offset1:37
	v_mov_b32_e32 v4, v176
	v_mov_b32_e32 v5, v177
	v_mov_b32_e32 v6, v136
	v_mov_b32_e32 v7, v137
	ds_write2_b64 v54, v[4:5], v[6:7] offset0:38 offset1:39
	v_mov_b32_e32 v4, v174
	v_mov_b32_e32 v5, v175
	v_mov_b32_e32 v6, v134
	v_mov_b32_e32 v7, v135
	ds_write2_b64 v54, v[4:5], v[6:7] offset0:40 offset1:41
	v_mov_b32_e32 v4, v172
	v_mov_b32_e32 v5, v173
	v_mov_b32_e32 v6, v132
	v_mov_b32_e32 v7, v133
	ds_write2_b64 v54, v[4:5], v[6:7] offset0:42 offset1:43
	v_mov_b32_e32 v4, v170
	v_mov_b32_e32 v5, v171
	v_mov_b32_e32 v6, v130
	v_mov_b32_e32 v7, v131
	ds_write2_b64 v54, v[4:5], v[6:7] offset0:44 offset1:45
	v_mov_b32_e32 v4, v168
	v_mov_b32_e32 v5, v169
	v_mov_b32_e32 v6, v128
	v_mov_b32_e32 v7, v129
	ds_write2_b64 v54, v[4:5], v[6:7] offset0:46 offset1:47
	v_mov_b32_e32 v4, v166
	v_mov_b32_e32 v5, v167
	v_mov_b32_e32 v6, v126
	v_mov_b32_e32 v7, v127
	ds_write2_b64 v54, v[4:5], v[6:7] offset0:48 offset1:49
	v_mov_b32_e32 v4, v164
	v_mov_b32_e32 v5, v165
	v_mov_b32_e32 v6, v124
	v_mov_b32_e32 v7, v125
	ds_write2_b64 v54, v[4:5], v[6:7] offset0:50 offset1:51
	v_mov_b32_e32 v4, v162
	v_mov_b32_e32 v5, v163
	v_mov_b32_e32 v6, v122
	v_mov_b32_e32 v7, v123
	ds_write2_b64 v54, v[4:5], v[6:7] offset0:52 offset1:53
	v_mov_b32_e32 v4, v160
	v_mov_b32_e32 v5, v161
	v_mov_b32_e32 v6, v120
	v_mov_b32_e32 v7, v121
	ds_write2_b64 v54, v[4:5], v[6:7] offset0:54 offset1:55
	v_mov_b32_e32 v4, v158
	v_mov_b32_e32 v5, v159
	ds_write2_b64 v54, v[4:5], v[234:235] offset0:56 offset1:57
	ds_read_b64 v[4:5], v1
	s_waitcnt lgkmcnt(0)
	v_cmp_neq_f64_e32 vcc_lo, 0, v[4:5]
	s_and_b32 exec_lo, exec_lo, vcc_lo
	s_cbranch_execz .LBB115_109
; %bb.108:
	v_div_scale_f64 v[6:7], null, v[4:5], v[4:5], 1.0
	v_rcp_f64_e32 v[8:9], v[6:7]
	v_fma_f64 v[10:11], -v[6:7], v[8:9], 1.0
	v_fma_f64 v[8:9], v[8:9], v[10:11], v[8:9]
	v_fma_f64 v[10:11], -v[6:7], v[8:9], 1.0
	v_fma_f64 v[8:9], v[8:9], v[10:11], v[8:9]
	v_div_scale_f64 v[10:11], vcc_lo, 1.0, v[4:5], 1.0
	v_mul_f64 v[12:13], v[10:11], v[8:9]
	v_fma_f64 v[6:7], -v[6:7], v[12:13], v[10:11]
	v_div_fmas_f64 v[6:7], v[6:7], v[8:9], v[12:13]
	v_div_fixup_f64 v[4:5], v[6:7], v[4:5], 1.0
	ds_write_b64 v1, v[4:5]
.LBB115_109:
	s_or_b32 exec_lo, exec_lo, s1
	s_waitcnt lgkmcnt(0)
	s_barrier
	buffer_gl0_inv
	ds_read_b64 v[75:76], v1
	s_mov_b32 s1, exec_lo
	v_cmpx_lt_u32_e32 21, v0
	s_cbranch_execz .LBB115_111
; %bb.110:
	s_waitcnt lgkmcnt(0)
	v_mul_f64 v[154:155], v[75:76], v[154:155]
	ds_read2_b64 v[4:7], v54 offset0:22 offset1:23
	s_waitcnt lgkmcnt(0)
	v_fma_f64 v[192:193], -v[154:155], v[4:5], v[192:193]
	v_fma_f64 v[152:153], -v[154:155], v[6:7], v[152:153]
	ds_read2_b64 v[4:7], v54 offset0:24 offset1:25
	s_waitcnt lgkmcnt(0)
	v_fma_f64 v[190:191], -v[154:155], v[4:5], v[190:191]
	v_fma_f64 v[150:151], -v[154:155], v[6:7], v[150:151]
	;; [unrolled: 4-line block ×18, first 2 shown]
.LBB115_111:
	s_or_b32 exec_lo, exec_lo, s1
	s_mov_b32 s1, exec_lo
	s_waitcnt lgkmcnt(0)
	s_barrier
	buffer_gl0_inv
	v_cmpx_eq_u32_e32 22, v0
	s_cbranch_execz .LBB115_114
; %bb.112:
	ds_write_b64 v1, v[192:193]
	ds_write2_b64 v54, v[152:153], v[190:191] offset0:23 offset1:24
	ds_write2_b64 v54, v[150:151], v[188:189] offset0:25 offset1:26
	;; [unrolled: 1-line block ×17, first 2 shown]
	ds_write_b64 v54, v[234:235] offset:456
	ds_read_b64 v[4:5], v1
	s_waitcnt lgkmcnt(0)
	v_cmp_neq_f64_e32 vcc_lo, 0, v[4:5]
	s_and_b32 exec_lo, exec_lo, vcc_lo
	s_cbranch_execz .LBB115_114
; %bb.113:
	v_div_scale_f64 v[6:7], null, v[4:5], v[4:5], 1.0
	v_rcp_f64_e32 v[8:9], v[6:7]
	v_fma_f64 v[10:11], -v[6:7], v[8:9], 1.0
	v_fma_f64 v[8:9], v[8:9], v[10:11], v[8:9]
	v_fma_f64 v[10:11], -v[6:7], v[8:9], 1.0
	v_fma_f64 v[8:9], v[8:9], v[10:11], v[8:9]
	v_div_scale_f64 v[10:11], vcc_lo, 1.0, v[4:5], 1.0
	v_mul_f64 v[12:13], v[10:11], v[8:9]
	v_fma_f64 v[6:7], -v[6:7], v[12:13], v[10:11]
	v_div_fmas_f64 v[6:7], v[6:7], v[8:9], v[12:13]
	v_div_fixup_f64 v[4:5], v[6:7], v[4:5], 1.0
	ds_write_b64 v1, v[4:5]
.LBB115_114:
	s_or_b32 exec_lo, exec_lo, s1
	s_waitcnt lgkmcnt(0)
	s_barrier
	buffer_gl0_inv
	ds_read_b64 v[77:78], v1
	s_mov_b32 s1, exec_lo
	v_cmpx_lt_u32_e32 22, v0
	s_cbranch_execz .LBB115_116
; %bb.115:
	s_waitcnt lgkmcnt(0)
	v_mul_f64 v[192:193], v[77:78], v[192:193]
	ds_read2_b64 v[4:7], v54 offset0:23 offset1:24
	s_waitcnt lgkmcnt(0)
	v_fma_f64 v[152:153], -v[192:193], v[4:5], v[152:153]
	v_fma_f64 v[190:191], -v[192:193], v[6:7], v[190:191]
	ds_read2_b64 v[4:7], v54 offset0:25 offset1:26
	s_waitcnt lgkmcnt(0)
	v_fma_f64 v[150:151], -v[192:193], v[4:5], v[150:151]
	v_fma_f64 v[188:189], -v[192:193], v[6:7], v[188:189]
	;; [unrolled: 4-line block ×16, first 2 shown]
	ds_read2_b64 v[4:7], v54 offset0:55 offset1:56
	s_waitcnt lgkmcnt(0)
	v_fma_f64 v[120:121], -v[192:193], v[4:5], v[120:121]
	ds_read_b64 v[4:5], v54 offset:456
	v_fma_f64 v[158:159], -v[192:193], v[6:7], v[158:159]
	s_waitcnt lgkmcnt(0)
	v_fma_f64 v[234:235], -v[192:193], v[4:5], v[234:235]
.LBB115_116:
	s_or_b32 exec_lo, exec_lo, s1
	s_mov_b32 s1, exec_lo
	s_waitcnt lgkmcnt(0)
	s_barrier
	buffer_gl0_inv
	v_cmpx_eq_u32_e32 23, v0
	s_cbranch_execz .LBB115_119
; %bb.117:
	v_mov_b32_e32 v4, v190
	v_mov_b32_e32 v5, v191
	;; [unrolled: 1-line block ×4, first 2 shown]
	ds_write_b64 v1, v[152:153]
	ds_write2_b64 v54, v[4:5], v[6:7] offset0:24 offset1:25
	v_mov_b32_e32 v4, v188
	v_mov_b32_e32 v5, v189
	v_mov_b32_e32 v6, v148
	v_mov_b32_e32 v7, v149
	ds_write2_b64 v54, v[4:5], v[6:7] offset0:26 offset1:27
	v_mov_b32_e32 v4, v186
	v_mov_b32_e32 v5, v187
	v_mov_b32_e32 v6, v146
	v_mov_b32_e32 v7, v147
	;; [unrolled: 5-line block ×15, first 2 shown]
	ds_write2_b64 v54, v[4:5], v[6:7] offset0:54 offset1:55
	v_mov_b32_e32 v4, v158
	v_mov_b32_e32 v5, v159
	ds_write2_b64 v54, v[4:5], v[234:235] offset0:56 offset1:57
	ds_read_b64 v[4:5], v1
	s_waitcnt lgkmcnt(0)
	v_cmp_neq_f64_e32 vcc_lo, 0, v[4:5]
	s_and_b32 exec_lo, exec_lo, vcc_lo
	s_cbranch_execz .LBB115_119
; %bb.118:
	v_div_scale_f64 v[6:7], null, v[4:5], v[4:5], 1.0
	v_rcp_f64_e32 v[8:9], v[6:7]
	v_fma_f64 v[10:11], -v[6:7], v[8:9], 1.0
	v_fma_f64 v[8:9], v[8:9], v[10:11], v[8:9]
	v_fma_f64 v[10:11], -v[6:7], v[8:9], 1.0
	v_fma_f64 v[8:9], v[8:9], v[10:11], v[8:9]
	v_div_scale_f64 v[10:11], vcc_lo, 1.0, v[4:5], 1.0
	v_mul_f64 v[12:13], v[10:11], v[8:9]
	v_fma_f64 v[6:7], -v[6:7], v[12:13], v[10:11]
	v_div_fmas_f64 v[6:7], v[6:7], v[8:9], v[12:13]
	v_div_fixup_f64 v[4:5], v[6:7], v[4:5], 1.0
	ds_write_b64 v1, v[4:5]
.LBB115_119:
	s_or_b32 exec_lo, exec_lo, s1
	s_waitcnt lgkmcnt(0)
	s_barrier
	buffer_gl0_inv
	ds_read_b64 v[79:80], v1
	s_mov_b32 s1, exec_lo
	v_cmpx_lt_u32_e32 23, v0
	s_cbranch_execz .LBB115_121
; %bb.120:
	s_waitcnt lgkmcnt(0)
	v_mul_f64 v[152:153], v[79:80], v[152:153]
	ds_read2_b64 v[4:7], v54 offset0:24 offset1:25
	s_waitcnt lgkmcnt(0)
	v_fma_f64 v[190:191], -v[152:153], v[4:5], v[190:191]
	v_fma_f64 v[150:151], -v[152:153], v[6:7], v[150:151]
	ds_read2_b64 v[4:7], v54 offset0:26 offset1:27
	s_waitcnt lgkmcnt(0)
	v_fma_f64 v[188:189], -v[152:153], v[4:5], v[188:189]
	v_fma_f64 v[148:149], -v[152:153], v[6:7], v[148:149]
	;; [unrolled: 4-line block ×17, first 2 shown]
.LBB115_121:
	s_or_b32 exec_lo, exec_lo, s1
	s_mov_b32 s1, exec_lo
	s_waitcnt lgkmcnt(0)
	s_barrier
	buffer_gl0_inv
	v_cmpx_eq_u32_e32 24, v0
	s_cbranch_execz .LBB115_124
; %bb.122:
	ds_write_b64 v1, v[190:191]
	ds_write2_b64 v54, v[150:151], v[188:189] offset0:25 offset1:26
	ds_write2_b64 v54, v[148:149], v[186:187] offset0:27 offset1:28
	ds_write2_b64 v54, v[146:147], v[184:185] offset0:29 offset1:30
	ds_write2_b64 v54, v[144:145], v[182:183] offset0:31 offset1:32
	ds_write2_b64 v54, v[142:143], v[180:181] offset0:33 offset1:34
	ds_write2_b64 v54, v[140:141], v[178:179] offset0:35 offset1:36
	ds_write2_b64 v54, v[138:139], v[176:177] offset0:37 offset1:38
	ds_write2_b64 v54, v[136:137], v[174:175] offset0:39 offset1:40
	ds_write2_b64 v54, v[134:135], v[172:173] offset0:41 offset1:42
	ds_write2_b64 v54, v[132:133], v[170:171] offset0:43 offset1:44
	ds_write2_b64 v54, v[130:131], v[168:169] offset0:45 offset1:46
	ds_write2_b64 v54, v[128:129], v[166:167] offset0:47 offset1:48
	ds_write2_b64 v54, v[126:127], v[164:165] offset0:49 offset1:50
	ds_write2_b64 v54, v[124:125], v[162:163] offset0:51 offset1:52
	ds_write2_b64 v54, v[122:123], v[160:161] offset0:53 offset1:54
	ds_write2_b64 v54, v[120:121], v[158:159] offset0:55 offset1:56
	ds_write_b64 v54, v[234:235] offset:456
	ds_read_b64 v[4:5], v1
	s_waitcnt lgkmcnt(0)
	v_cmp_neq_f64_e32 vcc_lo, 0, v[4:5]
	s_and_b32 exec_lo, exec_lo, vcc_lo
	s_cbranch_execz .LBB115_124
; %bb.123:
	v_div_scale_f64 v[6:7], null, v[4:5], v[4:5], 1.0
	v_rcp_f64_e32 v[8:9], v[6:7]
	v_fma_f64 v[10:11], -v[6:7], v[8:9], 1.0
	v_fma_f64 v[8:9], v[8:9], v[10:11], v[8:9]
	v_fma_f64 v[10:11], -v[6:7], v[8:9], 1.0
	v_fma_f64 v[8:9], v[8:9], v[10:11], v[8:9]
	v_div_scale_f64 v[10:11], vcc_lo, 1.0, v[4:5], 1.0
	v_mul_f64 v[12:13], v[10:11], v[8:9]
	v_fma_f64 v[6:7], -v[6:7], v[12:13], v[10:11]
	v_div_fmas_f64 v[6:7], v[6:7], v[8:9], v[12:13]
	v_div_fixup_f64 v[4:5], v[6:7], v[4:5], 1.0
	ds_write_b64 v1, v[4:5]
.LBB115_124:
	s_or_b32 exec_lo, exec_lo, s1
	s_waitcnt lgkmcnt(0)
	s_barrier
	buffer_gl0_inv
	ds_read_b64 v[81:82], v1
	s_mov_b32 s1, exec_lo
	v_cmpx_lt_u32_e32 24, v0
	s_cbranch_execz .LBB115_126
; %bb.125:
	s_waitcnt lgkmcnt(0)
	v_mul_f64 v[190:191], v[81:82], v[190:191]
	ds_read2_b64 v[4:7], v54 offset0:25 offset1:26
	s_waitcnt lgkmcnt(0)
	v_fma_f64 v[150:151], -v[190:191], v[4:5], v[150:151]
	v_fma_f64 v[188:189], -v[190:191], v[6:7], v[188:189]
	ds_read2_b64 v[4:7], v54 offset0:27 offset1:28
	s_waitcnt lgkmcnt(0)
	v_fma_f64 v[148:149], -v[190:191], v[4:5], v[148:149]
	v_fma_f64 v[186:187], -v[190:191], v[6:7], v[186:187]
	;; [unrolled: 4-line block ×15, first 2 shown]
	ds_read2_b64 v[4:7], v54 offset0:55 offset1:56
	s_waitcnt lgkmcnt(0)
	v_fma_f64 v[120:121], -v[190:191], v[4:5], v[120:121]
	ds_read_b64 v[4:5], v54 offset:456
	v_fma_f64 v[158:159], -v[190:191], v[6:7], v[158:159]
	s_waitcnt lgkmcnt(0)
	v_fma_f64 v[234:235], -v[190:191], v[4:5], v[234:235]
.LBB115_126:
	s_or_b32 exec_lo, exec_lo, s1
	s_mov_b32 s1, exec_lo
	s_waitcnt lgkmcnt(0)
	s_barrier
	buffer_gl0_inv
	v_cmpx_eq_u32_e32 25, v0
	s_cbranch_execz .LBB115_129
; %bb.127:
	v_mov_b32_e32 v4, v188
	v_mov_b32_e32 v5, v189
	;; [unrolled: 1-line block ×4, first 2 shown]
	ds_write_b64 v1, v[150:151]
	ds_write2_b64 v54, v[4:5], v[6:7] offset0:26 offset1:27
	v_mov_b32_e32 v4, v186
	v_mov_b32_e32 v5, v187
	v_mov_b32_e32 v6, v146
	v_mov_b32_e32 v7, v147
	ds_write2_b64 v54, v[4:5], v[6:7] offset0:28 offset1:29
	v_mov_b32_e32 v4, v184
	v_mov_b32_e32 v5, v185
	v_mov_b32_e32 v6, v144
	v_mov_b32_e32 v7, v145
	;; [unrolled: 5-line block ×14, first 2 shown]
	ds_write2_b64 v54, v[4:5], v[6:7] offset0:54 offset1:55
	v_mov_b32_e32 v4, v158
	v_mov_b32_e32 v5, v159
	ds_write2_b64 v54, v[4:5], v[234:235] offset0:56 offset1:57
	ds_read_b64 v[4:5], v1
	s_waitcnt lgkmcnt(0)
	v_cmp_neq_f64_e32 vcc_lo, 0, v[4:5]
	s_and_b32 exec_lo, exec_lo, vcc_lo
	s_cbranch_execz .LBB115_129
; %bb.128:
	v_div_scale_f64 v[6:7], null, v[4:5], v[4:5], 1.0
	v_rcp_f64_e32 v[8:9], v[6:7]
	v_fma_f64 v[10:11], -v[6:7], v[8:9], 1.0
	v_fma_f64 v[8:9], v[8:9], v[10:11], v[8:9]
	v_fma_f64 v[10:11], -v[6:7], v[8:9], 1.0
	v_fma_f64 v[8:9], v[8:9], v[10:11], v[8:9]
	v_div_scale_f64 v[10:11], vcc_lo, 1.0, v[4:5], 1.0
	v_mul_f64 v[12:13], v[10:11], v[8:9]
	v_fma_f64 v[6:7], -v[6:7], v[12:13], v[10:11]
	v_div_fmas_f64 v[6:7], v[6:7], v[8:9], v[12:13]
	v_div_fixup_f64 v[4:5], v[6:7], v[4:5], 1.0
	ds_write_b64 v1, v[4:5]
.LBB115_129:
	s_or_b32 exec_lo, exec_lo, s1
	s_waitcnt lgkmcnt(0)
	s_barrier
	buffer_gl0_inv
	ds_read_b64 v[83:84], v1
	s_mov_b32 s1, exec_lo
	v_cmpx_lt_u32_e32 25, v0
	s_cbranch_execz .LBB115_131
; %bb.130:
	s_waitcnt lgkmcnt(0)
	v_mul_f64 v[150:151], v[83:84], v[150:151]
	ds_read2_b64 v[4:7], v54 offset0:26 offset1:27
	s_waitcnt lgkmcnt(0)
	v_fma_f64 v[188:189], -v[150:151], v[4:5], v[188:189]
	v_fma_f64 v[148:149], -v[150:151], v[6:7], v[148:149]
	ds_read2_b64 v[4:7], v54 offset0:28 offset1:29
	s_waitcnt lgkmcnt(0)
	v_fma_f64 v[186:187], -v[150:151], v[4:5], v[186:187]
	v_fma_f64 v[146:147], -v[150:151], v[6:7], v[146:147]
	;; [unrolled: 4-line block ×16, first 2 shown]
.LBB115_131:
	s_or_b32 exec_lo, exec_lo, s1
	s_mov_b32 s1, exec_lo
	s_waitcnt lgkmcnt(0)
	s_barrier
	buffer_gl0_inv
	v_cmpx_eq_u32_e32 26, v0
	s_cbranch_execz .LBB115_134
; %bb.132:
	ds_write_b64 v1, v[188:189]
	ds_write2_b64 v54, v[148:149], v[186:187] offset0:27 offset1:28
	ds_write2_b64 v54, v[146:147], v[184:185] offset0:29 offset1:30
	;; [unrolled: 1-line block ×15, first 2 shown]
	ds_write_b64 v54, v[234:235] offset:456
	ds_read_b64 v[4:5], v1
	s_waitcnt lgkmcnt(0)
	v_cmp_neq_f64_e32 vcc_lo, 0, v[4:5]
	s_and_b32 exec_lo, exec_lo, vcc_lo
	s_cbranch_execz .LBB115_134
; %bb.133:
	v_div_scale_f64 v[6:7], null, v[4:5], v[4:5], 1.0
	v_rcp_f64_e32 v[8:9], v[6:7]
	v_fma_f64 v[10:11], -v[6:7], v[8:9], 1.0
	v_fma_f64 v[8:9], v[8:9], v[10:11], v[8:9]
	v_fma_f64 v[10:11], -v[6:7], v[8:9], 1.0
	v_fma_f64 v[8:9], v[8:9], v[10:11], v[8:9]
	v_div_scale_f64 v[10:11], vcc_lo, 1.0, v[4:5], 1.0
	v_mul_f64 v[12:13], v[10:11], v[8:9]
	v_fma_f64 v[6:7], -v[6:7], v[12:13], v[10:11]
	v_div_fmas_f64 v[6:7], v[6:7], v[8:9], v[12:13]
	v_div_fixup_f64 v[4:5], v[6:7], v[4:5], 1.0
	ds_write_b64 v1, v[4:5]
.LBB115_134:
	s_or_b32 exec_lo, exec_lo, s1
	s_waitcnt lgkmcnt(0)
	s_barrier
	buffer_gl0_inv
	ds_read_b64 v[85:86], v1
	s_mov_b32 s1, exec_lo
	v_cmpx_lt_u32_e32 26, v0
	s_cbranch_execz .LBB115_136
; %bb.135:
	s_waitcnt lgkmcnt(0)
	v_mul_f64 v[188:189], v[85:86], v[188:189]
	ds_read2_b64 v[4:7], v54 offset0:27 offset1:28
	s_waitcnt lgkmcnt(0)
	v_fma_f64 v[148:149], -v[188:189], v[4:5], v[148:149]
	v_fma_f64 v[186:187], -v[188:189], v[6:7], v[186:187]
	ds_read2_b64 v[4:7], v54 offset0:29 offset1:30
	s_waitcnt lgkmcnt(0)
	v_fma_f64 v[146:147], -v[188:189], v[4:5], v[146:147]
	v_fma_f64 v[184:185], -v[188:189], v[6:7], v[184:185]
	;; [unrolled: 4-line block ×14, first 2 shown]
	ds_read2_b64 v[4:7], v54 offset0:55 offset1:56
	s_waitcnt lgkmcnt(0)
	v_fma_f64 v[120:121], -v[188:189], v[4:5], v[120:121]
	ds_read_b64 v[4:5], v54 offset:456
	v_fma_f64 v[158:159], -v[188:189], v[6:7], v[158:159]
	s_waitcnt lgkmcnt(0)
	v_fma_f64 v[234:235], -v[188:189], v[4:5], v[234:235]
.LBB115_136:
	s_or_b32 exec_lo, exec_lo, s1
	s_mov_b32 s1, exec_lo
	s_waitcnt lgkmcnt(0)
	s_barrier
	buffer_gl0_inv
	v_cmpx_eq_u32_e32 27, v0
	s_cbranch_execz .LBB115_139
; %bb.137:
	v_mov_b32_e32 v4, v186
	v_mov_b32_e32 v5, v187
	;; [unrolled: 1-line block ×4, first 2 shown]
	ds_write_b64 v1, v[148:149]
	ds_write2_b64 v54, v[4:5], v[6:7] offset0:28 offset1:29
	v_mov_b32_e32 v4, v184
	v_mov_b32_e32 v5, v185
	v_mov_b32_e32 v6, v144
	v_mov_b32_e32 v7, v145
	ds_write2_b64 v54, v[4:5], v[6:7] offset0:30 offset1:31
	v_mov_b32_e32 v4, v182
	v_mov_b32_e32 v5, v183
	v_mov_b32_e32 v6, v142
	v_mov_b32_e32 v7, v143
	;; [unrolled: 5-line block ×13, first 2 shown]
	ds_write2_b64 v54, v[4:5], v[6:7] offset0:54 offset1:55
	v_mov_b32_e32 v4, v158
	v_mov_b32_e32 v5, v159
	ds_write2_b64 v54, v[4:5], v[234:235] offset0:56 offset1:57
	ds_read_b64 v[4:5], v1
	s_waitcnt lgkmcnt(0)
	v_cmp_neq_f64_e32 vcc_lo, 0, v[4:5]
	s_and_b32 exec_lo, exec_lo, vcc_lo
	s_cbranch_execz .LBB115_139
; %bb.138:
	v_div_scale_f64 v[6:7], null, v[4:5], v[4:5], 1.0
	v_rcp_f64_e32 v[8:9], v[6:7]
	v_fma_f64 v[10:11], -v[6:7], v[8:9], 1.0
	v_fma_f64 v[8:9], v[8:9], v[10:11], v[8:9]
	v_fma_f64 v[10:11], -v[6:7], v[8:9], 1.0
	v_fma_f64 v[8:9], v[8:9], v[10:11], v[8:9]
	v_div_scale_f64 v[10:11], vcc_lo, 1.0, v[4:5], 1.0
	v_mul_f64 v[12:13], v[10:11], v[8:9]
	v_fma_f64 v[6:7], -v[6:7], v[12:13], v[10:11]
	v_div_fmas_f64 v[6:7], v[6:7], v[8:9], v[12:13]
	v_div_fixup_f64 v[4:5], v[6:7], v[4:5], 1.0
	ds_write_b64 v1, v[4:5]
.LBB115_139:
	s_or_b32 exec_lo, exec_lo, s1
	s_waitcnt lgkmcnt(0)
	s_barrier
	buffer_gl0_inv
	ds_read_b64 v[87:88], v1
	s_mov_b32 s1, exec_lo
	v_cmpx_lt_u32_e32 27, v0
	s_cbranch_execz .LBB115_141
; %bb.140:
	s_waitcnt lgkmcnt(0)
	v_mul_f64 v[148:149], v[87:88], v[148:149]
	ds_read2_b64 v[4:7], v54 offset0:28 offset1:29
	s_waitcnt lgkmcnt(0)
	v_fma_f64 v[186:187], -v[148:149], v[4:5], v[186:187]
	v_fma_f64 v[146:147], -v[148:149], v[6:7], v[146:147]
	ds_read2_b64 v[4:7], v54 offset0:30 offset1:31
	s_waitcnt lgkmcnt(0)
	v_fma_f64 v[184:185], -v[148:149], v[4:5], v[184:185]
	v_fma_f64 v[144:145], -v[148:149], v[6:7], v[144:145]
	;; [unrolled: 4-line block ×15, first 2 shown]
.LBB115_141:
	s_or_b32 exec_lo, exec_lo, s1
	s_mov_b32 s1, exec_lo
	s_waitcnt lgkmcnt(0)
	s_barrier
	buffer_gl0_inv
	v_cmpx_eq_u32_e32 28, v0
	s_cbranch_execz .LBB115_144
; %bb.142:
	ds_write_b64 v1, v[186:187]
	ds_write2_b64 v54, v[146:147], v[184:185] offset0:29 offset1:30
	ds_write2_b64 v54, v[144:145], v[182:183] offset0:31 offset1:32
	;; [unrolled: 1-line block ×14, first 2 shown]
	ds_write_b64 v54, v[234:235] offset:456
	ds_read_b64 v[4:5], v1
	s_waitcnt lgkmcnt(0)
	v_cmp_neq_f64_e32 vcc_lo, 0, v[4:5]
	s_and_b32 exec_lo, exec_lo, vcc_lo
	s_cbranch_execz .LBB115_144
; %bb.143:
	v_div_scale_f64 v[6:7], null, v[4:5], v[4:5], 1.0
	v_rcp_f64_e32 v[8:9], v[6:7]
	v_fma_f64 v[10:11], -v[6:7], v[8:9], 1.0
	v_fma_f64 v[8:9], v[8:9], v[10:11], v[8:9]
	v_fma_f64 v[10:11], -v[6:7], v[8:9], 1.0
	v_fma_f64 v[8:9], v[8:9], v[10:11], v[8:9]
	v_div_scale_f64 v[10:11], vcc_lo, 1.0, v[4:5], 1.0
	v_mul_f64 v[12:13], v[10:11], v[8:9]
	v_fma_f64 v[6:7], -v[6:7], v[12:13], v[10:11]
	v_div_fmas_f64 v[6:7], v[6:7], v[8:9], v[12:13]
	v_div_fixup_f64 v[4:5], v[6:7], v[4:5], 1.0
	ds_write_b64 v1, v[4:5]
.LBB115_144:
	s_or_b32 exec_lo, exec_lo, s1
	s_waitcnt lgkmcnt(0)
	s_barrier
	buffer_gl0_inv
	ds_read_b64 v[89:90], v1
	s_mov_b32 s1, exec_lo
	v_cmpx_lt_u32_e32 28, v0
	s_cbranch_execz .LBB115_146
; %bb.145:
	s_waitcnt lgkmcnt(0)
	v_mul_f64 v[186:187], v[89:90], v[186:187]
	ds_read2_b64 v[4:7], v54 offset0:29 offset1:30
	s_waitcnt lgkmcnt(0)
	v_fma_f64 v[146:147], -v[186:187], v[4:5], v[146:147]
	v_fma_f64 v[184:185], -v[186:187], v[6:7], v[184:185]
	ds_read2_b64 v[4:7], v54 offset0:31 offset1:32
	s_waitcnt lgkmcnt(0)
	v_fma_f64 v[144:145], -v[186:187], v[4:5], v[144:145]
	v_fma_f64 v[182:183], -v[186:187], v[6:7], v[182:183]
	;; [unrolled: 4-line block ×13, first 2 shown]
	ds_read2_b64 v[4:7], v54 offset0:55 offset1:56
	s_waitcnt lgkmcnt(0)
	v_fma_f64 v[120:121], -v[186:187], v[4:5], v[120:121]
	ds_read_b64 v[4:5], v54 offset:456
	v_fma_f64 v[158:159], -v[186:187], v[6:7], v[158:159]
	s_waitcnt lgkmcnt(0)
	v_fma_f64 v[234:235], -v[186:187], v[4:5], v[234:235]
.LBB115_146:
	s_or_b32 exec_lo, exec_lo, s1
	s_mov_b32 s1, exec_lo
	s_waitcnt lgkmcnt(0)
	s_barrier
	buffer_gl0_inv
	v_cmpx_eq_u32_e32 29, v0
	s_cbranch_execz .LBB115_149
; %bb.147:
	v_mov_b32_e32 v4, v184
	v_mov_b32_e32 v5, v185
	;; [unrolled: 1-line block ×4, first 2 shown]
	ds_write_b64 v1, v[146:147]
	ds_write2_b64 v54, v[4:5], v[6:7] offset0:30 offset1:31
	v_mov_b32_e32 v4, v182
	v_mov_b32_e32 v5, v183
	v_mov_b32_e32 v6, v142
	v_mov_b32_e32 v7, v143
	ds_write2_b64 v54, v[4:5], v[6:7] offset0:32 offset1:33
	v_mov_b32_e32 v4, v180
	v_mov_b32_e32 v5, v181
	v_mov_b32_e32 v6, v140
	v_mov_b32_e32 v7, v141
	;; [unrolled: 5-line block ×12, first 2 shown]
	ds_write2_b64 v54, v[4:5], v[6:7] offset0:54 offset1:55
	v_mov_b32_e32 v4, v158
	v_mov_b32_e32 v5, v159
	ds_write2_b64 v54, v[4:5], v[234:235] offset0:56 offset1:57
	ds_read_b64 v[4:5], v1
	s_waitcnt lgkmcnt(0)
	v_cmp_neq_f64_e32 vcc_lo, 0, v[4:5]
	s_and_b32 exec_lo, exec_lo, vcc_lo
	s_cbranch_execz .LBB115_149
; %bb.148:
	v_div_scale_f64 v[6:7], null, v[4:5], v[4:5], 1.0
	v_rcp_f64_e32 v[8:9], v[6:7]
	v_fma_f64 v[10:11], -v[6:7], v[8:9], 1.0
	v_fma_f64 v[8:9], v[8:9], v[10:11], v[8:9]
	v_fma_f64 v[10:11], -v[6:7], v[8:9], 1.0
	v_fma_f64 v[8:9], v[8:9], v[10:11], v[8:9]
	v_div_scale_f64 v[10:11], vcc_lo, 1.0, v[4:5], 1.0
	v_mul_f64 v[12:13], v[10:11], v[8:9]
	v_fma_f64 v[6:7], -v[6:7], v[12:13], v[10:11]
	v_div_fmas_f64 v[6:7], v[6:7], v[8:9], v[12:13]
	v_div_fixup_f64 v[4:5], v[6:7], v[4:5], 1.0
	ds_write_b64 v1, v[4:5]
.LBB115_149:
	s_or_b32 exec_lo, exec_lo, s1
	s_waitcnt lgkmcnt(0)
	s_barrier
	buffer_gl0_inv
	ds_read_b64 v[93:94], v1
	s_mov_b32 s1, exec_lo
	v_cmpx_lt_u32_e32 29, v0
	s_cbranch_execz .LBB115_151
; %bb.150:
	s_waitcnt lgkmcnt(0)
	v_mul_f64 v[146:147], v[93:94], v[146:147]
	ds_read2_b64 v[4:7], v54 offset0:30 offset1:31
	s_waitcnt lgkmcnt(0)
	v_fma_f64 v[184:185], -v[146:147], v[4:5], v[184:185]
	v_fma_f64 v[144:145], -v[146:147], v[6:7], v[144:145]
	ds_read2_b64 v[4:7], v54 offset0:32 offset1:33
	s_waitcnt lgkmcnt(0)
	v_fma_f64 v[182:183], -v[146:147], v[4:5], v[182:183]
	v_fma_f64 v[142:143], -v[146:147], v[6:7], v[142:143]
	;; [unrolled: 4-line block ×14, first 2 shown]
.LBB115_151:
	s_or_b32 exec_lo, exec_lo, s1
	s_mov_b32 s1, exec_lo
	s_waitcnt lgkmcnt(0)
	s_barrier
	buffer_gl0_inv
	v_cmpx_eq_u32_e32 30, v0
	s_cbranch_execz .LBB115_154
; %bb.152:
	ds_write_b64 v1, v[184:185]
	ds_write2_b64 v54, v[144:145], v[182:183] offset0:31 offset1:32
	ds_write2_b64 v54, v[142:143], v[180:181] offset0:33 offset1:34
	ds_write2_b64 v54, v[140:141], v[178:179] offset0:35 offset1:36
	ds_write2_b64 v54, v[138:139], v[176:177] offset0:37 offset1:38
	ds_write2_b64 v54, v[136:137], v[174:175] offset0:39 offset1:40
	ds_write2_b64 v54, v[134:135], v[172:173] offset0:41 offset1:42
	ds_write2_b64 v54, v[132:133], v[170:171] offset0:43 offset1:44
	ds_write2_b64 v54, v[130:131], v[168:169] offset0:45 offset1:46
	ds_write2_b64 v54, v[128:129], v[166:167] offset0:47 offset1:48
	ds_write2_b64 v54, v[126:127], v[164:165] offset0:49 offset1:50
	ds_write2_b64 v54, v[124:125], v[162:163] offset0:51 offset1:52
	ds_write2_b64 v54, v[122:123], v[160:161] offset0:53 offset1:54
	ds_write2_b64 v54, v[120:121], v[158:159] offset0:55 offset1:56
	ds_write_b64 v54, v[234:235] offset:456
	ds_read_b64 v[4:5], v1
	s_waitcnt lgkmcnt(0)
	v_cmp_neq_f64_e32 vcc_lo, 0, v[4:5]
	s_and_b32 exec_lo, exec_lo, vcc_lo
	s_cbranch_execz .LBB115_154
; %bb.153:
	v_div_scale_f64 v[6:7], null, v[4:5], v[4:5], 1.0
	v_rcp_f64_e32 v[8:9], v[6:7]
	v_fma_f64 v[10:11], -v[6:7], v[8:9], 1.0
	v_fma_f64 v[8:9], v[8:9], v[10:11], v[8:9]
	v_fma_f64 v[10:11], -v[6:7], v[8:9], 1.0
	v_fma_f64 v[8:9], v[8:9], v[10:11], v[8:9]
	v_div_scale_f64 v[10:11], vcc_lo, 1.0, v[4:5], 1.0
	v_mul_f64 v[12:13], v[10:11], v[8:9]
	v_fma_f64 v[6:7], -v[6:7], v[12:13], v[10:11]
	v_div_fmas_f64 v[6:7], v[6:7], v[8:9], v[12:13]
	v_div_fixup_f64 v[4:5], v[6:7], v[4:5], 1.0
	ds_write_b64 v1, v[4:5]
.LBB115_154:
	s_or_b32 exec_lo, exec_lo, s1
	s_waitcnt lgkmcnt(0)
	s_barrier
	buffer_gl0_inv
	ds_read_b64 v[236:237], v1
	s_mov_b32 s1, exec_lo
	v_cmpx_lt_u32_e32 30, v0
	s_cbranch_execz .LBB115_156
; %bb.155:
	s_waitcnt lgkmcnt(0)
	v_mul_f64 v[184:185], v[236:237], v[184:185]
	ds_read2_b64 v[4:7], v54 offset0:31 offset1:32
	s_waitcnt lgkmcnt(0)
	v_fma_f64 v[144:145], -v[184:185], v[4:5], v[144:145]
	v_fma_f64 v[182:183], -v[184:185], v[6:7], v[182:183]
	ds_read2_b64 v[4:7], v54 offset0:33 offset1:34
	s_waitcnt lgkmcnt(0)
	v_fma_f64 v[142:143], -v[184:185], v[4:5], v[142:143]
	v_fma_f64 v[180:181], -v[184:185], v[6:7], v[180:181]
	;; [unrolled: 4-line block ×12, first 2 shown]
	ds_read2_b64 v[4:7], v54 offset0:55 offset1:56
	s_waitcnt lgkmcnt(0)
	v_fma_f64 v[120:121], -v[184:185], v[4:5], v[120:121]
	ds_read_b64 v[4:5], v54 offset:456
	v_fma_f64 v[158:159], -v[184:185], v[6:7], v[158:159]
	s_waitcnt lgkmcnt(0)
	v_fma_f64 v[234:235], -v[184:185], v[4:5], v[234:235]
.LBB115_156:
	s_or_b32 exec_lo, exec_lo, s1
	s_mov_b32 s1, exec_lo
	s_waitcnt lgkmcnt(0)
	s_barrier
	buffer_gl0_inv
	v_cmpx_eq_u32_e32 31, v0
	s_cbranch_execz .LBB115_159
; %bb.157:
	v_mov_b32_e32 v4, v182
	v_mov_b32_e32 v5, v183
	;; [unrolled: 1-line block ×4, first 2 shown]
	ds_write_b64 v1, v[144:145]
	ds_write2_b64 v54, v[4:5], v[6:7] offset0:32 offset1:33
	v_mov_b32_e32 v4, v180
	v_mov_b32_e32 v5, v181
	v_mov_b32_e32 v6, v140
	v_mov_b32_e32 v7, v141
	ds_write2_b64 v54, v[4:5], v[6:7] offset0:34 offset1:35
	v_mov_b32_e32 v4, v178
	v_mov_b32_e32 v5, v179
	v_mov_b32_e32 v6, v138
	v_mov_b32_e32 v7, v139
	;; [unrolled: 5-line block ×11, first 2 shown]
	ds_write2_b64 v54, v[4:5], v[6:7] offset0:54 offset1:55
	v_mov_b32_e32 v4, v158
	v_mov_b32_e32 v5, v159
	ds_write2_b64 v54, v[4:5], v[234:235] offset0:56 offset1:57
	ds_read_b64 v[4:5], v1
	s_waitcnt lgkmcnt(0)
	v_cmp_neq_f64_e32 vcc_lo, 0, v[4:5]
	s_and_b32 exec_lo, exec_lo, vcc_lo
	s_cbranch_execz .LBB115_159
; %bb.158:
	v_div_scale_f64 v[6:7], null, v[4:5], v[4:5], 1.0
	v_rcp_f64_e32 v[8:9], v[6:7]
	v_fma_f64 v[10:11], -v[6:7], v[8:9], 1.0
	v_fma_f64 v[8:9], v[8:9], v[10:11], v[8:9]
	v_fma_f64 v[10:11], -v[6:7], v[8:9], 1.0
	v_fma_f64 v[8:9], v[8:9], v[10:11], v[8:9]
	v_div_scale_f64 v[10:11], vcc_lo, 1.0, v[4:5], 1.0
	v_mul_f64 v[12:13], v[10:11], v[8:9]
	v_fma_f64 v[6:7], -v[6:7], v[12:13], v[10:11]
	v_div_fmas_f64 v[6:7], v[6:7], v[8:9], v[12:13]
	v_div_fixup_f64 v[4:5], v[6:7], v[4:5], 1.0
	ds_write_b64 v1, v[4:5]
.LBB115_159:
	s_or_b32 exec_lo, exec_lo, s1
	s_waitcnt lgkmcnt(0)
	s_barrier
	buffer_gl0_inv
	ds_read_b64 v[238:239], v1
	s_mov_b32 s1, exec_lo
	v_cmpx_lt_u32_e32 31, v0
	s_cbranch_execz .LBB115_161
; %bb.160:
	s_waitcnt lgkmcnt(0)
	v_mul_f64 v[144:145], v[238:239], v[144:145]
	ds_read2_b64 v[4:7], v54 offset0:32 offset1:33
	s_waitcnt lgkmcnt(0)
	v_fma_f64 v[182:183], -v[144:145], v[4:5], v[182:183]
	v_fma_f64 v[142:143], -v[144:145], v[6:7], v[142:143]
	ds_read2_b64 v[4:7], v54 offset0:34 offset1:35
	s_waitcnt lgkmcnt(0)
	v_fma_f64 v[180:181], -v[144:145], v[4:5], v[180:181]
	v_fma_f64 v[140:141], -v[144:145], v[6:7], v[140:141]
	;; [unrolled: 4-line block ×13, first 2 shown]
.LBB115_161:
	s_or_b32 exec_lo, exec_lo, s1
	s_mov_b32 s1, exec_lo
	s_waitcnt lgkmcnt(0)
	s_barrier
	buffer_gl0_inv
	v_cmpx_eq_u32_e32 32, v0
	s_cbranch_execz .LBB115_164
; %bb.162:
	ds_write_b64 v1, v[182:183]
	ds_write2_b64 v54, v[142:143], v[180:181] offset0:33 offset1:34
	ds_write2_b64 v54, v[140:141], v[178:179] offset0:35 offset1:36
	;; [unrolled: 1-line block ×12, first 2 shown]
	ds_write_b64 v54, v[234:235] offset:456
	ds_read_b64 v[4:5], v1
	s_waitcnt lgkmcnt(0)
	v_cmp_neq_f64_e32 vcc_lo, 0, v[4:5]
	s_and_b32 exec_lo, exec_lo, vcc_lo
	s_cbranch_execz .LBB115_164
; %bb.163:
	v_div_scale_f64 v[6:7], null, v[4:5], v[4:5], 1.0
	v_rcp_f64_e32 v[8:9], v[6:7]
	v_fma_f64 v[10:11], -v[6:7], v[8:9], 1.0
	v_fma_f64 v[8:9], v[8:9], v[10:11], v[8:9]
	v_fma_f64 v[10:11], -v[6:7], v[8:9], 1.0
	v_fma_f64 v[8:9], v[8:9], v[10:11], v[8:9]
	v_div_scale_f64 v[10:11], vcc_lo, 1.0, v[4:5], 1.0
	v_mul_f64 v[12:13], v[10:11], v[8:9]
	v_fma_f64 v[6:7], -v[6:7], v[12:13], v[10:11]
	v_div_fmas_f64 v[6:7], v[6:7], v[8:9], v[12:13]
	v_div_fixup_f64 v[4:5], v[6:7], v[4:5], 1.0
	ds_write_b64 v1, v[4:5]
.LBB115_164:
	s_or_b32 exec_lo, exec_lo, s1
	s_waitcnt lgkmcnt(0)
	s_barrier
	buffer_gl0_inv
	ds_read_b64 v[240:241], v1
	s_mov_b32 s1, exec_lo
	v_cmpx_lt_u32_e32 32, v0
	s_cbranch_execz .LBB115_166
; %bb.165:
	s_waitcnt lgkmcnt(0)
	v_mul_f64 v[182:183], v[240:241], v[182:183]
	ds_read2_b64 v[4:7], v54 offset0:33 offset1:34
	s_waitcnt lgkmcnt(0)
	v_fma_f64 v[142:143], -v[182:183], v[4:5], v[142:143]
	v_fma_f64 v[180:181], -v[182:183], v[6:7], v[180:181]
	ds_read2_b64 v[4:7], v54 offset0:35 offset1:36
	s_waitcnt lgkmcnt(0)
	v_fma_f64 v[140:141], -v[182:183], v[4:5], v[140:141]
	v_fma_f64 v[178:179], -v[182:183], v[6:7], v[178:179]
	;; [unrolled: 4-line block ×11, first 2 shown]
	ds_read2_b64 v[4:7], v54 offset0:55 offset1:56
	s_waitcnt lgkmcnt(0)
	v_fma_f64 v[120:121], -v[182:183], v[4:5], v[120:121]
	ds_read_b64 v[4:5], v54 offset:456
	v_fma_f64 v[158:159], -v[182:183], v[6:7], v[158:159]
	s_waitcnt lgkmcnt(0)
	v_fma_f64 v[234:235], -v[182:183], v[4:5], v[234:235]
.LBB115_166:
	s_or_b32 exec_lo, exec_lo, s1
	s_mov_b32 s1, exec_lo
	s_waitcnt lgkmcnt(0)
	s_barrier
	buffer_gl0_inv
	v_cmpx_eq_u32_e32 33, v0
	s_cbranch_execz .LBB115_169
; %bb.167:
	v_mov_b32_e32 v4, v180
	v_mov_b32_e32 v5, v181
	;; [unrolled: 1-line block ×4, first 2 shown]
	ds_write_b64 v1, v[142:143]
	ds_write2_b64 v54, v[4:5], v[6:7] offset0:34 offset1:35
	v_mov_b32_e32 v4, v178
	v_mov_b32_e32 v5, v179
	v_mov_b32_e32 v6, v138
	v_mov_b32_e32 v7, v139
	ds_write2_b64 v54, v[4:5], v[6:7] offset0:36 offset1:37
	v_mov_b32_e32 v4, v176
	v_mov_b32_e32 v5, v177
	v_mov_b32_e32 v6, v136
	v_mov_b32_e32 v7, v137
	;; [unrolled: 5-line block ×10, first 2 shown]
	ds_write2_b64 v54, v[4:5], v[6:7] offset0:54 offset1:55
	v_mov_b32_e32 v4, v158
	v_mov_b32_e32 v5, v159
	ds_write2_b64 v54, v[4:5], v[234:235] offset0:56 offset1:57
	ds_read_b64 v[4:5], v1
	s_waitcnt lgkmcnt(0)
	v_cmp_neq_f64_e32 vcc_lo, 0, v[4:5]
	s_and_b32 exec_lo, exec_lo, vcc_lo
	s_cbranch_execz .LBB115_169
; %bb.168:
	v_div_scale_f64 v[6:7], null, v[4:5], v[4:5], 1.0
	v_rcp_f64_e32 v[8:9], v[6:7]
	v_fma_f64 v[10:11], -v[6:7], v[8:9], 1.0
	v_fma_f64 v[8:9], v[8:9], v[10:11], v[8:9]
	v_fma_f64 v[10:11], -v[6:7], v[8:9], 1.0
	v_fma_f64 v[8:9], v[8:9], v[10:11], v[8:9]
	v_div_scale_f64 v[10:11], vcc_lo, 1.0, v[4:5], 1.0
	v_mul_f64 v[12:13], v[10:11], v[8:9]
	v_fma_f64 v[6:7], -v[6:7], v[12:13], v[10:11]
	v_div_fmas_f64 v[6:7], v[6:7], v[8:9], v[12:13]
	v_div_fixup_f64 v[4:5], v[6:7], v[4:5], 1.0
	ds_write_b64 v1, v[4:5]
.LBB115_169:
	s_or_b32 exec_lo, exec_lo, s1
	s_waitcnt lgkmcnt(0)
	s_barrier
	buffer_gl0_inv
	ds_read_b64 v[4:5], v1
	s_mov_b32 s1, exec_lo
	v_cmpx_lt_u32_e32 33, v0
	s_cbranch_execz .LBB115_171
; %bb.170:
	s_waitcnt lgkmcnt(0)
	v_mul_f64 v[142:143], v[4:5], v[142:143]
	ds_read2_b64 v[6:9], v54 offset0:34 offset1:35
	s_waitcnt lgkmcnt(0)
	v_fma_f64 v[180:181], -v[142:143], v[6:7], v[180:181]
	v_fma_f64 v[140:141], -v[142:143], v[8:9], v[140:141]
	ds_read2_b64 v[6:9], v54 offset0:36 offset1:37
	s_waitcnt lgkmcnt(0)
	v_fma_f64 v[178:179], -v[142:143], v[6:7], v[178:179]
	v_fma_f64 v[138:139], -v[142:143], v[8:9], v[138:139]
	;; [unrolled: 4-line block ×12, first 2 shown]
.LBB115_171:
	s_or_b32 exec_lo, exec_lo, s1
	s_mov_b32 s1, exec_lo
	s_waitcnt lgkmcnt(0)
	s_barrier
	buffer_gl0_inv
	v_cmpx_eq_u32_e32 34, v0
	s_cbranch_execz .LBB115_174
; %bb.172:
	ds_write_b64 v1, v[180:181]
	ds_write2_b64 v54, v[140:141], v[178:179] offset0:35 offset1:36
	ds_write2_b64 v54, v[138:139], v[176:177] offset0:37 offset1:38
	;; [unrolled: 1-line block ×11, first 2 shown]
	ds_write_b64 v54, v[234:235] offset:456
	ds_read_b64 v[6:7], v1
	s_waitcnt lgkmcnt(0)
	v_cmp_neq_f64_e32 vcc_lo, 0, v[6:7]
	s_and_b32 exec_lo, exec_lo, vcc_lo
	s_cbranch_execz .LBB115_174
; %bb.173:
	v_div_scale_f64 v[8:9], null, v[6:7], v[6:7], 1.0
	v_rcp_f64_e32 v[10:11], v[8:9]
	v_fma_f64 v[12:13], -v[8:9], v[10:11], 1.0
	v_fma_f64 v[10:11], v[10:11], v[12:13], v[10:11]
	v_fma_f64 v[12:13], -v[8:9], v[10:11], 1.0
	v_fma_f64 v[10:11], v[10:11], v[12:13], v[10:11]
	v_div_scale_f64 v[12:13], vcc_lo, 1.0, v[6:7], 1.0
	v_mul_f64 v[14:15], v[12:13], v[10:11]
	v_fma_f64 v[8:9], -v[8:9], v[14:15], v[12:13]
	v_div_fmas_f64 v[8:9], v[8:9], v[10:11], v[14:15]
	v_div_fixup_f64 v[6:7], v[8:9], v[6:7], 1.0
	ds_write_b64 v1, v[6:7]
.LBB115_174:
	s_or_b32 exec_lo, exec_lo, s1
	s_waitcnt lgkmcnt(0)
	s_barrier
	buffer_gl0_inv
	ds_read_b64 v[6:7], v1
	s_mov_b32 s1, exec_lo
	v_cmpx_lt_u32_e32 34, v0
	s_cbranch_execz .LBB115_176
; %bb.175:
	s_waitcnt lgkmcnt(0)
	v_mul_f64 v[180:181], v[6:7], v[180:181]
	ds_read2_b64 v[8:11], v54 offset0:35 offset1:36
	s_waitcnt lgkmcnt(0)
	v_fma_f64 v[140:141], -v[180:181], v[8:9], v[140:141]
	v_fma_f64 v[178:179], -v[180:181], v[10:11], v[178:179]
	ds_read2_b64 v[8:11], v54 offset0:37 offset1:38
	s_waitcnt lgkmcnt(0)
	v_fma_f64 v[138:139], -v[180:181], v[8:9], v[138:139]
	v_fma_f64 v[176:177], -v[180:181], v[10:11], v[176:177]
	;; [unrolled: 4-line block ×10, first 2 shown]
	ds_read2_b64 v[8:11], v54 offset0:55 offset1:56
	s_waitcnt lgkmcnt(0)
	v_fma_f64 v[120:121], -v[180:181], v[8:9], v[120:121]
	ds_read_b64 v[8:9], v54 offset:456
	v_fma_f64 v[158:159], -v[180:181], v[10:11], v[158:159]
	s_waitcnt lgkmcnt(0)
	v_fma_f64 v[234:235], -v[180:181], v[8:9], v[234:235]
.LBB115_176:
	s_or_b32 exec_lo, exec_lo, s1
	s_mov_b32 s1, exec_lo
	s_waitcnt lgkmcnt(0)
	s_barrier
	buffer_gl0_inv
	v_cmpx_eq_u32_e32 35, v0
	s_cbranch_execz .LBB115_179
; %bb.177:
	v_mov_b32_e32 v8, v178
	v_mov_b32_e32 v9, v179
	;; [unrolled: 1-line block ×4, first 2 shown]
	ds_write_b64 v1, v[140:141]
	ds_write2_b64 v54, v[8:9], v[10:11] offset0:36 offset1:37
	v_mov_b32_e32 v8, v176
	v_mov_b32_e32 v9, v177
	v_mov_b32_e32 v10, v136
	v_mov_b32_e32 v11, v137
	ds_write2_b64 v54, v[8:9], v[10:11] offset0:38 offset1:39
	v_mov_b32_e32 v8, v174
	v_mov_b32_e32 v9, v175
	v_mov_b32_e32 v10, v134
	v_mov_b32_e32 v11, v135
	;; [unrolled: 5-line block ×9, first 2 shown]
	ds_write2_b64 v54, v[8:9], v[10:11] offset0:54 offset1:55
	v_mov_b32_e32 v8, v158
	v_mov_b32_e32 v9, v159
	ds_write2_b64 v54, v[8:9], v[234:235] offset0:56 offset1:57
	ds_read_b64 v[8:9], v1
	s_waitcnt lgkmcnt(0)
	v_cmp_neq_f64_e32 vcc_lo, 0, v[8:9]
	s_and_b32 exec_lo, exec_lo, vcc_lo
	s_cbranch_execz .LBB115_179
; %bb.178:
	v_div_scale_f64 v[10:11], null, v[8:9], v[8:9], 1.0
	v_rcp_f64_e32 v[12:13], v[10:11]
	v_fma_f64 v[14:15], -v[10:11], v[12:13], 1.0
	v_fma_f64 v[12:13], v[12:13], v[14:15], v[12:13]
	v_fma_f64 v[14:15], -v[10:11], v[12:13], 1.0
	v_fma_f64 v[12:13], v[12:13], v[14:15], v[12:13]
	v_div_scale_f64 v[14:15], vcc_lo, 1.0, v[8:9], 1.0
	v_mul_f64 v[16:17], v[14:15], v[12:13]
	v_fma_f64 v[10:11], -v[10:11], v[16:17], v[14:15]
	v_div_fmas_f64 v[10:11], v[10:11], v[12:13], v[16:17]
	v_div_fixup_f64 v[8:9], v[10:11], v[8:9], 1.0
	ds_write_b64 v1, v[8:9]
.LBB115_179:
	s_or_b32 exec_lo, exec_lo, s1
	s_waitcnt lgkmcnt(0)
	s_barrier
	buffer_gl0_inv
	ds_read_b64 v[8:9], v1
	s_mov_b32 s1, exec_lo
	v_cmpx_lt_u32_e32 35, v0
	s_cbranch_execz .LBB115_181
; %bb.180:
	s_waitcnt lgkmcnt(0)
	v_mul_f64 v[140:141], v[8:9], v[140:141]
	ds_read2_b64 v[10:13], v54 offset0:36 offset1:37
	s_waitcnt lgkmcnt(0)
	v_fma_f64 v[178:179], -v[140:141], v[10:11], v[178:179]
	v_fma_f64 v[138:139], -v[140:141], v[12:13], v[138:139]
	ds_read2_b64 v[10:13], v54 offset0:38 offset1:39
	s_waitcnt lgkmcnt(0)
	v_fma_f64 v[176:177], -v[140:141], v[10:11], v[176:177]
	v_fma_f64 v[136:137], -v[140:141], v[12:13], v[136:137]
	;; [unrolled: 4-line block ×11, first 2 shown]
.LBB115_181:
	s_or_b32 exec_lo, exec_lo, s1
	s_mov_b32 s1, exec_lo
	s_waitcnt lgkmcnt(0)
	s_barrier
	buffer_gl0_inv
	v_cmpx_eq_u32_e32 36, v0
	s_cbranch_execz .LBB115_184
; %bb.182:
	ds_write_b64 v1, v[178:179]
	ds_write2_b64 v54, v[138:139], v[176:177] offset0:37 offset1:38
	ds_write2_b64 v54, v[136:137], v[174:175] offset0:39 offset1:40
	;; [unrolled: 1-line block ×10, first 2 shown]
	ds_write_b64 v54, v[234:235] offset:456
	ds_read_b64 v[10:11], v1
	s_waitcnt lgkmcnt(0)
	v_cmp_neq_f64_e32 vcc_lo, 0, v[10:11]
	s_and_b32 exec_lo, exec_lo, vcc_lo
	s_cbranch_execz .LBB115_184
; %bb.183:
	v_div_scale_f64 v[12:13], null, v[10:11], v[10:11], 1.0
	v_rcp_f64_e32 v[14:15], v[12:13]
	v_fma_f64 v[16:17], -v[12:13], v[14:15], 1.0
	v_fma_f64 v[14:15], v[14:15], v[16:17], v[14:15]
	v_fma_f64 v[16:17], -v[12:13], v[14:15], 1.0
	v_fma_f64 v[14:15], v[14:15], v[16:17], v[14:15]
	v_div_scale_f64 v[16:17], vcc_lo, 1.0, v[10:11], 1.0
	v_mul_f64 v[18:19], v[16:17], v[14:15]
	v_fma_f64 v[12:13], -v[12:13], v[18:19], v[16:17]
	v_div_fmas_f64 v[12:13], v[12:13], v[14:15], v[18:19]
	v_div_fixup_f64 v[10:11], v[12:13], v[10:11], 1.0
	ds_write_b64 v1, v[10:11]
.LBB115_184:
	s_or_b32 exec_lo, exec_lo, s1
	s_waitcnt lgkmcnt(0)
	s_barrier
	buffer_gl0_inv
	ds_read_b64 v[10:11], v1
	s_mov_b32 s1, exec_lo
	v_cmpx_lt_u32_e32 36, v0
	s_cbranch_execz .LBB115_186
; %bb.185:
	s_waitcnt lgkmcnt(0)
	v_mul_f64 v[178:179], v[10:11], v[178:179]
	ds_read2_b64 v[12:15], v54 offset0:37 offset1:38
	s_waitcnt lgkmcnt(0)
	v_fma_f64 v[138:139], -v[178:179], v[12:13], v[138:139]
	v_fma_f64 v[176:177], -v[178:179], v[14:15], v[176:177]
	ds_read2_b64 v[12:15], v54 offset0:39 offset1:40
	s_waitcnt lgkmcnt(0)
	v_fma_f64 v[136:137], -v[178:179], v[12:13], v[136:137]
	v_fma_f64 v[174:175], -v[178:179], v[14:15], v[174:175]
	;; [unrolled: 4-line block ×9, first 2 shown]
	ds_read2_b64 v[12:15], v54 offset0:55 offset1:56
	s_waitcnt lgkmcnt(0)
	v_fma_f64 v[120:121], -v[178:179], v[12:13], v[120:121]
	ds_read_b64 v[12:13], v54 offset:456
	v_fma_f64 v[158:159], -v[178:179], v[14:15], v[158:159]
	s_waitcnt lgkmcnt(0)
	v_fma_f64 v[234:235], -v[178:179], v[12:13], v[234:235]
.LBB115_186:
	s_or_b32 exec_lo, exec_lo, s1
	s_mov_b32 s1, exec_lo
	s_waitcnt lgkmcnt(0)
	s_barrier
	buffer_gl0_inv
	v_cmpx_eq_u32_e32 37, v0
	s_cbranch_execz .LBB115_189
; %bb.187:
	v_mov_b32_e32 v12, v176
	v_mov_b32_e32 v13, v177
	;; [unrolled: 1-line block ×4, first 2 shown]
	ds_write_b64 v1, v[138:139]
	ds_write2_b64 v54, v[12:13], v[14:15] offset0:38 offset1:39
	v_mov_b32_e32 v12, v174
	v_mov_b32_e32 v13, v175
	v_mov_b32_e32 v14, v134
	v_mov_b32_e32 v15, v135
	ds_write2_b64 v54, v[12:13], v[14:15] offset0:40 offset1:41
	v_mov_b32_e32 v12, v172
	v_mov_b32_e32 v13, v173
	v_mov_b32_e32 v14, v132
	v_mov_b32_e32 v15, v133
	;; [unrolled: 5-line block ×8, first 2 shown]
	ds_write2_b64 v54, v[12:13], v[14:15] offset0:54 offset1:55
	v_mov_b32_e32 v12, v158
	v_mov_b32_e32 v13, v159
	ds_write2_b64 v54, v[12:13], v[234:235] offset0:56 offset1:57
	ds_read_b64 v[12:13], v1
	s_waitcnt lgkmcnt(0)
	v_cmp_neq_f64_e32 vcc_lo, 0, v[12:13]
	s_and_b32 exec_lo, exec_lo, vcc_lo
	s_cbranch_execz .LBB115_189
; %bb.188:
	v_div_scale_f64 v[14:15], null, v[12:13], v[12:13], 1.0
	v_rcp_f64_e32 v[16:17], v[14:15]
	v_fma_f64 v[18:19], -v[14:15], v[16:17], 1.0
	v_fma_f64 v[16:17], v[16:17], v[18:19], v[16:17]
	v_fma_f64 v[18:19], -v[14:15], v[16:17], 1.0
	v_fma_f64 v[16:17], v[16:17], v[18:19], v[16:17]
	v_div_scale_f64 v[18:19], vcc_lo, 1.0, v[12:13], 1.0
	v_mul_f64 v[20:21], v[18:19], v[16:17]
	v_fma_f64 v[14:15], -v[14:15], v[20:21], v[18:19]
	v_div_fmas_f64 v[14:15], v[14:15], v[16:17], v[20:21]
	v_div_fixup_f64 v[12:13], v[14:15], v[12:13], 1.0
	ds_write_b64 v1, v[12:13]
.LBB115_189:
	s_or_b32 exec_lo, exec_lo, s1
	s_waitcnt lgkmcnt(0)
	s_barrier
	buffer_gl0_inv
	ds_read_b64 v[12:13], v1
	s_mov_b32 s1, exec_lo
	v_cmpx_lt_u32_e32 37, v0
	s_cbranch_execz .LBB115_191
; %bb.190:
	s_waitcnt lgkmcnt(0)
	v_mul_f64 v[138:139], v[12:13], v[138:139]
	ds_read2_b64 v[14:17], v54 offset0:38 offset1:39
	s_waitcnt lgkmcnt(0)
	v_fma_f64 v[176:177], -v[138:139], v[14:15], v[176:177]
	v_fma_f64 v[136:137], -v[138:139], v[16:17], v[136:137]
	ds_read2_b64 v[14:17], v54 offset0:40 offset1:41
	s_waitcnt lgkmcnt(0)
	v_fma_f64 v[174:175], -v[138:139], v[14:15], v[174:175]
	v_fma_f64 v[134:135], -v[138:139], v[16:17], v[134:135]
	;; [unrolled: 4-line block ×10, first 2 shown]
.LBB115_191:
	s_or_b32 exec_lo, exec_lo, s1
	s_mov_b32 s1, exec_lo
	s_waitcnt lgkmcnt(0)
	s_barrier
	buffer_gl0_inv
	v_cmpx_eq_u32_e32 38, v0
	s_cbranch_execz .LBB115_194
; %bb.192:
	ds_write_b64 v1, v[176:177]
	ds_write2_b64 v54, v[136:137], v[174:175] offset0:39 offset1:40
	ds_write2_b64 v54, v[134:135], v[172:173] offset0:41 offset1:42
	;; [unrolled: 1-line block ×9, first 2 shown]
	ds_write_b64 v54, v[234:235] offset:456
	ds_read_b64 v[14:15], v1
	s_waitcnt lgkmcnt(0)
	v_cmp_neq_f64_e32 vcc_lo, 0, v[14:15]
	s_and_b32 exec_lo, exec_lo, vcc_lo
	s_cbranch_execz .LBB115_194
; %bb.193:
	v_div_scale_f64 v[16:17], null, v[14:15], v[14:15], 1.0
	v_rcp_f64_e32 v[18:19], v[16:17]
	v_fma_f64 v[20:21], -v[16:17], v[18:19], 1.0
	v_fma_f64 v[18:19], v[18:19], v[20:21], v[18:19]
	v_fma_f64 v[20:21], -v[16:17], v[18:19], 1.0
	v_fma_f64 v[18:19], v[18:19], v[20:21], v[18:19]
	v_div_scale_f64 v[20:21], vcc_lo, 1.0, v[14:15], 1.0
	v_mul_f64 v[22:23], v[20:21], v[18:19]
	v_fma_f64 v[16:17], -v[16:17], v[22:23], v[20:21]
	v_div_fmas_f64 v[16:17], v[16:17], v[18:19], v[22:23]
	v_div_fixup_f64 v[14:15], v[16:17], v[14:15], 1.0
	ds_write_b64 v1, v[14:15]
.LBB115_194:
	s_or_b32 exec_lo, exec_lo, s1
	s_waitcnt lgkmcnt(0)
	s_barrier
	buffer_gl0_inv
	ds_read_b64 v[14:15], v1
	s_mov_b32 s1, exec_lo
	v_cmpx_lt_u32_e32 38, v0
	s_cbranch_execz .LBB115_196
; %bb.195:
	s_waitcnt lgkmcnt(0)
	v_mul_f64 v[176:177], v[14:15], v[176:177]
	ds_read2_b64 v[16:19], v54 offset0:39 offset1:40
	s_waitcnt lgkmcnt(0)
	v_fma_f64 v[136:137], -v[176:177], v[16:17], v[136:137]
	v_fma_f64 v[174:175], -v[176:177], v[18:19], v[174:175]
	ds_read2_b64 v[16:19], v54 offset0:41 offset1:42
	s_waitcnt lgkmcnt(0)
	v_fma_f64 v[134:135], -v[176:177], v[16:17], v[134:135]
	v_fma_f64 v[172:173], -v[176:177], v[18:19], v[172:173]
	;; [unrolled: 4-line block ×8, first 2 shown]
	ds_read2_b64 v[16:19], v54 offset0:55 offset1:56
	s_waitcnt lgkmcnt(0)
	v_fma_f64 v[120:121], -v[176:177], v[16:17], v[120:121]
	ds_read_b64 v[16:17], v54 offset:456
	v_fma_f64 v[158:159], -v[176:177], v[18:19], v[158:159]
	s_waitcnt lgkmcnt(0)
	v_fma_f64 v[234:235], -v[176:177], v[16:17], v[234:235]
.LBB115_196:
	s_or_b32 exec_lo, exec_lo, s1
	s_mov_b32 s1, exec_lo
	s_waitcnt lgkmcnt(0)
	s_barrier
	buffer_gl0_inv
	v_cmpx_eq_u32_e32 39, v0
	s_cbranch_execz .LBB115_199
; %bb.197:
	v_mov_b32_e32 v16, v174
	v_mov_b32_e32 v17, v175
	;; [unrolled: 1-line block ×4, first 2 shown]
	ds_write_b64 v1, v[136:137]
	ds_write2_b64 v54, v[16:17], v[18:19] offset0:40 offset1:41
	v_mov_b32_e32 v16, v172
	v_mov_b32_e32 v17, v173
	v_mov_b32_e32 v18, v132
	v_mov_b32_e32 v19, v133
	ds_write2_b64 v54, v[16:17], v[18:19] offset0:42 offset1:43
	v_mov_b32_e32 v16, v170
	v_mov_b32_e32 v17, v171
	v_mov_b32_e32 v18, v130
	v_mov_b32_e32 v19, v131
	;; [unrolled: 5-line block ×7, first 2 shown]
	ds_write2_b64 v54, v[16:17], v[18:19] offset0:54 offset1:55
	v_mov_b32_e32 v16, v158
	v_mov_b32_e32 v17, v159
	ds_write2_b64 v54, v[16:17], v[234:235] offset0:56 offset1:57
	ds_read_b64 v[16:17], v1
	s_waitcnt lgkmcnt(0)
	v_cmp_neq_f64_e32 vcc_lo, 0, v[16:17]
	s_and_b32 exec_lo, exec_lo, vcc_lo
	s_cbranch_execz .LBB115_199
; %bb.198:
	v_div_scale_f64 v[18:19], null, v[16:17], v[16:17], 1.0
	v_rcp_f64_e32 v[20:21], v[18:19]
	v_fma_f64 v[22:23], -v[18:19], v[20:21], 1.0
	v_fma_f64 v[20:21], v[20:21], v[22:23], v[20:21]
	v_fma_f64 v[22:23], -v[18:19], v[20:21], 1.0
	v_fma_f64 v[20:21], v[20:21], v[22:23], v[20:21]
	v_div_scale_f64 v[22:23], vcc_lo, 1.0, v[16:17], 1.0
	v_mul_f64 v[24:25], v[22:23], v[20:21]
	v_fma_f64 v[18:19], -v[18:19], v[24:25], v[22:23]
	v_div_fmas_f64 v[18:19], v[18:19], v[20:21], v[24:25]
	v_div_fixup_f64 v[16:17], v[18:19], v[16:17], 1.0
	ds_write_b64 v1, v[16:17]
.LBB115_199:
	s_or_b32 exec_lo, exec_lo, s1
	s_waitcnt lgkmcnt(0)
	s_barrier
	buffer_gl0_inv
	ds_read_b64 v[16:17], v1
	s_mov_b32 s1, exec_lo
	v_cmpx_lt_u32_e32 39, v0
	s_cbranch_execz .LBB115_201
; %bb.200:
	s_waitcnt lgkmcnt(0)
	v_mul_f64 v[136:137], v[16:17], v[136:137]
	ds_read2_b64 v[18:21], v54 offset0:40 offset1:41
	s_waitcnt lgkmcnt(0)
	v_fma_f64 v[174:175], -v[136:137], v[18:19], v[174:175]
	v_fma_f64 v[134:135], -v[136:137], v[20:21], v[134:135]
	ds_read2_b64 v[18:21], v54 offset0:42 offset1:43
	s_waitcnt lgkmcnt(0)
	v_fma_f64 v[172:173], -v[136:137], v[18:19], v[172:173]
	v_fma_f64 v[132:133], -v[136:137], v[20:21], v[132:133]
	;; [unrolled: 4-line block ×9, first 2 shown]
.LBB115_201:
	s_or_b32 exec_lo, exec_lo, s1
	s_mov_b32 s1, exec_lo
	s_waitcnt lgkmcnt(0)
	s_barrier
	buffer_gl0_inv
	v_cmpx_eq_u32_e32 40, v0
	s_cbranch_execz .LBB115_204
; %bb.202:
	ds_write_b64 v1, v[174:175]
	ds_write2_b64 v54, v[134:135], v[172:173] offset0:41 offset1:42
	ds_write2_b64 v54, v[132:133], v[170:171] offset0:43 offset1:44
	;; [unrolled: 1-line block ×8, first 2 shown]
	ds_write_b64 v54, v[234:235] offset:456
	ds_read_b64 v[18:19], v1
	s_waitcnt lgkmcnt(0)
	v_cmp_neq_f64_e32 vcc_lo, 0, v[18:19]
	s_and_b32 exec_lo, exec_lo, vcc_lo
	s_cbranch_execz .LBB115_204
; %bb.203:
	v_div_scale_f64 v[20:21], null, v[18:19], v[18:19], 1.0
	v_rcp_f64_e32 v[22:23], v[20:21]
	v_fma_f64 v[24:25], -v[20:21], v[22:23], 1.0
	v_fma_f64 v[22:23], v[22:23], v[24:25], v[22:23]
	v_fma_f64 v[24:25], -v[20:21], v[22:23], 1.0
	v_fma_f64 v[22:23], v[22:23], v[24:25], v[22:23]
	v_div_scale_f64 v[24:25], vcc_lo, 1.0, v[18:19], 1.0
	v_mul_f64 v[26:27], v[24:25], v[22:23]
	v_fma_f64 v[20:21], -v[20:21], v[26:27], v[24:25]
	v_div_fmas_f64 v[20:21], v[20:21], v[22:23], v[26:27]
	v_div_fixup_f64 v[18:19], v[20:21], v[18:19], 1.0
	ds_write_b64 v1, v[18:19]
.LBB115_204:
	s_or_b32 exec_lo, exec_lo, s1
	s_waitcnt lgkmcnt(0)
	s_barrier
	buffer_gl0_inv
	ds_read_b64 v[18:19], v1
	s_mov_b32 s1, exec_lo
	v_cmpx_lt_u32_e32 40, v0
	s_cbranch_execz .LBB115_206
; %bb.205:
	s_waitcnt lgkmcnt(0)
	v_mul_f64 v[174:175], v[18:19], v[174:175]
	ds_read2_b64 v[20:23], v54 offset0:41 offset1:42
	s_waitcnt lgkmcnt(0)
	v_fma_f64 v[134:135], -v[174:175], v[20:21], v[134:135]
	v_fma_f64 v[172:173], -v[174:175], v[22:23], v[172:173]
	ds_read2_b64 v[20:23], v54 offset0:43 offset1:44
	s_waitcnt lgkmcnt(0)
	v_fma_f64 v[132:133], -v[174:175], v[20:21], v[132:133]
	v_fma_f64 v[170:171], -v[174:175], v[22:23], v[170:171]
	;; [unrolled: 4-line block ×7, first 2 shown]
	ds_read2_b64 v[20:23], v54 offset0:55 offset1:56
	s_waitcnt lgkmcnt(0)
	v_fma_f64 v[120:121], -v[174:175], v[20:21], v[120:121]
	ds_read_b64 v[20:21], v54 offset:456
	v_fma_f64 v[158:159], -v[174:175], v[22:23], v[158:159]
	s_waitcnt lgkmcnt(0)
	v_fma_f64 v[234:235], -v[174:175], v[20:21], v[234:235]
.LBB115_206:
	s_or_b32 exec_lo, exec_lo, s1
	s_mov_b32 s1, exec_lo
	s_waitcnt lgkmcnt(0)
	s_barrier
	buffer_gl0_inv
	v_cmpx_eq_u32_e32 41, v0
	s_cbranch_execz .LBB115_209
; %bb.207:
	v_mov_b32_e32 v20, v172
	v_mov_b32_e32 v21, v173
	;; [unrolled: 1-line block ×4, first 2 shown]
	ds_write_b64 v1, v[134:135]
	ds_write2_b64 v54, v[20:21], v[22:23] offset0:42 offset1:43
	v_mov_b32_e32 v20, v170
	v_mov_b32_e32 v21, v171
	v_mov_b32_e32 v22, v130
	v_mov_b32_e32 v23, v131
	ds_write2_b64 v54, v[20:21], v[22:23] offset0:44 offset1:45
	v_mov_b32_e32 v20, v168
	v_mov_b32_e32 v21, v169
	v_mov_b32_e32 v22, v128
	v_mov_b32_e32 v23, v129
	;; [unrolled: 5-line block ×6, first 2 shown]
	ds_write2_b64 v54, v[20:21], v[22:23] offset0:54 offset1:55
	v_mov_b32_e32 v20, v158
	v_mov_b32_e32 v21, v159
	ds_write2_b64 v54, v[20:21], v[234:235] offset0:56 offset1:57
	ds_read_b64 v[20:21], v1
	s_waitcnt lgkmcnt(0)
	v_cmp_neq_f64_e32 vcc_lo, 0, v[20:21]
	s_and_b32 exec_lo, exec_lo, vcc_lo
	s_cbranch_execz .LBB115_209
; %bb.208:
	v_div_scale_f64 v[22:23], null, v[20:21], v[20:21], 1.0
	v_rcp_f64_e32 v[24:25], v[22:23]
	v_fma_f64 v[26:27], -v[22:23], v[24:25], 1.0
	v_fma_f64 v[24:25], v[24:25], v[26:27], v[24:25]
	v_fma_f64 v[26:27], -v[22:23], v[24:25], 1.0
	v_fma_f64 v[24:25], v[24:25], v[26:27], v[24:25]
	v_div_scale_f64 v[26:27], vcc_lo, 1.0, v[20:21], 1.0
	v_mul_f64 v[28:29], v[26:27], v[24:25]
	v_fma_f64 v[22:23], -v[22:23], v[28:29], v[26:27]
	v_div_fmas_f64 v[22:23], v[22:23], v[24:25], v[28:29]
	v_div_fixup_f64 v[20:21], v[22:23], v[20:21], 1.0
	ds_write_b64 v1, v[20:21]
.LBB115_209:
	s_or_b32 exec_lo, exec_lo, s1
	s_waitcnt lgkmcnt(0)
	s_barrier
	buffer_gl0_inv
	ds_read_b64 v[20:21], v1
	s_mov_b32 s1, exec_lo
	v_cmpx_lt_u32_e32 41, v0
	s_cbranch_execz .LBB115_211
; %bb.210:
	s_waitcnt lgkmcnt(0)
	v_mul_f64 v[134:135], v[20:21], v[134:135]
	ds_read2_b64 v[22:25], v54 offset0:42 offset1:43
	s_waitcnt lgkmcnt(0)
	v_fma_f64 v[172:173], -v[134:135], v[22:23], v[172:173]
	v_fma_f64 v[132:133], -v[134:135], v[24:25], v[132:133]
	ds_read2_b64 v[22:25], v54 offset0:44 offset1:45
	s_waitcnt lgkmcnt(0)
	v_fma_f64 v[170:171], -v[134:135], v[22:23], v[170:171]
	v_fma_f64 v[130:131], -v[134:135], v[24:25], v[130:131]
	;; [unrolled: 4-line block ×8, first 2 shown]
.LBB115_211:
	s_or_b32 exec_lo, exec_lo, s1
	s_mov_b32 s1, exec_lo
	s_waitcnt lgkmcnt(0)
	s_barrier
	buffer_gl0_inv
	v_cmpx_eq_u32_e32 42, v0
	s_cbranch_execz .LBB115_214
; %bb.212:
	ds_write_b64 v1, v[172:173]
	ds_write2_b64 v54, v[132:133], v[170:171] offset0:43 offset1:44
	ds_write2_b64 v54, v[130:131], v[168:169] offset0:45 offset1:46
	;; [unrolled: 1-line block ×7, first 2 shown]
	ds_write_b64 v54, v[234:235] offset:456
	ds_read_b64 v[22:23], v1
	s_waitcnt lgkmcnt(0)
	v_cmp_neq_f64_e32 vcc_lo, 0, v[22:23]
	s_and_b32 exec_lo, exec_lo, vcc_lo
	s_cbranch_execz .LBB115_214
; %bb.213:
	v_div_scale_f64 v[24:25], null, v[22:23], v[22:23], 1.0
	v_rcp_f64_e32 v[26:27], v[24:25]
	v_fma_f64 v[28:29], -v[24:25], v[26:27], 1.0
	v_fma_f64 v[26:27], v[26:27], v[28:29], v[26:27]
	v_fma_f64 v[28:29], -v[24:25], v[26:27], 1.0
	v_fma_f64 v[26:27], v[26:27], v[28:29], v[26:27]
	v_div_scale_f64 v[28:29], vcc_lo, 1.0, v[22:23], 1.0
	v_mul_f64 v[30:31], v[28:29], v[26:27]
	v_fma_f64 v[24:25], -v[24:25], v[30:31], v[28:29]
	v_div_fmas_f64 v[24:25], v[24:25], v[26:27], v[30:31]
	v_div_fixup_f64 v[22:23], v[24:25], v[22:23], 1.0
	ds_write_b64 v1, v[22:23]
.LBB115_214:
	s_or_b32 exec_lo, exec_lo, s1
	s_waitcnt lgkmcnt(0)
	s_barrier
	buffer_gl0_inv
	ds_read_b64 v[22:23], v1
	s_mov_b32 s1, exec_lo
	v_cmpx_lt_u32_e32 42, v0
	s_cbranch_execz .LBB115_216
; %bb.215:
	s_waitcnt lgkmcnt(0)
	v_mul_f64 v[172:173], v[22:23], v[172:173]
	ds_read2_b64 v[24:27], v54 offset0:43 offset1:44
	s_waitcnt lgkmcnt(0)
	v_fma_f64 v[132:133], -v[172:173], v[24:25], v[132:133]
	v_fma_f64 v[170:171], -v[172:173], v[26:27], v[170:171]
	ds_read2_b64 v[24:27], v54 offset0:45 offset1:46
	s_waitcnt lgkmcnt(0)
	v_fma_f64 v[130:131], -v[172:173], v[24:25], v[130:131]
	v_fma_f64 v[168:169], -v[172:173], v[26:27], v[168:169]
	;; [unrolled: 4-line block ×6, first 2 shown]
	ds_read2_b64 v[24:27], v54 offset0:55 offset1:56
	s_waitcnt lgkmcnt(0)
	v_fma_f64 v[120:121], -v[172:173], v[24:25], v[120:121]
	ds_read_b64 v[24:25], v54 offset:456
	v_fma_f64 v[158:159], -v[172:173], v[26:27], v[158:159]
	s_waitcnt lgkmcnt(0)
	v_fma_f64 v[234:235], -v[172:173], v[24:25], v[234:235]
.LBB115_216:
	s_or_b32 exec_lo, exec_lo, s1
	s_mov_b32 s1, exec_lo
	s_waitcnt lgkmcnt(0)
	s_barrier
	buffer_gl0_inv
	v_cmpx_eq_u32_e32 43, v0
	s_cbranch_execz .LBB115_219
; %bb.217:
	v_mov_b32_e32 v24, v170
	v_mov_b32_e32 v25, v171
	;; [unrolled: 1-line block ×4, first 2 shown]
	ds_write_b64 v1, v[132:133]
	ds_write2_b64 v54, v[24:25], v[26:27] offset0:44 offset1:45
	v_mov_b32_e32 v24, v168
	v_mov_b32_e32 v25, v169
	v_mov_b32_e32 v26, v128
	v_mov_b32_e32 v27, v129
	ds_write2_b64 v54, v[24:25], v[26:27] offset0:46 offset1:47
	v_mov_b32_e32 v24, v166
	v_mov_b32_e32 v25, v167
	v_mov_b32_e32 v26, v126
	v_mov_b32_e32 v27, v127
	;; [unrolled: 5-line block ×5, first 2 shown]
	ds_write2_b64 v54, v[24:25], v[26:27] offset0:54 offset1:55
	v_mov_b32_e32 v24, v158
	v_mov_b32_e32 v25, v159
	ds_write2_b64 v54, v[24:25], v[234:235] offset0:56 offset1:57
	ds_read_b64 v[24:25], v1
	s_waitcnt lgkmcnt(0)
	v_cmp_neq_f64_e32 vcc_lo, 0, v[24:25]
	s_and_b32 exec_lo, exec_lo, vcc_lo
	s_cbranch_execz .LBB115_219
; %bb.218:
	v_div_scale_f64 v[26:27], null, v[24:25], v[24:25], 1.0
	v_rcp_f64_e32 v[28:29], v[26:27]
	v_fma_f64 v[30:31], -v[26:27], v[28:29], 1.0
	v_fma_f64 v[28:29], v[28:29], v[30:31], v[28:29]
	v_fma_f64 v[30:31], -v[26:27], v[28:29], 1.0
	v_fma_f64 v[28:29], v[28:29], v[30:31], v[28:29]
	v_div_scale_f64 v[30:31], vcc_lo, 1.0, v[24:25], 1.0
	v_mul_f64 v[32:33], v[30:31], v[28:29]
	v_fma_f64 v[26:27], -v[26:27], v[32:33], v[30:31]
	v_div_fmas_f64 v[26:27], v[26:27], v[28:29], v[32:33]
	v_div_fixup_f64 v[24:25], v[26:27], v[24:25], 1.0
	ds_write_b64 v1, v[24:25]
.LBB115_219:
	s_or_b32 exec_lo, exec_lo, s1
	s_waitcnt lgkmcnt(0)
	s_barrier
	buffer_gl0_inv
	ds_read_b64 v[24:25], v1
	s_mov_b32 s1, exec_lo
	v_cmpx_lt_u32_e32 43, v0
	s_cbranch_execz .LBB115_221
; %bb.220:
	s_waitcnt lgkmcnt(0)
	v_mul_f64 v[132:133], v[24:25], v[132:133]
	ds_read2_b64 v[26:29], v54 offset0:44 offset1:45
	s_waitcnt lgkmcnt(0)
	v_fma_f64 v[170:171], -v[132:133], v[26:27], v[170:171]
	v_fma_f64 v[130:131], -v[132:133], v[28:29], v[130:131]
	ds_read2_b64 v[26:29], v54 offset0:46 offset1:47
	s_waitcnt lgkmcnt(0)
	v_fma_f64 v[168:169], -v[132:133], v[26:27], v[168:169]
	v_fma_f64 v[128:129], -v[132:133], v[28:29], v[128:129]
	;; [unrolled: 4-line block ×7, first 2 shown]
.LBB115_221:
	s_or_b32 exec_lo, exec_lo, s1
	s_mov_b32 s1, exec_lo
	s_waitcnt lgkmcnt(0)
	s_barrier
	buffer_gl0_inv
	v_cmpx_eq_u32_e32 44, v0
	s_cbranch_execz .LBB115_224
; %bb.222:
	ds_write_b64 v1, v[170:171]
	ds_write2_b64 v54, v[130:131], v[168:169] offset0:45 offset1:46
	ds_write2_b64 v54, v[128:129], v[166:167] offset0:47 offset1:48
	;; [unrolled: 1-line block ×6, first 2 shown]
	ds_write_b64 v54, v[234:235] offset:456
	ds_read_b64 v[26:27], v1
	s_waitcnt lgkmcnt(0)
	v_cmp_neq_f64_e32 vcc_lo, 0, v[26:27]
	s_and_b32 exec_lo, exec_lo, vcc_lo
	s_cbranch_execz .LBB115_224
; %bb.223:
	v_div_scale_f64 v[28:29], null, v[26:27], v[26:27], 1.0
	v_rcp_f64_e32 v[30:31], v[28:29]
	v_fma_f64 v[32:33], -v[28:29], v[30:31], 1.0
	v_fma_f64 v[30:31], v[30:31], v[32:33], v[30:31]
	v_fma_f64 v[32:33], -v[28:29], v[30:31], 1.0
	v_fma_f64 v[30:31], v[30:31], v[32:33], v[30:31]
	v_div_scale_f64 v[32:33], vcc_lo, 1.0, v[26:27], 1.0
	v_mul_f64 v[34:35], v[32:33], v[30:31]
	v_fma_f64 v[28:29], -v[28:29], v[34:35], v[32:33]
	v_div_fmas_f64 v[28:29], v[28:29], v[30:31], v[34:35]
	v_div_fixup_f64 v[26:27], v[28:29], v[26:27], 1.0
	ds_write_b64 v1, v[26:27]
.LBB115_224:
	s_or_b32 exec_lo, exec_lo, s1
	s_waitcnt lgkmcnt(0)
	s_barrier
	buffer_gl0_inv
	ds_read_b64 v[26:27], v1
	s_mov_b32 s1, exec_lo
	v_cmpx_lt_u32_e32 44, v0
	s_cbranch_execz .LBB115_226
; %bb.225:
	s_waitcnt lgkmcnt(0)
	v_mul_f64 v[170:171], v[26:27], v[170:171]
	ds_read2_b64 v[28:31], v54 offset0:45 offset1:46
	s_waitcnt lgkmcnt(0)
	v_fma_f64 v[130:131], -v[170:171], v[28:29], v[130:131]
	v_fma_f64 v[168:169], -v[170:171], v[30:31], v[168:169]
	ds_read2_b64 v[28:31], v54 offset0:47 offset1:48
	s_waitcnt lgkmcnt(0)
	v_fma_f64 v[128:129], -v[170:171], v[28:29], v[128:129]
	v_fma_f64 v[166:167], -v[170:171], v[30:31], v[166:167]
	;; [unrolled: 4-line block ×5, first 2 shown]
	ds_read2_b64 v[28:31], v54 offset0:55 offset1:56
	s_waitcnt lgkmcnt(0)
	v_fma_f64 v[120:121], -v[170:171], v[28:29], v[120:121]
	ds_read_b64 v[28:29], v54 offset:456
	v_fma_f64 v[158:159], -v[170:171], v[30:31], v[158:159]
	s_waitcnt lgkmcnt(0)
	v_fma_f64 v[234:235], -v[170:171], v[28:29], v[234:235]
.LBB115_226:
	s_or_b32 exec_lo, exec_lo, s1
	s_mov_b32 s1, exec_lo
	s_waitcnt lgkmcnt(0)
	s_barrier
	buffer_gl0_inv
	v_cmpx_eq_u32_e32 45, v0
	s_cbranch_execz .LBB115_229
; %bb.227:
	v_mov_b32_e32 v28, v168
	v_mov_b32_e32 v29, v169
	;; [unrolled: 1-line block ×4, first 2 shown]
	ds_write_b64 v1, v[130:131]
	ds_write2_b64 v54, v[28:29], v[30:31] offset0:46 offset1:47
	v_mov_b32_e32 v28, v166
	v_mov_b32_e32 v29, v167
	v_mov_b32_e32 v30, v126
	v_mov_b32_e32 v31, v127
	ds_write2_b64 v54, v[28:29], v[30:31] offset0:48 offset1:49
	v_mov_b32_e32 v28, v164
	v_mov_b32_e32 v29, v165
	v_mov_b32_e32 v30, v124
	v_mov_b32_e32 v31, v125
	;; [unrolled: 5-line block ×4, first 2 shown]
	ds_write2_b64 v54, v[28:29], v[30:31] offset0:54 offset1:55
	v_mov_b32_e32 v28, v158
	v_mov_b32_e32 v29, v159
	ds_write2_b64 v54, v[28:29], v[234:235] offset0:56 offset1:57
	ds_read_b64 v[28:29], v1
	s_waitcnt lgkmcnt(0)
	v_cmp_neq_f64_e32 vcc_lo, 0, v[28:29]
	s_and_b32 exec_lo, exec_lo, vcc_lo
	s_cbranch_execz .LBB115_229
; %bb.228:
	v_div_scale_f64 v[30:31], null, v[28:29], v[28:29], 1.0
	v_rcp_f64_e32 v[32:33], v[30:31]
	v_fma_f64 v[34:35], -v[30:31], v[32:33], 1.0
	v_fma_f64 v[32:33], v[32:33], v[34:35], v[32:33]
	v_fma_f64 v[34:35], -v[30:31], v[32:33], 1.0
	v_fma_f64 v[32:33], v[32:33], v[34:35], v[32:33]
	v_div_scale_f64 v[34:35], vcc_lo, 1.0, v[28:29], 1.0
	v_mul_f64 v[36:37], v[34:35], v[32:33]
	v_fma_f64 v[30:31], -v[30:31], v[36:37], v[34:35]
	v_div_fmas_f64 v[30:31], v[30:31], v[32:33], v[36:37]
	v_div_fixup_f64 v[28:29], v[30:31], v[28:29], 1.0
	ds_write_b64 v1, v[28:29]
.LBB115_229:
	s_or_b32 exec_lo, exec_lo, s1
	s_waitcnt lgkmcnt(0)
	s_barrier
	buffer_gl0_inv
	ds_read_b64 v[28:29], v1
	s_mov_b32 s1, exec_lo
	v_cmpx_lt_u32_e32 45, v0
	s_cbranch_execz .LBB115_231
; %bb.230:
	s_waitcnt lgkmcnt(0)
	v_mul_f64 v[130:131], v[28:29], v[130:131]
	ds_read2_b64 v[30:33], v54 offset0:46 offset1:47
	s_waitcnt lgkmcnt(0)
	v_fma_f64 v[168:169], -v[130:131], v[30:31], v[168:169]
	v_fma_f64 v[128:129], -v[130:131], v[32:33], v[128:129]
	ds_read2_b64 v[30:33], v54 offset0:48 offset1:49
	s_waitcnt lgkmcnt(0)
	v_fma_f64 v[166:167], -v[130:131], v[30:31], v[166:167]
	v_fma_f64 v[126:127], -v[130:131], v[32:33], v[126:127]
	;; [unrolled: 4-line block ×6, first 2 shown]
.LBB115_231:
	s_or_b32 exec_lo, exec_lo, s1
	s_mov_b32 s1, exec_lo
	s_waitcnt lgkmcnt(0)
	s_barrier
	buffer_gl0_inv
	v_cmpx_eq_u32_e32 46, v0
	s_cbranch_execz .LBB115_234
; %bb.232:
	ds_write_b64 v1, v[168:169]
	ds_write2_b64 v54, v[128:129], v[166:167] offset0:47 offset1:48
	ds_write2_b64 v54, v[126:127], v[164:165] offset0:49 offset1:50
	;; [unrolled: 1-line block ×5, first 2 shown]
	ds_write_b64 v54, v[234:235] offset:456
	ds_read_b64 v[30:31], v1
	s_waitcnt lgkmcnt(0)
	v_cmp_neq_f64_e32 vcc_lo, 0, v[30:31]
	s_and_b32 exec_lo, exec_lo, vcc_lo
	s_cbranch_execz .LBB115_234
; %bb.233:
	v_div_scale_f64 v[32:33], null, v[30:31], v[30:31], 1.0
	v_rcp_f64_e32 v[34:35], v[32:33]
	v_fma_f64 v[36:37], -v[32:33], v[34:35], 1.0
	v_fma_f64 v[34:35], v[34:35], v[36:37], v[34:35]
	v_fma_f64 v[36:37], -v[32:33], v[34:35], 1.0
	v_fma_f64 v[34:35], v[34:35], v[36:37], v[34:35]
	v_div_scale_f64 v[36:37], vcc_lo, 1.0, v[30:31], 1.0
	v_mul_f64 v[38:39], v[36:37], v[34:35]
	v_fma_f64 v[32:33], -v[32:33], v[38:39], v[36:37]
	v_div_fmas_f64 v[32:33], v[32:33], v[34:35], v[38:39]
	v_div_fixup_f64 v[30:31], v[32:33], v[30:31], 1.0
	ds_write_b64 v1, v[30:31]
.LBB115_234:
	s_or_b32 exec_lo, exec_lo, s1
	s_waitcnt lgkmcnt(0)
	s_barrier
	buffer_gl0_inv
	ds_read_b64 v[30:31], v1
	s_mov_b32 s1, exec_lo
	v_cmpx_lt_u32_e32 46, v0
	s_cbranch_execz .LBB115_236
; %bb.235:
	s_waitcnt lgkmcnt(0)
	v_mul_f64 v[168:169], v[30:31], v[168:169]
	ds_read2_b64 v[32:35], v54 offset0:47 offset1:48
	s_waitcnt lgkmcnt(0)
	v_fma_f64 v[128:129], -v[168:169], v[32:33], v[128:129]
	v_fma_f64 v[166:167], -v[168:169], v[34:35], v[166:167]
	ds_read2_b64 v[32:35], v54 offset0:49 offset1:50
	s_waitcnt lgkmcnt(0)
	v_fma_f64 v[126:127], -v[168:169], v[32:33], v[126:127]
	v_fma_f64 v[164:165], -v[168:169], v[34:35], v[164:165]
	;; [unrolled: 4-line block ×4, first 2 shown]
	ds_read2_b64 v[32:35], v54 offset0:55 offset1:56
	s_waitcnt lgkmcnt(0)
	v_fma_f64 v[120:121], -v[168:169], v[32:33], v[120:121]
	ds_read_b64 v[32:33], v54 offset:456
	v_fma_f64 v[158:159], -v[168:169], v[34:35], v[158:159]
	s_waitcnt lgkmcnt(0)
	v_fma_f64 v[234:235], -v[168:169], v[32:33], v[234:235]
.LBB115_236:
	s_or_b32 exec_lo, exec_lo, s1
	s_mov_b32 s1, exec_lo
	s_waitcnt lgkmcnt(0)
	s_barrier
	buffer_gl0_inv
	v_cmpx_eq_u32_e32 47, v0
	s_cbranch_execz .LBB115_239
; %bb.237:
	v_mov_b32_e32 v32, v166
	v_mov_b32_e32 v33, v167
	;; [unrolled: 1-line block ×4, first 2 shown]
	ds_write_b64 v1, v[128:129]
	ds_write2_b64 v54, v[32:33], v[34:35] offset0:48 offset1:49
	v_mov_b32_e32 v32, v164
	v_mov_b32_e32 v33, v165
	v_mov_b32_e32 v34, v124
	v_mov_b32_e32 v35, v125
	ds_write2_b64 v54, v[32:33], v[34:35] offset0:50 offset1:51
	v_mov_b32_e32 v32, v162
	v_mov_b32_e32 v33, v163
	v_mov_b32_e32 v34, v122
	v_mov_b32_e32 v35, v123
	;; [unrolled: 5-line block ×3, first 2 shown]
	ds_write2_b64 v54, v[32:33], v[34:35] offset0:54 offset1:55
	v_mov_b32_e32 v32, v158
	v_mov_b32_e32 v33, v159
	ds_write2_b64 v54, v[32:33], v[234:235] offset0:56 offset1:57
	ds_read_b64 v[32:33], v1
	s_waitcnt lgkmcnt(0)
	v_cmp_neq_f64_e32 vcc_lo, 0, v[32:33]
	s_and_b32 exec_lo, exec_lo, vcc_lo
	s_cbranch_execz .LBB115_239
; %bb.238:
	v_div_scale_f64 v[34:35], null, v[32:33], v[32:33], 1.0
	v_rcp_f64_e32 v[36:37], v[34:35]
	v_fma_f64 v[38:39], -v[34:35], v[36:37], 1.0
	v_fma_f64 v[36:37], v[36:37], v[38:39], v[36:37]
	v_fma_f64 v[38:39], -v[34:35], v[36:37], 1.0
	v_fma_f64 v[36:37], v[36:37], v[38:39], v[36:37]
	v_div_scale_f64 v[38:39], vcc_lo, 1.0, v[32:33], 1.0
	v_mul_f64 v[40:41], v[38:39], v[36:37]
	v_fma_f64 v[34:35], -v[34:35], v[40:41], v[38:39]
	v_div_fmas_f64 v[34:35], v[34:35], v[36:37], v[40:41]
	v_div_fixup_f64 v[32:33], v[34:35], v[32:33], 1.0
	ds_write_b64 v1, v[32:33]
.LBB115_239:
	s_or_b32 exec_lo, exec_lo, s1
	s_waitcnt lgkmcnt(0)
	s_barrier
	buffer_gl0_inv
	ds_read_b64 v[32:33], v1
	s_mov_b32 s1, exec_lo
	v_cmpx_lt_u32_e32 47, v0
	s_cbranch_execz .LBB115_241
; %bb.240:
	s_waitcnt lgkmcnt(0)
	v_mul_f64 v[128:129], v[32:33], v[128:129]
	ds_read2_b64 v[34:37], v54 offset0:48 offset1:49
	s_waitcnt lgkmcnt(0)
	v_fma_f64 v[166:167], -v[128:129], v[34:35], v[166:167]
	v_fma_f64 v[126:127], -v[128:129], v[36:37], v[126:127]
	ds_read2_b64 v[34:37], v54 offset0:50 offset1:51
	s_waitcnt lgkmcnt(0)
	v_fma_f64 v[164:165], -v[128:129], v[34:35], v[164:165]
	v_fma_f64 v[124:125], -v[128:129], v[36:37], v[124:125]
	;; [unrolled: 4-line block ×5, first 2 shown]
.LBB115_241:
	s_or_b32 exec_lo, exec_lo, s1
	s_mov_b32 s1, exec_lo
	s_waitcnt lgkmcnt(0)
	s_barrier
	buffer_gl0_inv
	v_cmpx_eq_u32_e32 48, v0
	s_cbranch_execz .LBB115_244
; %bb.242:
	ds_write_b64 v1, v[166:167]
	ds_write2_b64 v54, v[126:127], v[164:165] offset0:49 offset1:50
	ds_write2_b64 v54, v[124:125], v[162:163] offset0:51 offset1:52
	;; [unrolled: 1-line block ×4, first 2 shown]
	ds_write_b64 v54, v[234:235] offset:456
	ds_read_b64 v[34:35], v1
	s_waitcnt lgkmcnt(0)
	v_cmp_neq_f64_e32 vcc_lo, 0, v[34:35]
	s_and_b32 exec_lo, exec_lo, vcc_lo
	s_cbranch_execz .LBB115_244
; %bb.243:
	v_div_scale_f64 v[36:37], null, v[34:35], v[34:35], 1.0
	v_rcp_f64_e32 v[38:39], v[36:37]
	v_fma_f64 v[40:41], -v[36:37], v[38:39], 1.0
	v_fma_f64 v[38:39], v[38:39], v[40:41], v[38:39]
	v_fma_f64 v[40:41], -v[36:37], v[38:39], 1.0
	v_fma_f64 v[38:39], v[38:39], v[40:41], v[38:39]
	v_div_scale_f64 v[40:41], vcc_lo, 1.0, v[34:35], 1.0
	v_mul_f64 v[42:43], v[40:41], v[38:39]
	v_fma_f64 v[36:37], -v[36:37], v[42:43], v[40:41]
	v_div_fmas_f64 v[36:37], v[36:37], v[38:39], v[42:43]
	v_div_fixup_f64 v[34:35], v[36:37], v[34:35], 1.0
	ds_write_b64 v1, v[34:35]
.LBB115_244:
	s_or_b32 exec_lo, exec_lo, s1
	s_waitcnt lgkmcnt(0)
	s_barrier
	buffer_gl0_inv
	ds_read_b64 v[34:35], v1
	s_mov_b32 s1, exec_lo
	v_cmpx_lt_u32_e32 48, v0
	s_cbranch_execz .LBB115_246
; %bb.245:
	s_waitcnt lgkmcnt(0)
	v_mul_f64 v[166:167], v[34:35], v[166:167]
	ds_read2_b64 v[36:39], v54 offset0:49 offset1:50
	s_waitcnt lgkmcnt(0)
	v_fma_f64 v[126:127], -v[166:167], v[36:37], v[126:127]
	v_fma_f64 v[164:165], -v[166:167], v[38:39], v[164:165]
	ds_read2_b64 v[36:39], v54 offset0:51 offset1:52
	s_waitcnt lgkmcnt(0)
	v_fma_f64 v[124:125], -v[166:167], v[36:37], v[124:125]
	v_fma_f64 v[162:163], -v[166:167], v[38:39], v[162:163]
	;; [unrolled: 4-line block ×3, first 2 shown]
	ds_read2_b64 v[36:39], v54 offset0:55 offset1:56
	s_waitcnt lgkmcnt(0)
	v_fma_f64 v[120:121], -v[166:167], v[36:37], v[120:121]
	ds_read_b64 v[36:37], v54 offset:456
	v_fma_f64 v[158:159], -v[166:167], v[38:39], v[158:159]
	s_waitcnt lgkmcnt(0)
	v_fma_f64 v[234:235], -v[166:167], v[36:37], v[234:235]
.LBB115_246:
	s_or_b32 exec_lo, exec_lo, s1
	s_mov_b32 s1, exec_lo
	s_waitcnt lgkmcnt(0)
	s_barrier
	buffer_gl0_inv
	v_cmpx_eq_u32_e32 49, v0
	s_cbranch_execz .LBB115_249
; %bb.247:
	v_mov_b32_e32 v36, v164
	v_mov_b32_e32 v37, v165
	;; [unrolled: 1-line block ×4, first 2 shown]
	ds_write_b64 v1, v[126:127]
	ds_write2_b64 v54, v[36:37], v[38:39] offset0:50 offset1:51
	v_mov_b32_e32 v36, v162
	v_mov_b32_e32 v37, v163
	;; [unrolled: 1-line block ×4, first 2 shown]
	ds_write2_b64 v54, v[36:37], v[38:39] offset0:52 offset1:53
	v_mov_b32_e32 v36, v160
	v_mov_b32_e32 v37, v161
	;; [unrolled: 1-line block ×4, first 2 shown]
	ds_write2_b64 v54, v[36:37], v[38:39] offset0:54 offset1:55
	v_mov_b32_e32 v36, v158
	v_mov_b32_e32 v37, v159
	ds_write2_b64 v54, v[36:37], v[234:235] offset0:56 offset1:57
	ds_read_b64 v[36:37], v1
	s_waitcnt lgkmcnt(0)
	v_cmp_neq_f64_e32 vcc_lo, 0, v[36:37]
	s_and_b32 exec_lo, exec_lo, vcc_lo
	s_cbranch_execz .LBB115_249
; %bb.248:
	v_div_scale_f64 v[38:39], null, v[36:37], v[36:37], 1.0
	v_rcp_f64_e32 v[40:41], v[38:39]
	v_fma_f64 v[42:43], -v[38:39], v[40:41], 1.0
	v_fma_f64 v[40:41], v[40:41], v[42:43], v[40:41]
	v_fma_f64 v[42:43], -v[38:39], v[40:41], 1.0
	v_fma_f64 v[40:41], v[40:41], v[42:43], v[40:41]
	v_div_scale_f64 v[42:43], vcc_lo, 1.0, v[36:37], 1.0
	v_mul_f64 v[44:45], v[42:43], v[40:41]
	v_fma_f64 v[38:39], -v[38:39], v[44:45], v[42:43]
	v_div_fmas_f64 v[38:39], v[38:39], v[40:41], v[44:45]
	v_div_fixup_f64 v[36:37], v[38:39], v[36:37], 1.0
	ds_write_b64 v1, v[36:37]
.LBB115_249:
	s_or_b32 exec_lo, exec_lo, s1
	s_waitcnt lgkmcnt(0)
	s_barrier
	buffer_gl0_inv
	ds_read_b64 v[36:37], v1
	s_mov_b32 s1, exec_lo
	v_cmpx_lt_u32_e32 49, v0
	s_cbranch_execz .LBB115_251
; %bb.250:
	s_waitcnt lgkmcnt(0)
	v_mul_f64 v[126:127], v[36:37], v[126:127]
	ds_read2_b64 v[38:41], v54 offset0:50 offset1:51
	s_waitcnt lgkmcnt(0)
	v_fma_f64 v[164:165], -v[126:127], v[38:39], v[164:165]
	v_fma_f64 v[124:125], -v[126:127], v[40:41], v[124:125]
	ds_read2_b64 v[38:41], v54 offset0:52 offset1:53
	s_waitcnt lgkmcnt(0)
	v_fma_f64 v[162:163], -v[126:127], v[38:39], v[162:163]
	v_fma_f64 v[122:123], -v[126:127], v[40:41], v[122:123]
	;; [unrolled: 4-line block ×4, first 2 shown]
.LBB115_251:
	s_or_b32 exec_lo, exec_lo, s1
	s_mov_b32 s1, exec_lo
	s_waitcnt lgkmcnt(0)
	s_barrier
	buffer_gl0_inv
	v_cmpx_eq_u32_e32 50, v0
	s_cbranch_execz .LBB115_254
; %bb.252:
	ds_write_b64 v1, v[164:165]
	ds_write2_b64 v54, v[124:125], v[162:163] offset0:51 offset1:52
	ds_write2_b64 v54, v[122:123], v[160:161] offset0:53 offset1:54
	;; [unrolled: 1-line block ×3, first 2 shown]
	ds_write_b64 v54, v[234:235] offset:456
	ds_read_b64 v[38:39], v1
	s_waitcnt lgkmcnt(0)
	v_cmp_neq_f64_e32 vcc_lo, 0, v[38:39]
	s_and_b32 exec_lo, exec_lo, vcc_lo
	s_cbranch_execz .LBB115_254
; %bb.253:
	v_div_scale_f64 v[40:41], null, v[38:39], v[38:39], 1.0
	v_rcp_f64_e32 v[42:43], v[40:41]
	v_fma_f64 v[44:45], -v[40:41], v[42:43], 1.0
	v_fma_f64 v[42:43], v[42:43], v[44:45], v[42:43]
	v_fma_f64 v[44:45], -v[40:41], v[42:43], 1.0
	v_fma_f64 v[42:43], v[42:43], v[44:45], v[42:43]
	v_div_scale_f64 v[44:45], vcc_lo, 1.0, v[38:39], 1.0
	v_mul_f64 v[46:47], v[44:45], v[42:43]
	v_fma_f64 v[40:41], -v[40:41], v[46:47], v[44:45]
	v_div_fmas_f64 v[40:41], v[40:41], v[42:43], v[46:47]
	v_div_fixup_f64 v[38:39], v[40:41], v[38:39], 1.0
	ds_write_b64 v1, v[38:39]
.LBB115_254:
	s_or_b32 exec_lo, exec_lo, s1
	s_waitcnt lgkmcnt(0)
	s_barrier
	buffer_gl0_inv
	ds_read_b64 v[40:41], v1
	s_mov_b32 s1, exec_lo
	v_cmpx_lt_u32_e32 50, v0
	s_cbranch_execz .LBB115_256
; %bb.255:
	s_waitcnt lgkmcnt(0)
	v_mul_f64 v[164:165], v[40:41], v[164:165]
	ds_read2_b64 v[42:45], v54 offset0:51 offset1:52
	ds_read_b64 v[38:39], v54 offset:456
	s_waitcnt lgkmcnt(1)
	v_fma_f64 v[124:125], -v[164:165], v[42:43], v[124:125]
	v_fma_f64 v[162:163], -v[164:165], v[44:45], v[162:163]
	ds_read2_b64 v[42:45], v54 offset0:53 offset1:54
	s_waitcnt lgkmcnt(1)
	v_fma_f64 v[234:235], -v[164:165], v[38:39], v[234:235]
	s_waitcnt lgkmcnt(0)
	v_fma_f64 v[122:123], -v[164:165], v[42:43], v[122:123]
	v_fma_f64 v[160:161], -v[164:165], v[44:45], v[160:161]
	ds_read2_b64 v[42:45], v54 offset0:55 offset1:56
	s_waitcnt lgkmcnt(0)
	v_fma_f64 v[120:121], -v[164:165], v[42:43], v[120:121]
	v_fma_f64 v[158:159], -v[164:165], v[44:45], v[158:159]
.LBB115_256:
	s_or_b32 exec_lo, exec_lo, s1
	s_mov_b32 s1, exec_lo
	s_waitcnt lgkmcnt(0)
	s_barrier
	buffer_gl0_inv
	v_cmpx_eq_u32_e32 51, v0
	s_cbranch_execz .LBB115_259
; %bb.257:
	v_mov_b32_e32 v38, v162
	v_mov_b32_e32 v39, v163
	v_mov_b32_e32 v42, v122
	v_mov_b32_e32 v43, v123
	ds_write_b64 v1, v[124:125]
	ds_write2_b64 v54, v[38:39], v[42:43] offset0:52 offset1:53
	v_mov_b32_e32 v38, v160
	v_mov_b32_e32 v39, v161
	;; [unrolled: 1-line block ×4, first 2 shown]
	ds_write2_b64 v54, v[38:39], v[42:43] offset0:54 offset1:55
	v_mov_b32_e32 v38, v158
	v_mov_b32_e32 v39, v159
	ds_write2_b64 v54, v[38:39], v[234:235] offset0:56 offset1:57
	ds_read_b64 v[38:39], v1
	s_waitcnt lgkmcnt(0)
	v_cmp_neq_f64_e32 vcc_lo, 0, v[38:39]
	s_and_b32 exec_lo, exec_lo, vcc_lo
	s_cbranch_execz .LBB115_259
; %bb.258:
	v_div_scale_f64 v[42:43], null, v[38:39], v[38:39], 1.0
	v_rcp_f64_e32 v[44:45], v[42:43]
	v_fma_f64 v[46:47], -v[42:43], v[44:45], 1.0
	v_fma_f64 v[44:45], v[44:45], v[46:47], v[44:45]
	v_fma_f64 v[46:47], -v[42:43], v[44:45], 1.0
	v_fma_f64 v[44:45], v[44:45], v[46:47], v[44:45]
	v_div_scale_f64 v[46:47], vcc_lo, 1.0, v[38:39], 1.0
	v_mul_f64 v[48:49], v[46:47], v[44:45]
	v_fma_f64 v[42:43], -v[42:43], v[48:49], v[46:47]
	v_div_fmas_f64 v[42:43], v[42:43], v[44:45], v[48:49]
	v_div_fixup_f64 v[38:39], v[42:43], v[38:39], 1.0
	ds_write_b64 v1, v[38:39]
.LBB115_259:
	s_or_b32 exec_lo, exec_lo, s1
	s_waitcnt lgkmcnt(0)
	s_barrier
	buffer_gl0_inv
	ds_read_b64 v[42:43], v1
	s_mov_b32 s1, exec_lo
	v_cmpx_lt_u32_e32 51, v0
	s_cbranch_execz .LBB115_261
; %bb.260:
	s_waitcnt lgkmcnt(0)
	v_mul_f64 v[124:125], v[42:43], v[124:125]
	ds_read2_b64 v[44:47], v54 offset0:52 offset1:53
	s_waitcnt lgkmcnt(0)
	v_fma_f64 v[162:163], -v[124:125], v[44:45], v[162:163]
	v_fma_f64 v[122:123], -v[124:125], v[46:47], v[122:123]
	ds_read2_b64 v[44:47], v54 offset0:54 offset1:55
	s_waitcnt lgkmcnt(0)
	v_fma_f64 v[160:161], -v[124:125], v[44:45], v[160:161]
	v_fma_f64 v[120:121], -v[124:125], v[46:47], v[120:121]
	;; [unrolled: 4-line block ×3, first 2 shown]
.LBB115_261:
	s_or_b32 exec_lo, exec_lo, s1
	s_mov_b32 s1, exec_lo
	s_waitcnt lgkmcnt(0)
	s_barrier
	buffer_gl0_inv
	v_cmpx_eq_u32_e32 52, v0
	s_cbranch_execz .LBB115_264
; %bb.262:
	ds_write_b64 v1, v[162:163]
	ds_write2_b64 v54, v[122:123], v[160:161] offset0:53 offset1:54
	ds_write2_b64 v54, v[120:121], v[158:159] offset0:55 offset1:56
	ds_write_b64 v54, v[234:235] offset:456
	ds_read_b64 v[38:39], v1
	s_waitcnt lgkmcnt(0)
	v_cmp_neq_f64_e32 vcc_lo, 0, v[38:39]
	s_and_b32 exec_lo, exec_lo, vcc_lo
	s_cbranch_execz .LBB115_264
; %bb.263:
	v_div_scale_f64 v[44:45], null, v[38:39], v[38:39], 1.0
	v_rcp_f64_e32 v[46:47], v[44:45]
	v_fma_f64 v[48:49], -v[44:45], v[46:47], 1.0
	v_fma_f64 v[46:47], v[46:47], v[48:49], v[46:47]
	v_fma_f64 v[48:49], -v[44:45], v[46:47], 1.0
	v_fma_f64 v[46:47], v[46:47], v[48:49], v[46:47]
	v_div_scale_f64 v[48:49], vcc_lo, 1.0, v[38:39], 1.0
	v_mul_f64 v[50:51], v[48:49], v[46:47]
	v_fma_f64 v[44:45], -v[44:45], v[50:51], v[48:49]
	v_div_fmas_f64 v[44:45], v[44:45], v[46:47], v[50:51]
	v_div_fixup_f64 v[38:39], v[44:45], v[38:39], 1.0
	ds_write_b64 v1, v[38:39]
.LBB115_264:
	s_or_b32 exec_lo, exec_lo, s1
	s_waitcnt lgkmcnt(0)
	s_barrier
	buffer_gl0_inv
	ds_read_b64 v[44:45], v1
	s_mov_b32 s1, exec_lo
	v_cmpx_lt_u32_e32 52, v0
	s_cbranch_execz .LBB115_266
; %bb.265:
	s_waitcnt lgkmcnt(0)
	v_mul_f64 v[162:163], v[44:45], v[162:163]
	ds_read2_b64 v[46:49], v54 offset0:53 offset1:54
	ds_read_b64 v[38:39], v54 offset:456
	s_waitcnt lgkmcnt(1)
	v_fma_f64 v[122:123], -v[162:163], v[46:47], v[122:123]
	v_fma_f64 v[160:161], -v[162:163], v[48:49], v[160:161]
	ds_read2_b64 v[46:49], v54 offset0:55 offset1:56
	s_waitcnt lgkmcnt(1)
	v_fma_f64 v[234:235], -v[162:163], v[38:39], v[234:235]
	s_waitcnt lgkmcnt(0)
	v_fma_f64 v[120:121], -v[162:163], v[46:47], v[120:121]
	v_fma_f64 v[158:159], -v[162:163], v[48:49], v[158:159]
.LBB115_266:
	s_or_b32 exec_lo, exec_lo, s1
	s_mov_b32 s1, exec_lo
	s_waitcnt lgkmcnt(0)
	s_barrier
	buffer_gl0_inv
	v_cmpx_eq_u32_e32 53, v0
	s_cbranch_execz .LBB115_269
; %bb.267:
	v_mov_b32_e32 v38, v160
	v_mov_b32_e32 v39, v161
	v_mov_b32_e32 v46, v120
	v_mov_b32_e32 v47, v121
	ds_write_b64 v1, v[122:123]
	ds_write2_b64 v54, v[38:39], v[46:47] offset0:54 offset1:55
	v_mov_b32_e32 v38, v158
	v_mov_b32_e32 v39, v159
	ds_write2_b64 v54, v[38:39], v[234:235] offset0:56 offset1:57
	ds_read_b64 v[38:39], v1
	s_waitcnt lgkmcnt(0)
	v_cmp_neq_f64_e32 vcc_lo, 0, v[38:39]
	s_and_b32 exec_lo, exec_lo, vcc_lo
	s_cbranch_execz .LBB115_269
; %bb.268:
	v_div_scale_f64 v[46:47], null, v[38:39], v[38:39], 1.0
	v_rcp_f64_e32 v[48:49], v[46:47]
	v_fma_f64 v[50:51], -v[46:47], v[48:49], 1.0
	v_fma_f64 v[48:49], v[48:49], v[50:51], v[48:49]
	v_fma_f64 v[50:51], -v[46:47], v[48:49], 1.0
	v_fma_f64 v[48:49], v[48:49], v[50:51], v[48:49]
	v_div_scale_f64 v[50:51], vcc_lo, 1.0, v[38:39], 1.0
	v_mul_f64 v[52:53], v[50:51], v[48:49]
	v_fma_f64 v[46:47], -v[46:47], v[52:53], v[50:51]
	v_div_fmas_f64 v[46:47], v[46:47], v[48:49], v[52:53]
	v_div_fixup_f64 v[38:39], v[46:47], v[38:39], 1.0
	ds_write_b64 v1, v[38:39]
.LBB115_269:
	s_or_b32 exec_lo, exec_lo, s1
	s_waitcnt lgkmcnt(0)
	s_barrier
	buffer_gl0_inv
	ds_read_b64 v[46:47], v1
	s_mov_b32 s1, exec_lo
	v_cmpx_lt_u32_e32 53, v0
	s_cbranch_execz .LBB115_271
; %bb.270:
	s_waitcnt lgkmcnt(0)
	v_mul_f64 v[122:123], v[46:47], v[122:123]
	ds_read2_b64 v[48:51], v54 offset0:54 offset1:55
	s_waitcnt lgkmcnt(0)
	v_fma_f64 v[160:161], -v[122:123], v[48:49], v[160:161]
	v_fma_f64 v[120:121], -v[122:123], v[50:51], v[120:121]
	ds_read2_b64 v[48:51], v54 offset0:56 offset1:57
	s_waitcnt lgkmcnt(0)
	v_fma_f64 v[158:159], -v[122:123], v[48:49], v[158:159]
	v_fma_f64 v[234:235], -v[122:123], v[50:51], v[234:235]
.LBB115_271:
	s_or_b32 exec_lo, exec_lo, s1
	s_mov_b32 s1, exec_lo
	s_waitcnt lgkmcnt(0)
	s_barrier
	buffer_gl0_inv
	v_cmpx_eq_u32_e32 54, v0
	s_cbranch_execz .LBB115_274
; %bb.272:
	ds_write_b64 v1, v[160:161]
	ds_write2_b64 v54, v[120:121], v[158:159] offset0:55 offset1:56
	ds_write_b64 v54, v[234:235] offset:456
	ds_read_b64 v[38:39], v1
	s_waitcnt lgkmcnt(0)
	v_cmp_neq_f64_e32 vcc_lo, 0, v[38:39]
	s_and_b32 exec_lo, exec_lo, vcc_lo
	s_cbranch_execz .LBB115_274
; %bb.273:
	v_div_scale_f64 v[48:49], null, v[38:39], v[38:39], 1.0
	v_rcp_f64_e32 v[50:51], v[48:49]
	v_fma_f64 v[52:53], -v[48:49], v[50:51], 1.0
	v_fma_f64 v[50:51], v[50:51], v[52:53], v[50:51]
	v_fma_f64 v[52:53], -v[48:49], v[50:51], 1.0
	v_fma_f64 v[50:51], v[50:51], v[52:53], v[50:51]
	v_div_scale_f64 v[52:53], vcc_lo, 1.0, v[38:39], 1.0
	v_mul_f64 v[55:56], v[52:53], v[50:51]
	v_fma_f64 v[48:49], -v[48:49], v[55:56], v[52:53]
	v_div_fmas_f64 v[48:49], v[48:49], v[50:51], v[55:56]
	v_div_fixup_f64 v[38:39], v[48:49], v[38:39], 1.0
	ds_write_b64 v1, v[38:39]
.LBB115_274:
	s_or_b32 exec_lo, exec_lo, s1
	s_waitcnt lgkmcnt(0)
	s_barrier
	buffer_gl0_inv
	ds_read_b64 v[48:49], v1
	s_mov_b32 s1, exec_lo
	v_cmpx_lt_u32_e32 54, v0
	s_cbranch_execz .LBB115_276
; %bb.275:
	s_waitcnt lgkmcnt(0)
	v_mul_f64 v[160:161], v[48:49], v[160:161]
	ds_read2_b64 v[50:53], v54 offset0:55 offset1:56
	ds_read_b64 v[38:39], v54 offset:456
	s_waitcnt lgkmcnt(1)
	v_fma_f64 v[120:121], -v[160:161], v[50:51], v[120:121]
	v_fma_f64 v[158:159], -v[160:161], v[52:53], v[158:159]
	s_waitcnt lgkmcnt(0)
	v_fma_f64 v[234:235], -v[160:161], v[38:39], v[234:235]
.LBB115_276:
	s_or_b32 exec_lo, exec_lo, s1
	s_mov_b32 s1, exec_lo
	s_waitcnt lgkmcnt(0)
	s_barrier
	buffer_gl0_inv
	v_cmpx_eq_u32_e32 55, v0
	s_cbranch_execz .LBB115_279
; %bb.277:
	v_mov_b32_e32 v38, v158
	v_mov_b32_e32 v39, v159
	ds_write_b64 v1, v[120:121]
	ds_write2_b64 v54, v[38:39], v[234:235] offset0:56 offset1:57
	ds_read_b64 v[38:39], v1
	s_waitcnt lgkmcnt(0)
	v_cmp_neq_f64_e32 vcc_lo, 0, v[38:39]
	s_and_b32 exec_lo, exec_lo, vcc_lo
	s_cbranch_execz .LBB115_279
; %bb.278:
	v_div_scale_f64 v[50:51], null, v[38:39], v[38:39], 1.0
	v_rcp_f64_e32 v[52:53], v[50:51]
	v_fma_f64 v[55:56], -v[50:51], v[52:53], 1.0
	v_fma_f64 v[52:53], v[52:53], v[55:56], v[52:53]
	v_fma_f64 v[55:56], -v[50:51], v[52:53], 1.0
	v_fma_f64 v[52:53], v[52:53], v[55:56], v[52:53]
	v_div_scale_f64 v[55:56], vcc_lo, 1.0, v[38:39], 1.0
	v_mul_f64 v[57:58], v[55:56], v[52:53]
	v_fma_f64 v[50:51], -v[50:51], v[57:58], v[55:56]
	v_div_fmas_f64 v[50:51], v[50:51], v[52:53], v[57:58]
	v_div_fixup_f64 v[38:39], v[50:51], v[38:39], 1.0
	ds_write_b64 v1, v[38:39]
.LBB115_279:
	s_or_b32 exec_lo, exec_lo, s1
	s_waitcnt lgkmcnt(0)
	s_barrier
	buffer_gl0_inv
	ds_read_b64 v[50:51], v1
	s_mov_b32 s1, exec_lo
	v_cmpx_lt_u32_e32 55, v0
	s_cbranch_execz .LBB115_281
; %bb.280:
	s_waitcnt lgkmcnt(0)
	v_mul_f64 v[120:121], v[50:51], v[120:121]
	ds_read2_b64 v[55:58], v54 offset0:56 offset1:57
	s_waitcnt lgkmcnt(0)
	v_fma_f64 v[158:159], -v[120:121], v[55:56], v[158:159]
	v_fma_f64 v[234:235], -v[120:121], v[57:58], v[234:235]
.LBB115_281:
	s_or_b32 exec_lo, exec_lo, s1
	s_mov_b32 s1, exec_lo
	s_waitcnt lgkmcnt(0)
	s_barrier
	buffer_gl0_inv
	v_cmpx_eq_u32_e32 56, v0
	s_cbranch_execz .LBB115_284
; %bb.282:
	ds_write_b64 v1, v[158:159]
	ds_write_b64 v54, v[234:235] offset:456
	ds_read_b64 v[38:39], v1
	s_waitcnt lgkmcnt(0)
	v_cmp_neq_f64_e32 vcc_lo, 0, v[38:39]
	s_and_b32 exec_lo, exec_lo, vcc_lo
	s_cbranch_execz .LBB115_284
; %bb.283:
	v_div_scale_f64 v[52:53], null, v[38:39], v[38:39], 1.0
	v_mov_b32_e32 v92, v90
	v_mov_b32_e32 v91, v89
	;; [unrolled: 1-line block ×20, first 2 shown]
	v_rcp_f64_e32 v[55:56], v[52:53]
	v_mov_b32_e32 v72, v70
	v_mov_b32_e32 v71, v69
	;; [unrolled: 1-line block ×23, first 2 shown]
	v_fma_f64 v[57:58], -v[52:53], v[55:56], 1.0
	v_mov_b32_e32 v244, v242
	v_mov_b32_e32 v243, v114
	;; [unrolled: 1-line block ×21, first 2 shown]
	v_fma_f64 v[55:56], v[55:56], v[57:58], v[55:56]
	v_mov_b32_e32 v99, v101
	v_mov_b32_e32 v100, v102
	v_mov_b32_e32 v102, v64
	v_mov_b32_e32 v101, v63
	v_mov_b32_e32 v63, v103
	v_mov_b32_e32 v64, v104
	v_mov_b32_e32 v103, v105
	v_mov_b32_e32 v104, v106
	v_mov_b32_e32 v105, v107
	v_mov_b32_e32 v106, v108
	v_mov_b32_e32 v107, v109
	v_mov_b32_e32 v108, v110
	v_mov_b32_e32 v109, v111
	v_mov_b32_e32 v110, v112
	v_mov_b32_e32 v111, v118
	v_mov_b32_e32 v112, v119
	v_mov_b32_e32 v119, v114
	v_mov_b32_e32 v118, v113
	v_fma_f64 v[57:58], -v[52:53], v[55:56], 1.0
	v_mov_b32_e32 v113, v242
	v_mov_b32_e32 v114, v243
	;; [unrolled: 1-line block ×18, first 2 shown]
	v_fma_f64 v[55:56], v[55:56], v[57:58], v[55:56]
	v_div_scale_f64 v[57:58], vcc_lo, 1.0, v[38:39], 1.0
	v_mul_f64 v[59:60], v[57:58], v[55:56]
	v_fma_f64 v[52:53], -v[52:53], v[59:60], v[57:58]
	v_div_fmas_f64 v[52:53], v[52:53], v[55:56], v[59:60]
	v_mov_b32_e32 v60, v65
	v_mov_b32_e32 v61, v66
	;; [unrolled: 1-line block ×21, first 2 shown]
	v_div_fixup_f64 v[38:39], v[52:53], v[38:39], 1.0
	v_mov_b32_e32 v84, v86
	v_mov_b32_e32 v85, v87
	;; [unrolled: 1-line block ×7, first 2 shown]
	ds_write_b64 v1, v[38:39]
.LBB115_284:
	s_or_b32 exec_lo, exec_lo, s1
	s_waitcnt lgkmcnt(0)
	s_barrier
	buffer_gl0_inv
	ds_read_b64 v[52:53], v1
	s_mov_b32 s1, exec_lo
	v_cmpx_lt_u32_e32 56, v0
	s_cbranch_execz .LBB115_286
; %bb.285:
	s_waitcnt lgkmcnt(0)
	v_mul_f64 v[158:159], v[52:53], v[158:159]
	ds_read_b64 v[38:39], v54 offset:456
	s_waitcnt lgkmcnt(0)
	v_fma_f64 v[234:235], -v[158:159], v[38:39], v[234:235]
.LBB115_286:
	s_or_b32 exec_lo, exec_lo, s1
	s_mov_b32 s1, exec_lo
	s_waitcnt lgkmcnt(0)
	s_barrier
	buffer_gl0_inv
	v_cmpx_eq_u32_e32 57, v0
	s_cbranch_execz .LBB115_289
; %bb.287:
	v_cmp_neq_f64_e32 vcc_lo, 0, v[234:235]
	ds_write_b64 v1, v[234:235]
	s_and_b32 exec_lo, exec_lo, vcc_lo
	s_cbranch_execz .LBB115_289
; %bb.288:
	v_div_scale_f64 v[38:39], null, v[234:235], v[234:235], 1.0
	v_rcp_f64_e32 v[54:55], v[38:39]
	v_fma_f64 v[56:57], -v[38:39], v[54:55], 1.0
	v_fma_f64 v[54:55], v[54:55], v[56:57], v[54:55]
	v_fma_f64 v[56:57], -v[38:39], v[54:55], 1.0
	v_fma_f64 v[54:55], v[54:55], v[56:57], v[54:55]
	v_div_scale_f64 v[56:57], vcc_lo, 1.0, v[234:235], 1.0
	v_mul_f64 v[58:59], v[56:57], v[54:55]
	v_fma_f64 v[38:39], -v[38:39], v[58:59], v[56:57]
	v_div_fmas_f64 v[38:39], v[38:39], v[54:55], v[58:59]
	v_div_fixup_f64 v[38:39], v[38:39], v[234:235], 1.0
	ds_write_b64 v1, v[38:39]
.LBB115_289:
	s_or_b32 exec_lo, exec_lo, s1
	s_waitcnt lgkmcnt(0)
	s_barrier
	buffer_gl0_inv
	ds_read_b64 v[38:39], v1
	s_waitcnt lgkmcnt(0)
	s_barrier
	buffer_gl0_inv
	s_and_saveexec_b32 s1, s0
	s_cbranch_execz .LBB115_292
; %bb.290:
	v_cmp_eq_f64_e32 vcc_lo, 0, v[103:104]
	v_cmp_neq_f64_e64 s0, 0, v[105:106]
	s_load_dwordx2 s[2:3], s[4:5], 0x28
	v_cndmask_b32_e64 v1, 0, 1, vcc_lo
	s_or_b32 vcc_lo, s0, vcc_lo
	v_cndmask_b32_e32 v1, 2, v1, vcc_lo
	v_cmp_eq_f64_e32 vcc_lo, 0, v[107:108]
	v_cmp_eq_u32_e64 s0, 0, v1
	s_and_b32 s0, vcc_lo, s0
	v_cmp_eq_f64_e32 vcc_lo, 0, v[109:110]
	v_cndmask_b32_e64 v1, v1, 3, s0
	v_cmp_eq_u32_e64 s0, 0, v1
	s_and_b32 s0, vcc_lo, s0
	v_cmp_eq_f64_e32 vcc_lo, 0, v[111:112]
	v_cndmask_b32_e64 v1, v1, 4, s0
	;; [unrolled: 4-line block ×55, first 2 shown]
	v_cmp_eq_u32_e64 s0, 0, v1
	s_and_b32 s0, vcc_lo, s0
	v_cndmask_b32_e64 v4, v1, 58, s0
	v_lshlrev_b64 v[1:2], 2, v[2:3]
	v_cmp_ne_u32_e64 s0, 0, v4
	s_waitcnt lgkmcnt(0)
	v_add_co_u32 v1, vcc_lo, s2, v1
	v_add_co_ci_u32_e64 v2, null, s3, v2, vcc_lo
	global_load_dword v3, v[1:2], off
	s_waitcnt vmcnt(0)
	v_cmp_eq_u32_e32 vcc_lo, 0, v3
	s_and_b32 s0, vcc_lo, s0
	s_and_b32 exec_lo, exec_lo, s0
	s_cbranch_execz .LBB115_292
; %bb.291:
	v_add_nc_u32_e32 v3, s9, v4
	global_store_dword v[1:2], v3, off
.LBB115_292:
	s_or_b32 exec_lo, exec_lo, s1
	flat_store_dwordx2 v[101:102], v[196:197]
	flat_store_dwordx2 v[63:64], v[214:215]
	s_clause 0x1
	buffer_load_dword v3, off, s[12:15], 0
	buffer_load_dword v4, off, s[12:15], 0 offset:4
	v_mul_f64 v[1:2], v[38:39], v[234:235]
	v_cmp_lt_u32_e32 vcc_lo, 57, v0
	v_cndmask_b32_e32 v2, v235, v2, vcc_lo
	v_cndmask_b32_e32 v1, v234, v1, vcc_lo
	s_waitcnt vmcnt(0)
	flat_store_dwordx2 v[3:4], v[232:233]
	s_clause 0x1
	buffer_load_dword v3, off, s[12:15], 0 offset:8
	buffer_load_dword v4, off, s[12:15], 0 offset:12
	s_waitcnt vmcnt(0)
	flat_store_dwordx2 v[3:4], v[212:213]
	s_clause 0x1
	buffer_load_dword v3, off, s[12:15], 0 offset:16
	buffer_load_dword v4, off, s[12:15], 0 offset:20
	;; [unrolled: 5-line block ×52, first 2 shown]
	s_waitcnt vmcnt(0)
	flat_store_dwordx2 v[3:4], v[160:161]
	flat_store_dwordx2 v[95:96], v[120:121]
	;; [unrolled: 1-line block ×4, first 2 shown]
.LBB115_293:
	s_endpgm
	.section	.rodata,"a",@progbits
	.p2align	6, 0x0
	.amdhsa_kernel _ZN9rocsolver6v33100L23getf2_npvt_small_kernelILi58EdiiPKPdEEvT1_T3_lS5_lPT2_S5_S5_
		.amdhsa_group_segment_fixed_size 0
		.amdhsa_private_segment_fixed_size 428
		.amdhsa_kernarg_size 312
		.amdhsa_user_sgpr_count 6
		.amdhsa_user_sgpr_private_segment_buffer 1
		.amdhsa_user_sgpr_dispatch_ptr 0
		.amdhsa_user_sgpr_queue_ptr 0
		.amdhsa_user_sgpr_kernarg_segment_ptr 1
		.amdhsa_user_sgpr_dispatch_id 0
		.amdhsa_user_sgpr_flat_scratch_init 0
		.amdhsa_user_sgpr_private_segment_size 0
		.amdhsa_wavefront_size32 1
		.amdhsa_uses_dynamic_stack 0
		.amdhsa_system_sgpr_private_segment_wavefront_offset 1
		.amdhsa_system_sgpr_workgroup_id_x 1
		.amdhsa_system_sgpr_workgroup_id_y 1
		.amdhsa_system_sgpr_workgroup_id_z 0
		.amdhsa_system_sgpr_workgroup_info 0
		.amdhsa_system_vgpr_workitem_id 1
		.amdhsa_next_free_vgpr 256
		.amdhsa_next_free_sgpr 16
		.amdhsa_reserve_vcc 1
		.amdhsa_reserve_flat_scratch 1
		.amdhsa_float_round_mode_32 0
		.amdhsa_float_round_mode_16_64 0
		.amdhsa_float_denorm_mode_32 3
		.amdhsa_float_denorm_mode_16_64 3
		.amdhsa_dx10_clamp 1
		.amdhsa_ieee_mode 1
		.amdhsa_fp16_overflow 0
		.amdhsa_workgroup_processor_mode 1
		.amdhsa_memory_ordered 1
		.amdhsa_forward_progress 1
		.amdhsa_shared_vgpr_count 0
		.amdhsa_exception_fp_ieee_invalid_op 0
		.amdhsa_exception_fp_denorm_src 0
		.amdhsa_exception_fp_ieee_div_zero 0
		.amdhsa_exception_fp_ieee_overflow 0
		.amdhsa_exception_fp_ieee_underflow 0
		.amdhsa_exception_fp_ieee_inexact 0
		.amdhsa_exception_int_div_zero 0
	.end_amdhsa_kernel
	.section	.text._ZN9rocsolver6v33100L23getf2_npvt_small_kernelILi58EdiiPKPdEEvT1_T3_lS5_lPT2_S5_S5_,"axG",@progbits,_ZN9rocsolver6v33100L23getf2_npvt_small_kernelILi58EdiiPKPdEEvT1_T3_lS5_lPT2_S5_S5_,comdat
.Lfunc_end115:
	.size	_ZN9rocsolver6v33100L23getf2_npvt_small_kernelILi58EdiiPKPdEEvT1_T3_lS5_lPT2_S5_S5_, .Lfunc_end115-_ZN9rocsolver6v33100L23getf2_npvt_small_kernelILi58EdiiPKPdEEvT1_T3_lS5_lPT2_S5_S5_
                                        ; -- End function
	.set _ZN9rocsolver6v33100L23getf2_npvt_small_kernelILi58EdiiPKPdEEvT1_T3_lS5_lPT2_S5_S5_.num_vgpr, 256
	.set _ZN9rocsolver6v33100L23getf2_npvt_small_kernelILi58EdiiPKPdEEvT1_T3_lS5_lPT2_S5_S5_.num_agpr, 0
	.set _ZN9rocsolver6v33100L23getf2_npvt_small_kernelILi58EdiiPKPdEEvT1_T3_lS5_lPT2_S5_S5_.numbered_sgpr, 16
	.set _ZN9rocsolver6v33100L23getf2_npvt_small_kernelILi58EdiiPKPdEEvT1_T3_lS5_lPT2_S5_S5_.num_named_barrier, 0
	.set _ZN9rocsolver6v33100L23getf2_npvt_small_kernelILi58EdiiPKPdEEvT1_T3_lS5_lPT2_S5_S5_.private_seg_size, 428
	.set _ZN9rocsolver6v33100L23getf2_npvt_small_kernelILi58EdiiPKPdEEvT1_T3_lS5_lPT2_S5_S5_.uses_vcc, 1
	.set _ZN9rocsolver6v33100L23getf2_npvt_small_kernelILi58EdiiPKPdEEvT1_T3_lS5_lPT2_S5_S5_.uses_flat_scratch, 1
	.set _ZN9rocsolver6v33100L23getf2_npvt_small_kernelILi58EdiiPKPdEEvT1_T3_lS5_lPT2_S5_S5_.has_dyn_sized_stack, 0
	.set _ZN9rocsolver6v33100L23getf2_npvt_small_kernelILi58EdiiPKPdEEvT1_T3_lS5_lPT2_S5_S5_.has_recursion, 0
	.set _ZN9rocsolver6v33100L23getf2_npvt_small_kernelILi58EdiiPKPdEEvT1_T3_lS5_lPT2_S5_S5_.has_indirect_call, 0
	.section	.AMDGPU.csdata,"",@progbits
; Kernel info:
; codeLenInByte = 55584
; TotalNumSgprs: 18
; NumVgprs: 256
; ScratchSize: 428
; MemoryBound: 0
; FloatMode: 240
; IeeeMode: 1
; LDSByteSize: 0 bytes/workgroup (compile time only)
; SGPRBlocks: 0
; VGPRBlocks: 31
; NumSGPRsForWavesPerEU: 18
; NumVGPRsForWavesPerEU: 256
; Occupancy: 4
; WaveLimiterHint : 1
; COMPUTE_PGM_RSRC2:SCRATCH_EN: 1
; COMPUTE_PGM_RSRC2:USER_SGPR: 6
; COMPUTE_PGM_RSRC2:TRAP_HANDLER: 0
; COMPUTE_PGM_RSRC2:TGID_X_EN: 1
; COMPUTE_PGM_RSRC2:TGID_Y_EN: 1
; COMPUTE_PGM_RSRC2:TGID_Z_EN: 0
; COMPUTE_PGM_RSRC2:TIDIG_COMP_CNT: 1
	.section	.text._ZN9rocsolver6v33100L18getf2_small_kernelILi59EdiiPKPdEEvT1_T3_lS5_lPS5_llPT2_S5_S5_S7_l,"axG",@progbits,_ZN9rocsolver6v33100L18getf2_small_kernelILi59EdiiPKPdEEvT1_T3_lS5_lPS5_llPT2_S5_S5_S7_l,comdat
	.globl	_ZN9rocsolver6v33100L18getf2_small_kernelILi59EdiiPKPdEEvT1_T3_lS5_lPS5_llPT2_S5_S5_S7_l ; -- Begin function _ZN9rocsolver6v33100L18getf2_small_kernelILi59EdiiPKPdEEvT1_T3_lS5_lPS5_llPT2_S5_S5_S7_l
	.p2align	8
	.type	_ZN9rocsolver6v33100L18getf2_small_kernelILi59EdiiPKPdEEvT1_T3_lS5_lPS5_llPT2_S5_S5_S7_l,@function
_ZN9rocsolver6v33100L18getf2_small_kernelILi59EdiiPKPdEEvT1_T3_lS5_lPS5_llPT2_S5_S5_S7_l: ; @_ZN9rocsolver6v33100L18getf2_small_kernelILi59EdiiPKPdEEvT1_T3_lS5_lPS5_llPT2_S5_S5_S7_l
; %bb.0:
	s_clause 0x1
	s_load_dword s0, s[4:5], 0x6c
	s_load_dwordx2 s[12:13], s[4:5], 0x48
	s_waitcnt lgkmcnt(0)
	s_lshr_b32 s0, s0, 16
	v_mad_u64_u32 v[2:3], null, s7, s0, v[1:2]
	s_mov_b32 s0, exec_lo
	v_cmpx_gt_i32_e64 s12, v2
	s_cbranch_execz .LBB116_1000
; %bb.1:
	s_clause 0x1
	s_load_dwordx4 s[0:3], s[4:5], 0x8
	s_load_dwordx4 s[8:11], s[4:5], 0x50
	v_ashrrev_i32_e32 v3, 31, v2
	v_lshlrev_b64 v[4:5], 3, v[2:3]
	s_waitcnt lgkmcnt(0)
	v_add_co_u32 v4, vcc_lo, s0, v4
	v_add_co_ci_u32_e64 v5, null, s1, v5, vcc_lo
	s_cmp_eq_u64 s[8:9], 0
	s_cselect_b32 s6, -1, 0
	global_load_dwordx2 v[6:7], v[4:5], off
	v_mov_b32_e32 v4, 0
	v_mov_b32_e32 v5, 0
	s_and_b32 vcc_lo, exec_lo, s6
	s_cbranch_vccnz .LBB116_3
; %bb.2:
	v_mul_lo_u32 v8, s11, v2
	v_mul_lo_u32 v9, s10, v3
	v_mad_u64_u32 v[4:5], null, s10, v2, 0
	v_add3_u32 v5, v5, v9, v8
	v_lshlrev_b64 v[4:5], 2, v[4:5]
	v_add_co_u32 v4, vcc_lo, s8, v4
	v_add_co_ci_u32_e64 v5, null, s9, v5, vcc_lo
.LBB116_3:
	s_clause 0x1
	s_load_dword s8, s[4:5], 0x18
	s_load_dword s7, s[4:5], 0x0
	s_lshl_b64 s[0:1], s[2:3], 3
	v_lshlrev_b32_e32 v182, 3, v0
	s_waitcnt vmcnt(0)
	v_add_co_u32 v128, vcc_lo, v6, s0
	v_add_co_ci_u32_e64 v129, null, s1, v7, vcc_lo
	s_waitcnt lgkmcnt(0)
	v_add3_u32 v8, s8, s8, v0
	s_ashr_i32 s9, s8, 31
	s_max_i32 s0, s7, 59
	s_lshl_b64 s[10:11], s[8:9], 3
	v_mul_lo_u32 v1, s0, v1
	v_add_nc_u32_e32 v10, s8, v8
	v_ashrrev_i32_e32 v9, 31, v8
	s_cmp_lt_i32 s7, 2
	v_ashrrev_i32_e32 v11, 31, v10
	v_add_nc_u32_e32 v12, s8, v10
	v_lshlrev_b64 v[8:9], 3, v[8:9]
	v_lshlrev_b64 v[6:7], 3, v[10:11]
	v_add_nc_u32_e32 v10, s8, v12
	v_ashrrev_i32_e32 v13, 31, v12
	v_add_co_u32 v8, vcc_lo, v128, v8
	v_add_co_ci_u32_e64 v9, null, v129, v9, vcc_lo
	v_add_nc_u32_e32 v14, s8, v10
	v_ashrrev_i32_e32 v11, 31, v10
	v_lshlrev_b64 v[12:13], 3, v[12:13]
	v_add_co_u32 v6, vcc_lo, v128, v6
	v_add_nc_u32_e32 v16, s8, v14
	v_ashrrev_i32_e32 v15, 31, v14
	v_lshlrev_b64 v[10:11], 3, v[10:11]
	v_add_co_ci_u32_e64 v7, null, v129, v7, vcc_lo
	v_add_nc_u32_e32 v18, s8, v16
	v_ashrrev_i32_e32 v17, 31, v16
	v_lshlrev_b64 v[14:15], 3, v[14:15]
	v_add_co_u32 v12, vcc_lo, v128, v12
	v_add_nc_u32_e32 v20, s8, v18
	v_ashrrev_i32_e32 v19, 31, v18
	v_lshlrev_b64 v[16:17], 3, v[16:17]
	v_add_co_ci_u32_e64 v13, null, v129, v13, vcc_lo
	v_add_nc_u32_e32 v22, s8, v20
	v_ashrrev_i32_e32 v21, 31, v20
	v_add_co_u32 v10, vcc_lo, v128, v10
	v_lshlrev_b64 v[18:19], 3, v[18:19]
	v_add_nc_u32_e32 v24, s8, v22
	v_ashrrev_i32_e32 v23, 31, v22
	v_add_co_ci_u32_e64 v11, null, v129, v11, vcc_lo
	v_add_co_u32 v14, vcc_lo, v128, v14
	v_add_nc_u32_e32 v26, s8, v24
	v_ashrrev_i32_e32 v25, 31, v24
	v_lshlrev_b64 v[20:21], 3, v[20:21]
	v_add_co_ci_u32_e64 v15, null, v129, v15, vcc_lo
	v_add_nc_u32_e32 v28, s8, v26
	v_ashrrev_i32_e32 v27, 31, v26
	v_add_co_u32 v16, vcc_lo, v128, v16
	v_lshlrev_b64 v[22:23], 3, v[22:23]
	v_add_nc_u32_e32 v30, s8, v28
	v_ashrrev_i32_e32 v29, 31, v28
	v_add_co_ci_u32_e64 v17, null, v129, v17, vcc_lo
	v_add_co_u32 v18, vcc_lo, v128, v18
	v_add_nc_u32_e32 v32, s8, v30
	v_lshlrev_b64 v[24:25], 3, v[24:25]
	v_ashrrev_i32_e32 v31, 31, v30
	v_add_co_ci_u32_e64 v19, null, v129, v19, vcc_lo
	v_add_nc_u32_e32 v34, s8, v32
	v_add_co_u32 v20, vcc_lo, v128, v20
	v_lshlrev_b64 v[26:27], 3, v[26:27]
	v_ashrrev_i32_e32 v33, 31, v32
	v_add_nc_u32_e32 v36, s8, v34
	v_add_co_ci_u32_e64 v21, null, v129, v21, vcc_lo
	v_add_co_u32 v22, vcc_lo, v128, v22
	v_add_nc_u32_e32 v38, s8, v36
	v_lshlrev_b64 v[28:29], 3, v[28:29]
	v_ashrrev_i32_e32 v35, 31, v34
	v_add_co_ci_u32_e64 v23, null, v129, v23, vcc_lo
	v_add_nc_u32_e32 v40, s8, v38
	v_add_co_u32 v24, vcc_lo, v128, v24
	v_lshlrev_b64 v[30:31], 3, v[30:31]
	v_ashrrev_i32_e32 v37, 31, v36
	v_add_nc_u32_e32 v42, s8, v40
	;; [unrolled: 11-line block ×4, first 2 shown]
	v_add_co_ci_u32_e64 v33, null, v129, v33, vcc_lo
	v_add_co_u32 v34, vcc_lo, v128, v34
	v_add_nc_u32_e32 v56, s8, v54
	v_lshlrev_b64 v[40:41], 3, v[40:41]
	v_ashrrev_i32_e32 v47, 31, v46
	v_add_co_ci_u32_e64 v35, null, v129, v35, vcc_lo
	v_add_nc_u32_e32 v58, s8, v56
	v_add_co_u32 v36, vcc_lo, v128, v36
	v_lshlrev_b64 v[42:43], 3, v[42:43]
	v_ashrrev_i32_e32 v49, 31, v48
	v_add_co_ci_u32_e64 v37, null, v129, v37, vcc_lo
	v_add_co_u32 v38, vcc_lo, v128, v38
	v_lshlrev_b64 v[44:45], 3, v[44:45]
	v_ashrrev_i32_e32 v51, 31, v50
	v_add_nc_u32_e32 v60, s8, v58
	v_add_co_ci_u32_e64 v39, null, v129, v39, vcc_lo
	v_add_co_u32 v40, vcc_lo, v128, v40
	v_lshlrev_b64 v[46:47], 3, v[46:47]
	v_ashrrev_i32_e32 v53, 31, v52
	v_add_co_ci_u32_e64 v41, null, v129, v41, vcc_lo
	v_add_co_u32 v42, vcc_lo, v128, v42
	v_lshlrev_b64 v[48:49], 3, v[48:49]
	v_ashrrev_i32_e32 v55, 31, v54
	v_add_co_ci_u32_e64 v43, null, v129, v43, vcc_lo
	v_add_co_u32 v44, vcc_lo, v128, v44
	v_lshlrev_b64 v[50:51], 3, v[50:51]
	v_add_nc_u32_e32 v62, s8, v60
	v_ashrrev_i32_e32 v57, 31, v56
	v_add_co_ci_u32_e64 v45, null, v129, v45, vcc_lo
	v_add_co_u32 v46, vcc_lo, v128, v46
	v_lshlrev_b64 v[52:53], 3, v[52:53]
	v_ashrrev_i32_e32 v59, 31, v58
	v_add_co_ci_u32_e64 v47, null, v129, v47, vcc_lo
	v_add_co_u32 v48, vcc_lo, v128, v48
	v_lshlrev_b64 v[54:55], 3, v[54:55]
	v_ashrrev_i32_e32 v61, 31, v60
	v_add_nc_u32_e32 v64, s8, v62
	v_add_co_ci_u32_e64 v49, null, v129, v49, vcc_lo
	v_add_co_u32 v50, vcc_lo, v128, v50
	v_lshlrev_b64 v[56:57], 3, v[56:57]
	v_ashrrev_i32_e32 v63, 31, v62
	v_add_co_ci_u32_e64 v51, null, v129, v51, vcc_lo
	v_add_co_u32 v52, vcc_lo, v128, v52
	v_lshlrev_b64 v[58:59], 3, v[58:59]
	v_add_co_ci_u32_e64 v53, null, v129, v53, vcc_lo
	v_add_co_u32 v54, vcc_lo, v128, v54
	v_lshlrev_b64 v[60:61], 3, v[60:61]
	v_add_nc_u32_e32 v66, s8, v64
	v_add_co_ci_u32_e64 v55, null, v129, v55, vcc_lo
	v_add_co_u32 v56, vcc_lo, v128, v56
	v_lshlrev_b64 v[62:63], 3, v[62:63]
	v_ashrrev_i32_e32 v65, 31, v64
	v_add_co_ci_u32_e64 v57, null, v129, v57, vcc_lo
	v_add_co_u32 v58, vcc_lo, v128, v58
	v_ashrrev_i32_e32 v67, 31, v66
	v_add_nc_u32_e32 v68, s8, v66
	v_add_co_ci_u32_e64 v59, null, v129, v59, vcc_lo
	v_add_co_u32 v60, vcc_lo, v128, v60
	v_lshlrev_b64 v[64:65], 3, v[64:65]
	v_add_co_ci_u32_e64 v61, null, v129, v61, vcc_lo
	v_add_co_u32 v122, vcc_lo, v128, v62
	v_add_co_ci_u32_e64 v123, null, v129, v63, vcc_lo
	v_lshlrev_b64 v[62:63], 3, v[66:67]
	v_ashrrev_i32_e32 v69, 31, v68
	v_add_nc_u32_e32 v66, s8, v68
	v_add_co_u32 v124, vcc_lo, v128, v64
	v_add_co_ci_u32_e64 v125, null, v129, v65, vcc_lo
	v_lshlrev_b64 v[64:65], 3, v[68:69]
	v_ashrrev_i32_e32 v67, 31, v66
	v_add_nc_u32_e32 v68, s8, v66
	;; [unrolled: 5-line block ×23, first 2 shown]
	v_add_co_u32 v170, vcc_lo, v128, v64
	v_add_co_ci_u32_e64 v171, null, v129, v65, vcc_lo
	v_lshlrev_b64 v[64:65], 3, v[68:69]
	v_add_nc_u32_e32 v68, s8, v66
	v_ashrrev_i32_e32 v67, 31, v66
	v_add_co_u32 v172, vcc_lo, v128, v62
	v_add_co_ci_u32_e64 v173, null, v129, v63, vcc_lo
	v_ashrrev_i32_e32 v69, 31, v68
	v_lshlrev_b64 v[62:63], 3, v[66:67]
	v_add_co_u32 v174, vcc_lo, v128, v64
	v_add_co_ci_u32_e64 v175, null, v129, v65, vcc_lo
	v_lshlrev_b64 v[64:65], 3, v[68:69]
	v_add_nc_u32_e32 v66, s8, v68
	v_add_co_u32 v176, vcc_lo, v128, v62
	v_add_co_ci_u32_e64 v177, null, v129, v63, vcc_lo
	v_ashrrev_i32_e32 v67, 31, v66
	v_add_co_u32 v178, vcc_lo, v128, v64
	v_add_co_ci_u32_e64 v179, null, v129, v65, vcc_lo
	v_add_co_u32 v64, vcc_lo, v128, v182
	v_add_co_ci_u32_e64 v65, null, 0, v129, vcc_lo
	v_lshlrev_b64 v[62:63], 3, v[66:67]
	v_add_co_u32 v66, vcc_lo, v64, s10
	v_add_co_ci_u32_e64 v67, null, s11, v65, vcc_lo
	v_add_co_u32 v180, vcc_lo, v128, v62
	v_add_co_ci_u32_e64 v181, null, v129, v63, vcc_lo
	s_clause 0x3a
	flat_load_dwordx2 v[120:121], v[64:65]
	flat_load_dwordx2 v[118:119], v[66:67]
	;; [unrolled: 1-line block ×59, first 2 shown]
	v_lshl_add_u32 v130, v1, 3, 0
	v_lshlrev_b32_e32 v131, 3, v1
	v_mov_b32_e32 v126, 0
	v_add_nc_u32_e32 v124, v130, v182
	s_waitcnt vmcnt(58) lgkmcnt(58)
	ds_write_b64 v124, v[120:121]
	s_waitcnt vmcnt(0) lgkmcnt(0)
	s_barrier
	buffer_gl0_inv
	ds_read_b64 v[124:125], v130
	s_cbranch_scc1 .LBB116_6
; %bb.4:
	v_add3_u32 v1, v131, 0, 8
	v_mov_b32_e32 v126, 0
	s_mov_b32 s0, 1
.LBB116_5:                              ; =>This Inner Loop Header: Depth=1
	ds_read_b64 v[132:133], v1
	v_add_nc_u32_e32 v1, 8, v1
	s_waitcnt lgkmcnt(0)
	v_cmp_lt_f64_e64 vcc_lo, |v[124:125]|, |v[132:133]|
	v_cndmask_b32_e32 v125, v125, v133, vcc_lo
	v_cndmask_b32_e32 v124, v124, v132, vcc_lo
	v_cndmask_b32_e64 v126, v126, s0, vcc_lo
	s_add_i32 s0, s0, 1
	s_cmp_eq_u32 s7, s0
	s_cbranch_scc0 .LBB116_5
.LBB116_6:
	s_mov_b32 s0, exec_lo
                                        ; implicit-def: $vgpr133
	v_cmpx_ne_u32_e64 v0, v126
	s_xor_b32 s0, exec_lo, s0
	s_cbranch_execz .LBB116_12
; %bb.7:
	s_mov_b32 s1, exec_lo
	v_cmpx_eq_u32_e32 0, v0
	s_cbranch_execz .LBB116_11
; %bb.8:
	v_cmp_ne_u32_e32 vcc_lo, 0, v126
	s_xor_b32 s2, s6, -1
	s_and_b32 s3, s2, vcc_lo
	s_and_saveexec_b32 s2, s3
	s_cbranch_execz .LBB116_10
; %bb.9:
	v_ashrrev_i32_e32 v127, 31, v126
	v_lshlrev_b64 v[0:1], 2, v[126:127]
	v_add_co_u32 v0, vcc_lo, v4, v0
	v_add_co_ci_u32_e64 v1, null, v5, v1, vcc_lo
	s_clause 0x1
	global_load_dword v127, v[0:1], off
	global_load_dword v132, v[4:5], off
	s_waitcnt vmcnt(1)
	global_store_dword v[4:5], v127, off
	s_waitcnt vmcnt(0)
	global_store_dword v[0:1], v132, off
.LBB116_10:
	s_or_b32 exec_lo, exec_lo, s2
	v_mov_b32_e32 v0, v126
.LBB116_11:
	s_or_b32 exec_lo, exec_lo, s1
	v_mov_b32_e32 v133, v0
                                        ; implicit-def: $vgpr0
.LBB116_12:
	s_or_saveexec_b32 s0, s0
	v_mov_b32_e32 v132, v133
	s_xor_b32 exec_lo, exec_lo, s0
	s_cbranch_execz .LBB116_14
; %bb.13:
	v_mov_b32_e32 v133, 0
	v_mov_b32_e32 v132, v0
	ds_write2_b64 v130, v[118:119], v[116:117] offset0:1 offset1:2
	ds_write2_b64 v130, v[114:115], v[112:113] offset0:3 offset1:4
	ds_write2_b64 v130, v[108:109], v[110:111] offset0:5 offset1:6
	ds_write2_b64 v130, v[104:105], v[106:107] offset0:7 offset1:8
	ds_write2_b64 v130, v[102:103], v[100:101] offset0:9 offset1:10
	ds_write2_b64 v130, v[98:99], v[96:97] offset0:11 offset1:12
	ds_write2_b64 v130, v[94:95], v[92:93] offset0:13 offset1:14
	ds_write2_b64 v130, v[88:89], v[90:91] offset0:15 offset1:16
	ds_write2_b64 v130, v[84:85], v[86:87] offset0:17 offset1:18
	ds_write2_b64 v130, v[82:83], v[80:81] offset0:19 offset1:20
	ds_write2_b64 v130, v[78:79], v[76:77] offset0:21 offset1:22
	ds_write2_b64 v130, v[74:75], v[72:73] offset0:23 offset1:24
	ds_write2_b64 v130, v[68:69], v[70:71] offset0:25 offset1:26
	ds_write2_b64 v130, v[64:65], v[66:67] offset0:27 offset1:28
	ds_write2_b64 v130, v[62:63], v[60:61] offset0:29 offset1:30
	ds_write2_b64 v130, v[58:59], v[56:57] offset0:31 offset1:32
	ds_write2_b64 v130, v[54:55], v[52:53] offset0:33 offset1:34
	ds_write2_b64 v130, v[48:49], v[50:51] offset0:35 offset1:36
	ds_write2_b64 v130, v[44:45], v[46:47] offset0:37 offset1:38
	ds_write2_b64 v130, v[42:43], v[40:41] offset0:39 offset1:40
	ds_write2_b64 v130, v[38:39], v[36:37] offset0:41 offset1:42
	ds_write2_b64 v130, v[34:35], v[32:33] offset0:43 offset1:44
	ds_write2_b64 v130, v[28:29], v[30:31] offset0:45 offset1:46
	ds_write2_b64 v130, v[24:25], v[26:27] offset0:47 offset1:48
	ds_write2_b64 v130, v[22:23], v[20:21] offset0:49 offset1:50
	ds_write2_b64 v130, v[18:19], v[16:17] offset0:51 offset1:52
	ds_write2_b64 v130, v[14:15], v[12:13] offset0:53 offset1:54
	ds_write2_b64 v130, v[8:9], v[10:11] offset0:55 offset1:56
	ds_write2_b64 v130, v[6:7], v[122:123] offset0:57 offset1:58
.LBB116_14:
	s_or_b32 exec_lo, exec_lo, s0
	s_waitcnt lgkmcnt(0)
	v_cmp_eq_f64_e64 s0, 0, v[124:125]
	s_mov_b32 s1, exec_lo
	s_waitcnt_vscnt null, 0x0
	s_barrier
	buffer_gl0_inv
	v_cmpx_lt_i32_e32 0, v133
	s_cbranch_execz .LBB116_16
; %bb.15:
	v_div_scale_f64 v[0:1], null, v[124:125], v[124:125], 1.0
	v_div_scale_f64 v[136:137], vcc_lo, 1.0, v[124:125], 1.0
	v_rcp_f64_e32 v[126:127], v[0:1]
	v_fma_f64 v[134:135], -v[0:1], v[126:127], 1.0
	v_fma_f64 v[126:127], v[126:127], v[134:135], v[126:127]
	v_fma_f64 v[134:135], -v[0:1], v[126:127], 1.0
	v_fma_f64 v[126:127], v[126:127], v[134:135], v[126:127]
	v_mul_f64 v[134:135], v[136:137], v[126:127]
	v_fma_f64 v[0:1], -v[0:1], v[134:135], v[136:137]
	v_div_fmas_f64 v[0:1], v[0:1], v[126:127], v[134:135]
	v_div_fixup_f64 v[0:1], v[0:1], v[124:125], 1.0
	v_cndmask_b32_e64 v1, v1, v125, s0
	v_cndmask_b32_e64 v0, v0, v124, s0
	ds_read2_b64 v[124:127], v130 offset0:1 offset1:2
	ds_read2_b64 v[134:137], v130 offset0:3 offset1:4
	;; [unrolled: 1-line block ×16, first 2 shown]
	v_mul_f64 v[120:121], v[0:1], v[120:121]
	s_waitcnt lgkmcnt(15)
	v_fma_f64 v[118:119], -v[120:121], v[124:125], v[118:119]
	v_fma_f64 v[116:117], -v[120:121], v[126:127], v[116:117]
	ds_read2_b64 v[124:127], v130 offset0:33 offset1:34
	ds_read2_b64 v[194:197], v130 offset0:35 offset1:36
	s_waitcnt lgkmcnt(16)
	v_fma_f64 v[114:115], -v[120:121], v[134:135], v[114:115]
	v_fma_f64 v[112:113], -v[120:121], v[136:137], v[112:113]
	s_waitcnt lgkmcnt(15)
	v_fma_f64 v[108:109], -v[120:121], v[138:139], v[108:109]
	v_fma_f64 v[110:111], -v[120:121], v[140:141], v[110:111]
	ds_read2_b64 v[134:137], v130 offset0:37 offset1:38
	ds_read2_b64 v[138:141], v130 offset0:39 offset1:40
	s_waitcnt lgkmcnt(16)
	v_fma_f64 v[104:105], -v[120:121], v[142:143], v[104:105]
	v_fma_f64 v[106:107], -v[120:121], v[144:145], v[106:107]
	;; [unrolled: 8-line block ×6, first 2 shown]
	ds_read2_b64 v[174:177], v130 offset0:57 offset1:58
	s_waitcnt lgkmcnt(16)
	v_fma_f64 v[68:69], -v[120:121], v[178:179], v[68:69]
	v_fma_f64 v[70:71], -v[120:121], v[180:181], v[70:71]
	s_waitcnt lgkmcnt(15)
	v_fma_f64 v[64:65], -v[120:121], v[182:183], v[64:65]
	v_fma_f64 v[66:67], -v[120:121], v[184:185], v[66:67]
	;; [unrolled: 3-line block ×17, first 2 shown]
.LBB116_16:
	s_or_b32 exec_lo, exec_lo, s1
	v_lshl_add_u32 v0, v133, 3, v130
	s_barrier
	buffer_gl0_inv
	v_mov_b32_e32 v124, 1
	ds_write_b64 v0, v[118:119]
	s_waitcnt lgkmcnt(0)
	s_barrier
	buffer_gl0_inv
	ds_read_b64 v[0:1], v130 offset:8
	s_cmp_lt_i32 s7, 3
	s_cbranch_scc1 .LBB116_19
; %bb.17:
	v_add3_u32 v125, v131, 0, 16
	v_mov_b32_e32 v124, 1
	s_mov_b32 s1, 2
.LBB116_18:                             ; =>This Inner Loop Header: Depth=1
	ds_read_b64 v[126:127], v125
	v_add_nc_u32_e32 v125, 8, v125
	s_waitcnt lgkmcnt(0)
	v_cmp_lt_f64_e64 vcc_lo, |v[0:1]|, |v[126:127]|
	v_cndmask_b32_e32 v1, v1, v127, vcc_lo
	v_cndmask_b32_e32 v0, v0, v126, vcc_lo
	v_cndmask_b32_e64 v124, v124, s1, vcc_lo
	s_add_i32 s1, s1, 1
	s_cmp_lg_u32 s7, s1
	s_cbranch_scc1 .LBB116_18
.LBB116_19:
	s_mov_b32 s1, exec_lo
	v_cmpx_ne_u32_e64 v133, v124
	s_xor_b32 s1, exec_lo, s1
	s_cbranch_execz .LBB116_25
; %bb.20:
	s_mov_b32 s2, exec_lo
	v_cmpx_eq_u32_e32 1, v133
	s_cbranch_execz .LBB116_24
; %bb.21:
	v_cmp_ne_u32_e32 vcc_lo, 1, v124
	s_xor_b32 s3, s6, -1
	s_and_b32 s9, s3, vcc_lo
	s_and_saveexec_b32 s3, s9
	s_cbranch_execz .LBB116_23
; %bb.22:
	v_ashrrev_i32_e32 v125, 31, v124
	v_lshlrev_b64 v[125:126], 2, v[124:125]
	v_add_co_u32 v125, vcc_lo, v4, v125
	v_add_co_ci_u32_e64 v126, null, v5, v126, vcc_lo
	s_clause 0x1
	global_load_dword v127, v[125:126], off
	global_load_dword v132, v[4:5], off offset:4
	s_waitcnt vmcnt(1)
	global_store_dword v[4:5], v127, off offset:4
	s_waitcnt vmcnt(0)
	global_store_dword v[125:126], v132, off
.LBB116_23:
	s_or_b32 exec_lo, exec_lo, s3
	v_mov_b32_e32 v132, v124
	v_mov_b32_e32 v133, v124
.LBB116_24:
	s_or_b32 exec_lo, exec_lo, s2
.LBB116_25:
	s_andn2_saveexec_b32 s1, s1
	s_cbranch_execz .LBB116_27
; %bb.26:
	v_mov_b32_e32 v124, v116
	v_mov_b32_e32 v125, v117
	;; [unrolled: 1-line block ×16, first 2 shown]
	ds_write2_b64 v130, v[124:125], v[126:127] offset0:2 offset1:3
	ds_write2_b64 v130, v[133:134], v[135:136] offset0:4 offset1:5
	ds_write2_b64 v130, v[137:138], v[139:140] offset0:6 offset1:7
	ds_write2_b64 v130, v[141:142], v[143:144] offset0:8 offset1:9
	v_mov_b32_e32 v124, v100
	v_mov_b32_e32 v125, v101
	v_mov_b32_e32 v126, v98
	v_mov_b32_e32 v127, v99
	v_mov_b32_e32 v133, v96
	v_mov_b32_e32 v134, v97
	v_mov_b32_e32 v135, v94
	v_mov_b32_e32 v136, v95
	v_mov_b32_e32 v137, v92
	v_mov_b32_e32 v138, v93
	v_mov_b32_e32 v139, v88
	v_mov_b32_e32 v140, v89
	v_mov_b32_e32 v141, v90
	v_mov_b32_e32 v142, v91
	v_mov_b32_e32 v143, v84
	v_mov_b32_e32 v144, v85
	v_mov_b32_e32 v145, v86
	v_mov_b32_e32 v146, v87
	v_mov_b32_e32 v147, v82
	v_mov_b32_e32 v148, v83
	ds_write2_b64 v130, v[124:125], v[126:127] offset0:10 offset1:11
	ds_write2_b64 v130, v[133:134], v[135:136] offset0:12 offset1:13
	ds_write2_b64 v130, v[137:138], v[139:140] offset0:14 offset1:15
	ds_write2_b64 v130, v[141:142], v[143:144] offset0:16 offset1:17
	ds_write2_b64 v130, v[145:146], v[147:148] offset0:18 offset1:19
	v_mov_b32_e32 v124, v80
	v_mov_b32_e32 v125, v81
	v_mov_b32_e32 v126, v78
	v_mov_b32_e32 v127, v79
	v_mov_b32_e32 v133, v76
	v_mov_b32_e32 v134, v77
	v_mov_b32_e32 v135, v74
	v_mov_b32_e32 v136, v75
	v_mov_b32_e32 v137, v72
	v_mov_b32_e32 v138, v73
	v_mov_b32_e32 v139, v68
	v_mov_b32_e32 v140, v69
	v_mov_b32_e32 v141, v70
	v_mov_b32_e32 v142, v71
	v_mov_b32_e32 v143, v64
	v_mov_b32_e32 v144, v65
	v_mov_b32_e32 v145, v66
	v_mov_b32_e32 v146, v67
	v_mov_b32_e32 v147, v62
	v_mov_b32_e32 v148, v63
	ds_write2_b64 v130, v[124:125], v[126:127] offset0:20 offset1:21
	;; [unrolled: 25-line block ×4, first 2 shown]
	ds_write2_b64 v130, v[133:134], v[135:136] offset0:42 offset1:43
	ds_write2_b64 v130, v[137:138], v[139:140] offset0:44 offset1:45
	;; [unrolled: 1-line block ×4, first 2 shown]
	v_mov_b32_e32 v124, v20
	v_mov_b32_e32 v125, v21
	;; [unrolled: 1-line block ×17, first 2 shown]
	ds_write2_b64 v130, v[124:125], v[126:127] offset0:50 offset1:51
	ds_write2_b64 v130, v[134:135], v[136:137] offset0:52 offset1:53
	;; [unrolled: 1-line block ×4, first 2 shown]
	ds_write_b64 v130, v[122:123] offset:464
.LBB116_27:
	s_or_b32 exec_lo, exec_lo, s1
	s_waitcnt lgkmcnt(0)
	v_cmp_neq_f64_e64 s1, 0, v[0:1]
	s_mov_b32 s2, exec_lo
	s_waitcnt_vscnt null, 0x0
	s_barrier
	buffer_gl0_inv
	v_cmpx_lt_i32_e32 1, v133
	s_cbranch_execz .LBB116_29
; %bb.28:
	v_div_scale_f64 v[124:125], null, v[0:1], v[0:1], 1.0
	v_div_scale_f64 v[136:137], vcc_lo, 1.0, v[0:1], 1.0
	v_rcp_f64_e32 v[126:127], v[124:125]
	v_fma_f64 v[134:135], -v[124:125], v[126:127], 1.0
	v_fma_f64 v[126:127], v[126:127], v[134:135], v[126:127]
	v_fma_f64 v[134:135], -v[124:125], v[126:127], 1.0
	v_fma_f64 v[126:127], v[126:127], v[134:135], v[126:127]
	v_mul_f64 v[134:135], v[136:137], v[126:127]
	v_fma_f64 v[124:125], -v[124:125], v[134:135], v[136:137]
	v_div_fmas_f64 v[124:125], v[124:125], v[126:127], v[134:135]
	v_div_fixup_f64 v[146:147], v[124:125], v[0:1], 1.0
	ds_read2_b64 v[124:127], v130 offset0:2 offset1:3
	ds_read2_b64 v[134:137], v130 offset0:4 offset1:5
	;; [unrolled: 1-line block ×4, first 2 shown]
	v_cndmask_b32_e64 v1, v1, v147, s1
	v_cndmask_b32_e64 v0, v0, v146, s1
	ds_read2_b64 v[146:149], v130 offset0:10 offset1:11
	ds_read2_b64 v[150:153], v130 offset0:12 offset1:13
	;; [unrolled: 1-line block ×4, first 2 shown]
	v_mul_f64 v[118:119], v[0:1], v[118:119]
	ds_read2_b64 v[162:165], v130 offset0:18 offset1:19
	ds_read2_b64 v[166:169], v130 offset0:20 offset1:21
	;; [unrolled: 1-line block ×20, first 2 shown]
	ds_read_b64 v[0:1], v130 offset:464
	s_waitcnt lgkmcnt(28)
	v_fma_f64 v[116:117], -v[118:119], v[124:125], v[116:117]
	v_fma_f64 v[114:115], -v[118:119], v[126:127], v[114:115]
	s_waitcnt lgkmcnt(27)
	v_fma_f64 v[112:113], -v[118:119], v[134:135], v[112:113]
	v_fma_f64 v[108:109], -v[118:119], v[136:137], v[108:109]
	;; [unrolled: 3-line block ×28, first 2 shown]
	s_waitcnt lgkmcnt(0)
	v_fma_f64 v[122:123], -v[118:119], v[0:1], v[122:123]
.LBB116_29:
	s_or_b32 exec_lo, exec_lo, s2
	v_lshl_add_u32 v0, v133, 3, v130
	s_barrier
	buffer_gl0_inv
	v_mov_b32_e32 v124, 2
	ds_write_b64 v0, v[116:117]
	s_waitcnt lgkmcnt(0)
	s_barrier
	buffer_gl0_inv
	ds_read_b64 v[0:1], v130 offset:16
	s_cmp_lt_i32 s7, 4
	s_mov_b32 s2, 3
	s_cbranch_scc1 .LBB116_32
; %bb.30:
	v_add3_u32 v125, v131, 0, 24
	v_mov_b32_e32 v124, 2
.LBB116_31:                             ; =>This Inner Loop Header: Depth=1
	ds_read_b64 v[126:127], v125
	v_add_nc_u32_e32 v125, 8, v125
	s_waitcnt lgkmcnt(0)
	v_cmp_lt_f64_e64 vcc_lo, |v[0:1]|, |v[126:127]|
	v_cndmask_b32_e32 v1, v1, v127, vcc_lo
	v_cndmask_b32_e32 v0, v0, v126, vcc_lo
	v_cndmask_b32_e64 v124, v124, s2, vcc_lo
	s_add_i32 s2, s2, 1
	s_cmp_lg_u32 s7, s2
	s_cbranch_scc1 .LBB116_31
.LBB116_32:
	v_cndmask_b32_e64 v125, 2, 1, s0
	v_cndmask_b32_e64 v126, 0, 1, s0
	s_mov_b32 s0, exec_lo
	v_cndmask_b32_e64 v127, v125, v126, s1
	s_waitcnt lgkmcnt(0)
	v_cmpx_eq_f64_e32 0, v[0:1]
	s_xor_b32 s0, exec_lo, s0
; %bb.33:
	v_cmp_ne_u32_e32 vcc_lo, 0, v127
	v_cndmask_b32_e32 v127, 3, v127, vcc_lo
; %bb.34:
	s_andn2_saveexec_b32 s0, s0
	s_cbranch_execz .LBB116_36
; %bb.35:
	v_div_scale_f64 v[125:126], null, v[0:1], v[0:1], 1.0
	v_rcp_f64_e32 v[134:135], v[125:126]
	v_fma_f64 v[136:137], -v[125:126], v[134:135], 1.0
	v_fma_f64 v[134:135], v[134:135], v[136:137], v[134:135]
	v_fma_f64 v[136:137], -v[125:126], v[134:135], 1.0
	v_fma_f64 v[134:135], v[134:135], v[136:137], v[134:135]
	v_div_scale_f64 v[136:137], vcc_lo, 1.0, v[0:1], 1.0
	v_mul_f64 v[138:139], v[136:137], v[134:135]
	v_fma_f64 v[125:126], -v[125:126], v[138:139], v[136:137]
	v_div_fmas_f64 v[125:126], v[125:126], v[134:135], v[138:139]
	v_div_fixup_f64 v[0:1], v[125:126], v[0:1], 1.0
.LBB116_36:
	s_or_b32 exec_lo, exec_lo, s0
	s_mov_b32 s0, exec_lo
	v_cmpx_ne_u32_e64 v133, v124
	s_xor_b32 s0, exec_lo, s0
	s_cbranch_execz .LBB116_42
; %bb.37:
	s_mov_b32 s1, exec_lo
	v_cmpx_eq_u32_e32 2, v133
	s_cbranch_execz .LBB116_41
; %bb.38:
	v_cmp_ne_u32_e32 vcc_lo, 2, v124
	s_xor_b32 s2, s6, -1
	s_and_b32 s3, s2, vcc_lo
	s_and_saveexec_b32 s2, s3
	s_cbranch_execz .LBB116_40
; %bb.39:
	v_ashrrev_i32_e32 v125, 31, v124
	v_lshlrev_b64 v[125:126], 2, v[124:125]
	v_add_co_u32 v125, vcc_lo, v4, v125
	v_add_co_ci_u32_e64 v126, null, v5, v126, vcc_lo
	s_clause 0x1
	global_load_dword v132, v[125:126], off
	global_load_dword v133, v[4:5], off offset:8
	s_waitcnt vmcnt(1)
	global_store_dword v[4:5], v132, off offset:8
	s_waitcnt vmcnt(0)
	global_store_dword v[125:126], v133, off
.LBB116_40:
	s_or_b32 exec_lo, exec_lo, s2
	v_mov_b32_e32 v132, v124
	v_mov_b32_e32 v133, v124
.LBB116_41:
	s_or_b32 exec_lo, exec_lo, s1
.LBB116_42:
	s_andn2_saveexec_b32 s0, s0
	s_cbranch_execz .LBB116_44
; %bb.43:
	v_mov_b32_e32 v133, 2
	ds_write2_b64 v130, v[114:115], v[112:113] offset0:3 offset1:4
	ds_write2_b64 v130, v[108:109], v[110:111] offset0:5 offset1:6
	;; [unrolled: 1-line block ×28, first 2 shown]
.LBB116_44:
	s_or_b32 exec_lo, exec_lo, s0
	s_mov_b32 s0, exec_lo
	s_waitcnt lgkmcnt(0)
	s_waitcnt_vscnt null, 0x0
	s_barrier
	buffer_gl0_inv
	v_cmpx_lt_i32_e32 2, v133
	s_cbranch_execz .LBB116_46
; %bb.45:
	v_mul_f64 v[116:117], v[0:1], v[116:117]
	ds_read2_b64 v[134:137], v130 offset0:3 offset1:4
	ds_read2_b64 v[138:141], v130 offset0:5 offset1:6
	;; [unrolled: 1-line block ×12, first 2 shown]
	s_waitcnt lgkmcnt(11)
	v_fma_f64 v[114:115], -v[116:117], v[134:135], v[114:115]
	v_fma_f64 v[112:113], -v[116:117], v[136:137], v[112:113]
	s_waitcnt lgkmcnt(10)
	v_fma_f64 v[108:109], -v[116:117], v[138:139], v[108:109]
	v_fma_f64 v[110:111], -v[116:117], v[140:141], v[110:111]
	;; [unrolled: 3-line block ×5, first 2 shown]
	ds_read2_b64 v[134:137], v130 offset0:27 offset1:28
	ds_read2_b64 v[138:141], v130 offset0:29 offset1:30
	;; [unrolled: 1-line block ×5, first 2 shown]
	s_waitcnt lgkmcnt(11)
	v_fma_f64 v[94:95], -v[116:117], v[154:155], v[94:95]
	v_fma_f64 v[92:93], -v[116:117], v[156:157], v[92:93]
	s_waitcnt lgkmcnt(10)
	v_fma_f64 v[88:89], -v[116:117], v[158:159], v[88:89]
	v_fma_f64 v[90:91], -v[116:117], v[160:161], v[90:91]
	s_waitcnt lgkmcnt(9)
	v_fma_f64 v[84:85], -v[116:117], v[162:163], v[84:85]
	v_fma_f64 v[86:87], -v[116:117], v[164:165], v[86:87]
	s_waitcnt lgkmcnt(8)
	v_fma_f64 v[82:83], -v[116:117], v[166:167], v[82:83]
	v_fma_f64 v[80:81], -v[116:117], v[168:169], v[80:81]
	s_waitcnt lgkmcnt(7)
	v_fma_f64 v[78:79], -v[116:117], v[170:171], v[78:79]
	v_fma_f64 v[76:77], -v[116:117], v[172:173], v[76:77]
	s_waitcnt lgkmcnt(6)
	v_fma_f64 v[74:75], -v[116:117], v[174:175], v[74:75]
	v_fma_f64 v[72:73], -v[116:117], v[176:177], v[72:73]
	ds_read2_b64 v[154:157], v130 offset0:37 offset1:38
	s_waitcnt lgkmcnt(6)
	v_fma_f64 v[68:69], -v[116:117], v[178:179], v[68:69]
	v_fma_f64 v[70:71], -v[116:117], v[180:181], v[70:71]
	s_waitcnt lgkmcnt(5)
	v_fma_f64 v[64:65], -v[116:117], v[134:135], v[64:65]
	v_fma_f64 v[66:67], -v[116:117], v[136:137], v[66:67]
	ds_read2_b64 v[134:137], v130 offset0:39 offset1:40
	ds_read2_b64 v[158:161], v130 offset0:41 offset1:42
	s_waitcnt lgkmcnt(6)
	v_fma_f64 v[62:63], -v[116:117], v[138:139], v[62:63]
	v_fma_f64 v[60:61], -v[116:117], v[140:141], v[60:61]
	ds_read2_b64 v[138:141], v130 offset0:43 offset1:44
	ds_read2_b64 v[162:165], v130 offset0:45 offset1:46
	;; [unrolled: 5-line block ×5, first 2 shown]
	s_waitcnt lgkmcnt(10)
	v_fma_f64 v[44:45], -v[116:117], v[154:155], v[44:45]
	v_fma_f64 v[46:47], -v[116:117], v[156:157], v[46:47]
	s_waitcnt lgkmcnt(9)
	v_fma_f64 v[42:43], -v[116:117], v[134:135], v[42:43]
	v_fma_f64 v[40:41], -v[116:117], v[136:137], v[40:41]
	;; [unrolled: 3-line block ×11, first 2 shown]
.LBB116_46:
	s_or_b32 exec_lo, exec_lo, s0
	v_lshl_add_u32 v0, v133, 3, v130
	s_barrier
	buffer_gl0_inv
	v_mov_b32_e32 v124, 3
	ds_write_b64 v0, v[114:115]
	s_waitcnt lgkmcnt(0)
	s_barrier
	buffer_gl0_inv
	ds_read_b64 v[0:1], v130 offset:24
	s_cmp_lt_i32 s7, 5
	s_cbranch_scc1 .LBB116_49
; %bb.47:
	v_mov_b32_e32 v124, 3
	v_add3_u32 v125, v131, 0, 32
	s_mov_b32 s0, 4
.LBB116_48:                             ; =>This Inner Loop Header: Depth=1
	ds_read_b64 v[134:135], v125
	v_add_nc_u32_e32 v125, 8, v125
	s_waitcnt lgkmcnt(0)
	v_cmp_lt_f64_e64 vcc_lo, |v[0:1]|, |v[134:135]|
	v_cndmask_b32_e32 v1, v1, v135, vcc_lo
	v_cndmask_b32_e32 v0, v0, v134, vcc_lo
	v_cndmask_b32_e64 v124, v124, s0, vcc_lo
	s_add_i32 s0, s0, 1
	s_cmp_lg_u32 s7, s0
	s_cbranch_scc1 .LBB116_48
.LBB116_49:
	s_mov_b32 s0, exec_lo
	s_waitcnt lgkmcnt(0)
	v_cmpx_eq_f64_e32 0, v[0:1]
	s_xor_b32 s0, exec_lo, s0
; %bb.50:
	v_cmp_ne_u32_e32 vcc_lo, 0, v127
	v_cndmask_b32_e32 v127, 4, v127, vcc_lo
; %bb.51:
	s_andn2_saveexec_b32 s0, s0
	s_cbranch_execz .LBB116_53
; %bb.52:
	v_div_scale_f64 v[125:126], null, v[0:1], v[0:1], 1.0
	v_rcp_f64_e32 v[134:135], v[125:126]
	v_fma_f64 v[136:137], -v[125:126], v[134:135], 1.0
	v_fma_f64 v[134:135], v[134:135], v[136:137], v[134:135]
	v_fma_f64 v[136:137], -v[125:126], v[134:135], 1.0
	v_fma_f64 v[134:135], v[134:135], v[136:137], v[134:135]
	v_div_scale_f64 v[136:137], vcc_lo, 1.0, v[0:1], 1.0
	v_mul_f64 v[138:139], v[136:137], v[134:135]
	v_fma_f64 v[125:126], -v[125:126], v[138:139], v[136:137]
	v_div_fmas_f64 v[125:126], v[125:126], v[134:135], v[138:139]
	v_div_fixup_f64 v[0:1], v[125:126], v[0:1], 1.0
.LBB116_53:
	s_or_b32 exec_lo, exec_lo, s0
	s_mov_b32 s0, exec_lo
	v_cmpx_ne_u32_e64 v133, v124
	s_xor_b32 s0, exec_lo, s0
	s_cbranch_execz .LBB116_59
; %bb.54:
	s_mov_b32 s1, exec_lo
	v_cmpx_eq_u32_e32 3, v133
	s_cbranch_execz .LBB116_58
; %bb.55:
	v_cmp_ne_u32_e32 vcc_lo, 3, v124
	s_xor_b32 s2, s6, -1
	s_and_b32 s3, s2, vcc_lo
	s_and_saveexec_b32 s2, s3
	s_cbranch_execz .LBB116_57
; %bb.56:
	v_ashrrev_i32_e32 v125, 31, v124
	v_lshlrev_b64 v[125:126], 2, v[124:125]
	v_add_co_u32 v125, vcc_lo, v4, v125
	v_add_co_ci_u32_e64 v126, null, v5, v126, vcc_lo
	s_clause 0x1
	global_load_dword v132, v[125:126], off
	global_load_dword v133, v[4:5], off offset:12
	s_waitcnt vmcnt(1)
	global_store_dword v[4:5], v132, off offset:12
	s_waitcnt vmcnt(0)
	global_store_dword v[125:126], v133, off
.LBB116_57:
	s_or_b32 exec_lo, exec_lo, s2
	v_mov_b32_e32 v132, v124
	v_mov_b32_e32 v133, v124
.LBB116_58:
	s_or_b32 exec_lo, exec_lo, s1
.LBB116_59:
	s_andn2_saveexec_b32 s0, s0
	s_cbranch_execz .LBB116_61
; %bb.60:
	v_mov_b32_e32 v124, v112
	v_mov_b32_e32 v125, v113
	;; [unrolled: 1-line block ×12, first 2 shown]
	ds_write2_b64 v130, v[124:125], v[133:134] offset0:4 offset1:5
	ds_write2_b64 v130, v[135:136], v[137:138] offset0:6 offset1:7
	ds_write2_b64 v130, v[139:140], v[141:142] offset0:8 offset1:9
	v_mov_b32_e32 v124, v100
	v_mov_b32_e32 v125, v101
	v_mov_b32_e32 v133, v98
	v_mov_b32_e32 v134, v99
	v_mov_b32_e32 v135, v96
	v_mov_b32_e32 v136, v97
	v_mov_b32_e32 v137, v94
	v_mov_b32_e32 v138, v95
	v_mov_b32_e32 v139, v92
	v_mov_b32_e32 v140, v93
	v_mov_b32_e32 v141, v88
	v_mov_b32_e32 v142, v89
	v_mov_b32_e32 v143, v90
	v_mov_b32_e32 v144, v91
	v_mov_b32_e32 v145, v84
	v_mov_b32_e32 v146, v85
	v_mov_b32_e32 v147, v86
	v_mov_b32_e32 v148, v87
	v_mov_b32_e32 v149, v82
	v_mov_b32_e32 v150, v83
	ds_write2_b64 v130, v[124:125], v[133:134] offset0:10 offset1:11
	ds_write2_b64 v130, v[135:136], v[137:138] offset0:12 offset1:13
	ds_write2_b64 v130, v[139:140], v[141:142] offset0:14 offset1:15
	ds_write2_b64 v130, v[143:144], v[145:146] offset0:16 offset1:17
	ds_write2_b64 v130, v[147:148], v[149:150] offset0:18 offset1:19
	v_mov_b32_e32 v124, v80
	v_mov_b32_e32 v125, v81
	v_mov_b32_e32 v133, v78
	v_mov_b32_e32 v134, v79
	v_mov_b32_e32 v135, v76
	v_mov_b32_e32 v136, v77
	v_mov_b32_e32 v137, v74
	v_mov_b32_e32 v138, v75
	v_mov_b32_e32 v139, v72
	v_mov_b32_e32 v140, v73
	v_mov_b32_e32 v141, v68
	v_mov_b32_e32 v142, v69
	v_mov_b32_e32 v143, v70
	v_mov_b32_e32 v144, v71
	v_mov_b32_e32 v145, v64
	v_mov_b32_e32 v146, v65
	v_mov_b32_e32 v147, v66
	v_mov_b32_e32 v148, v67
	v_mov_b32_e32 v149, v62
	v_mov_b32_e32 v150, v63
	ds_write2_b64 v130, v[124:125], v[133:134] offset0:20 offset1:21
	ds_write2_b64 v130, v[135:136], v[137:138] offset0:22 offset1:23
	;; [unrolled: 25-line block ×4, first 2 shown]
	ds_write2_b64 v130, v[139:140], v[141:142] offset0:44 offset1:45
	ds_write2_b64 v130, v[143:144], v[145:146] offset0:46 offset1:47
	;; [unrolled: 1-line block ×3, first 2 shown]
	v_mov_b32_e32 v124, v20
	v_mov_b32_e32 v125, v21
	;; [unrolled: 1-line block ×8, first 2 shown]
	ds_write2_b64 v130, v[124:125], v[133:134] offset0:50 offset1:51
	v_mov_b32_e32 v133, 3
	v_mov_b32_e32 v139, v12
	;; [unrolled: 1-line block ×9, first 2 shown]
	ds_write2_b64 v130, v[135:136], v[137:138] offset0:52 offset1:53
	ds_write2_b64 v130, v[139:140], v[141:142] offset0:54 offset1:55
	;; [unrolled: 1-line block ×3, first 2 shown]
	ds_write_b64 v130, v[122:123] offset:464
.LBB116_61:
	s_or_b32 exec_lo, exec_lo, s0
	s_mov_b32 s0, exec_lo
	s_waitcnt lgkmcnt(0)
	s_waitcnt_vscnt null, 0x0
	s_barrier
	buffer_gl0_inv
	v_cmpx_lt_i32_e32 3, v133
	s_cbranch_execz .LBB116_63
; %bb.62:
	v_mul_f64 v[114:115], v[0:1], v[114:115]
	ds_read2_b64 v[134:137], v130 offset0:4 offset1:5
	ds_read2_b64 v[138:141], v130 offset0:6 offset1:7
	;; [unrolled: 1-line block ×12, first 2 shown]
	ds_read_b64 v[0:1], v130 offset:464
	s_waitcnt lgkmcnt(12)
	v_fma_f64 v[112:113], -v[114:115], v[134:135], v[112:113]
	v_fma_f64 v[108:109], -v[114:115], v[136:137], v[108:109]
	s_waitcnt lgkmcnt(11)
	v_fma_f64 v[110:111], -v[114:115], v[138:139], v[110:111]
	v_fma_f64 v[104:105], -v[114:115], v[140:141], v[104:105]
	;; [unrolled: 3-line block ×5, first 2 shown]
	ds_read2_b64 v[134:137], v130 offset0:28 offset1:29
	ds_read2_b64 v[138:141], v130 offset0:30 offset1:31
	;; [unrolled: 1-line block ×5, first 2 shown]
	s_waitcnt lgkmcnt(12)
	v_fma_f64 v[92:93], -v[114:115], v[154:155], v[92:93]
	v_fma_f64 v[88:89], -v[114:115], v[156:157], v[88:89]
	s_waitcnt lgkmcnt(11)
	v_fma_f64 v[90:91], -v[114:115], v[158:159], v[90:91]
	v_fma_f64 v[84:85], -v[114:115], v[160:161], v[84:85]
	;; [unrolled: 3-line block ×5, first 2 shown]
	ds_read2_b64 v[154:157], v130 offset0:38 offset1:39
	ds_read2_b64 v[158:161], v130 offset0:42 offset1:43
	;; [unrolled: 1-line block ×5, first 2 shown]
	s_waitcnt lgkmcnt(9)
	v_fma_f64 v[66:67], -v[114:115], v[134:135], v[66:67]
	v_fma_f64 v[62:63], -v[114:115], v[136:137], v[62:63]
	ds_read2_b64 v[134:137], v130 offset0:40 offset1:41
	s_waitcnt lgkmcnt(9)
	v_fma_f64 v[60:61], -v[114:115], v[138:139], v[60:61]
	v_fma_f64 v[58:59], -v[114:115], v[140:141], v[58:59]
	ds_read2_b64 v[138:141], v130 offset0:44 offset1:45
	;; [unrolled: 4-line block ×5, first 2 shown]
	v_fma_f64 v[72:73], -v[114:115], v[174:175], v[72:73]
	v_fma_f64 v[68:69], -v[114:115], v[176:177], v[68:69]
	;; [unrolled: 1-line block ×4, first 2 shown]
	s_waitcnt lgkmcnt(9)
	v_fma_f64 v[46:47], -v[114:115], v[154:155], v[46:47]
	v_fma_f64 v[42:43], -v[114:115], v[156:157], v[42:43]
	s_waitcnt lgkmcnt(8)
	v_fma_f64 v[36:37], -v[114:115], v[158:159], v[36:37]
	s_waitcnt lgkmcnt(4)
	v_fma_f64 v[40:41], -v[114:115], v[134:135], v[40:41]
	v_fma_f64 v[38:39], -v[114:115], v[136:137], v[38:39]
	v_fma_f64 v[34:35], -v[114:115], v[160:161], v[34:35]
	s_waitcnt lgkmcnt(3)
	v_fma_f64 v[32:33], -v[114:115], v[138:139], v[32:33]
	v_fma_f64 v[28:29], -v[114:115], v[140:141], v[28:29]
	v_fma_f64 v[30:31], -v[114:115], v[162:163], v[30:31]
	v_fma_f64 v[24:25], -v[114:115], v[164:165], v[24:25]
	s_waitcnt lgkmcnt(2)
	v_fma_f64 v[26:27], -v[114:115], v[142:143], v[26:27]
	;; [unrolled: 5-line block ×4, first 2 shown]
	v_fma_f64 v[6:7], -v[114:115], v[152:153], v[6:7]
	v_fma_f64 v[122:123], -v[114:115], v[0:1], v[122:123]
.LBB116_63:
	s_or_b32 exec_lo, exec_lo, s0
	v_lshl_add_u32 v0, v133, 3, v130
	s_barrier
	buffer_gl0_inv
	v_mov_b32_e32 v124, 4
	ds_write_b64 v0, v[112:113]
	s_waitcnt lgkmcnt(0)
	s_barrier
	buffer_gl0_inv
	ds_read_b64 v[0:1], v130 offset:32
	s_cmp_lt_i32 s7, 6
	s_cbranch_scc1 .LBB116_66
; %bb.64:
	v_add3_u32 v125, v131, 0, 40
	v_mov_b32_e32 v124, 4
	s_mov_b32 s0, 5
.LBB116_65:                             ; =>This Inner Loop Header: Depth=1
	ds_read_b64 v[134:135], v125
	v_add_nc_u32_e32 v125, 8, v125
	s_waitcnt lgkmcnt(0)
	v_cmp_lt_f64_e64 vcc_lo, |v[0:1]|, |v[134:135]|
	v_cndmask_b32_e32 v1, v1, v135, vcc_lo
	v_cndmask_b32_e32 v0, v0, v134, vcc_lo
	v_cndmask_b32_e64 v124, v124, s0, vcc_lo
	s_add_i32 s0, s0, 1
	s_cmp_lg_u32 s7, s0
	s_cbranch_scc1 .LBB116_65
.LBB116_66:
	s_mov_b32 s0, exec_lo
	s_waitcnt lgkmcnt(0)
	v_cmpx_eq_f64_e32 0, v[0:1]
	s_xor_b32 s0, exec_lo, s0
; %bb.67:
	v_cmp_ne_u32_e32 vcc_lo, 0, v127
	v_cndmask_b32_e32 v127, 5, v127, vcc_lo
; %bb.68:
	s_andn2_saveexec_b32 s0, s0
	s_cbranch_execz .LBB116_70
; %bb.69:
	v_div_scale_f64 v[125:126], null, v[0:1], v[0:1], 1.0
	v_rcp_f64_e32 v[134:135], v[125:126]
	v_fma_f64 v[136:137], -v[125:126], v[134:135], 1.0
	v_fma_f64 v[134:135], v[134:135], v[136:137], v[134:135]
	v_fma_f64 v[136:137], -v[125:126], v[134:135], 1.0
	v_fma_f64 v[134:135], v[134:135], v[136:137], v[134:135]
	v_div_scale_f64 v[136:137], vcc_lo, 1.0, v[0:1], 1.0
	v_mul_f64 v[138:139], v[136:137], v[134:135]
	v_fma_f64 v[125:126], -v[125:126], v[138:139], v[136:137]
	v_div_fmas_f64 v[125:126], v[125:126], v[134:135], v[138:139]
	v_div_fixup_f64 v[0:1], v[125:126], v[0:1], 1.0
.LBB116_70:
	s_or_b32 exec_lo, exec_lo, s0
	s_mov_b32 s0, exec_lo
	v_cmpx_ne_u32_e64 v133, v124
	s_xor_b32 s0, exec_lo, s0
	s_cbranch_execz .LBB116_76
; %bb.71:
	s_mov_b32 s1, exec_lo
	v_cmpx_eq_u32_e32 4, v133
	s_cbranch_execz .LBB116_75
; %bb.72:
	v_cmp_ne_u32_e32 vcc_lo, 4, v124
	s_xor_b32 s2, s6, -1
	s_and_b32 s3, s2, vcc_lo
	s_and_saveexec_b32 s2, s3
	s_cbranch_execz .LBB116_74
; %bb.73:
	v_ashrrev_i32_e32 v125, 31, v124
	v_lshlrev_b64 v[125:126], 2, v[124:125]
	v_add_co_u32 v125, vcc_lo, v4, v125
	v_add_co_ci_u32_e64 v126, null, v5, v126, vcc_lo
	s_clause 0x1
	global_load_dword v132, v[125:126], off
	global_load_dword v133, v[4:5], off offset:16
	s_waitcnt vmcnt(1)
	global_store_dword v[4:5], v132, off offset:16
	s_waitcnt vmcnt(0)
	global_store_dword v[125:126], v133, off
.LBB116_74:
	s_or_b32 exec_lo, exec_lo, s2
	v_mov_b32_e32 v132, v124
	v_mov_b32_e32 v133, v124
.LBB116_75:
	s_or_b32 exec_lo, exec_lo, s1
.LBB116_76:
	s_andn2_saveexec_b32 s0, s0
	s_cbranch_execz .LBB116_78
; %bb.77:
	v_mov_b32_e32 v133, 4
	ds_write2_b64 v130, v[108:109], v[110:111] offset0:5 offset1:6
	ds_write2_b64 v130, v[104:105], v[106:107] offset0:7 offset1:8
	;; [unrolled: 1-line block ×27, first 2 shown]
.LBB116_78:
	s_or_b32 exec_lo, exec_lo, s0
	s_mov_b32 s0, exec_lo
	s_waitcnt lgkmcnt(0)
	s_waitcnt_vscnt null, 0x0
	s_barrier
	buffer_gl0_inv
	v_cmpx_lt_i32_e32 4, v133
	s_cbranch_execz .LBB116_80
; %bb.79:
	v_mul_f64 v[112:113], v[0:1], v[112:113]
	ds_read2_b64 v[134:137], v130 offset0:5 offset1:6
	ds_read2_b64 v[138:141], v130 offset0:7 offset1:8
	;; [unrolled: 1-line block ×12, first 2 shown]
	s_waitcnt lgkmcnt(11)
	v_fma_f64 v[108:109], -v[112:113], v[134:135], v[108:109]
	v_fma_f64 v[110:111], -v[112:113], v[136:137], v[110:111]
	s_waitcnt lgkmcnt(10)
	v_fma_f64 v[104:105], -v[112:113], v[138:139], v[104:105]
	v_fma_f64 v[106:107], -v[112:113], v[140:141], v[106:107]
	;; [unrolled: 3-line block ×4, first 2 shown]
	ds_read2_b64 v[134:137], v130 offset0:29 offset1:30
	ds_read2_b64 v[138:141], v130 offset0:31 offset1:32
	;; [unrolled: 1-line block ×4, first 2 shown]
	s_waitcnt lgkmcnt(11)
	v_fma_f64 v[94:95], -v[112:113], v[150:151], v[94:95]
	v_fma_f64 v[92:93], -v[112:113], v[152:153], v[92:93]
	s_waitcnt lgkmcnt(10)
	v_fma_f64 v[88:89], -v[112:113], v[154:155], v[88:89]
	v_fma_f64 v[90:91], -v[112:113], v[156:157], v[90:91]
	;; [unrolled: 3-line block ×7, first 2 shown]
	ds_read2_b64 v[150:153], v130 offset0:37 offset1:38
	ds_read2_b64 v[154:157], v130 offset0:39 offset1:40
	s_waitcnt lgkmcnt(5)
	v_fma_f64 v[62:63], -v[112:113], v[134:135], v[62:63]
	ds_read2_b64 v[158:161], v130 offset0:41 offset1:42
	v_fma_f64 v[60:61], -v[112:113], v[136:137], v[60:61]
	ds_read2_b64 v[134:137], v130 offset0:43 offset1:44
	s_waitcnt lgkmcnt(6)
	v_fma_f64 v[58:59], -v[112:113], v[138:139], v[58:59]
	ds_read2_b64 v[162:165], v130 offset0:45 offset1:46
	v_fma_f64 v[56:57], -v[112:113], v[140:141], v[56:57]
	;; [unrolled: 5-line block ×4, first 2 shown]
	ds_read2_b64 v[146:149], v130 offset0:55 offset1:56
	ds_read2_b64 v[174:177], v130 offset0:57 offset1:58
	v_fma_f64 v[64:65], -v[112:113], v[178:179], v[64:65]
	v_fma_f64 v[66:67], -v[112:113], v[180:181], v[66:67]
	s_waitcnt lgkmcnt(10)
	v_fma_f64 v[44:45], -v[112:113], v[150:151], v[44:45]
	v_fma_f64 v[46:47], -v[112:113], v[152:153], v[46:47]
	s_waitcnt lgkmcnt(9)
	;; [unrolled: 3-line block ×11, first 2 shown]
	v_fma_f64 v[6:7], -v[112:113], v[174:175], v[6:7]
	v_fma_f64 v[122:123], -v[112:113], v[176:177], v[122:123]
.LBB116_80:
	s_or_b32 exec_lo, exec_lo, s0
	v_lshl_add_u32 v0, v133, 3, v130
	s_barrier
	buffer_gl0_inv
	v_mov_b32_e32 v124, 5
	ds_write_b64 v0, v[108:109]
	s_waitcnt lgkmcnt(0)
	s_barrier
	buffer_gl0_inv
	ds_read_b64 v[0:1], v130 offset:40
	s_cmp_lt_i32 s7, 7
	s_cbranch_scc1 .LBB116_83
; %bb.81:
	v_add3_u32 v125, v131, 0, 48
	v_mov_b32_e32 v124, 5
	s_mov_b32 s0, 6
.LBB116_82:                             ; =>This Inner Loop Header: Depth=1
	ds_read_b64 v[134:135], v125
	v_add_nc_u32_e32 v125, 8, v125
	s_waitcnt lgkmcnt(0)
	v_cmp_lt_f64_e64 vcc_lo, |v[0:1]|, |v[134:135]|
	v_cndmask_b32_e32 v1, v1, v135, vcc_lo
	v_cndmask_b32_e32 v0, v0, v134, vcc_lo
	v_cndmask_b32_e64 v124, v124, s0, vcc_lo
	s_add_i32 s0, s0, 1
	s_cmp_lg_u32 s7, s0
	s_cbranch_scc1 .LBB116_82
.LBB116_83:
	s_mov_b32 s0, exec_lo
	s_waitcnt lgkmcnt(0)
	v_cmpx_eq_f64_e32 0, v[0:1]
	s_xor_b32 s0, exec_lo, s0
; %bb.84:
	v_cmp_ne_u32_e32 vcc_lo, 0, v127
	v_cndmask_b32_e32 v127, 6, v127, vcc_lo
; %bb.85:
	s_andn2_saveexec_b32 s0, s0
	s_cbranch_execz .LBB116_87
; %bb.86:
	v_div_scale_f64 v[125:126], null, v[0:1], v[0:1], 1.0
	v_rcp_f64_e32 v[134:135], v[125:126]
	v_fma_f64 v[136:137], -v[125:126], v[134:135], 1.0
	v_fma_f64 v[134:135], v[134:135], v[136:137], v[134:135]
	v_fma_f64 v[136:137], -v[125:126], v[134:135], 1.0
	v_fma_f64 v[134:135], v[134:135], v[136:137], v[134:135]
	v_div_scale_f64 v[136:137], vcc_lo, 1.0, v[0:1], 1.0
	v_mul_f64 v[138:139], v[136:137], v[134:135]
	v_fma_f64 v[125:126], -v[125:126], v[138:139], v[136:137]
	v_div_fmas_f64 v[125:126], v[125:126], v[134:135], v[138:139]
	v_div_fixup_f64 v[0:1], v[125:126], v[0:1], 1.0
.LBB116_87:
	s_or_b32 exec_lo, exec_lo, s0
	s_mov_b32 s0, exec_lo
	v_cmpx_ne_u32_e64 v133, v124
	s_xor_b32 s0, exec_lo, s0
	s_cbranch_execz .LBB116_93
; %bb.88:
	s_mov_b32 s1, exec_lo
	v_cmpx_eq_u32_e32 5, v133
	s_cbranch_execz .LBB116_92
; %bb.89:
	v_cmp_ne_u32_e32 vcc_lo, 5, v124
	s_xor_b32 s2, s6, -1
	s_and_b32 s3, s2, vcc_lo
	s_and_saveexec_b32 s2, s3
	s_cbranch_execz .LBB116_91
; %bb.90:
	v_ashrrev_i32_e32 v125, 31, v124
	v_lshlrev_b64 v[125:126], 2, v[124:125]
	v_add_co_u32 v125, vcc_lo, v4, v125
	v_add_co_ci_u32_e64 v126, null, v5, v126, vcc_lo
	s_clause 0x1
	global_load_dword v132, v[125:126], off
	global_load_dword v133, v[4:5], off offset:20
	s_waitcnt vmcnt(1)
	global_store_dword v[4:5], v132, off offset:20
	s_waitcnt vmcnt(0)
	global_store_dword v[125:126], v133, off
.LBB116_91:
	s_or_b32 exec_lo, exec_lo, s2
	v_mov_b32_e32 v132, v124
	v_mov_b32_e32 v133, v124
.LBB116_92:
	s_or_b32 exec_lo, exec_lo, s1
.LBB116_93:
	s_andn2_saveexec_b32 s0, s0
	s_cbranch_execz .LBB116_95
; %bb.94:
	v_mov_b32_e32 v124, v110
	v_mov_b32_e32 v125, v111
	;; [unrolled: 1-line block ×8, first 2 shown]
	ds_write2_b64 v130, v[124:125], v[133:134] offset0:6 offset1:7
	ds_write2_b64 v130, v[135:136], v[137:138] offset0:8 offset1:9
	v_mov_b32_e32 v124, v100
	v_mov_b32_e32 v125, v101
	v_mov_b32_e32 v133, v98
	v_mov_b32_e32 v134, v99
	v_mov_b32_e32 v135, v96
	v_mov_b32_e32 v136, v97
	v_mov_b32_e32 v137, v94
	v_mov_b32_e32 v138, v95
	v_mov_b32_e32 v139, v92
	v_mov_b32_e32 v140, v93
	v_mov_b32_e32 v141, v88
	v_mov_b32_e32 v142, v89
	v_mov_b32_e32 v143, v90
	v_mov_b32_e32 v144, v91
	v_mov_b32_e32 v145, v84
	v_mov_b32_e32 v146, v85
	v_mov_b32_e32 v147, v86
	v_mov_b32_e32 v148, v87
	v_mov_b32_e32 v149, v82
	v_mov_b32_e32 v150, v83
	ds_write2_b64 v130, v[124:125], v[133:134] offset0:10 offset1:11
	ds_write2_b64 v130, v[135:136], v[137:138] offset0:12 offset1:13
	ds_write2_b64 v130, v[139:140], v[141:142] offset0:14 offset1:15
	ds_write2_b64 v130, v[143:144], v[145:146] offset0:16 offset1:17
	ds_write2_b64 v130, v[147:148], v[149:150] offset0:18 offset1:19
	v_mov_b32_e32 v124, v80
	v_mov_b32_e32 v125, v81
	v_mov_b32_e32 v133, v78
	v_mov_b32_e32 v134, v79
	v_mov_b32_e32 v135, v76
	v_mov_b32_e32 v136, v77
	v_mov_b32_e32 v137, v74
	v_mov_b32_e32 v138, v75
	v_mov_b32_e32 v139, v72
	v_mov_b32_e32 v140, v73
	v_mov_b32_e32 v141, v68
	v_mov_b32_e32 v142, v69
	v_mov_b32_e32 v143, v70
	v_mov_b32_e32 v144, v71
	v_mov_b32_e32 v145, v64
	v_mov_b32_e32 v146, v65
	v_mov_b32_e32 v147, v66
	v_mov_b32_e32 v148, v67
	v_mov_b32_e32 v149, v62
	v_mov_b32_e32 v150, v63
	ds_write2_b64 v130, v[124:125], v[133:134] offset0:20 offset1:21
	ds_write2_b64 v130, v[135:136], v[137:138] offset0:22 offset1:23
	ds_write2_b64 v130, v[139:140], v[141:142] offset0:24 offset1:25
	;; [unrolled: 25-line block ×4, first 2 shown]
	ds_write2_b64 v130, v[143:144], v[145:146] offset0:46 offset1:47
	ds_write2_b64 v130, v[147:148], v[149:150] offset0:48 offset1:49
	v_mov_b32_e32 v124, v20
	v_mov_b32_e32 v125, v21
	;; [unrolled: 1-line block ×8, first 2 shown]
	ds_write2_b64 v130, v[124:125], v[133:134] offset0:50 offset1:51
	v_mov_b32_e32 v133, 5
	v_mov_b32_e32 v139, v12
	;; [unrolled: 1-line block ×9, first 2 shown]
	ds_write2_b64 v130, v[135:136], v[137:138] offset0:52 offset1:53
	ds_write2_b64 v130, v[139:140], v[141:142] offset0:54 offset1:55
	;; [unrolled: 1-line block ×3, first 2 shown]
	ds_write_b64 v130, v[122:123] offset:464
.LBB116_95:
	s_or_b32 exec_lo, exec_lo, s0
	s_mov_b32 s0, exec_lo
	s_waitcnt lgkmcnt(0)
	s_waitcnt_vscnt null, 0x0
	s_barrier
	buffer_gl0_inv
	v_cmpx_lt_i32_e32 5, v133
	s_cbranch_execz .LBB116_97
; %bb.96:
	v_mul_f64 v[108:109], v[0:1], v[108:109]
	ds_read2_b64 v[134:137], v130 offset0:6 offset1:7
	ds_read2_b64 v[138:141], v130 offset0:8 offset1:9
	ds_read2_b64 v[142:145], v130 offset0:10 offset1:11
	ds_read2_b64 v[146:149], v130 offset0:12 offset1:13
	ds_read2_b64 v[150:153], v130 offset0:14 offset1:15
	ds_read2_b64 v[154:157], v130 offset0:16 offset1:17
	ds_read2_b64 v[158:161], v130 offset0:18 offset1:19
	ds_read2_b64 v[162:165], v130 offset0:20 offset1:21
	ds_read2_b64 v[166:169], v130 offset0:22 offset1:23
	ds_read2_b64 v[170:173], v130 offset0:24 offset1:25
	ds_read2_b64 v[174:177], v130 offset0:26 offset1:27
	ds_read2_b64 v[178:181], v130 offset0:28 offset1:29
	ds_read_b64 v[0:1], v130 offset:464
	s_waitcnt lgkmcnt(12)
	v_fma_f64 v[110:111], -v[108:109], v[134:135], v[110:111]
	v_fma_f64 v[104:105], -v[108:109], v[136:137], v[104:105]
	s_waitcnt lgkmcnt(11)
	v_fma_f64 v[106:107], -v[108:109], v[138:139], v[106:107]
	v_fma_f64 v[102:103], -v[108:109], v[140:141], v[102:103]
	;; [unrolled: 3-line block ×4, first 2 shown]
	ds_read2_b64 v[134:137], v130 offset0:30 offset1:31
	ds_read2_b64 v[138:141], v130 offset0:32 offset1:33
	;; [unrolled: 1-line block ×4, first 2 shown]
	s_waitcnt lgkmcnt(12)
	v_fma_f64 v[92:93], -v[108:109], v[150:151], v[92:93]
	v_fma_f64 v[88:89], -v[108:109], v[152:153], v[88:89]
	s_waitcnt lgkmcnt(11)
	v_fma_f64 v[90:91], -v[108:109], v[154:155], v[90:91]
	v_fma_f64 v[84:85], -v[108:109], v[156:157], v[84:85]
	;; [unrolled: 3-line block ×6, first 2 shown]
	ds_read2_b64 v[150:153], v130 offset0:38 offset1:39
	ds_read2_b64 v[154:157], v130 offset0:40 offset1:41
	;; [unrolled: 1-line block ×4, first 2 shown]
	s_waitcnt lgkmcnt(7)
	v_fma_f64 v[60:61], -v[108:109], v[134:135], v[60:61]
	v_fma_f64 v[58:59], -v[108:109], v[136:137], v[58:59]
	ds_read2_b64 v[134:137], v130 offset0:44 offset1:45
	s_waitcnt lgkmcnt(7)
	v_fma_f64 v[56:57], -v[108:109], v[138:139], v[56:57]
	v_fma_f64 v[54:55], -v[108:109], v[140:141], v[54:55]
	ds_read2_b64 v[138:141], v130 offset0:48 offset1:49
	s_waitcnt lgkmcnt(7)
	v_fma_f64 v[52:53], -v[108:109], v[142:143], v[52:53]
	ds_read2_b64 v[166:169], v130 offset0:50 offset1:51
	v_fma_f64 v[48:49], -v[108:109], v[144:145], v[48:49]
	ds_read2_b64 v[142:145], v130 offset0:52 offset1:53
	s_waitcnt lgkmcnt(8)
	v_fma_f64 v[50:51], -v[108:109], v[146:147], v[50:51]
	ds_read2_b64 v[170:173], v130 offset0:54 offset1:55
	v_fma_f64 v[44:45], -v[108:109], v[148:149], v[44:45]
	ds_read2_b64 v[146:149], v130 offset0:56 offset1:57
	v_fma_f64 v[70:71], -v[108:109], v[174:175], v[70:71]
	v_fma_f64 v[64:65], -v[108:109], v[176:177], v[64:65]
	v_fma_f64 v[66:67], -v[108:109], v[178:179], v[66:67]
	v_fma_f64 v[62:63], -v[108:109], v[180:181], v[62:63]
	s_waitcnt lgkmcnt(9)
	v_fma_f64 v[46:47], -v[108:109], v[150:151], v[46:47]
	v_fma_f64 v[42:43], -v[108:109], v[152:153], v[42:43]
	s_waitcnt lgkmcnt(8)
	v_fma_f64 v[40:41], -v[108:109], v[154:155], v[40:41]
	v_fma_f64 v[38:39], -v[108:109], v[156:157], v[38:39]
	;; [unrolled: 3-line block ×4, first 2 shown]
	v_fma_f64 v[30:31], -v[108:109], v[162:163], v[30:31]
	v_fma_f64 v[24:25], -v[108:109], v[164:165], v[24:25]
	s_waitcnt lgkmcnt(4)
	v_fma_f64 v[26:27], -v[108:109], v[138:139], v[26:27]
	v_fma_f64 v[22:23], -v[108:109], v[140:141], v[22:23]
	s_waitcnt lgkmcnt(3)
	;; [unrolled: 3-line block ×5, first 2 shown]
	v_fma_f64 v[10:11], -v[108:109], v[146:147], v[10:11]
	v_fma_f64 v[6:7], -v[108:109], v[148:149], v[6:7]
	;; [unrolled: 1-line block ×3, first 2 shown]
.LBB116_97:
	s_or_b32 exec_lo, exec_lo, s0
	v_lshl_add_u32 v0, v133, 3, v130
	s_barrier
	buffer_gl0_inv
	v_mov_b32_e32 v124, 6
	ds_write_b64 v0, v[110:111]
	s_waitcnt lgkmcnt(0)
	s_barrier
	buffer_gl0_inv
	ds_read_b64 v[0:1], v130 offset:48
	s_cmp_lt_i32 s7, 8
	s_cbranch_scc1 .LBB116_100
; %bb.98:
	v_add3_u32 v125, v131, 0, 56
	v_mov_b32_e32 v124, 6
	s_mov_b32 s0, 7
.LBB116_99:                             ; =>This Inner Loop Header: Depth=1
	ds_read_b64 v[134:135], v125
	v_add_nc_u32_e32 v125, 8, v125
	s_waitcnt lgkmcnt(0)
	v_cmp_lt_f64_e64 vcc_lo, |v[0:1]|, |v[134:135]|
	v_cndmask_b32_e32 v1, v1, v135, vcc_lo
	v_cndmask_b32_e32 v0, v0, v134, vcc_lo
	v_cndmask_b32_e64 v124, v124, s0, vcc_lo
	s_add_i32 s0, s0, 1
	s_cmp_lg_u32 s7, s0
	s_cbranch_scc1 .LBB116_99
.LBB116_100:
	s_mov_b32 s0, exec_lo
	s_waitcnt lgkmcnt(0)
	v_cmpx_eq_f64_e32 0, v[0:1]
	s_xor_b32 s0, exec_lo, s0
; %bb.101:
	v_cmp_ne_u32_e32 vcc_lo, 0, v127
	v_cndmask_b32_e32 v127, 7, v127, vcc_lo
; %bb.102:
	s_andn2_saveexec_b32 s0, s0
	s_cbranch_execz .LBB116_104
; %bb.103:
	v_div_scale_f64 v[125:126], null, v[0:1], v[0:1], 1.0
	v_rcp_f64_e32 v[134:135], v[125:126]
	v_fma_f64 v[136:137], -v[125:126], v[134:135], 1.0
	v_fma_f64 v[134:135], v[134:135], v[136:137], v[134:135]
	v_fma_f64 v[136:137], -v[125:126], v[134:135], 1.0
	v_fma_f64 v[134:135], v[134:135], v[136:137], v[134:135]
	v_div_scale_f64 v[136:137], vcc_lo, 1.0, v[0:1], 1.0
	v_mul_f64 v[138:139], v[136:137], v[134:135]
	v_fma_f64 v[125:126], -v[125:126], v[138:139], v[136:137]
	v_div_fmas_f64 v[125:126], v[125:126], v[134:135], v[138:139]
	v_div_fixup_f64 v[0:1], v[125:126], v[0:1], 1.0
.LBB116_104:
	s_or_b32 exec_lo, exec_lo, s0
	s_mov_b32 s0, exec_lo
	v_cmpx_ne_u32_e64 v133, v124
	s_xor_b32 s0, exec_lo, s0
	s_cbranch_execz .LBB116_110
; %bb.105:
	s_mov_b32 s1, exec_lo
	v_cmpx_eq_u32_e32 6, v133
	s_cbranch_execz .LBB116_109
; %bb.106:
	v_cmp_ne_u32_e32 vcc_lo, 6, v124
	s_xor_b32 s2, s6, -1
	s_and_b32 s3, s2, vcc_lo
	s_and_saveexec_b32 s2, s3
	s_cbranch_execz .LBB116_108
; %bb.107:
	v_ashrrev_i32_e32 v125, 31, v124
	v_lshlrev_b64 v[125:126], 2, v[124:125]
	v_add_co_u32 v125, vcc_lo, v4, v125
	v_add_co_ci_u32_e64 v126, null, v5, v126, vcc_lo
	s_clause 0x1
	global_load_dword v132, v[125:126], off
	global_load_dword v133, v[4:5], off offset:24
	s_waitcnt vmcnt(1)
	global_store_dword v[4:5], v132, off offset:24
	s_waitcnt vmcnt(0)
	global_store_dword v[125:126], v133, off
.LBB116_108:
	s_or_b32 exec_lo, exec_lo, s2
	v_mov_b32_e32 v132, v124
	v_mov_b32_e32 v133, v124
.LBB116_109:
	s_or_b32 exec_lo, exec_lo, s1
.LBB116_110:
	s_andn2_saveexec_b32 s0, s0
	s_cbranch_execz .LBB116_112
; %bb.111:
	v_mov_b32_e32 v133, 6
	ds_write2_b64 v130, v[104:105], v[106:107] offset0:7 offset1:8
	ds_write2_b64 v130, v[102:103], v[100:101] offset0:9 offset1:10
	;; [unrolled: 1-line block ×26, first 2 shown]
.LBB116_112:
	s_or_b32 exec_lo, exec_lo, s0
	s_mov_b32 s0, exec_lo
	s_waitcnt lgkmcnt(0)
	s_waitcnt_vscnt null, 0x0
	s_barrier
	buffer_gl0_inv
	v_cmpx_lt_i32_e32 6, v133
	s_cbranch_execz .LBB116_114
; %bb.113:
	v_mul_f64 v[110:111], v[0:1], v[110:111]
	ds_read2_b64 v[134:137], v130 offset0:7 offset1:8
	ds_read2_b64 v[138:141], v130 offset0:9 offset1:10
	;; [unrolled: 1-line block ×12, first 2 shown]
	s_waitcnt lgkmcnt(11)
	v_fma_f64 v[104:105], -v[110:111], v[134:135], v[104:105]
	v_fma_f64 v[106:107], -v[110:111], v[136:137], v[106:107]
	s_waitcnt lgkmcnt(10)
	v_fma_f64 v[102:103], -v[110:111], v[138:139], v[102:103]
	v_fma_f64 v[100:101], -v[110:111], v[140:141], v[100:101]
	;; [unrolled: 3-line block ×3, first 2 shown]
	ds_read2_b64 v[134:137], v130 offset0:31 offset1:32
	ds_read2_b64 v[138:141], v130 offset0:33 offset1:34
	;; [unrolled: 1-line block ×3, first 2 shown]
	s_waitcnt lgkmcnt(11)
	v_fma_f64 v[94:95], -v[110:111], v[146:147], v[94:95]
	v_fma_f64 v[92:93], -v[110:111], v[148:149], v[92:93]
	s_waitcnt lgkmcnt(10)
	v_fma_f64 v[88:89], -v[110:111], v[150:151], v[88:89]
	v_fma_f64 v[90:91], -v[110:111], v[152:153], v[90:91]
	;; [unrolled: 3-line block ×7, first 2 shown]
	ds_read2_b64 v[146:149], v130 offset0:37 offset1:38
	s_waitcnt lgkmcnt(5)
	v_fma_f64 v[64:65], -v[110:111], v[174:175], v[64:65]
	v_fma_f64 v[66:67], -v[110:111], v[176:177], v[66:67]
	ds_read2_b64 v[150:153], v130 offset0:39 offset1:40
	ds_read2_b64 v[154:157], v130 offset0:41 offset1:42
	;; [unrolled: 1-line block ×4, first 2 shown]
	s_waitcnt lgkmcnt(7)
	v_fma_f64 v[58:59], -v[110:111], v[134:135], v[58:59]
	v_fma_f64 v[56:57], -v[110:111], v[136:137], v[56:57]
	ds_read2_b64 v[134:137], v130 offset0:47 offset1:48
	ds_read2_b64 v[166:169], v130 offset0:49 offset1:50
	s_waitcnt lgkmcnt(8)
	v_fma_f64 v[54:55], -v[110:111], v[138:139], v[54:55]
	v_fma_f64 v[52:53], -v[110:111], v[140:141], v[52:53]
	ds_read2_b64 v[138:141], v130 offset0:51 offset1:52
	ds_read2_b64 v[170:173], v130 offset0:53 offset1:54
	;; [unrolled: 5-line block ×3, first 2 shown]
	v_fma_f64 v[62:63], -v[110:111], v[178:179], v[62:63]
	v_fma_f64 v[60:61], -v[110:111], v[180:181], v[60:61]
	s_waitcnt lgkmcnt(10)
	v_fma_f64 v[44:45], -v[110:111], v[146:147], v[44:45]
	v_fma_f64 v[46:47], -v[110:111], v[148:149], v[46:47]
	s_waitcnt lgkmcnt(9)
	;; [unrolled: 3-line block ×11, first 2 shown]
	v_fma_f64 v[6:7], -v[110:111], v[174:175], v[6:7]
	v_fma_f64 v[122:123], -v[110:111], v[176:177], v[122:123]
.LBB116_114:
	s_or_b32 exec_lo, exec_lo, s0
	v_lshl_add_u32 v0, v133, 3, v130
	s_barrier
	buffer_gl0_inv
	v_mov_b32_e32 v124, 7
	ds_write_b64 v0, v[104:105]
	s_waitcnt lgkmcnt(0)
	s_barrier
	buffer_gl0_inv
	ds_read_b64 v[0:1], v130 offset:56
	s_cmp_lt_i32 s7, 9
	s_cbranch_scc1 .LBB116_117
; %bb.115:
	v_add3_u32 v125, v131, 0, 64
	v_mov_b32_e32 v124, 7
	s_mov_b32 s0, 8
.LBB116_116:                            ; =>This Inner Loop Header: Depth=1
	ds_read_b64 v[134:135], v125
	v_add_nc_u32_e32 v125, 8, v125
	s_waitcnt lgkmcnt(0)
	v_cmp_lt_f64_e64 vcc_lo, |v[0:1]|, |v[134:135]|
	v_cndmask_b32_e32 v1, v1, v135, vcc_lo
	v_cndmask_b32_e32 v0, v0, v134, vcc_lo
	v_cndmask_b32_e64 v124, v124, s0, vcc_lo
	s_add_i32 s0, s0, 1
	s_cmp_lg_u32 s7, s0
	s_cbranch_scc1 .LBB116_116
.LBB116_117:
	s_mov_b32 s0, exec_lo
	s_waitcnt lgkmcnt(0)
	v_cmpx_eq_f64_e32 0, v[0:1]
	s_xor_b32 s0, exec_lo, s0
; %bb.118:
	v_cmp_ne_u32_e32 vcc_lo, 0, v127
	v_cndmask_b32_e32 v127, 8, v127, vcc_lo
; %bb.119:
	s_andn2_saveexec_b32 s0, s0
	s_cbranch_execz .LBB116_121
; %bb.120:
	v_div_scale_f64 v[125:126], null, v[0:1], v[0:1], 1.0
	v_rcp_f64_e32 v[134:135], v[125:126]
	v_fma_f64 v[136:137], -v[125:126], v[134:135], 1.0
	v_fma_f64 v[134:135], v[134:135], v[136:137], v[134:135]
	v_fma_f64 v[136:137], -v[125:126], v[134:135], 1.0
	v_fma_f64 v[134:135], v[134:135], v[136:137], v[134:135]
	v_div_scale_f64 v[136:137], vcc_lo, 1.0, v[0:1], 1.0
	v_mul_f64 v[138:139], v[136:137], v[134:135]
	v_fma_f64 v[125:126], -v[125:126], v[138:139], v[136:137]
	v_div_fmas_f64 v[125:126], v[125:126], v[134:135], v[138:139]
	v_div_fixup_f64 v[0:1], v[125:126], v[0:1], 1.0
.LBB116_121:
	s_or_b32 exec_lo, exec_lo, s0
	s_mov_b32 s0, exec_lo
	v_cmpx_ne_u32_e64 v133, v124
	s_xor_b32 s0, exec_lo, s0
	s_cbranch_execz .LBB116_127
; %bb.122:
	s_mov_b32 s1, exec_lo
	v_cmpx_eq_u32_e32 7, v133
	s_cbranch_execz .LBB116_126
; %bb.123:
	v_cmp_ne_u32_e32 vcc_lo, 7, v124
	s_xor_b32 s2, s6, -1
	s_and_b32 s3, s2, vcc_lo
	s_and_saveexec_b32 s2, s3
	s_cbranch_execz .LBB116_125
; %bb.124:
	v_ashrrev_i32_e32 v125, 31, v124
	v_lshlrev_b64 v[125:126], 2, v[124:125]
	v_add_co_u32 v125, vcc_lo, v4, v125
	v_add_co_ci_u32_e64 v126, null, v5, v126, vcc_lo
	s_clause 0x1
	global_load_dword v132, v[125:126], off
	global_load_dword v133, v[4:5], off offset:28
	s_waitcnt vmcnt(1)
	global_store_dword v[4:5], v132, off offset:28
	s_waitcnt vmcnt(0)
	global_store_dword v[125:126], v133, off
.LBB116_125:
	s_or_b32 exec_lo, exec_lo, s2
	v_mov_b32_e32 v132, v124
	v_mov_b32_e32 v133, v124
.LBB116_126:
	s_or_b32 exec_lo, exec_lo, s1
.LBB116_127:
	s_andn2_saveexec_b32 s0, s0
	s_cbranch_execz .LBB116_129
; %bb.128:
	v_mov_b32_e32 v124, v106
	v_mov_b32_e32 v125, v107
	;; [unrolled: 1-line block ×8, first 2 shown]
	ds_write2_b64 v130, v[124:125], v[133:134] offset0:8 offset1:9
	v_mov_b32_e32 v124, v98
	v_mov_b32_e32 v125, v99
	v_mov_b32_e32 v133, v96
	v_mov_b32_e32 v134, v97
	v_mov_b32_e32 v139, v92
	v_mov_b32_e32 v140, v93
	v_mov_b32_e32 v141, v88
	v_mov_b32_e32 v142, v89
	v_mov_b32_e32 v143, v90
	v_mov_b32_e32 v144, v91
	v_mov_b32_e32 v145, v84
	v_mov_b32_e32 v146, v85
	v_mov_b32_e32 v147, v86
	v_mov_b32_e32 v148, v87
	v_mov_b32_e32 v149, v82
	v_mov_b32_e32 v150, v83
	ds_write2_b64 v130, v[135:136], v[124:125] offset0:10 offset1:11
	ds_write2_b64 v130, v[133:134], v[137:138] offset0:12 offset1:13
	ds_write2_b64 v130, v[139:140], v[141:142] offset0:14 offset1:15
	ds_write2_b64 v130, v[143:144], v[145:146] offset0:16 offset1:17
	ds_write2_b64 v130, v[147:148], v[149:150] offset0:18 offset1:19
	v_mov_b32_e32 v124, v80
	v_mov_b32_e32 v125, v81
	v_mov_b32_e32 v133, v78
	v_mov_b32_e32 v134, v79
	v_mov_b32_e32 v135, v76
	v_mov_b32_e32 v136, v77
	v_mov_b32_e32 v137, v74
	v_mov_b32_e32 v138, v75
	v_mov_b32_e32 v139, v72
	v_mov_b32_e32 v140, v73
	v_mov_b32_e32 v141, v68
	v_mov_b32_e32 v142, v69
	v_mov_b32_e32 v143, v70
	v_mov_b32_e32 v144, v71
	v_mov_b32_e32 v145, v64
	v_mov_b32_e32 v146, v65
	v_mov_b32_e32 v147, v66
	v_mov_b32_e32 v148, v67
	v_mov_b32_e32 v149, v62
	v_mov_b32_e32 v150, v63
	ds_write2_b64 v130, v[124:125], v[133:134] offset0:20 offset1:21
	ds_write2_b64 v130, v[135:136], v[137:138] offset0:22 offset1:23
	ds_write2_b64 v130, v[139:140], v[141:142] offset0:24 offset1:25
	ds_write2_b64 v130, v[143:144], v[145:146] offset0:26 offset1:27
	ds_write2_b64 v130, v[147:148], v[149:150] offset0:28 offset1:29
	v_mov_b32_e32 v124, v60
	v_mov_b32_e32 v125, v61
	v_mov_b32_e32 v133, v58
	v_mov_b32_e32 v134, v59
	;; [unrolled: 25-line block ×4, first 2 shown]
	v_mov_b32_e32 v135, v16
	v_mov_b32_e32 v136, v17
	;; [unrolled: 1-line block ×4, first 2 shown]
	ds_write2_b64 v130, v[124:125], v[133:134] offset0:50 offset1:51
	v_mov_b32_e32 v133, 7
	v_mov_b32_e32 v139, v12
	;; [unrolled: 1-line block ×9, first 2 shown]
	ds_write2_b64 v130, v[135:136], v[137:138] offset0:52 offset1:53
	ds_write2_b64 v130, v[139:140], v[141:142] offset0:54 offset1:55
	;; [unrolled: 1-line block ×3, first 2 shown]
	ds_write_b64 v130, v[122:123] offset:464
.LBB116_129:
	s_or_b32 exec_lo, exec_lo, s0
	s_mov_b32 s0, exec_lo
	s_waitcnt lgkmcnt(0)
	s_waitcnt_vscnt null, 0x0
	s_barrier
	buffer_gl0_inv
	v_cmpx_lt_i32_e32 7, v133
	s_cbranch_execz .LBB116_131
; %bb.130:
	v_mul_f64 v[104:105], v[0:1], v[104:105]
	ds_read2_b64 v[134:137], v130 offset0:8 offset1:9
	ds_read2_b64 v[138:141], v130 offset0:10 offset1:11
	ds_read2_b64 v[142:145], v130 offset0:12 offset1:13
	ds_read2_b64 v[146:149], v130 offset0:14 offset1:15
	ds_read2_b64 v[150:153], v130 offset0:16 offset1:17
	ds_read2_b64 v[154:157], v130 offset0:18 offset1:19
	ds_read2_b64 v[158:161], v130 offset0:20 offset1:21
	ds_read2_b64 v[162:165], v130 offset0:22 offset1:23
	ds_read2_b64 v[166:169], v130 offset0:24 offset1:25
	ds_read2_b64 v[170:173], v130 offset0:26 offset1:27
	ds_read2_b64 v[174:177], v130 offset0:28 offset1:29
	ds_read2_b64 v[178:181], v130 offset0:30 offset1:31
	ds_read_b64 v[0:1], v130 offset:464
	s_waitcnt lgkmcnt(12)
	v_fma_f64 v[106:107], -v[104:105], v[134:135], v[106:107]
	v_fma_f64 v[102:103], -v[104:105], v[136:137], v[102:103]
	s_waitcnt lgkmcnt(11)
	v_fma_f64 v[100:101], -v[104:105], v[138:139], v[100:101]
	v_fma_f64 v[98:99], -v[104:105], v[140:141], v[98:99]
	;; [unrolled: 3-line block ×3, first 2 shown]
	ds_read2_b64 v[134:137], v130 offset0:32 offset1:33
	ds_read2_b64 v[138:141], v130 offset0:34 offset1:35
	;; [unrolled: 1-line block ×3, first 2 shown]
	s_waitcnt lgkmcnt(12)
	v_fma_f64 v[92:93], -v[104:105], v[146:147], v[92:93]
	v_fma_f64 v[88:89], -v[104:105], v[148:149], v[88:89]
	s_waitcnt lgkmcnt(11)
	v_fma_f64 v[90:91], -v[104:105], v[150:151], v[90:91]
	v_fma_f64 v[84:85], -v[104:105], v[152:153], v[84:85]
	s_waitcnt lgkmcnt(10)
	v_fma_f64 v[86:87], -v[104:105], v[154:155], v[86:87]
	v_fma_f64 v[82:83], -v[104:105], v[156:157], v[82:83]
	s_waitcnt lgkmcnt(9)
	v_fma_f64 v[80:81], -v[104:105], v[158:159], v[80:81]
	v_fma_f64 v[78:79], -v[104:105], v[160:161], v[78:79]
	s_waitcnt lgkmcnt(8)
	v_fma_f64 v[76:77], -v[104:105], v[162:163], v[76:77]
	v_fma_f64 v[74:75], -v[104:105], v[164:165], v[74:75]
	s_waitcnt lgkmcnt(7)
	v_fma_f64 v[72:73], -v[104:105], v[166:167], v[72:73]
	v_fma_f64 v[68:69], -v[104:105], v[168:169], v[68:69]
	s_waitcnt lgkmcnt(6)
	v_fma_f64 v[70:71], -v[104:105], v[170:171], v[70:71]
	v_fma_f64 v[64:65], -v[104:105], v[172:173], v[64:65]
	ds_read2_b64 v[146:149], v130 offset0:38 offset1:39
	ds_read2_b64 v[150:153], v130 offset0:40 offset1:41
	;; [unrolled: 1-line block ×5, first 2 shown]
	s_waitcnt lgkmcnt(7)
	v_fma_f64 v[56:57], -v[104:105], v[134:135], v[56:57]
	v_fma_f64 v[54:55], -v[104:105], v[136:137], v[54:55]
	ds_read2_b64 v[134:137], v130 offset0:48 offset1:49
	ds_read2_b64 v[166:169], v130 offset0:50 offset1:51
	s_waitcnt lgkmcnt(8)
	v_fma_f64 v[52:53], -v[104:105], v[138:139], v[52:53]
	v_fma_f64 v[48:49], -v[104:105], v[140:141], v[48:49]
	ds_read2_b64 v[138:141], v130 offset0:52 offset1:53
	ds_read2_b64 v[170:173], v130 offset0:54 offset1:55
	s_waitcnt lgkmcnt(9)
	v_fma_f64 v[50:51], -v[104:105], v[142:143], v[50:51]
	v_fma_f64 v[44:45], -v[104:105], v[144:145], v[44:45]
	ds_read2_b64 v[142:145], v130 offset0:56 offset1:57
	v_fma_f64 v[66:67], -v[104:105], v[174:175], v[66:67]
	v_fma_f64 v[62:63], -v[104:105], v[176:177], v[62:63]
	v_fma_f64 v[60:61], -v[104:105], v[178:179], v[60:61]
	v_fma_f64 v[58:59], -v[104:105], v[180:181], v[58:59]
	s_waitcnt lgkmcnt(9)
	v_fma_f64 v[46:47], -v[104:105], v[146:147], v[46:47]
	v_fma_f64 v[42:43], -v[104:105], v[148:149], v[42:43]
	s_waitcnt lgkmcnt(8)
	v_fma_f64 v[40:41], -v[104:105], v[150:151], v[40:41]
	v_fma_f64 v[38:39], -v[104:105], v[152:153], v[38:39]
	;; [unrolled: 3-line block ×10, first 2 shown]
	v_fma_f64 v[122:123], -v[104:105], v[0:1], v[122:123]
.LBB116_131:
	s_or_b32 exec_lo, exec_lo, s0
	v_lshl_add_u32 v0, v133, 3, v130
	s_barrier
	buffer_gl0_inv
	v_mov_b32_e32 v124, 8
	ds_write_b64 v0, v[106:107]
	s_waitcnt lgkmcnt(0)
	s_barrier
	buffer_gl0_inv
	ds_read_b64 v[0:1], v130 offset:64
	s_cmp_lt_i32 s7, 10
	s_cbranch_scc1 .LBB116_134
; %bb.132:
	v_add3_u32 v125, v131, 0, 0x48
	v_mov_b32_e32 v124, 8
	s_mov_b32 s0, 9
.LBB116_133:                            ; =>This Inner Loop Header: Depth=1
	ds_read_b64 v[134:135], v125
	v_add_nc_u32_e32 v125, 8, v125
	s_waitcnt lgkmcnt(0)
	v_cmp_lt_f64_e64 vcc_lo, |v[0:1]|, |v[134:135]|
	v_cndmask_b32_e32 v1, v1, v135, vcc_lo
	v_cndmask_b32_e32 v0, v0, v134, vcc_lo
	v_cndmask_b32_e64 v124, v124, s0, vcc_lo
	s_add_i32 s0, s0, 1
	s_cmp_lg_u32 s7, s0
	s_cbranch_scc1 .LBB116_133
.LBB116_134:
	s_mov_b32 s0, exec_lo
	s_waitcnt lgkmcnt(0)
	v_cmpx_eq_f64_e32 0, v[0:1]
	s_xor_b32 s0, exec_lo, s0
; %bb.135:
	v_cmp_ne_u32_e32 vcc_lo, 0, v127
	v_cndmask_b32_e32 v127, 9, v127, vcc_lo
; %bb.136:
	s_andn2_saveexec_b32 s0, s0
	s_cbranch_execz .LBB116_138
; %bb.137:
	v_div_scale_f64 v[125:126], null, v[0:1], v[0:1], 1.0
	v_rcp_f64_e32 v[134:135], v[125:126]
	v_fma_f64 v[136:137], -v[125:126], v[134:135], 1.0
	v_fma_f64 v[134:135], v[134:135], v[136:137], v[134:135]
	v_fma_f64 v[136:137], -v[125:126], v[134:135], 1.0
	v_fma_f64 v[134:135], v[134:135], v[136:137], v[134:135]
	v_div_scale_f64 v[136:137], vcc_lo, 1.0, v[0:1], 1.0
	v_mul_f64 v[138:139], v[136:137], v[134:135]
	v_fma_f64 v[125:126], -v[125:126], v[138:139], v[136:137]
	v_div_fmas_f64 v[125:126], v[125:126], v[134:135], v[138:139]
	v_div_fixup_f64 v[0:1], v[125:126], v[0:1], 1.0
.LBB116_138:
	s_or_b32 exec_lo, exec_lo, s0
	s_mov_b32 s0, exec_lo
	v_cmpx_ne_u32_e64 v133, v124
	s_xor_b32 s0, exec_lo, s0
	s_cbranch_execz .LBB116_144
; %bb.139:
	s_mov_b32 s1, exec_lo
	v_cmpx_eq_u32_e32 8, v133
	s_cbranch_execz .LBB116_143
; %bb.140:
	v_cmp_ne_u32_e32 vcc_lo, 8, v124
	s_xor_b32 s2, s6, -1
	s_and_b32 s3, s2, vcc_lo
	s_and_saveexec_b32 s2, s3
	s_cbranch_execz .LBB116_142
; %bb.141:
	v_ashrrev_i32_e32 v125, 31, v124
	v_lshlrev_b64 v[125:126], 2, v[124:125]
	v_add_co_u32 v125, vcc_lo, v4, v125
	v_add_co_ci_u32_e64 v126, null, v5, v126, vcc_lo
	s_clause 0x1
	global_load_dword v132, v[125:126], off
	global_load_dword v133, v[4:5], off offset:32
	s_waitcnt vmcnt(1)
	global_store_dword v[4:5], v132, off offset:32
	s_waitcnt vmcnt(0)
	global_store_dword v[125:126], v133, off
.LBB116_142:
	s_or_b32 exec_lo, exec_lo, s2
	v_mov_b32_e32 v132, v124
	v_mov_b32_e32 v133, v124
.LBB116_143:
	s_or_b32 exec_lo, exec_lo, s1
.LBB116_144:
	s_andn2_saveexec_b32 s0, s0
	s_cbranch_execz .LBB116_146
; %bb.145:
	v_mov_b32_e32 v133, 8
	ds_write2_b64 v130, v[102:103], v[100:101] offset0:9 offset1:10
	ds_write2_b64 v130, v[98:99], v[96:97] offset0:11 offset1:12
	;; [unrolled: 1-line block ×25, first 2 shown]
.LBB116_146:
	s_or_b32 exec_lo, exec_lo, s0
	s_mov_b32 s0, exec_lo
	s_waitcnt lgkmcnt(0)
	s_waitcnt_vscnt null, 0x0
	s_barrier
	buffer_gl0_inv
	v_cmpx_lt_i32_e32 8, v133
	s_cbranch_execz .LBB116_148
; %bb.147:
	v_mul_f64 v[106:107], v[0:1], v[106:107]
	ds_read2_b64 v[134:137], v130 offset0:9 offset1:10
	ds_read2_b64 v[138:141], v130 offset0:11 offset1:12
	ds_read2_b64 v[142:145], v130 offset0:13 offset1:14
	ds_read2_b64 v[146:149], v130 offset0:15 offset1:16
	ds_read2_b64 v[150:153], v130 offset0:17 offset1:18
	ds_read2_b64 v[154:157], v130 offset0:19 offset1:20
	ds_read2_b64 v[158:161], v130 offset0:21 offset1:22
	ds_read2_b64 v[162:165], v130 offset0:23 offset1:24
	ds_read2_b64 v[166:169], v130 offset0:25 offset1:26
	ds_read2_b64 v[170:173], v130 offset0:27 offset1:28
	ds_read2_b64 v[174:177], v130 offset0:29 offset1:30
	ds_read2_b64 v[178:181], v130 offset0:31 offset1:32
	s_waitcnt lgkmcnt(11)
	v_fma_f64 v[102:103], -v[106:107], v[134:135], v[102:103]
	v_fma_f64 v[100:101], -v[106:107], v[136:137], v[100:101]
	s_waitcnt lgkmcnt(10)
	v_fma_f64 v[98:99], -v[106:107], v[138:139], v[98:99]
	v_fma_f64 v[96:97], -v[106:107], v[140:141], v[96:97]
	ds_read2_b64 v[134:137], v130 offset0:33 offset1:34
	ds_read2_b64 v[138:141], v130 offset0:35 offset1:36
	s_waitcnt lgkmcnt(11)
	v_fma_f64 v[94:95], -v[106:107], v[142:143], v[94:95]
	v_fma_f64 v[92:93], -v[106:107], v[144:145], v[92:93]
	s_waitcnt lgkmcnt(10)
	v_fma_f64 v[88:89], -v[106:107], v[146:147], v[88:89]
	v_fma_f64 v[90:91], -v[106:107], v[148:149], v[90:91]
	s_waitcnt lgkmcnt(9)
	v_fma_f64 v[84:85], -v[106:107], v[150:151], v[84:85]
	v_fma_f64 v[86:87], -v[106:107], v[152:153], v[86:87]
	s_waitcnt lgkmcnt(8)
	v_fma_f64 v[82:83], -v[106:107], v[154:155], v[82:83]
	v_fma_f64 v[80:81], -v[106:107], v[156:157], v[80:81]
	s_waitcnt lgkmcnt(7)
	v_fma_f64 v[78:79], -v[106:107], v[158:159], v[78:79]
	v_fma_f64 v[76:77], -v[106:107], v[160:161], v[76:77]
	s_waitcnt lgkmcnt(6)
	v_fma_f64 v[74:75], -v[106:107], v[162:163], v[74:75]
	v_fma_f64 v[72:73], -v[106:107], v[164:165], v[72:73]
	s_waitcnt lgkmcnt(5)
	v_fma_f64 v[68:69], -v[106:107], v[166:167], v[68:69]
	v_fma_f64 v[70:71], -v[106:107], v[168:169], v[70:71]
	ds_read2_b64 v[142:145], v130 offset0:37 offset1:38
	ds_read2_b64 v[146:149], v130 offset0:39 offset1:40
	s_waitcnt lgkmcnt(6)
	v_fma_f64 v[64:65], -v[106:107], v[170:171], v[64:65]
	v_fma_f64 v[66:67], -v[106:107], v[172:173], v[66:67]
	s_waitcnt lgkmcnt(5)
	v_fma_f64 v[62:63], -v[106:107], v[174:175], v[62:63]
	ds_read2_b64 v[150:153], v130 offset0:41 offset1:42
	ds_read2_b64 v[154:157], v130 offset0:43 offset1:44
	v_fma_f64 v[60:61], -v[106:107], v[176:177], v[60:61]
	ds_read2_b64 v[158:161], v130 offset0:45 offset1:46
	ds_read2_b64 v[162:165], v130 offset0:47 offset1:48
	s_waitcnt lgkmcnt(7)
	v_fma_f64 v[54:55], -v[106:107], v[134:135], v[54:55]
	ds_read2_b64 v[166:169], v130 offset0:49 offset1:50
	v_fma_f64 v[52:53], -v[106:107], v[136:137], v[52:53]
	ds_read2_b64 v[134:137], v130 offset0:51 offset1:52
	s_waitcnt lgkmcnt(8)
	v_fma_f64 v[48:49], -v[106:107], v[138:139], v[48:49]
	ds_read2_b64 v[170:173], v130 offset0:53 offset1:54
	v_fma_f64 v[50:51], -v[106:107], v[140:141], v[50:51]
	ds_read2_b64 v[138:141], v130 offset0:55 offset1:56
	ds_read2_b64 v[174:177], v130 offset0:57 offset1:58
	v_fma_f64 v[58:59], -v[106:107], v[178:179], v[58:59]
	v_fma_f64 v[56:57], -v[106:107], v[180:181], v[56:57]
	s_waitcnt lgkmcnt(10)
	v_fma_f64 v[44:45], -v[106:107], v[142:143], v[44:45]
	v_fma_f64 v[46:47], -v[106:107], v[144:145], v[46:47]
	s_waitcnt lgkmcnt(9)
	;; [unrolled: 3-line block ×11, first 2 shown]
	v_fma_f64 v[6:7], -v[106:107], v[174:175], v[6:7]
	v_fma_f64 v[122:123], -v[106:107], v[176:177], v[122:123]
.LBB116_148:
	s_or_b32 exec_lo, exec_lo, s0
	v_lshl_add_u32 v0, v133, 3, v130
	s_barrier
	buffer_gl0_inv
	v_mov_b32_e32 v124, 9
	ds_write_b64 v0, v[102:103]
	s_waitcnt lgkmcnt(0)
	s_barrier
	buffer_gl0_inv
	ds_read_b64 v[0:1], v130 offset:72
	s_cmp_lt_i32 s7, 11
	s_cbranch_scc1 .LBB116_151
; %bb.149:
	v_add3_u32 v125, v131, 0, 0x50
	v_mov_b32_e32 v124, 9
	s_mov_b32 s0, 10
.LBB116_150:                            ; =>This Inner Loop Header: Depth=1
	ds_read_b64 v[134:135], v125
	v_add_nc_u32_e32 v125, 8, v125
	s_waitcnt lgkmcnt(0)
	v_cmp_lt_f64_e64 vcc_lo, |v[0:1]|, |v[134:135]|
	v_cndmask_b32_e32 v1, v1, v135, vcc_lo
	v_cndmask_b32_e32 v0, v0, v134, vcc_lo
	v_cndmask_b32_e64 v124, v124, s0, vcc_lo
	s_add_i32 s0, s0, 1
	s_cmp_lg_u32 s7, s0
	s_cbranch_scc1 .LBB116_150
.LBB116_151:
	s_mov_b32 s0, exec_lo
	s_waitcnt lgkmcnt(0)
	v_cmpx_eq_f64_e32 0, v[0:1]
	s_xor_b32 s0, exec_lo, s0
; %bb.152:
	v_cmp_ne_u32_e32 vcc_lo, 0, v127
	v_cndmask_b32_e32 v127, 10, v127, vcc_lo
; %bb.153:
	s_andn2_saveexec_b32 s0, s0
	s_cbranch_execz .LBB116_155
; %bb.154:
	v_div_scale_f64 v[125:126], null, v[0:1], v[0:1], 1.0
	v_rcp_f64_e32 v[134:135], v[125:126]
	v_fma_f64 v[136:137], -v[125:126], v[134:135], 1.0
	v_fma_f64 v[134:135], v[134:135], v[136:137], v[134:135]
	v_fma_f64 v[136:137], -v[125:126], v[134:135], 1.0
	v_fma_f64 v[134:135], v[134:135], v[136:137], v[134:135]
	v_div_scale_f64 v[136:137], vcc_lo, 1.0, v[0:1], 1.0
	v_mul_f64 v[138:139], v[136:137], v[134:135]
	v_fma_f64 v[125:126], -v[125:126], v[138:139], v[136:137]
	v_div_fmas_f64 v[125:126], v[125:126], v[134:135], v[138:139]
	v_div_fixup_f64 v[0:1], v[125:126], v[0:1], 1.0
.LBB116_155:
	s_or_b32 exec_lo, exec_lo, s0
	s_mov_b32 s0, exec_lo
	v_cmpx_ne_u32_e64 v133, v124
	s_xor_b32 s0, exec_lo, s0
	s_cbranch_execz .LBB116_161
; %bb.156:
	s_mov_b32 s1, exec_lo
	v_cmpx_eq_u32_e32 9, v133
	s_cbranch_execz .LBB116_160
; %bb.157:
	v_cmp_ne_u32_e32 vcc_lo, 9, v124
	s_xor_b32 s2, s6, -1
	s_and_b32 s3, s2, vcc_lo
	s_and_saveexec_b32 s2, s3
	s_cbranch_execz .LBB116_159
; %bb.158:
	v_ashrrev_i32_e32 v125, 31, v124
	v_lshlrev_b64 v[125:126], 2, v[124:125]
	v_add_co_u32 v125, vcc_lo, v4, v125
	v_add_co_ci_u32_e64 v126, null, v5, v126, vcc_lo
	s_clause 0x1
	global_load_dword v132, v[125:126], off
	global_load_dword v133, v[4:5], off offset:36
	s_waitcnt vmcnt(1)
	global_store_dword v[4:5], v132, off offset:36
	s_waitcnt vmcnt(0)
	global_store_dword v[125:126], v133, off
.LBB116_159:
	s_or_b32 exec_lo, exec_lo, s2
	v_mov_b32_e32 v132, v124
	v_mov_b32_e32 v133, v124
.LBB116_160:
	s_or_b32 exec_lo, exec_lo, s1
.LBB116_161:
	s_andn2_saveexec_b32 s0, s0
	s_cbranch_execz .LBB116_163
; %bb.162:
	v_mov_b32_e32 v124, v100
	v_mov_b32_e32 v125, v101
	v_mov_b32_e32 v133, v98
	v_mov_b32_e32 v134, v99
	v_mov_b32_e32 v135, v96
	v_mov_b32_e32 v136, v97
	v_mov_b32_e32 v137, v94
	v_mov_b32_e32 v138, v95
	v_mov_b32_e32 v139, v92
	v_mov_b32_e32 v140, v93
	v_mov_b32_e32 v141, v88
	v_mov_b32_e32 v142, v89
	v_mov_b32_e32 v143, v90
	v_mov_b32_e32 v144, v91
	v_mov_b32_e32 v145, v84
	v_mov_b32_e32 v146, v85
	v_mov_b32_e32 v147, v86
	v_mov_b32_e32 v148, v87
	v_mov_b32_e32 v149, v82
	v_mov_b32_e32 v150, v83
	ds_write2_b64 v130, v[124:125], v[133:134] offset0:10 offset1:11
	ds_write2_b64 v130, v[135:136], v[137:138] offset0:12 offset1:13
	ds_write2_b64 v130, v[139:140], v[141:142] offset0:14 offset1:15
	ds_write2_b64 v130, v[143:144], v[145:146] offset0:16 offset1:17
	ds_write2_b64 v130, v[147:148], v[149:150] offset0:18 offset1:19
	v_mov_b32_e32 v124, v80
	v_mov_b32_e32 v125, v81
	v_mov_b32_e32 v133, v78
	v_mov_b32_e32 v134, v79
	v_mov_b32_e32 v135, v76
	v_mov_b32_e32 v136, v77
	v_mov_b32_e32 v137, v74
	v_mov_b32_e32 v138, v75
	v_mov_b32_e32 v139, v72
	v_mov_b32_e32 v140, v73
	v_mov_b32_e32 v141, v68
	v_mov_b32_e32 v142, v69
	v_mov_b32_e32 v143, v70
	v_mov_b32_e32 v144, v71
	v_mov_b32_e32 v145, v64
	v_mov_b32_e32 v146, v65
	v_mov_b32_e32 v147, v66
	v_mov_b32_e32 v148, v67
	v_mov_b32_e32 v149, v62
	v_mov_b32_e32 v150, v63
	ds_write2_b64 v130, v[124:125], v[133:134] offset0:20 offset1:21
	ds_write2_b64 v130, v[135:136], v[137:138] offset0:22 offset1:23
	ds_write2_b64 v130, v[139:140], v[141:142] offset0:24 offset1:25
	ds_write2_b64 v130, v[143:144], v[145:146] offset0:26 offset1:27
	ds_write2_b64 v130, v[147:148], v[149:150] offset0:28 offset1:29
	;; [unrolled: 25-line block ×4, first 2 shown]
	v_mov_b32_e32 v124, v20
	v_mov_b32_e32 v125, v21
	;; [unrolled: 1-line block ×8, first 2 shown]
	ds_write2_b64 v130, v[124:125], v[133:134] offset0:50 offset1:51
	v_mov_b32_e32 v133, 9
	v_mov_b32_e32 v139, v12
	;; [unrolled: 1-line block ×9, first 2 shown]
	ds_write2_b64 v130, v[135:136], v[137:138] offset0:52 offset1:53
	ds_write2_b64 v130, v[139:140], v[141:142] offset0:54 offset1:55
	;; [unrolled: 1-line block ×3, first 2 shown]
	ds_write_b64 v130, v[122:123] offset:464
.LBB116_163:
	s_or_b32 exec_lo, exec_lo, s0
	s_mov_b32 s0, exec_lo
	s_waitcnt lgkmcnt(0)
	s_waitcnt_vscnt null, 0x0
	s_barrier
	buffer_gl0_inv
	v_cmpx_lt_i32_e32 9, v133
	s_cbranch_execz .LBB116_165
; %bb.164:
	v_mul_f64 v[102:103], v[0:1], v[102:103]
	ds_read2_b64 v[134:137], v130 offset0:10 offset1:11
	ds_read2_b64 v[138:141], v130 offset0:12 offset1:13
	;; [unrolled: 1-line block ×12, first 2 shown]
	ds_read_b64 v[0:1], v130 offset:464
	s_waitcnt lgkmcnt(12)
	v_fma_f64 v[100:101], -v[102:103], v[134:135], v[100:101]
	v_fma_f64 v[98:99], -v[102:103], v[136:137], v[98:99]
	s_waitcnt lgkmcnt(11)
	v_fma_f64 v[96:97], -v[102:103], v[138:139], v[96:97]
	v_fma_f64 v[94:95], -v[102:103], v[140:141], v[94:95]
	ds_read2_b64 v[134:137], v130 offset0:34 offset1:35
	ds_read2_b64 v[138:141], v130 offset0:36 offset1:37
	s_waitcnt lgkmcnt(12)
	v_fma_f64 v[92:93], -v[102:103], v[142:143], v[92:93]
	v_fma_f64 v[88:89], -v[102:103], v[144:145], v[88:89]
	s_waitcnt lgkmcnt(11)
	v_fma_f64 v[90:91], -v[102:103], v[146:147], v[90:91]
	v_fma_f64 v[84:85], -v[102:103], v[148:149], v[84:85]
	;; [unrolled: 3-line block ×7, first 2 shown]
	ds_read2_b64 v[142:145], v130 offset0:38 offset1:39
	ds_read2_b64 v[146:149], v130 offset0:40 offset1:41
	s_waitcnt lgkmcnt(7)
	v_fma_f64 v[66:67], -v[102:103], v[170:171], v[66:67]
	v_fma_f64 v[62:63], -v[102:103], v[172:173], v[62:63]
	ds_read2_b64 v[150:153], v130 offset0:42 offset1:43
	ds_read2_b64 v[154:157], v130 offset0:44 offset1:45
	;; [unrolled: 1-line block ×4, first 2 shown]
	s_waitcnt lgkmcnt(7)
	v_fma_f64 v[52:53], -v[102:103], v[134:135], v[52:53]
	ds_read2_b64 v[166:169], v130 offset0:50 offset1:51
	v_fma_f64 v[48:49], -v[102:103], v[136:137], v[48:49]
	ds_read2_b64 v[134:137], v130 offset0:52 offset1:53
	s_waitcnt lgkmcnt(8)
	v_fma_f64 v[50:51], -v[102:103], v[138:139], v[50:51]
	ds_read2_b64 v[170:173], v130 offset0:54 offset1:55
	v_fma_f64 v[44:45], -v[102:103], v[140:141], v[44:45]
	ds_read2_b64 v[138:141], v130 offset0:56 offset1:57
	v_fma_f64 v[60:61], -v[102:103], v[174:175], v[60:61]
	v_fma_f64 v[58:59], -v[102:103], v[176:177], v[58:59]
	;; [unrolled: 1-line block ×4, first 2 shown]
	s_waitcnt lgkmcnt(9)
	v_fma_f64 v[46:47], -v[102:103], v[142:143], v[46:47]
	v_fma_f64 v[42:43], -v[102:103], v[144:145], v[42:43]
	s_waitcnt lgkmcnt(8)
	v_fma_f64 v[40:41], -v[102:103], v[146:147], v[40:41]
	v_fma_f64 v[38:39], -v[102:103], v[148:149], v[38:39]
	;; [unrolled: 3-line block ×10, first 2 shown]
	v_fma_f64 v[122:123], -v[102:103], v[0:1], v[122:123]
.LBB116_165:
	s_or_b32 exec_lo, exec_lo, s0
	v_lshl_add_u32 v0, v133, 3, v130
	s_barrier
	buffer_gl0_inv
	v_mov_b32_e32 v124, 10
	ds_write_b64 v0, v[100:101]
	s_waitcnt lgkmcnt(0)
	s_barrier
	buffer_gl0_inv
	ds_read_b64 v[0:1], v130 offset:80
	s_cmp_lt_i32 s7, 12
	s_cbranch_scc1 .LBB116_168
; %bb.166:
	v_add3_u32 v125, v131, 0, 0x58
	v_mov_b32_e32 v124, 10
	s_mov_b32 s0, 11
.LBB116_167:                            ; =>This Inner Loop Header: Depth=1
	ds_read_b64 v[134:135], v125
	v_add_nc_u32_e32 v125, 8, v125
	s_waitcnt lgkmcnt(0)
	v_cmp_lt_f64_e64 vcc_lo, |v[0:1]|, |v[134:135]|
	v_cndmask_b32_e32 v1, v1, v135, vcc_lo
	v_cndmask_b32_e32 v0, v0, v134, vcc_lo
	v_cndmask_b32_e64 v124, v124, s0, vcc_lo
	s_add_i32 s0, s0, 1
	s_cmp_lg_u32 s7, s0
	s_cbranch_scc1 .LBB116_167
.LBB116_168:
	s_mov_b32 s0, exec_lo
	s_waitcnt lgkmcnt(0)
	v_cmpx_eq_f64_e32 0, v[0:1]
	s_xor_b32 s0, exec_lo, s0
; %bb.169:
	v_cmp_ne_u32_e32 vcc_lo, 0, v127
	v_cndmask_b32_e32 v127, 11, v127, vcc_lo
; %bb.170:
	s_andn2_saveexec_b32 s0, s0
	s_cbranch_execz .LBB116_172
; %bb.171:
	v_div_scale_f64 v[125:126], null, v[0:1], v[0:1], 1.0
	v_rcp_f64_e32 v[134:135], v[125:126]
	v_fma_f64 v[136:137], -v[125:126], v[134:135], 1.0
	v_fma_f64 v[134:135], v[134:135], v[136:137], v[134:135]
	v_fma_f64 v[136:137], -v[125:126], v[134:135], 1.0
	v_fma_f64 v[134:135], v[134:135], v[136:137], v[134:135]
	v_div_scale_f64 v[136:137], vcc_lo, 1.0, v[0:1], 1.0
	v_mul_f64 v[138:139], v[136:137], v[134:135]
	v_fma_f64 v[125:126], -v[125:126], v[138:139], v[136:137]
	v_div_fmas_f64 v[125:126], v[125:126], v[134:135], v[138:139]
	v_div_fixup_f64 v[0:1], v[125:126], v[0:1], 1.0
.LBB116_172:
	s_or_b32 exec_lo, exec_lo, s0
	s_mov_b32 s0, exec_lo
	v_cmpx_ne_u32_e64 v133, v124
	s_xor_b32 s0, exec_lo, s0
	s_cbranch_execz .LBB116_178
; %bb.173:
	s_mov_b32 s1, exec_lo
	v_cmpx_eq_u32_e32 10, v133
	s_cbranch_execz .LBB116_177
; %bb.174:
	v_cmp_ne_u32_e32 vcc_lo, 10, v124
	s_xor_b32 s2, s6, -1
	s_and_b32 s3, s2, vcc_lo
	s_and_saveexec_b32 s2, s3
	s_cbranch_execz .LBB116_176
; %bb.175:
	v_ashrrev_i32_e32 v125, 31, v124
	v_lshlrev_b64 v[125:126], 2, v[124:125]
	v_add_co_u32 v125, vcc_lo, v4, v125
	v_add_co_ci_u32_e64 v126, null, v5, v126, vcc_lo
	s_clause 0x1
	global_load_dword v132, v[125:126], off
	global_load_dword v133, v[4:5], off offset:40
	s_waitcnt vmcnt(1)
	global_store_dword v[4:5], v132, off offset:40
	s_waitcnt vmcnt(0)
	global_store_dword v[125:126], v133, off
.LBB116_176:
	s_or_b32 exec_lo, exec_lo, s2
	v_mov_b32_e32 v132, v124
	v_mov_b32_e32 v133, v124
.LBB116_177:
	s_or_b32 exec_lo, exec_lo, s1
.LBB116_178:
	s_andn2_saveexec_b32 s0, s0
	s_cbranch_execz .LBB116_180
; %bb.179:
	v_mov_b32_e32 v133, 10
	ds_write2_b64 v130, v[98:99], v[96:97] offset0:11 offset1:12
	ds_write2_b64 v130, v[94:95], v[92:93] offset0:13 offset1:14
	ds_write2_b64 v130, v[88:89], v[90:91] offset0:15 offset1:16
	ds_write2_b64 v130, v[84:85], v[86:87] offset0:17 offset1:18
	ds_write2_b64 v130, v[82:83], v[80:81] offset0:19 offset1:20
	ds_write2_b64 v130, v[78:79], v[76:77] offset0:21 offset1:22
	ds_write2_b64 v130, v[74:75], v[72:73] offset0:23 offset1:24
	ds_write2_b64 v130, v[68:69], v[70:71] offset0:25 offset1:26
	ds_write2_b64 v130, v[64:65], v[66:67] offset0:27 offset1:28
	ds_write2_b64 v130, v[62:63], v[60:61] offset0:29 offset1:30
	ds_write2_b64 v130, v[58:59], v[56:57] offset0:31 offset1:32
	ds_write2_b64 v130, v[54:55], v[52:53] offset0:33 offset1:34
	ds_write2_b64 v130, v[48:49], v[50:51] offset0:35 offset1:36
	ds_write2_b64 v130, v[44:45], v[46:47] offset0:37 offset1:38
	ds_write2_b64 v130, v[42:43], v[40:41] offset0:39 offset1:40
	ds_write2_b64 v130, v[38:39], v[36:37] offset0:41 offset1:42
	ds_write2_b64 v130, v[34:35], v[32:33] offset0:43 offset1:44
	ds_write2_b64 v130, v[28:29], v[30:31] offset0:45 offset1:46
	ds_write2_b64 v130, v[24:25], v[26:27] offset0:47 offset1:48
	ds_write2_b64 v130, v[22:23], v[20:21] offset0:49 offset1:50
	ds_write2_b64 v130, v[18:19], v[16:17] offset0:51 offset1:52
	ds_write2_b64 v130, v[14:15], v[12:13] offset0:53 offset1:54
	ds_write2_b64 v130, v[8:9], v[10:11] offset0:55 offset1:56
	ds_write2_b64 v130, v[6:7], v[122:123] offset0:57 offset1:58
.LBB116_180:
	s_or_b32 exec_lo, exec_lo, s0
	s_mov_b32 s0, exec_lo
	s_waitcnt lgkmcnt(0)
	s_waitcnt_vscnt null, 0x0
	s_barrier
	buffer_gl0_inv
	v_cmpx_lt_i32_e32 10, v133
	s_cbranch_execz .LBB116_182
; %bb.181:
	v_mul_f64 v[100:101], v[0:1], v[100:101]
	ds_read2_b64 v[134:137], v130 offset0:11 offset1:12
	ds_read2_b64 v[138:141], v130 offset0:13 offset1:14
	;; [unrolled: 1-line block ×12, first 2 shown]
	s_waitcnt lgkmcnt(11)
	v_fma_f64 v[98:99], -v[100:101], v[134:135], v[98:99]
	v_fma_f64 v[96:97], -v[100:101], v[136:137], v[96:97]
	ds_read2_b64 v[134:137], v130 offset0:35 offset1:36
	s_waitcnt lgkmcnt(11)
	v_fma_f64 v[94:95], -v[100:101], v[138:139], v[94:95]
	v_fma_f64 v[92:93], -v[100:101], v[140:141], v[92:93]
	s_waitcnt lgkmcnt(10)
	v_fma_f64 v[88:89], -v[100:101], v[142:143], v[88:89]
	v_fma_f64 v[90:91], -v[100:101], v[144:145], v[90:91]
	;; [unrolled: 3-line block ×7, first 2 shown]
	ds_read2_b64 v[138:141], v130 offset0:37 offset1:38
	s_waitcnt lgkmcnt(5)
	v_fma_f64 v[64:65], -v[100:101], v[166:167], v[64:65]
	v_fma_f64 v[66:67], -v[100:101], v[168:169], v[66:67]
	ds_read2_b64 v[142:145], v130 offset0:39 offset1:40
	ds_read2_b64 v[146:149], v130 offset0:41 offset1:42
	s_waitcnt lgkmcnt(6)
	v_fma_f64 v[62:63], -v[100:101], v[170:171], v[62:63]
	v_fma_f64 v[60:61], -v[100:101], v[172:173], v[60:61]
	ds_read2_b64 v[150:153], v130 offset0:43 offset1:44
	ds_read2_b64 v[154:157], v130 offset0:45 offset1:46
	s_waitcnt lgkmcnt(7)
	v_fma_f64 v[58:59], -v[100:101], v[174:175], v[58:59]
	v_fma_f64 v[56:57], -v[100:101], v[176:177], v[56:57]
	ds_read2_b64 v[158:161], v130 offset0:47 offset1:48
	ds_read2_b64 v[162:165], v130 offset0:49 offset1:50
	ds_read2_b64 v[166:169], v130 offset0:51 offset1:52
	;; [unrolled: 1-line block ×3, first 2 shown]
	s_waitcnt lgkmcnt(9)
	v_fma_f64 v[48:49], -v[100:101], v[134:135], v[48:49]
	v_fma_f64 v[50:51], -v[100:101], v[136:137], v[50:51]
	ds_read2_b64 v[134:137], v130 offset0:55 offset1:56
	ds_read2_b64 v[174:177], v130 offset0:57 offset1:58
	v_fma_f64 v[54:55], -v[100:101], v[178:179], v[54:55]
	v_fma_f64 v[52:53], -v[100:101], v[180:181], v[52:53]
	s_waitcnt lgkmcnt(10)
	v_fma_f64 v[44:45], -v[100:101], v[138:139], v[44:45]
	v_fma_f64 v[46:47], -v[100:101], v[140:141], v[46:47]
	s_waitcnt lgkmcnt(9)
	;; [unrolled: 3-line block ×11, first 2 shown]
	v_fma_f64 v[6:7], -v[100:101], v[174:175], v[6:7]
	v_fma_f64 v[122:123], -v[100:101], v[176:177], v[122:123]
.LBB116_182:
	s_or_b32 exec_lo, exec_lo, s0
	v_lshl_add_u32 v0, v133, 3, v130
	s_barrier
	buffer_gl0_inv
	v_mov_b32_e32 v124, 11
	ds_write_b64 v0, v[98:99]
	s_waitcnt lgkmcnt(0)
	s_barrier
	buffer_gl0_inv
	ds_read_b64 v[0:1], v130 offset:88
	s_cmp_lt_i32 s7, 13
	s_cbranch_scc1 .LBB116_185
; %bb.183:
	v_add3_u32 v125, v131, 0, 0x60
	v_mov_b32_e32 v124, 11
	s_mov_b32 s0, 12
.LBB116_184:                            ; =>This Inner Loop Header: Depth=1
	ds_read_b64 v[134:135], v125
	v_add_nc_u32_e32 v125, 8, v125
	s_waitcnt lgkmcnt(0)
	v_cmp_lt_f64_e64 vcc_lo, |v[0:1]|, |v[134:135]|
	v_cndmask_b32_e32 v1, v1, v135, vcc_lo
	v_cndmask_b32_e32 v0, v0, v134, vcc_lo
	v_cndmask_b32_e64 v124, v124, s0, vcc_lo
	s_add_i32 s0, s0, 1
	s_cmp_lg_u32 s7, s0
	s_cbranch_scc1 .LBB116_184
.LBB116_185:
	s_mov_b32 s0, exec_lo
	s_waitcnt lgkmcnt(0)
	v_cmpx_eq_f64_e32 0, v[0:1]
	s_xor_b32 s0, exec_lo, s0
; %bb.186:
	v_cmp_ne_u32_e32 vcc_lo, 0, v127
	v_cndmask_b32_e32 v127, 12, v127, vcc_lo
; %bb.187:
	s_andn2_saveexec_b32 s0, s0
	s_cbranch_execz .LBB116_189
; %bb.188:
	v_div_scale_f64 v[125:126], null, v[0:1], v[0:1], 1.0
	v_rcp_f64_e32 v[134:135], v[125:126]
	v_fma_f64 v[136:137], -v[125:126], v[134:135], 1.0
	v_fma_f64 v[134:135], v[134:135], v[136:137], v[134:135]
	v_fma_f64 v[136:137], -v[125:126], v[134:135], 1.0
	v_fma_f64 v[134:135], v[134:135], v[136:137], v[134:135]
	v_div_scale_f64 v[136:137], vcc_lo, 1.0, v[0:1], 1.0
	v_mul_f64 v[138:139], v[136:137], v[134:135]
	v_fma_f64 v[125:126], -v[125:126], v[138:139], v[136:137]
	v_div_fmas_f64 v[125:126], v[125:126], v[134:135], v[138:139]
	v_div_fixup_f64 v[0:1], v[125:126], v[0:1], 1.0
.LBB116_189:
	s_or_b32 exec_lo, exec_lo, s0
	s_mov_b32 s0, exec_lo
	v_cmpx_ne_u32_e64 v133, v124
	s_xor_b32 s0, exec_lo, s0
	s_cbranch_execz .LBB116_195
; %bb.190:
	s_mov_b32 s1, exec_lo
	v_cmpx_eq_u32_e32 11, v133
	s_cbranch_execz .LBB116_194
; %bb.191:
	v_cmp_ne_u32_e32 vcc_lo, 11, v124
	s_xor_b32 s2, s6, -1
	s_and_b32 s3, s2, vcc_lo
	s_and_saveexec_b32 s2, s3
	s_cbranch_execz .LBB116_193
; %bb.192:
	v_ashrrev_i32_e32 v125, 31, v124
	v_lshlrev_b64 v[125:126], 2, v[124:125]
	v_add_co_u32 v125, vcc_lo, v4, v125
	v_add_co_ci_u32_e64 v126, null, v5, v126, vcc_lo
	s_clause 0x1
	global_load_dword v132, v[125:126], off
	global_load_dword v133, v[4:5], off offset:44
	s_waitcnt vmcnt(1)
	global_store_dword v[4:5], v132, off offset:44
	s_waitcnt vmcnt(0)
	global_store_dword v[125:126], v133, off
.LBB116_193:
	s_or_b32 exec_lo, exec_lo, s2
	v_mov_b32_e32 v132, v124
	v_mov_b32_e32 v133, v124
.LBB116_194:
	s_or_b32 exec_lo, exec_lo, s1
.LBB116_195:
	s_andn2_saveexec_b32 s0, s0
	s_cbranch_execz .LBB116_197
; %bb.196:
	v_mov_b32_e32 v124, v96
	v_mov_b32_e32 v125, v97
	;; [unrolled: 1-line block ×16, first 2 shown]
	ds_write2_b64 v130, v[124:125], v[133:134] offset0:12 offset1:13
	ds_write2_b64 v130, v[135:136], v[137:138] offset0:14 offset1:15
	ds_write2_b64 v130, v[139:140], v[141:142] offset0:16 offset1:17
	ds_write2_b64 v130, v[143:144], v[145:146] offset0:18 offset1:19
	v_mov_b32_e32 v124, v80
	v_mov_b32_e32 v125, v81
	v_mov_b32_e32 v133, v78
	v_mov_b32_e32 v134, v79
	v_mov_b32_e32 v135, v76
	v_mov_b32_e32 v136, v77
	v_mov_b32_e32 v137, v74
	v_mov_b32_e32 v138, v75
	v_mov_b32_e32 v139, v72
	v_mov_b32_e32 v140, v73
	v_mov_b32_e32 v141, v68
	v_mov_b32_e32 v142, v69
	v_mov_b32_e32 v143, v70
	v_mov_b32_e32 v144, v71
	v_mov_b32_e32 v145, v64
	v_mov_b32_e32 v146, v65
	v_mov_b32_e32 v147, v66
	v_mov_b32_e32 v148, v67
	v_mov_b32_e32 v149, v62
	v_mov_b32_e32 v150, v63
	ds_write2_b64 v130, v[124:125], v[133:134] offset0:20 offset1:21
	ds_write2_b64 v130, v[135:136], v[137:138] offset0:22 offset1:23
	ds_write2_b64 v130, v[139:140], v[141:142] offset0:24 offset1:25
	ds_write2_b64 v130, v[143:144], v[145:146] offset0:26 offset1:27
	ds_write2_b64 v130, v[147:148], v[149:150] offset0:28 offset1:29
	v_mov_b32_e32 v124, v60
	v_mov_b32_e32 v125, v61
	v_mov_b32_e32 v133, v58
	v_mov_b32_e32 v134, v59
	v_mov_b32_e32 v135, v56
	v_mov_b32_e32 v136, v57
	v_mov_b32_e32 v137, v54
	v_mov_b32_e32 v138, v55
	v_mov_b32_e32 v139, v52
	v_mov_b32_e32 v140, v53
	v_mov_b32_e32 v141, v48
	v_mov_b32_e32 v142, v49
	v_mov_b32_e32 v143, v50
	v_mov_b32_e32 v144, v51
	v_mov_b32_e32 v145, v44
	v_mov_b32_e32 v146, v45
	v_mov_b32_e32 v147, v46
	v_mov_b32_e32 v148, v47
	v_mov_b32_e32 v149, v42
	v_mov_b32_e32 v150, v43
	ds_write2_b64 v130, v[124:125], v[133:134] offset0:30 offset1:31
	;; [unrolled: 25-line block ×3, first 2 shown]
	ds_write2_b64 v130, v[135:136], v[137:138] offset0:42 offset1:43
	ds_write2_b64 v130, v[139:140], v[141:142] offset0:44 offset1:45
	;; [unrolled: 1-line block ×4, first 2 shown]
	v_mov_b32_e32 v124, v20
	v_mov_b32_e32 v125, v21
	;; [unrolled: 1-line block ×8, first 2 shown]
	ds_write2_b64 v130, v[124:125], v[133:134] offset0:50 offset1:51
	v_mov_b32_e32 v133, 11
	v_mov_b32_e32 v139, v12
	;; [unrolled: 1-line block ×9, first 2 shown]
	ds_write2_b64 v130, v[135:136], v[137:138] offset0:52 offset1:53
	ds_write2_b64 v130, v[139:140], v[141:142] offset0:54 offset1:55
	;; [unrolled: 1-line block ×3, first 2 shown]
	ds_write_b64 v130, v[122:123] offset:464
.LBB116_197:
	s_or_b32 exec_lo, exec_lo, s0
	s_mov_b32 s0, exec_lo
	s_waitcnt lgkmcnt(0)
	s_waitcnt_vscnt null, 0x0
	s_barrier
	buffer_gl0_inv
	v_cmpx_lt_i32_e32 11, v133
	s_cbranch_execz .LBB116_199
; %bb.198:
	v_mul_f64 v[98:99], v[0:1], v[98:99]
	ds_read2_b64 v[134:137], v130 offset0:12 offset1:13
	ds_read2_b64 v[138:141], v130 offset0:14 offset1:15
	;; [unrolled: 1-line block ×12, first 2 shown]
	ds_read_b64 v[0:1], v130 offset:464
	s_waitcnt lgkmcnt(12)
	v_fma_f64 v[96:97], -v[98:99], v[134:135], v[96:97]
	v_fma_f64 v[94:95], -v[98:99], v[136:137], v[94:95]
	ds_read2_b64 v[134:137], v130 offset0:36 offset1:37
	s_waitcnt lgkmcnt(12)
	v_fma_f64 v[92:93], -v[98:99], v[138:139], v[92:93]
	v_fma_f64 v[88:89], -v[98:99], v[140:141], v[88:89]
	s_waitcnt lgkmcnt(11)
	v_fma_f64 v[90:91], -v[98:99], v[142:143], v[90:91]
	v_fma_f64 v[84:85], -v[98:99], v[144:145], v[84:85]
	;; [unrolled: 3-line block ×7, first 2 shown]
	ds_read2_b64 v[138:141], v130 offset0:38 offset1:39
	s_waitcnt lgkmcnt(6)
	v_fma_f64 v[66:67], -v[98:99], v[166:167], v[66:67]
	v_fma_f64 v[62:63], -v[98:99], v[168:169], v[62:63]
	ds_read2_b64 v[142:145], v130 offset0:40 offset1:41
	ds_read2_b64 v[146:149], v130 offset0:42 offset1:43
	s_waitcnt lgkmcnt(7)
	v_fma_f64 v[60:61], -v[98:99], v[170:171], v[60:61]
	v_fma_f64 v[58:59], -v[98:99], v[172:173], v[58:59]
	ds_read2_b64 v[150:153], v130 offset0:44 offset1:45
	ds_read2_b64 v[154:157], v130 offset0:46 offset1:47
	;; [unrolled: 1-line block ×6, first 2 shown]
	s_waitcnt lgkmcnt(9)
	v_fma_f64 v[50:51], -v[98:99], v[134:135], v[50:51]
	v_fma_f64 v[44:45], -v[98:99], v[136:137], v[44:45]
	ds_read2_b64 v[134:137], v130 offset0:56 offset1:57
	v_fma_f64 v[56:57], -v[98:99], v[174:175], v[56:57]
	v_fma_f64 v[54:55], -v[98:99], v[176:177], v[54:55]
	;; [unrolled: 1-line block ×4, first 2 shown]
	s_waitcnt lgkmcnt(9)
	v_fma_f64 v[46:47], -v[98:99], v[138:139], v[46:47]
	v_fma_f64 v[42:43], -v[98:99], v[140:141], v[42:43]
	v_fma_f64 v[122:123], -v[98:99], v[0:1], v[122:123]
	s_waitcnt lgkmcnt(8)
	v_fma_f64 v[40:41], -v[98:99], v[142:143], v[40:41]
	v_fma_f64 v[38:39], -v[98:99], v[144:145], v[38:39]
	s_waitcnt lgkmcnt(7)
	v_fma_f64 v[36:37], -v[98:99], v[146:147], v[36:37]
	v_fma_f64 v[34:35], -v[98:99], v[148:149], v[34:35]
	;; [unrolled: 3-line block ×9, first 2 shown]
.LBB116_199:
	s_or_b32 exec_lo, exec_lo, s0
	v_lshl_add_u32 v0, v133, 3, v130
	s_barrier
	buffer_gl0_inv
	v_mov_b32_e32 v124, 12
	ds_write_b64 v0, v[96:97]
	s_waitcnt lgkmcnt(0)
	s_barrier
	buffer_gl0_inv
	ds_read_b64 v[0:1], v130 offset:96
	s_cmp_lt_i32 s7, 14
	s_cbranch_scc1 .LBB116_202
; %bb.200:
	v_add3_u32 v125, v131, 0, 0x68
	v_mov_b32_e32 v124, 12
	s_mov_b32 s0, 13
.LBB116_201:                            ; =>This Inner Loop Header: Depth=1
	ds_read_b64 v[134:135], v125
	v_add_nc_u32_e32 v125, 8, v125
	s_waitcnt lgkmcnt(0)
	v_cmp_lt_f64_e64 vcc_lo, |v[0:1]|, |v[134:135]|
	v_cndmask_b32_e32 v1, v1, v135, vcc_lo
	v_cndmask_b32_e32 v0, v0, v134, vcc_lo
	v_cndmask_b32_e64 v124, v124, s0, vcc_lo
	s_add_i32 s0, s0, 1
	s_cmp_lg_u32 s7, s0
	s_cbranch_scc1 .LBB116_201
.LBB116_202:
	s_mov_b32 s0, exec_lo
	s_waitcnt lgkmcnt(0)
	v_cmpx_eq_f64_e32 0, v[0:1]
	s_xor_b32 s0, exec_lo, s0
; %bb.203:
	v_cmp_ne_u32_e32 vcc_lo, 0, v127
	v_cndmask_b32_e32 v127, 13, v127, vcc_lo
; %bb.204:
	s_andn2_saveexec_b32 s0, s0
	s_cbranch_execz .LBB116_206
; %bb.205:
	v_div_scale_f64 v[125:126], null, v[0:1], v[0:1], 1.0
	v_rcp_f64_e32 v[134:135], v[125:126]
	v_fma_f64 v[136:137], -v[125:126], v[134:135], 1.0
	v_fma_f64 v[134:135], v[134:135], v[136:137], v[134:135]
	v_fma_f64 v[136:137], -v[125:126], v[134:135], 1.0
	v_fma_f64 v[134:135], v[134:135], v[136:137], v[134:135]
	v_div_scale_f64 v[136:137], vcc_lo, 1.0, v[0:1], 1.0
	v_mul_f64 v[138:139], v[136:137], v[134:135]
	v_fma_f64 v[125:126], -v[125:126], v[138:139], v[136:137]
	v_div_fmas_f64 v[125:126], v[125:126], v[134:135], v[138:139]
	v_div_fixup_f64 v[0:1], v[125:126], v[0:1], 1.0
.LBB116_206:
	s_or_b32 exec_lo, exec_lo, s0
	s_mov_b32 s0, exec_lo
	v_cmpx_ne_u32_e64 v133, v124
	s_xor_b32 s0, exec_lo, s0
	s_cbranch_execz .LBB116_212
; %bb.207:
	s_mov_b32 s1, exec_lo
	v_cmpx_eq_u32_e32 12, v133
	s_cbranch_execz .LBB116_211
; %bb.208:
	v_cmp_ne_u32_e32 vcc_lo, 12, v124
	s_xor_b32 s2, s6, -1
	s_and_b32 s3, s2, vcc_lo
	s_and_saveexec_b32 s2, s3
	s_cbranch_execz .LBB116_210
; %bb.209:
	v_ashrrev_i32_e32 v125, 31, v124
	v_lshlrev_b64 v[125:126], 2, v[124:125]
	v_add_co_u32 v125, vcc_lo, v4, v125
	v_add_co_ci_u32_e64 v126, null, v5, v126, vcc_lo
	s_clause 0x1
	global_load_dword v132, v[125:126], off
	global_load_dword v133, v[4:5], off offset:48
	s_waitcnt vmcnt(1)
	global_store_dword v[4:5], v132, off offset:48
	s_waitcnt vmcnt(0)
	global_store_dword v[125:126], v133, off
.LBB116_210:
	s_or_b32 exec_lo, exec_lo, s2
	v_mov_b32_e32 v132, v124
	v_mov_b32_e32 v133, v124
.LBB116_211:
	s_or_b32 exec_lo, exec_lo, s1
.LBB116_212:
	s_andn2_saveexec_b32 s0, s0
	s_cbranch_execz .LBB116_214
; %bb.213:
	v_mov_b32_e32 v133, 12
	ds_write2_b64 v130, v[94:95], v[92:93] offset0:13 offset1:14
	ds_write2_b64 v130, v[88:89], v[90:91] offset0:15 offset1:16
	;; [unrolled: 1-line block ×23, first 2 shown]
.LBB116_214:
	s_or_b32 exec_lo, exec_lo, s0
	s_mov_b32 s0, exec_lo
	s_waitcnt lgkmcnt(0)
	s_waitcnt_vscnt null, 0x0
	s_barrier
	buffer_gl0_inv
	v_cmpx_lt_i32_e32 12, v133
	s_cbranch_execz .LBB116_216
; %bb.215:
	v_mul_f64 v[96:97], v[0:1], v[96:97]
	ds_read2_b64 v[134:137], v130 offset0:13 offset1:14
	ds_read2_b64 v[138:141], v130 offset0:15 offset1:16
	;; [unrolled: 1-line block ×11, first 2 shown]
	s_waitcnt lgkmcnt(10)
	v_fma_f64 v[94:95], -v[96:97], v[134:135], v[94:95]
	v_fma_f64 v[92:93], -v[96:97], v[136:137], v[92:93]
	ds_read2_b64 v[134:137], v130 offset0:35 offset1:36
	s_waitcnt lgkmcnt(10)
	v_fma_f64 v[88:89], -v[96:97], v[138:139], v[88:89]
	v_fma_f64 v[90:91], -v[96:97], v[140:141], v[90:91]
	s_waitcnt lgkmcnt(9)
	v_fma_f64 v[84:85], -v[96:97], v[142:143], v[84:85]
	v_fma_f64 v[86:87], -v[96:97], v[144:145], v[86:87]
	;; [unrolled: 3-line block ×6, first 2 shown]
	ds_read2_b64 v[138:141], v130 offset0:37 offset1:38
	s_waitcnt lgkmcnt(5)
	v_fma_f64 v[64:65], -v[96:97], v[162:163], v[64:65]
	v_fma_f64 v[66:67], -v[96:97], v[164:165], v[66:67]
	ds_read2_b64 v[142:145], v130 offset0:39 offset1:40
	ds_read2_b64 v[146:149], v130 offset0:41 offset1:42
	s_waitcnt lgkmcnt(6)
	v_fma_f64 v[62:63], -v[96:97], v[166:167], v[62:63]
	v_fma_f64 v[60:61], -v[96:97], v[168:169], v[60:61]
	ds_read2_b64 v[150:153], v130 offset0:43 offset1:44
	;; [unrolled: 5-line block ×5, first 2 shown]
	ds_read2_b64 v[174:177], v130 offset0:57 offset1:58
	s_waitcnt lgkmcnt(10)
	v_fma_f64 v[44:45], -v[96:97], v[138:139], v[44:45]
	v_fma_f64 v[46:47], -v[96:97], v[140:141], v[46:47]
	s_waitcnt lgkmcnt(9)
	v_fma_f64 v[42:43], -v[96:97], v[142:143], v[42:43]
	v_fma_f64 v[40:41], -v[96:97], v[144:145], v[40:41]
	;; [unrolled: 3-line block ×11, first 2 shown]
.LBB116_216:
	s_or_b32 exec_lo, exec_lo, s0
	v_lshl_add_u32 v0, v133, 3, v130
	s_barrier
	buffer_gl0_inv
	v_mov_b32_e32 v124, 13
	ds_write_b64 v0, v[94:95]
	s_waitcnt lgkmcnt(0)
	s_barrier
	buffer_gl0_inv
	ds_read_b64 v[0:1], v130 offset:104
	s_cmp_lt_i32 s7, 15
	s_cbranch_scc1 .LBB116_219
; %bb.217:
	v_add3_u32 v125, v131, 0, 0x70
	v_mov_b32_e32 v124, 13
	s_mov_b32 s0, 14
.LBB116_218:                            ; =>This Inner Loop Header: Depth=1
	ds_read_b64 v[134:135], v125
	v_add_nc_u32_e32 v125, 8, v125
	s_waitcnt lgkmcnt(0)
	v_cmp_lt_f64_e64 vcc_lo, |v[0:1]|, |v[134:135]|
	v_cndmask_b32_e32 v1, v1, v135, vcc_lo
	v_cndmask_b32_e32 v0, v0, v134, vcc_lo
	v_cndmask_b32_e64 v124, v124, s0, vcc_lo
	s_add_i32 s0, s0, 1
	s_cmp_lg_u32 s7, s0
	s_cbranch_scc1 .LBB116_218
.LBB116_219:
	s_mov_b32 s0, exec_lo
	s_waitcnt lgkmcnt(0)
	v_cmpx_eq_f64_e32 0, v[0:1]
	s_xor_b32 s0, exec_lo, s0
; %bb.220:
	v_cmp_ne_u32_e32 vcc_lo, 0, v127
	v_cndmask_b32_e32 v127, 14, v127, vcc_lo
; %bb.221:
	s_andn2_saveexec_b32 s0, s0
	s_cbranch_execz .LBB116_223
; %bb.222:
	v_div_scale_f64 v[125:126], null, v[0:1], v[0:1], 1.0
	v_rcp_f64_e32 v[134:135], v[125:126]
	v_fma_f64 v[136:137], -v[125:126], v[134:135], 1.0
	v_fma_f64 v[134:135], v[134:135], v[136:137], v[134:135]
	v_fma_f64 v[136:137], -v[125:126], v[134:135], 1.0
	v_fma_f64 v[134:135], v[134:135], v[136:137], v[134:135]
	v_div_scale_f64 v[136:137], vcc_lo, 1.0, v[0:1], 1.0
	v_mul_f64 v[138:139], v[136:137], v[134:135]
	v_fma_f64 v[125:126], -v[125:126], v[138:139], v[136:137]
	v_div_fmas_f64 v[125:126], v[125:126], v[134:135], v[138:139]
	v_div_fixup_f64 v[0:1], v[125:126], v[0:1], 1.0
.LBB116_223:
	s_or_b32 exec_lo, exec_lo, s0
	s_mov_b32 s0, exec_lo
	v_cmpx_ne_u32_e64 v133, v124
	s_xor_b32 s0, exec_lo, s0
	s_cbranch_execz .LBB116_229
; %bb.224:
	s_mov_b32 s1, exec_lo
	v_cmpx_eq_u32_e32 13, v133
	s_cbranch_execz .LBB116_228
; %bb.225:
	v_cmp_ne_u32_e32 vcc_lo, 13, v124
	s_xor_b32 s2, s6, -1
	s_and_b32 s3, s2, vcc_lo
	s_and_saveexec_b32 s2, s3
	s_cbranch_execz .LBB116_227
; %bb.226:
	v_ashrrev_i32_e32 v125, 31, v124
	v_lshlrev_b64 v[125:126], 2, v[124:125]
	v_add_co_u32 v125, vcc_lo, v4, v125
	v_add_co_ci_u32_e64 v126, null, v5, v126, vcc_lo
	s_clause 0x1
	global_load_dword v132, v[125:126], off
	global_load_dword v133, v[4:5], off offset:52
	s_waitcnt vmcnt(1)
	global_store_dword v[4:5], v132, off offset:52
	s_waitcnt vmcnt(0)
	global_store_dword v[125:126], v133, off
.LBB116_227:
	s_or_b32 exec_lo, exec_lo, s2
	v_mov_b32_e32 v132, v124
	v_mov_b32_e32 v133, v124
.LBB116_228:
	s_or_b32 exec_lo, exec_lo, s1
.LBB116_229:
	s_andn2_saveexec_b32 s0, s0
	s_cbranch_execz .LBB116_231
; %bb.230:
	v_mov_b32_e32 v124, v92
	v_mov_b32_e32 v125, v93
	;; [unrolled: 1-line block ×12, first 2 shown]
	ds_write2_b64 v130, v[124:125], v[133:134] offset0:14 offset1:15
	ds_write2_b64 v130, v[135:136], v[137:138] offset0:16 offset1:17
	ds_write2_b64 v130, v[139:140], v[141:142] offset0:18 offset1:19
	v_mov_b32_e32 v124, v80
	v_mov_b32_e32 v125, v81
	v_mov_b32_e32 v133, v78
	v_mov_b32_e32 v134, v79
	v_mov_b32_e32 v135, v76
	v_mov_b32_e32 v136, v77
	v_mov_b32_e32 v137, v74
	v_mov_b32_e32 v138, v75
	v_mov_b32_e32 v139, v72
	v_mov_b32_e32 v140, v73
	v_mov_b32_e32 v141, v68
	v_mov_b32_e32 v142, v69
	v_mov_b32_e32 v143, v70
	v_mov_b32_e32 v144, v71
	v_mov_b32_e32 v145, v64
	v_mov_b32_e32 v146, v65
	v_mov_b32_e32 v147, v66
	v_mov_b32_e32 v148, v67
	v_mov_b32_e32 v149, v62
	v_mov_b32_e32 v150, v63
	ds_write2_b64 v130, v[124:125], v[133:134] offset0:20 offset1:21
	ds_write2_b64 v130, v[135:136], v[137:138] offset0:22 offset1:23
	ds_write2_b64 v130, v[139:140], v[141:142] offset0:24 offset1:25
	ds_write2_b64 v130, v[143:144], v[145:146] offset0:26 offset1:27
	ds_write2_b64 v130, v[147:148], v[149:150] offset0:28 offset1:29
	v_mov_b32_e32 v124, v60
	v_mov_b32_e32 v125, v61
	v_mov_b32_e32 v133, v58
	v_mov_b32_e32 v134, v59
	v_mov_b32_e32 v135, v56
	v_mov_b32_e32 v136, v57
	v_mov_b32_e32 v137, v54
	v_mov_b32_e32 v138, v55
	v_mov_b32_e32 v139, v52
	v_mov_b32_e32 v140, v53
	v_mov_b32_e32 v141, v48
	v_mov_b32_e32 v142, v49
	v_mov_b32_e32 v143, v50
	v_mov_b32_e32 v144, v51
	v_mov_b32_e32 v145, v44
	v_mov_b32_e32 v146, v45
	v_mov_b32_e32 v147, v46
	v_mov_b32_e32 v148, v47
	v_mov_b32_e32 v149, v42
	v_mov_b32_e32 v150, v43
	ds_write2_b64 v130, v[124:125], v[133:134] offset0:30 offset1:31
	ds_write2_b64 v130, v[135:136], v[137:138] offset0:32 offset1:33
	;; [unrolled: 25-line block ×3, first 2 shown]
	ds_write2_b64 v130, v[139:140], v[141:142] offset0:44 offset1:45
	ds_write2_b64 v130, v[143:144], v[145:146] offset0:46 offset1:47
	;; [unrolled: 1-line block ×3, first 2 shown]
	v_mov_b32_e32 v124, v20
	v_mov_b32_e32 v125, v21
	v_mov_b32_e32 v133, v18
	v_mov_b32_e32 v134, v19
	v_mov_b32_e32 v135, v16
	v_mov_b32_e32 v136, v17
	v_mov_b32_e32 v137, v14
	v_mov_b32_e32 v138, v15
	ds_write2_b64 v130, v[124:125], v[133:134] offset0:50 offset1:51
	v_mov_b32_e32 v133, 13
	v_mov_b32_e32 v139, v12
	v_mov_b32_e32 v140, v13
	v_mov_b32_e32 v141, v8
	v_mov_b32_e32 v142, v9
	v_mov_b32_e32 v143, v10
	v_mov_b32_e32 v144, v11
	v_mov_b32_e32 v145, v6
	v_mov_b32_e32 v146, v7
	ds_write2_b64 v130, v[135:136], v[137:138] offset0:52 offset1:53
	ds_write2_b64 v130, v[139:140], v[141:142] offset0:54 offset1:55
	;; [unrolled: 1-line block ×3, first 2 shown]
	ds_write_b64 v130, v[122:123] offset:464
.LBB116_231:
	s_or_b32 exec_lo, exec_lo, s0
	s_mov_b32 s0, exec_lo
	s_waitcnt lgkmcnt(0)
	s_waitcnt_vscnt null, 0x0
	s_barrier
	buffer_gl0_inv
	v_cmpx_lt_i32_e32 13, v133
	s_cbranch_execz .LBB116_233
; %bb.232:
	v_mul_f64 v[94:95], v[0:1], v[94:95]
	ds_read2_b64 v[134:137], v130 offset0:14 offset1:15
	ds_read2_b64 v[138:141], v130 offset0:16 offset1:17
	;; [unrolled: 1-line block ×11, first 2 shown]
	ds_read_b64 v[0:1], v130 offset:464
	s_waitcnt lgkmcnt(11)
	v_fma_f64 v[92:93], -v[94:95], v[134:135], v[92:93]
	v_fma_f64 v[88:89], -v[94:95], v[136:137], v[88:89]
	ds_read2_b64 v[134:137], v130 offset0:36 offset1:37
	s_waitcnt lgkmcnt(11)
	v_fma_f64 v[90:91], -v[94:95], v[138:139], v[90:91]
	v_fma_f64 v[84:85], -v[94:95], v[140:141], v[84:85]
	s_waitcnt lgkmcnt(10)
	v_fma_f64 v[86:87], -v[94:95], v[142:143], v[86:87]
	v_fma_f64 v[82:83], -v[94:95], v[144:145], v[82:83]
	;; [unrolled: 3-line block ×6, first 2 shown]
	ds_read2_b64 v[138:141], v130 offset0:38 offset1:39
	s_waitcnt lgkmcnt(6)
	v_fma_f64 v[66:67], -v[94:95], v[162:163], v[66:67]
	v_fma_f64 v[62:63], -v[94:95], v[164:165], v[62:63]
	ds_read2_b64 v[142:145], v130 offset0:40 offset1:41
	ds_read2_b64 v[146:149], v130 offset0:42 offset1:43
	s_waitcnt lgkmcnt(7)
	v_fma_f64 v[60:61], -v[94:95], v[166:167], v[60:61]
	v_fma_f64 v[58:59], -v[94:95], v[168:169], v[58:59]
	ds_read2_b64 v[150:153], v130 offset0:44 offset1:45
	;; [unrolled: 5-line block ×3, first 2 shown]
	ds_read2_b64 v[162:165], v130 offset0:50 offset1:51
	ds_read2_b64 v[166:169], v130 offset0:52 offset1:53
	ds_read2_b64 v[170:173], v130 offset0:54 offset1:55
	s_waitcnt lgkmcnt(9)
	v_fma_f64 v[50:51], -v[94:95], v[134:135], v[50:51]
	v_fma_f64 v[44:45], -v[94:95], v[136:137], v[44:45]
	ds_read2_b64 v[134:137], v130 offset0:56 offset1:57
	v_fma_f64 v[52:53], -v[94:95], v[174:175], v[52:53]
	v_fma_f64 v[48:49], -v[94:95], v[176:177], v[48:49]
	s_waitcnt lgkmcnt(9)
	v_fma_f64 v[46:47], -v[94:95], v[138:139], v[46:47]
	v_fma_f64 v[42:43], -v[94:95], v[140:141], v[42:43]
	;; [unrolled: 1-line block ×3, first 2 shown]
	s_waitcnt lgkmcnt(8)
	v_fma_f64 v[40:41], -v[94:95], v[142:143], v[40:41]
	v_fma_f64 v[38:39], -v[94:95], v[144:145], v[38:39]
	s_waitcnt lgkmcnt(7)
	v_fma_f64 v[36:37], -v[94:95], v[146:147], v[36:37]
	v_fma_f64 v[34:35], -v[94:95], v[148:149], v[34:35]
	;; [unrolled: 3-line block ×9, first 2 shown]
.LBB116_233:
	s_or_b32 exec_lo, exec_lo, s0
	v_lshl_add_u32 v0, v133, 3, v130
	s_barrier
	buffer_gl0_inv
	v_mov_b32_e32 v124, 14
	ds_write_b64 v0, v[92:93]
	s_waitcnt lgkmcnt(0)
	s_barrier
	buffer_gl0_inv
	ds_read_b64 v[0:1], v130 offset:112
	s_cmp_lt_i32 s7, 16
	s_cbranch_scc1 .LBB116_236
; %bb.234:
	v_add3_u32 v125, v131, 0, 0x78
	v_mov_b32_e32 v124, 14
	s_mov_b32 s0, 15
.LBB116_235:                            ; =>This Inner Loop Header: Depth=1
	ds_read_b64 v[134:135], v125
	v_add_nc_u32_e32 v125, 8, v125
	s_waitcnt lgkmcnt(0)
	v_cmp_lt_f64_e64 vcc_lo, |v[0:1]|, |v[134:135]|
	v_cndmask_b32_e32 v1, v1, v135, vcc_lo
	v_cndmask_b32_e32 v0, v0, v134, vcc_lo
	v_cndmask_b32_e64 v124, v124, s0, vcc_lo
	s_add_i32 s0, s0, 1
	s_cmp_lg_u32 s7, s0
	s_cbranch_scc1 .LBB116_235
.LBB116_236:
	s_mov_b32 s0, exec_lo
	s_waitcnt lgkmcnt(0)
	v_cmpx_eq_f64_e32 0, v[0:1]
	s_xor_b32 s0, exec_lo, s0
; %bb.237:
	v_cmp_ne_u32_e32 vcc_lo, 0, v127
	v_cndmask_b32_e32 v127, 15, v127, vcc_lo
; %bb.238:
	s_andn2_saveexec_b32 s0, s0
	s_cbranch_execz .LBB116_240
; %bb.239:
	v_div_scale_f64 v[125:126], null, v[0:1], v[0:1], 1.0
	v_rcp_f64_e32 v[134:135], v[125:126]
	v_fma_f64 v[136:137], -v[125:126], v[134:135], 1.0
	v_fma_f64 v[134:135], v[134:135], v[136:137], v[134:135]
	v_fma_f64 v[136:137], -v[125:126], v[134:135], 1.0
	v_fma_f64 v[134:135], v[134:135], v[136:137], v[134:135]
	v_div_scale_f64 v[136:137], vcc_lo, 1.0, v[0:1], 1.0
	v_mul_f64 v[138:139], v[136:137], v[134:135]
	v_fma_f64 v[125:126], -v[125:126], v[138:139], v[136:137]
	v_div_fmas_f64 v[125:126], v[125:126], v[134:135], v[138:139]
	v_div_fixup_f64 v[0:1], v[125:126], v[0:1], 1.0
.LBB116_240:
	s_or_b32 exec_lo, exec_lo, s0
	s_mov_b32 s0, exec_lo
	v_cmpx_ne_u32_e64 v133, v124
	s_xor_b32 s0, exec_lo, s0
	s_cbranch_execz .LBB116_246
; %bb.241:
	s_mov_b32 s1, exec_lo
	v_cmpx_eq_u32_e32 14, v133
	s_cbranch_execz .LBB116_245
; %bb.242:
	v_cmp_ne_u32_e32 vcc_lo, 14, v124
	s_xor_b32 s2, s6, -1
	s_and_b32 s3, s2, vcc_lo
	s_and_saveexec_b32 s2, s3
	s_cbranch_execz .LBB116_244
; %bb.243:
	v_ashrrev_i32_e32 v125, 31, v124
	v_lshlrev_b64 v[125:126], 2, v[124:125]
	v_add_co_u32 v125, vcc_lo, v4, v125
	v_add_co_ci_u32_e64 v126, null, v5, v126, vcc_lo
	s_clause 0x1
	global_load_dword v132, v[125:126], off
	global_load_dword v133, v[4:5], off offset:56
	s_waitcnt vmcnt(1)
	global_store_dword v[4:5], v132, off offset:56
	s_waitcnt vmcnt(0)
	global_store_dword v[125:126], v133, off
.LBB116_244:
	s_or_b32 exec_lo, exec_lo, s2
	v_mov_b32_e32 v132, v124
	v_mov_b32_e32 v133, v124
.LBB116_245:
	s_or_b32 exec_lo, exec_lo, s1
.LBB116_246:
	s_andn2_saveexec_b32 s0, s0
	s_cbranch_execz .LBB116_248
; %bb.247:
	v_mov_b32_e32 v133, 14
	ds_write2_b64 v130, v[88:89], v[90:91] offset0:15 offset1:16
	ds_write2_b64 v130, v[84:85], v[86:87] offset0:17 offset1:18
	;; [unrolled: 1-line block ×22, first 2 shown]
.LBB116_248:
	s_or_b32 exec_lo, exec_lo, s0
	s_mov_b32 s0, exec_lo
	s_waitcnt lgkmcnt(0)
	s_waitcnt_vscnt null, 0x0
	s_barrier
	buffer_gl0_inv
	v_cmpx_lt_i32_e32 14, v133
	s_cbranch_execz .LBB116_250
; %bb.249:
	v_mul_f64 v[92:93], v[0:1], v[92:93]
	ds_read2_b64 v[134:137], v130 offset0:15 offset1:16
	ds_read2_b64 v[138:141], v130 offset0:17 offset1:18
	ds_read2_b64 v[142:145], v130 offset0:19 offset1:20
	ds_read2_b64 v[146:149], v130 offset0:21 offset1:22
	ds_read2_b64 v[150:153], v130 offset0:23 offset1:24
	ds_read2_b64 v[154:157], v130 offset0:25 offset1:26
	ds_read2_b64 v[158:161], v130 offset0:27 offset1:28
	ds_read2_b64 v[162:165], v130 offset0:29 offset1:30
	ds_read2_b64 v[166:169], v130 offset0:31 offset1:32
	ds_read2_b64 v[170:173], v130 offset0:33 offset1:34
	ds_read2_b64 v[174:177], v130 offset0:35 offset1:36
	s_waitcnt lgkmcnt(10)
	v_fma_f64 v[88:89], -v[92:93], v[134:135], v[88:89]
	v_fma_f64 v[90:91], -v[92:93], v[136:137], v[90:91]
	s_waitcnt lgkmcnt(9)
	v_fma_f64 v[84:85], -v[92:93], v[138:139], v[84:85]
	v_fma_f64 v[86:87], -v[92:93], v[140:141], v[86:87]
	;; [unrolled: 3-line block ×6, first 2 shown]
	ds_read2_b64 v[134:137], v130 offset0:37 offset1:38
	ds_read2_b64 v[138:141], v130 offset0:39 offset1:40
	s_waitcnt lgkmcnt(6)
	v_fma_f64 v[64:65], -v[92:93], v[158:159], v[64:65]
	v_fma_f64 v[66:67], -v[92:93], v[160:161], v[66:67]
	s_waitcnt lgkmcnt(5)
	v_fma_f64 v[62:63], -v[92:93], v[162:163], v[62:63]
	ds_read2_b64 v[142:145], v130 offset0:41 offset1:42
	ds_read2_b64 v[146:149], v130 offset0:43 offset1:44
	v_fma_f64 v[60:61], -v[92:93], v[164:165], v[60:61]
	s_waitcnt lgkmcnt(6)
	v_fma_f64 v[58:59], -v[92:93], v[166:167], v[58:59]
	ds_read2_b64 v[150:153], v130 offset0:45 offset1:46
	ds_read2_b64 v[154:157], v130 offset0:47 offset1:48
	;; [unrolled: 5-line block ×4, first 2 shown]
	v_fma_f64 v[50:51], -v[92:93], v[176:177], v[50:51]
	ds_read2_b64 v[174:177], v130 offset0:57 offset1:58
	s_waitcnt lgkmcnt(10)
	v_fma_f64 v[44:45], -v[92:93], v[134:135], v[44:45]
	v_fma_f64 v[46:47], -v[92:93], v[136:137], v[46:47]
	s_waitcnt lgkmcnt(9)
	v_fma_f64 v[42:43], -v[92:93], v[138:139], v[42:43]
	v_fma_f64 v[40:41], -v[92:93], v[140:141], v[40:41]
	;; [unrolled: 3-line block ×11, first 2 shown]
.LBB116_250:
	s_or_b32 exec_lo, exec_lo, s0
	v_lshl_add_u32 v0, v133, 3, v130
	s_barrier
	buffer_gl0_inv
	v_mov_b32_e32 v124, 15
	ds_write_b64 v0, v[88:89]
	s_waitcnt lgkmcnt(0)
	s_barrier
	buffer_gl0_inv
	ds_read_b64 v[0:1], v130 offset:120
	s_cmp_lt_i32 s7, 17
	s_cbranch_scc1 .LBB116_253
; %bb.251:
	v_add3_u32 v125, v131, 0, 0x80
	v_mov_b32_e32 v124, 15
	s_mov_b32 s0, 16
.LBB116_252:                            ; =>This Inner Loop Header: Depth=1
	ds_read_b64 v[134:135], v125
	v_add_nc_u32_e32 v125, 8, v125
	s_waitcnt lgkmcnt(0)
	v_cmp_lt_f64_e64 vcc_lo, |v[0:1]|, |v[134:135]|
	v_cndmask_b32_e32 v1, v1, v135, vcc_lo
	v_cndmask_b32_e32 v0, v0, v134, vcc_lo
	v_cndmask_b32_e64 v124, v124, s0, vcc_lo
	s_add_i32 s0, s0, 1
	s_cmp_lg_u32 s7, s0
	s_cbranch_scc1 .LBB116_252
.LBB116_253:
	s_mov_b32 s0, exec_lo
	s_waitcnt lgkmcnt(0)
	v_cmpx_eq_f64_e32 0, v[0:1]
	s_xor_b32 s0, exec_lo, s0
; %bb.254:
	v_cmp_ne_u32_e32 vcc_lo, 0, v127
	v_cndmask_b32_e32 v127, 16, v127, vcc_lo
; %bb.255:
	s_andn2_saveexec_b32 s0, s0
	s_cbranch_execz .LBB116_257
; %bb.256:
	v_div_scale_f64 v[125:126], null, v[0:1], v[0:1], 1.0
	v_rcp_f64_e32 v[134:135], v[125:126]
	v_fma_f64 v[136:137], -v[125:126], v[134:135], 1.0
	v_fma_f64 v[134:135], v[134:135], v[136:137], v[134:135]
	v_fma_f64 v[136:137], -v[125:126], v[134:135], 1.0
	v_fma_f64 v[134:135], v[134:135], v[136:137], v[134:135]
	v_div_scale_f64 v[136:137], vcc_lo, 1.0, v[0:1], 1.0
	v_mul_f64 v[138:139], v[136:137], v[134:135]
	v_fma_f64 v[125:126], -v[125:126], v[138:139], v[136:137]
	v_div_fmas_f64 v[125:126], v[125:126], v[134:135], v[138:139]
	v_div_fixup_f64 v[0:1], v[125:126], v[0:1], 1.0
.LBB116_257:
	s_or_b32 exec_lo, exec_lo, s0
	s_mov_b32 s0, exec_lo
	v_cmpx_ne_u32_e64 v133, v124
	s_xor_b32 s0, exec_lo, s0
	s_cbranch_execz .LBB116_263
; %bb.258:
	s_mov_b32 s1, exec_lo
	v_cmpx_eq_u32_e32 15, v133
	s_cbranch_execz .LBB116_262
; %bb.259:
	v_cmp_ne_u32_e32 vcc_lo, 15, v124
	s_xor_b32 s2, s6, -1
	s_and_b32 s3, s2, vcc_lo
	s_and_saveexec_b32 s2, s3
	s_cbranch_execz .LBB116_261
; %bb.260:
	v_ashrrev_i32_e32 v125, 31, v124
	v_lshlrev_b64 v[125:126], 2, v[124:125]
	v_add_co_u32 v125, vcc_lo, v4, v125
	v_add_co_ci_u32_e64 v126, null, v5, v126, vcc_lo
	s_clause 0x1
	global_load_dword v132, v[125:126], off
	global_load_dword v133, v[4:5], off offset:60
	s_waitcnt vmcnt(1)
	global_store_dword v[4:5], v132, off offset:60
	s_waitcnt vmcnt(0)
	global_store_dword v[125:126], v133, off
.LBB116_261:
	s_or_b32 exec_lo, exec_lo, s2
	v_mov_b32_e32 v132, v124
	v_mov_b32_e32 v133, v124
.LBB116_262:
	s_or_b32 exec_lo, exec_lo, s1
.LBB116_263:
	s_andn2_saveexec_b32 s0, s0
	s_cbranch_execz .LBB116_265
; %bb.264:
	v_mov_b32_e32 v124, v90
	v_mov_b32_e32 v125, v91
	;; [unrolled: 1-line block ×8, first 2 shown]
	ds_write2_b64 v130, v[124:125], v[133:134] offset0:16 offset1:17
	ds_write2_b64 v130, v[135:136], v[137:138] offset0:18 offset1:19
	v_mov_b32_e32 v124, v80
	v_mov_b32_e32 v125, v81
	v_mov_b32_e32 v133, v78
	v_mov_b32_e32 v134, v79
	v_mov_b32_e32 v135, v76
	v_mov_b32_e32 v136, v77
	v_mov_b32_e32 v137, v74
	v_mov_b32_e32 v138, v75
	v_mov_b32_e32 v139, v72
	v_mov_b32_e32 v140, v73
	v_mov_b32_e32 v141, v68
	v_mov_b32_e32 v142, v69
	v_mov_b32_e32 v143, v70
	v_mov_b32_e32 v144, v71
	v_mov_b32_e32 v145, v64
	v_mov_b32_e32 v146, v65
	v_mov_b32_e32 v147, v66
	v_mov_b32_e32 v148, v67
	v_mov_b32_e32 v149, v62
	v_mov_b32_e32 v150, v63
	ds_write2_b64 v130, v[124:125], v[133:134] offset0:20 offset1:21
	ds_write2_b64 v130, v[135:136], v[137:138] offset0:22 offset1:23
	ds_write2_b64 v130, v[139:140], v[141:142] offset0:24 offset1:25
	ds_write2_b64 v130, v[143:144], v[145:146] offset0:26 offset1:27
	ds_write2_b64 v130, v[147:148], v[149:150] offset0:28 offset1:29
	v_mov_b32_e32 v124, v60
	v_mov_b32_e32 v125, v61
	v_mov_b32_e32 v133, v58
	v_mov_b32_e32 v134, v59
	v_mov_b32_e32 v135, v56
	v_mov_b32_e32 v136, v57
	v_mov_b32_e32 v137, v54
	v_mov_b32_e32 v138, v55
	v_mov_b32_e32 v139, v52
	v_mov_b32_e32 v140, v53
	v_mov_b32_e32 v141, v48
	v_mov_b32_e32 v142, v49
	v_mov_b32_e32 v143, v50
	v_mov_b32_e32 v144, v51
	v_mov_b32_e32 v145, v44
	v_mov_b32_e32 v146, v45
	v_mov_b32_e32 v147, v46
	v_mov_b32_e32 v148, v47
	v_mov_b32_e32 v149, v42
	v_mov_b32_e32 v150, v43
	ds_write2_b64 v130, v[124:125], v[133:134] offset0:30 offset1:31
	ds_write2_b64 v130, v[135:136], v[137:138] offset0:32 offset1:33
	ds_write2_b64 v130, v[139:140], v[141:142] offset0:34 offset1:35
	;; [unrolled: 25-line block ×3, first 2 shown]
	ds_write2_b64 v130, v[143:144], v[145:146] offset0:46 offset1:47
	ds_write2_b64 v130, v[147:148], v[149:150] offset0:48 offset1:49
	v_mov_b32_e32 v124, v20
	v_mov_b32_e32 v125, v21
	;; [unrolled: 1-line block ×8, first 2 shown]
	ds_write2_b64 v130, v[124:125], v[133:134] offset0:50 offset1:51
	v_mov_b32_e32 v133, 15
	v_mov_b32_e32 v139, v12
	;; [unrolled: 1-line block ×9, first 2 shown]
	ds_write2_b64 v130, v[135:136], v[137:138] offset0:52 offset1:53
	ds_write2_b64 v130, v[139:140], v[141:142] offset0:54 offset1:55
	ds_write2_b64 v130, v[143:144], v[145:146] offset0:56 offset1:57
	ds_write_b64 v130, v[122:123] offset:464
.LBB116_265:
	s_or_b32 exec_lo, exec_lo, s0
	s_mov_b32 s0, exec_lo
	s_waitcnt lgkmcnt(0)
	s_waitcnt_vscnt null, 0x0
	s_barrier
	buffer_gl0_inv
	v_cmpx_lt_i32_e32 15, v133
	s_cbranch_execz .LBB116_267
; %bb.266:
	v_mul_f64 v[88:89], v[0:1], v[88:89]
	ds_read2_b64 v[134:137], v130 offset0:16 offset1:17
	ds_read2_b64 v[138:141], v130 offset0:18 offset1:19
	;; [unrolled: 1-line block ×11, first 2 shown]
	ds_read_b64 v[0:1], v130 offset:464
	s_waitcnt lgkmcnt(11)
	v_fma_f64 v[90:91], -v[88:89], v[134:135], v[90:91]
	v_fma_f64 v[84:85], -v[88:89], v[136:137], v[84:85]
	s_waitcnt lgkmcnt(10)
	v_fma_f64 v[86:87], -v[88:89], v[138:139], v[86:87]
	v_fma_f64 v[82:83], -v[88:89], v[140:141], v[82:83]
	;; [unrolled: 3-line block ×6, first 2 shown]
	ds_read2_b64 v[134:137], v130 offset0:38 offset1:39
	ds_read2_b64 v[138:141], v130 offset0:40 offset1:41
	s_waitcnt lgkmcnt(7)
	v_fma_f64 v[66:67], -v[88:89], v[158:159], v[66:67]
	v_fma_f64 v[62:63], -v[88:89], v[160:161], v[62:63]
	s_waitcnt lgkmcnt(6)
	v_fma_f64 v[60:61], -v[88:89], v[162:163], v[60:61]
	ds_read2_b64 v[142:145], v130 offset0:42 offset1:43
	ds_read2_b64 v[146:149], v130 offset0:44 offset1:45
	v_fma_f64 v[58:59], -v[88:89], v[164:165], v[58:59]
	s_waitcnt lgkmcnt(7)
	v_fma_f64 v[56:57], -v[88:89], v[166:167], v[56:57]
	ds_read2_b64 v[150:153], v130 offset0:46 offset1:47
	ds_read2_b64 v[154:157], v130 offset0:48 offset1:49
	;; [unrolled: 5-line block ×3, first 2 shown]
	v_fma_f64 v[48:49], -v[88:89], v[172:173], v[48:49]
	ds_read2_b64 v[166:169], v130 offset0:54 offset1:55
	ds_read2_b64 v[170:173], v130 offset0:56 offset1:57
	s_waitcnt lgkmcnt(11)
	v_fma_f64 v[50:51], -v[88:89], v[174:175], v[50:51]
	v_fma_f64 v[44:45], -v[88:89], v[176:177], v[44:45]
	s_waitcnt lgkmcnt(9)
	v_fma_f64 v[46:47], -v[88:89], v[134:135], v[46:47]
	v_fma_f64 v[42:43], -v[88:89], v[136:137], v[42:43]
	;; [unrolled: 3-line block ×3, first 2 shown]
	v_fma_f64 v[122:123], -v[88:89], v[0:1], v[122:123]
	s_waitcnt lgkmcnt(7)
	v_fma_f64 v[36:37], -v[88:89], v[142:143], v[36:37]
	v_fma_f64 v[34:35], -v[88:89], v[144:145], v[34:35]
	s_waitcnt lgkmcnt(6)
	v_fma_f64 v[32:33], -v[88:89], v[146:147], v[32:33]
	;; [unrolled: 3-line block ×8, first 2 shown]
	v_fma_f64 v[6:7], -v[88:89], v[172:173], v[6:7]
.LBB116_267:
	s_or_b32 exec_lo, exec_lo, s0
	v_lshl_add_u32 v0, v133, 3, v130
	s_barrier
	buffer_gl0_inv
	v_mov_b32_e32 v124, 16
	ds_write_b64 v0, v[90:91]
	s_waitcnt lgkmcnt(0)
	s_barrier
	buffer_gl0_inv
	ds_read_b64 v[0:1], v130 offset:128
	s_cmp_lt_i32 s7, 18
	s_cbranch_scc1 .LBB116_270
; %bb.268:
	v_add3_u32 v125, v131, 0, 0x88
	v_mov_b32_e32 v124, 16
	s_mov_b32 s0, 17
.LBB116_269:                            ; =>This Inner Loop Header: Depth=1
	ds_read_b64 v[134:135], v125
	v_add_nc_u32_e32 v125, 8, v125
	s_waitcnt lgkmcnt(0)
	v_cmp_lt_f64_e64 vcc_lo, |v[0:1]|, |v[134:135]|
	v_cndmask_b32_e32 v1, v1, v135, vcc_lo
	v_cndmask_b32_e32 v0, v0, v134, vcc_lo
	v_cndmask_b32_e64 v124, v124, s0, vcc_lo
	s_add_i32 s0, s0, 1
	s_cmp_lg_u32 s7, s0
	s_cbranch_scc1 .LBB116_269
.LBB116_270:
	s_mov_b32 s0, exec_lo
	s_waitcnt lgkmcnt(0)
	v_cmpx_eq_f64_e32 0, v[0:1]
	s_xor_b32 s0, exec_lo, s0
; %bb.271:
	v_cmp_ne_u32_e32 vcc_lo, 0, v127
	v_cndmask_b32_e32 v127, 17, v127, vcc_lo
; %bb.272:
	s_andn2_saveexec_b32 s0, s0
	s_cbranch_execz .LBB116_274
; %bb.273:
	v_div_scale_f64 v[125:126], null, v[0:1], v[0:1], 1.0
	v_rcp_f64_e32 v[134:135], v[125:126]
	v_fma_f64 v[136:137], -v[125:126], v[134:135], 1.0
	v_fma_f64 v[134:135], v[134:135], v[136:137], v[134:135]
	v_fma_f64 v[136:137], -v[125:126], v[134:135], 1.0
	v_fma_f64 v[134:135], v[134:135], v[136:137], v[134:135]
	v_div_scale_f64 v[136:137], vcc_lo, 1.0, v[0:1], 1.0
	v_mul_f64 v[138:139], v[136:137], v[134:135]
	v_fma_f64 v[125:126], -v[125:126], v[138:139], v[136:137]
	v_div_fmas_f64 v[125:126], v[125:126], v[134:135], v[138:139]
	v_div_fixup_f64 v[0:1], v[125:126], v[0:1], 1.0
.LBB116_274:
	s_or_b32 exec_lo, exec_lo, s0
	s_mov_b32 s0, exec_lo
	v_cmpx_ne_u32_e64 v133, v124
	s_xor_b32 s0, exec_lo, s0
	s_cbranch_execz .LBB116_280
; %bb.275:
	s_mov_b32 s1, exec_lo
	v_cmpx_eq_u32_e32 16, v133
	s_cbranch_execz .LBB116_279
; %bb.276:
	v_cmp_ne_u32_e32 vcc_lo, 16, v124
	s_xor_b32 s2, s6, -1
	s_and_b32 s3, s2, vcc_lo
	s_and_saveexec_b32 s2, s3
	s_cbranch_execz .LBB116_278
; %bb.277:
	v_ashrrev_i32_e32 v125, 31, v124
	v_lshlrev_b64 v[125:126], 2, v[124:125]
	v_add_co_u32 v125, vcc_lo, v4, v125
	v_add_co_ci_u32_e64 v126, null, v5, v126, vcc_lo
	s_clause 0x1
	global_load_dword v132, v[125:126], off
	global_load_dword v133, v[4:5], off offset:64
	s_waitcnt vmcnt(1)
	global_store_dword v[4:5], v132, off offset:64
	s_waitcnt vmcnt(0)
	global_store_dword v[125:126], v133, off
.LBB116_278:
	s_or_b32 exec_lo, exec_lo, s2
	v_mov_b32_e32 v132, v124
	v_mov_b32_e32 v133, v124
.LBB116_279:
	s_or_b32 exec_lo, exec_lo, s1
.LBB116_280:
	s_andn2_saveexec_b32 s0, s0
	s_cbranch_execz .LBB116_282
; %bb.281:
	v_mov_b32_e32 v133, 16
	ds_write2_b64 v130, v[84:85], v[86:87] offset0:17 offset1:18
	ds_write2_b64 v130, v[82:83], v[80:81] offset0:19 offset1:20
	ds_write2_b64 v130, v[78:79], v[76:77] offset0:21 offset1:22
	ds_write2_b64 v130, v[74:75], v[72:73] offset0:23 offset1:24
	ds_write2_b64 v130, v[68:69], v[70:71] offset0:25 offset1:26
	ds_write2_b64 v130, v[64:65], v[66:67] offset0:27 offset1:28
	ds_write2_b64 v130, v[62:63], v[60:61] offset0:29 offset1:30
	ds_write2_b64 v130, v[58:59], v[56:57] offset0:31 offset1:32
	ds_write2_b64 v130, v[54:55], v[52:53] offset0:33 offset1:34
	ds_write2_b64 v130, v[48:49], v[50:51] offset0:35 offset1:36
	ds_write2_b64 v130, v[44:45], v[46:47] offset0:37 offset1:38
	ds_write2_b64 v130, v[42:43], v[40:41] offset0:39 offset1:40
	ds_write2_b64 v130, v[38:39], v[36:37] offset0:41 offset1:42
	ds_write2_b64 v130, v[34:35], v[32:33] offset0:43 offset1:44
	ds_write2_b64 v130, v[28:29], v[30:31] offset0:45 offset1:46
	ds_write2_b64 v130, v[24:25], v[26:27] offset0:47 offset1:48
	ds_write2_b64 v130, v[22:23], v[20:21] offset0:49 offset1:50
	ds_write2_b64 v130, v[18:19], v[16:17] offset0:51 offset1:52
	ds_write2_b64 v130, v[14:15], v[12:13] offset0:53 offset1:54
	ds_write2_b64 v130, v[8:9], v[10:11] offset0:55 offset1:56
	ds_write2_b64 v130, v[6:7], v[122:123] offset0:57 offset1:58
.LBB116_282:
	s_or_b32 exec_lo, exec_lo, s0
	s_mov_b32 s0, exec_lo
	s_waitcnt lgkmcnt(0)
	s_waitcnt_vscnt null, 0x0
	s_barrier
	buffer_gl0_inv
	v_cmpx_lt_i32_e32 16, v133
	s_cbranch_execz .LBB116_284
; %bb.283:
	v_mul_f64 v[90:91], v[0:1], v[90:91]
	ds_read2_b64 v[134:137], v130 offset0:17 offset1:18
	ds_read2_b64 v[138:141], v130 offset0:19 offset1:20
	;; [unrolled: 1-line block ×11, first 2 shown]
	s_waitcnt lgkmcnt(10)
	v_fma_f64 v[84:85], -v[90:91], v[134:135], v[84:85]
	v_fma_f64 v[86:87], -v[90:91], v[136:137], v[86:87]
	s_waitcnt lgkmcnt(9)
	v_fma_f64 v[82:83], -v[90:91], v[138:139], v[82:83]
	v_fma_f64 v[80:81], -v[90:91], v[140:141], v[80:81]
	;; [unrolled: 3-line block ×6, first 2 shown]
	ds_read2_b64 v[134:137], v130 offset0:39 offset1:40
	ds_read2_b64 v[138:141], v130 offset0:41 offset1:42
	s_waitcnt lgkmcnt(6)
	v_fma_f64 v[62:63], -v[90:91], v[158:159], v[62:63]
	v_fma_f64 v[60:61], -v[90:91], v[160:161], v[60:61]
	ds_read2_b64 v[142:145], v130 offset0:43 offset1:44
	ds_read2_b64 v[146:149], v130 offset0:45 offset1:46
	s_waitcnt lgkmcnt(7)
	v_fma_f64 v[58:59], -v[90:91], v[162:163], v[58:59]
	v_fma_f64 v[56:57], -v[90:91], v[164:165], v[56:57]
	;; [unrolled: 5-line block ×5, first 2 shown]
	s_waitcnt lgkmcnt(9)
	v_fma_f64 v[42:43], -v[90:91], v[134:135], v[42:43]
	v_fma_f64 v[40:41], -v[90:91], v[136:137], v[40:41]
	s_waitcnt lgkmcnt(8)
	v_fma_f64 v[38:39], -v[90:91], v[138:139], v[38:39]
	v_fma_f64 v[36:37], -v[90:91], v[140:141], v[36:37]
	;; [unrolled: 3-line block ×10, first 2 shown]
.LBB116_284:
	s_or_b32 exec_lo, exec_lo, s0
	v_lshl_add_u32 v0, v133, 3, v130
	s_barrier
	buffer_gl0_inv
	v_mov_b32_e32 v124, 17
	ds_write_b64 v0, v[84:85]
	s_waitcnt lgkmcnt(0)
	s_barrier
	buffer_gl0_inv
	ds_read_b64 v[0:1], v130 offset:136
	s_cmp_lt_i32 s7, 19
	s_cbranch_scc1 .LBB116_287
; %bb.285:
	v_add3_u32 v125, v131, 0, 0x90
	v_mov_b32_e32 v124, 17
	s_mov_b32 s0, 18
.LBB116_286:                            ; =>This Inner Loop Header: Depth=1
	ds_read_b64 v[134:135], v125
	v_add_nc_u32_e32 v125, 8, v125
	s_waitcnt lgkmcnt(0)
	v_cmp_lt_f64_e64 vcc_lo, |v[0:1]|, |v[134:135]|
	v_cndmask_b32_e32 v1, v1, v135, vcc_lo
	v_cndmask_b32_e32 v0, v0, v134, vcc_lo
	v_cndmask_b32_e64 v124, v124, s0, vcc_lo
	s_add_i32 s0, s0, 1
	s_cmp_lg_u32 s7, s0
	s_cbranch_scc1 .LBB116_286
.LBB116_287:
	s_mov_b32 s0, exec_lo
	s_waitcnt lgkmcnt(0)
	v_cmpx_eq_f64_e32 0, v[0:1]
	s_xor_b32 s0, exec_lo, s0
; %bb.288:
	v_cmp_ne_u32_e32 vcc_lo, 0, v127
	v_cndmask_b32_e32 v127, 18, v127, vcc_lo
; %bb.289:
	s_andn2_saveexec_b32 s0, s0
	s_cbranch_execz .LBB116_291
; %bb.290:
	v_div_scale_f64 v[125:126], null, v[0:1], v[0:1], 1.0
	v_rcp_f64_e32 v[134:135], v[125:126]
	v_fma_f64 v[136:137], -v[125:126], v[134:135], 1.0
	v_fma_f64 v[134:135], v[134:135], v[136:137], v[134:135]
	v_fma_f64 v[136:137], -v[125:126], v[134:135], 1.0
	v_fma_f64 v[134:135], v[134:135], v[136:137], v[134:135]
	v_div_scale_f64 v[136:137], vcc_lo, 1.0, v[0:1], 1.0
	v_mul_f64 v[138:139], v[136:137], v[134:135]
	v_fma_f64 v[125:126], -v[125:126], v[138:139], v[136:137]
	v_div_fmas_f64 v[125:126], v[125:126], v[134:135], v[138:139]
	v_div_fixup_f64 v[0:1], v[125:126], v[0:1], 1.0
.LBB116_291:
	s_or_b32 exec_lo, exec_lo, s0
	s_mov_b32 s0, exec_lo
	v_cmpx_ne_u32_e64 v133, v124
	s_xor_b32 s0, exec_lo, s0
	s_cbranch_execz .LBB116_297
; %bb.292:
	s_mov_b32 s1, exec_lo
	v_cmpx_eq_u32_e32 17, v133
	s_cbranch_execz .LBB116_296
; %bb.293:
	v_cmp_ne_u32_e32 vcc_lo, 17, v124
	s_xor_b32 s2, s6, -1
	s_and_b32 s3, s2, vcc_lo
	s_and_saveexec_b32 s2, s3
	s_cbranch_execz .LBB116_295
; %bb.294:
	v_ashrrev_i32_e32 v125, 31, v124
	v_lshlrev_b64 v[125:126], 2, v[124:125]
	v_add_co_u32 v125, vcc_lo, v4, v125
	v_add_co_ci_u32_e64 v126, null, v5, v126, vcc_lo
	s_clause 0x1
	global_load_dword v132, v[125:126], off
	global_load_dword v133, v[4:5], off offset:68
	s_waitcnt vmcnt(1)
	global_store_dword v[4:5], v132, off offset:68
	s_waitcnt vmcnt(0)
	global_store_dword v[125:126], v133, off
.LBB116_295:
	s_or_b32 exec_lo, exec_lo, s2
	v_mov_b32_e32 v132, v124
	v_mov_b32_e32 v133, v124
.LBB116_296:
	s_or_b32 exec_lo, exec_lo, s1
.LBB116_297:
	s_andn2_saveexec_b32 s0, s0
	s_cbranch_execz .LBB116_299
; %bb.298:
	v_mov_b32_e32 v124, v86
	v_mov_b32_e32 v125, v87
	;; [unrolled: 1-line block ×8, first 2 shown]
	ds_write2_b64 v130, v[124:125], v[133:134] offset0:18 offset1:19
	v_mov_b32_e32 v124, v78
	v_mov_b32_e32 v125, v79
	v_mov_b32_e32 v133, v76
	v_mov_b32_e32 v134, v77
	v_mov_b32_e32 v139, v72
	v_mov_b32_e32 v140, v73
	v_mov_b32_e32 v141, v68
	v_mov_b32_e32 v142, v69
	v_mov_b32_e32 v143, v70
	v_mov_b32_e32 v144, v71
	v_mov_b32_e32 v145, v64
	v_mov_b32_e32 v146, v65
	v_mov_b32_e32 v147, v66
	v_mov_b32_e32 v148, v67
	v_mov_b32_e32 v149, v62
	v_mov_b32_e32 v150, v63
	ds_write2_b64 v130, v[135:136], v[124:125] offset0:20 offset1:21
	ds_write2_b64 v130, v[133:134], v[137:138] offset0:22 offset1:23
	ds_write2_b64 v130, v[139:140], v[141:142] offset0:24 offset1:25
	ds_write2_b64 v130, v[143:144], v[145:146] offset0:26 offset1:27
	ds_write2_b64 v130, v[147:148], v[149:150] offset0:28 offset1:29
	v_mov_b32_e32 v124, v60
	v_mov_b32_e32 v125, v61
	v_mov_b32_e32 v133, v58
	v_mov_b32_e32 v134, v59
	v_mov_b32_e32 v135, v56
	v_mov_b32_e32 v136, v57
	v_mov_b32_e32 v137, v54
	v_mov_b32_e32 v138, v55
	v_mov_b32_e32 v139, v52
	v_mov_b32_e32 v140, v53
	v_mov_b32_e32 v141, v48
	v_mov_b32_e32 v142, v49
	v_mov_b32_e32 v143, v50
	v_mov_b32_e32 v144, v51
	v_mov_b32_e32 v145, v44
	v_mov_b32_e32 v146, v45
	v_mov_b32_e32 v147, v46
	v_mov_b32_e32 v148, v47
	v_mov_b32_e32 v149, v42
	v_mov_b32_e32 v150, v43
	ds_write2_b64 v130, v[124:125], v[133:134] offset0:30 offset1:31
	ds_write2_b64 v130, v[135:136], v[137:138] offset0:32 offset1:33
	ds_write2_b64 v130, v[139:140], v[141:142] offset0:34 offset1:35
	ds_write2_b64 v130, v[143:144], v[145:146] offset0:36 offset1:37
	ds_write2_b64 v130, v[147:148], v[149:150] offset0:38 offset1:39
	v_mov_b32_e32 v124, v40
	v_mov_b32_e32 v125, v41
	v_mov_b32_e32 v133, v38
	v_mov_b32_e32 v134, v39
	;; [unrolled: 25-line block ×3, first 2 shown]
	v_mov_b32_e32 v135, v16
	v_mov_b32_e32 v136, v17
	;; [unrolled: 1-line block ×4, first 2 shown]
	ds_write2_b64 v130, v[124:125], v[133:134] offset0:50 offset1:51
	v_mov_b32_e32 v133, 17
	v_mov_b32_e32 v139, v12
	;; [unrolled: 1-line block ×9, first 2 shown]
	ds_write2_b64 v130, v[135:136], v[137:138] offset0:52 offset1:53
	ds_write2_b64 v130, v[139:140], v[141:142] offset0:54 offset1:55
	;; [unrolled: 1-line block ×3, first 2 shown]
	ds_write_b64 v130, v[122:123] offset:464
.LBB116_299:
	s_or_b32 exec_lo, exec_lo, s0
	s_mov_b32 s0, exec_lo
	s_waitcnt lgkmcnt(0)
	s_waitcnt_vscnt null, 0x0
	s_barrier
	buffer_gl0_inv
	v_cmpx_lt_i32_e32 17, v133
	s_cbranch_execz .LBB116_301
; %bb.300:
	v_mul_f64 v[84:85], v[0:1], v[84:85]
	ds_read2_b64 v[134:137], v130 offset0:18 offset1:19
	ds_read2_b64 v[138:141], v130 offset0:20 offset1:21
	;; [unrolled: 1-line block ×11, first 2 shown]
	ds_read_b64 v[0:1], v130 offset:464
	s_waitcnt lgkmcnt(11)
	v_fma_f64 v[86:87], -v[84:85], v[134:135], v[86:87]
	v_fma_f64 v[82:83], -v[84:85], v[136:137], v[82:83]
	s_waitcnt lgkmcnt(10)
	v_fma_f64 v[80:81], -v[84:85], v[138:139], v[80:81]
	v_fma_f64 v[78:79], -v[84:85], v[140:141], v[78:79]
	s_waitcnt lgkmcnt(9)
	v_fma_f64 v[76:77], -v[84:85], v[142:143], v[76:77]
	v_fma_f64 v[74:75], -v[84:85], v[144:145], v[74:75]
	s_waitcnt lgkmcnt(8)
	v_fma_f64 v[72:73], -v[84:85], v[146:147], v[72:73]
	v_fma_f64 v[68:69], -v[84:85], v[148:149], v[68:69]
	s_waitcnt lgkmcnt(7)
	v_fma_f64 v[70:71], -v[84:85], v[150:151], v[70:71]
	v_fma_f64 v[64:65], -v[84:85], v[152:153], v[64:65]
	s_waitcnt lgkmcnt(6)
	v_fma_f64 v[66:67], -v[84:85], v[154:155], v[66:67]
	v_fma_f64 v[62:63], -v[84:85], v[156:157], v[62:63]
	ds_read2_b64 v[134:137], v130 offset0:40 offset1:41
	ds_read2_b64 v[138:141], v130 offset0:42 offset1:43
	s_waitcnt lgkmcnt(7)
	v_fma_f64 v[60:61], -v[84:85], v[158:159], v[60:61]
	v_fma_f64 v[58:59], -v[84:85], v[160:161], v[58:59]
	ds_read2_b64 v[142:145], v130 offset0:44 offset1:45
	ds_read2_b64 v[146:149], v130 offset0:46 offset1:47
	s_waitcnt lgkmcnt(8)
	v_fma_f64 v[56:57], -v[84:85], v[162:163], v[56:57]
	v_fma_f64 v[54:55], -v[84:85], v[164:165], v[54:55]
	;; [unrolled: 5-line block ×3, first 2 shown]
	ds_read2_b64 v[158:161], v130 offset0:52 offset1:53
	ds_read2_b64 v[162:165], v130 offset0:54 offset1:55
	;; [unrolled: 1-line block ×3, first 2 shown]
	s_waitcnt lgkmcnt(11)
	v_fma_f64 v[50:51], -v[84:85], v[170:171], v[50:51]
	v_fma_f64 v[44:45], -v[84:85], v[172:173], v[44:45]
	s_waitcnt lgkmcnt(10)
	v_fma_f64 v[46:47], -v[84:85], v[174:175], v[46:47]
	v_fma_f64 v[42:43], -v[84:85], v[176:177], v[42:43]
	s_waitcnt lgkmcnt(9)
	v_fma_f64 v[122:123], -v[84:85], v[0:1], v[122:123]
	s_waitcnt lgkmcnt(8)
	v_fma_f64 v[40:41], -v[84:85], v[134:135], v[40:41]
	v_fma_f64 v[38:39], -v[84:85], v[136:137], v[38:39]
	s_waitcnt lgkmcnt(7)
	v_fma_f64 v[36:37], -v[84:85], v[138:139], v[36:37]
	;; [unrolled: 3-line block ×9, first 2 shown]
	v_fma_f64 v[6:7], -v[84:85], v[168:169], v[6:7]
.LBB116_301:
	s_or_b32 exec_lo, exec_lo, s0
	v_lshl_add_u32 v0, v133, 3, v130
	s_barrier
	buffer_gl0_inv
	v_mov_b32_e32 v124, 18
	ds_write_b64 v0, v[86:87]
	s_waitcnt lgkmcnt(0)
	s_barrier
	buffer_gl0_inv
	ds_read_b64 v[0:1], v130 offset:144
	s_cmp_lt_i32 s7, 20
	s_cbranch_scc1 .LBB116_304
; %bb.302:
	v_add3_u32 v125, v131, 0, 0x98
	v_mov_b32_e32 v124, 18
	s_mov_b32 s0, 19
.LBB116_303:                            ; =>This Inner Loop Header: Depth=1
	ds_read_b64 v[134:135], v125
	v_add_nc_u32_e32 v125, 8, v125
	s_waitcnt lgkmcnt(0)
	v_cmp_lt_f64_e64 vcc_lo, |v[0:1]|, |v[134:135]|
	v_cndmask_b32_e32 v1, v1, v135, vcc_lo
	v_cndmask_b32_e32 v0, v0, v134, vcc_lo
	v_cndmask_b32_e64 v124, v124, s0, vcc_lo
	s_add_i32 s0, s0, 1
	s_cmp_lg_u32 s7, s0
	s_cbranch_scc1 .LBB116_303
.LBB116_304:
	s_mov_b32 s0, exec_lo
	s_waitcnt lgkmcnt(0)
	v_cmpx_eq_f64_e32 0, v[0:1]
	s_xor_b32 s0, exec_lo, s0
; %bb.305:
	v_cmp_ne_u32_e32 vcc_lo, 0, v127
	v_cndmask_b32_e32 v127, 19, v127, vcc_lo
; %bb.306:
	s_andn2_saveexec_b32 s0, s0
	s_cbranch_execz .LBB116_308
; %bb.307:
	v_div_scale_f64 v[125:126], null, v[0:1], v[0:1], 1.0
	v_rcp_f64_e32 v[134:135], v[125:126]
	v_fma_f64 v[136:137], -v[125:126], v[134:135], 1.0
	v_fma_f64 v[134:135], v[134:135], v[136:137], v[134:135]
	v_fma_f64 v[136:137], -v[125:126], v[134:135], 1.0
	v_fma_f64 v[134:135], v[134:135], v[136:137], v[134:135]
	v_div_scale_f64 v[136:137], vcc_lo, 1.0, v[0:1], 1.0
	v_mul_f64 v[138:139], v[136:137], v[134:135]
	v_fma_f64 v[125:126], -v[125:126], v[138:139], v[136:137]
	v_div_fmas_f64 v[125:126], v[125:126], v[134:135], v[138:139]
	v_div_fixup_f64 v[0:1], v[125:126], v[0:1], 1.0
.LBB116_308:
	s_or_b32 exec_lo, exec_lo, s0
	s_mov_b32 s0, exec_lo
	v_cmpx_ne_u32_e64 v133, v124
	s_xor_b32 s0, exec_lo, s0
	s_cbranch_execz .LBB116_314
; %bb.309:
	s_mov_b32 s1, exec_lo
	v_cmpx_eq_u32_e32 18, v133
	s_cbranch_execz .LBB116_313
; %bb.310:
	v_cmp_ne_u32_e32 vcc_lo, 18, v124
	s_xor_b32 s2, s6, -1
	s_and_b32 s3, s2, vcc_lo
	s_and_saveexec_b32 s2, s3
	s_cbranch_execz .LBB116_312
; %bb.311:
	v_ashrrev_i32_e32 v125, 31, v124
	v_lshlrev_b64 v[125:126], 2, v[124:125]
	v_add_co_u32 v125, vcc_lo, v4, v125
	v_add_co_ci_u32_e64 v126, null, v5, v126, vcc_lo
	s_clause 0x1
	global_load_dword v132, v[125:126], off
	global_load_dword v133, v[4:5], off offset:72
	s_waitcnt vmcnt(1)
	global_store_dword v[4:5], v132, off offset:72
	s_waitcnt vmcnt(0)
	global_store_dword v[125:126], v133, off
.LBB116_312:
	s_or_b32 exec_lo, exec_lo, s2
	v_mov_b32_e32 v132, v124
	v_mov_b32_e32 v133, v124
.LBB116_313:
	s_or_b32 exec_lo, exec_lo, s1
.LBB116_314:
	s_andn2_saveexec_b32 s0, s0
	s_cbranch_execz .LBB116_316
; %bb.315:
	v_mov_b32_e32 v133, 18
	ds_write2_b64 v130, v[82:83], v[80:81] offset0:19 offset1:20
	ds_write2_b64 v130, v[78:79], v[76:77] offset0:21 offset1:22
	;; [unrolled: 1-line block ×20, first 2 shown]
.LBB116_316:
	s_or_b32 exec_lo, exec_lo, s0
	s_mov_b32 s0, exec_lo
	s_waitcnt lgkmcnt(0)
	s_waitcnt_vscnt null, 0x0
	s_barrier
	buffer_gl0_inv
	v_cmpx_lt_i32_e32 18, v133
	s_cbranch_execz .LBB116_318
; %bb.317:
	v_mul_f64 v[86:87], v[0:1], v[86:87]
	ds_read2_b64 v[134:137], v130 offset0:19 offset1:20
	ds_read2_b64 v[138:141], v130 offset0:21 offset1:22
	ds_read2_b64 v[142:145], v130 offset0:23 offset1:24
	ds_read2_b64 v[146:149], v130 offset0:25 offset1:26
	ds_read2_b64 v[150:153], v130 offset0:27 offset1:28
	ds_read2_b64 v[154:157], v130 offset0:29 offset1:30
	ds_read2_b64 v[158:161], v130 offset0:31 offset1:32
	ds_read2_b64 v[162:165], v130 offset0:33 offset1:34
	ds_read2_b64 v[166:169], v130 offset0:35 offset1:36
	ds_read2_b64 v[170:173], v130 offset0:37 offset1:38
	ds_read2_b64 v[174:177], v130 offset0:39 offset1:40
	s_waitcnt lgkmcnt(10)
	v_fma_f64 v[82:83], -v[86:87], v[134:135], v[82:83]
	v_fma_f64 v[80:81], -v[86:87], v[136:137], v[80:81]
	s_waitcnt lgkmcnt(9)
	v_fma_f64 v[78:79], -v[86:87], v[138:139], v[78:79]
	v_fma_f64 v[76:77], -v[86:87], v[140:141], v[76:77]
	;; [unrolled: 3-line block ×5, first 2 shown]
	s_waitcnt lgkmcnt(5)
	v_fma_f64 v[62:63], -v[86:87], v[154:155], v[62:63]
	ds_read2_b64 v[134:137], v130 offset0:41 offset1:42
	ds_read2_b64 v[138:141], v130 offset0:43 offset1:44
	v_fma_f64 v[60:61], -v[86:87], v[156:157], v[60:61]
	s_waitcnt lgkmcnt(6)
	v_fma_f64 v[58:59], -v[86:87], v[158:159], v[58:59]
	ds_read2_b64 v[142:145], v130 offset0:45 offset1:46
	ds_read2_b64 v[146:149], v130 offset0:47 offset1:48
	v_fma_f64 v[56:57], -v[86:87], v[160:161], v[56:57]
	;; [unrolled: 5-line block ×4, first 2 shown]
	ds_read2_b64 v[166:169], v130 offset0:57 offset1:58
	s_waitcnt lgkmcnt(10)
	v_fma_f64 v[44:45], -v[86:87], v[170:171], v[44:45]
	v_fma_f64 v[46:47], -v[86:87], v[172:173], v[46:47]
	s_waitcnt lgkmcnt(9)
	v_fma_f64 v[42:43], -v[86:87], v[174:175], v[42:43]
	v_fma_f64 v[40:41], -v[86:87], v[176:177], v[40:41]
	s_waitcnt lgkmcnt(8)
	v_fma_f64 v[38:39], -v[86:87], v[134:135], v[38:39]
	v_fma_f64 v[36:37], -v[86:87], v[136:137], v[36:37]
	s_waitcnt lgkmcnt(7)
	v_fma_f64 v[34:35], -v[86:87], v[138:139], v[34:35]
	v_fma_f64 v[32:33], -v[86:87], v[140:141], v[32:33]
	s_waitcnt lgkmcnt(6)
	v_fma_f64 v[28:29], -v[86:87], v[142:143], v[28:29]
	v_fma_f64 v[30:31], -v[86:87], v[144:145], v[30:31]
	s_waitcnt lgkmcnt(5)
	v_fma_f64 v[24:25], -v[86:87], v[146:147], v[24:25]
	v_fma_f64 v[26:27], -v[86:87], v[148:149], v[26:27]
	s_waitcnt lgkmcnt(4)
	v_fma_f64 v[22:23], -v[86:87], v[150:151], v[22:23]
	v_fma_f64 v[20:21], -v[86:87], v[152:153], v[20:21]
	s_waitcnt lgkmcnt(3)
	v_fma_f64 v[18:19], -v[86:87], v[154:155], v[18:19]
	v_fma_f64 v[16:17], -v[86:87], v[156:157], v[16:17]
	s_waitcnt lgkmcnt(2)
	v_fma_f64 v[14:15], -v[86:87], v[158:159], v[14:15]
	v_fma_f64 v[12:13], -v[86:87], v[160:161], v[12:13]
	s_waitcnt lgkmcnt(1)
	v_fma_f64 v[8:9], -v[86:87], v[162:163], v[8:9]
	v_fma_f64 v[10:11], -v[86:87], v[164:165], v[10:11]
	s_waitcnt lgkmcnt(0)
	v_fma_f64 v[6:7], -v[86:87], v[166:167], v[6:7]
	v_fma_f64 v[122:123], -v[86:87], v[168:169], v[122:123]
.LBB116_318:
	s_or_b32 exec_lo, exec_lo, s0
	v_lshl_add_u32 v0, v133, 3, v130
	s_barrier
	buffer_gl0_inv
	v_mov_b32_e32 v124, 19
	ds_write_b64 v0, v[82:83]
	s_waitcnt lgkmcnt(0)
	s_barrier
	buffer_gl0_inv
	ds_read_b64 v[0:1], v130 offset:152
	s_cmp_lt_i32 s7, 21
	s_cbranch_scc1 .LBB116_321
; %bb.319:
	v_add3_u32 v125, v131, 0, 0xa0
	v_mov_b32_e32 v124, 19
	s_mov_b32 s0, 20
.LBB116_320:                            ; =>This Inner Loop Header: Depth=1
	ds_read_b64 v[134:135], v125
	v_add_nc_u32_e32 v125, 8, v125
	s_waitcnt lgkmcnt(0)
	v_cmp_lt_f64_e64 vcc_lo, |v[0:1]|, |v[134:135]|
	v_cndmask_b32_e32 v1, v1, v135, vcc_lo
	v_cndmask_b32_e32 v0, v0, v134, vcc_lo
	v_cndmask_b32_e64 v124, v124, s0, vcc_lo
	s_add_i32 s0, s0, 1
	s_cmp_lg_u32 s7, s0
	s_cbranch_scc1 .LBB116_320
.LBB116_321:
	s_mov_b32 s0, exec_lo
	s_waitcnt lgkmcnt(0)
	v_cmpx_eq_f64_e32 0, v[0:1]
	s_xor_b32 s0, exec_lo, s0
; %bb.322:
	v_cmp_ne_u32_e32 vcc_lo, 0, v127
	v_cndmask_b32_e32 v127, 20, v127, vcc_lo
; %bb.323:
	s_andn2_saveexec_b32 s0, s0
	s_cbranch_execz .LBB116_325
; %bb.324:
	v_div_scale_f64 v[125:126], null, v[0:1], v[0:1], 1.0
	v_rcp_f64_e32 v[134:135], v[125:126]
	v_fma_f64 v[136:137], -v[125:126], v[134:135], 1.0
	v_fma_f64 v[134:135], v[134:135], v[136:137], v[134:135]
	v_fma_f64 v[136:137], -v[125:126], v[134:135], 1.0
	v_fma_f64 v[134:135], v[134:135], v[136:137], v[134:135]
	v_div_scale_f64 v[136:137], vcc_lo, 1.0, v[0:1], 1.0
	v_mul_f64 v[138:139], v[136:137], v[134:135]
	v_fma_f64 v[125:126], -v[125:126], v[138:139], v[136:137]
	v_div_fmas_f64 v[125:126], v[125:126], v[134:135], v[138:139]
	v_div_fixup_f64 v[0:1], v[125:126], v[0:1], 1.0
.LBB116_325:
	s_or_b32 exec_lo, exec_lo, s0
	s_mov_b32 s0, exec_lo
	v_cmpx_ne_u32_e64 v133, v124
	s_xor_b32 s0, exec_lo, s0
	s_cbranch_execz .LBB116_331
; %bb.326:
	s_mov_b32 s1, exec_lo
	v_cmpx_eq_u32_e32 19, v133
	s_cbranch_execz .LBB116_330
; %bb.327:
	v_cmp_ne_u32_e32 vcc_lo, 19, v124
	s_xor_b32 s2, s6, -1
	s_and_b32 s3, s2, vcc_lo
	s_and_saveexec_b32 s2, s3
	s_cbranch_execz .LBB116_329
; %bb.328:
	v_ashrrev_i32_e32 v125, 31, v124
	v_lshlrev_b64 v[125:126], 2, v[124:125]
	v_add_co_u32 v125, vcc_lo, v4, v125
	v_add_co_ci_u32_e64 v126, null, v5, v126, vcc_lo
	s_clause 0x1
	global_load_dword v132, v[125:126], off
	global_load_dword v133, v[4:5], off offset:76
	s_waitcnt vmcnt(1)
	global_store_dword v[4:5], v132, off offset:76
	s_waitcnt vmcnt(0)
	global_store_dword v[125:126], v133, off
.LBB116_329:
	s_or_b32 exec_lo, exec_lo, s2
	v_mov_b32_e32 v132, v124
	v_mov_b32_e32 v133, v124
.LBB116_330:
	s_or_b32 exec_lo, exec_lo, s1
.LBB116_331:
	s_andn2_saveexec_b32 s0, s0
	s_cbranch_execz .LBB116_333
; %bb.332:
	v_mov_b32_e32 v124, v80
	v_mov_b32_e32 v125, v81
	v_mov_b32_e32 v133, v78
	v_mov_b32_e32 v134, v79
	v_mov_b32_e32 v135, v76
	v_mov_b32_e32 v136, v77
	v_mov_b32_e32 v137, v74
	v_mov_b32_e32 v138, v75
	v_mov_b32_e32 v139, v72
	v_mov_b32_e32 v140, v73
	v_mov_b32_e32 v141, v68
	v_mov_b32_e32 v142, v69
	v_mov_b32_e32 v143, v70
	v_mov_b32_e32 v144, v71
	v_mov_b32_e32 v145, v64
	v_mov_b32_e32 v146, v65
	v_mov_b32_e32 v147, v66
	v_mov_b32_e32 v148, v67
	v_mov_b32_e32 v149, v62
	v_mov_b32_e32 v150, v63
	ds_write2_b64 v130, v[124:125], v[133:134] offset0:20 offset1:21
	ds_write2_b64 v130, v[135:136], v[137:138] offset0:22 offset1:23
	ds_write2_b64 v130, v[139:140], v[141:142] offset0:24 offset1:25
	ds_write2_b64 v130, v[143:144], v[145:146] offset0:26 offset1:27
	ds_write2_b64 v130, v[147:148], v[149:150] offset0:28 offset1:29
	v_mov_b32_e32 v124, v60
	v_mov_b32_e32 v125, v61
	v_mov_b32_e32 v133, v58
	v_mov_b32_e32 v134, v59
	v_mov_b32_e32 v135, v56
	v_mov_b32_e32 v136, v57
	v_mov_b32_e32 v137, v54
	v_mov_b32_e32 v138, v55
	v_mov_b32_e32 v139, v52
	v_mov_b32_e32 v140, v53
	v_mov_b32_e32 v141, v48
	v_mov_b32_e32 v142, v49
	v_mov_b32_e32 v143, v50
	v_mov_b32_e32 v144, v51
	v_mov_b32_e32 v145, v44
	v_mov_b32_e32 v146, v45
	v_mov_b32_e32 v147, v46
	v_mov_b32_e32 v148, v47
	v_mov_b32_e32 v149, v42
	v_mov_b32_e32 v150, v43
	ds_write2_b64 v130, v[124:125], v[133:134] offset0:30 offset1:31
	ds_write2_b64 v130, v[135:136], v[137:138] offset0:32 offset1:33
	ds_write2_b64 v130, v[139:140], v[141:142] offset0:34 offset1:35
	ds_write2_b64 v130, v[143:144], v[145:146] offset0:36 offset1:37
	ds_write2_b64 v130, v[147:148], v[149:150] offset0:38 offset1:39
	;; [unrolled: 25-line block ×3, first 2 shown]
	v_mov_b32_e32 v124, v20
	v_mov_b32_e32 v125, v21
	;; [unrolled: 1-line block ×8, first 2 shown]
	ds_write2_b64 v130, v[124:125], v[133:134] offset0:50 offset1:51
	v_mov_b32_e32 v133, 19
	v_mov_b32_e32 v139, v12
	;; [unrolled: 1-line block ×9, first 2 shown]
	ds_write2_b64 v130, v[135:136], v[137:138] offset0:52 offset1:53
	ds_write2_b64 v130, v[139:140], v[141:142] offset0:54 offset1:55
	ds_write2_b64 v130, v[143:144], v[145:146] offset0:56 offset1:57
	ds_write_b64 v130, v[122:123] offset:464
.LBB116_333:
	s_or_b32 exec_lo, exec_lo, s0
	s_mov_b32 s0, exec_lo
	s_waitcnt lgkmcnt(0)
	s_waitcnt_vscnt null, 0x0
	s_barrier
	buffer_gl0_inv
	v_cmpx_lt_i32_e32 19, v133
	s_cbranch_execz .LBB116_335
; %bb.334:
	v_mul_f64 v[82:83], v[0:1], v[82:83]
	ds_read2_b64 v[134:137], v130 offset0:20 offset1:21
	ds_read2_b64 v[138:141], v130 offset0:22 offset1:23
	;; [unrolled: 1-line block ×11, first 2 shown]
	ds_read_b64 v[0:1], v130 offset:464
	s_waitcnt lgkmcnt(11)
	v_fma_f64 v[80:81], -v[82:83], v[134:135], v[80:81]
	v_fma_f64 v[78:79], -v[82:83], v[136:137], v[78:79]
	s_waitcnt lgkmcnt(10)
	v_fma_f64 v[76:77], -v[82:83], v[138:139], v[76:77]
	v_fma_f64 v[74:75], -v[82:83], v[140:141], v[74:75]
	;; [unrolled: 3-line block ×5, first 2 shown]
	s_waitcnt lgkmcnt(6)
	v_fma_f64 v[60:61], -v[82:83], v[154:155], v[60:61]
	ds_read2_b64 v[134:137], v130 offset0:42 offset1:43
	ds_read2_b64 v[138:141], v130 offset0:44 offset1:45
	v_fma_f64 v[58:59], -v[82:83], v[156:157], v[58:59]
	s_waitcnt lgkmcnt(7)
	v_fma_f64 v[56:57], -v[82:83], v[158:159], v[56:57]
	ds_read2_b64 v[142:145], v130 offset0:46 offset1:47
	ds_read2_b64 v[146:149], v130 offset0:48 offset1:49
	v_fma_f64 v[54:55], -v[82:83], v[160:161], v[54:55]
	;; [unrolled: 5-line block ×3, first 2 shown]
	ds_read2_b64 v[158:161], v130 offset0:54 offset1:55
	ds_read2_b64 v[162:165], v130 offset0:56 offset1:57
	s_waitcnt lgkmcnt(11)
	v_fma_f64 v[50:51], -v[82:83], v[166:167], v[50:51]
	v_fma_f64 v[44:45], -v[82:83], v[168:169], v[44:45]
	s_waitcnt lgkmcnt(10)
	v_fma_f64 v[46:47], -v[82:83], v[170:171], v[46:47]
	v_fma_f64 v[42:43], -v[82:83], v[172:173], v[42:43]
	;; [unrolled: 3-line block ×3, first 2 shown]
	s_waitcnt lgkmcnt(8)
	v_fma_f64 v[122:123], -v[82:83], v[0:1], v[122:123]
	s_waitcnt lgkmcnt(7)
	v_fma_f64 v[36:37], -v[82:83], v[134:135], v[36:37]
	v_fma_f64 v[34:35], -v[82:83], v[136:137], v[34:35]
	s_waitcnt lgkmcnt(6)
	v_fma_f64 v[32:33], -v[82:83], v[138:139], v[32:33]
	v_fma_f64 v[28:29], -v[82:83], v[140:141], v[28:29]
	s_waitcnt lgkmcnt(5)
	v_fma_f64 v[30:31], -v[82:83], v[142:143], v[30:31]
	v_fma_f64 v[24:25], -v[82:83], v[144:145], v[24:25]
	s_waitcnt lgkmcnt(4)
	v_fma_f64 v[26:27], -v[82:83], v[146:147], v[26:27]
	v_fma_f64 v[22:23], -v[82:83], v[148:149], v[22:23]
	s_waitcnt lgkmcnt(3)
	v_fma_f64 v[20:21], -v[82:83], v[150:151], v[20:21]
	v_fma_f64 v[18:19], -v[82:83], v[152:153], v[18:19]
	s_waitcnt lgkmcnt(2)
	v_fma_f64 v[16:17], -v[82:83], v[154:155], v[16:17]
	v_fma_f64 v[14:15], -v[82:83], v[156:157], v[14:15]
	s_waitcnt lgkmcnt(1)
	v_fma_f64 v[12:13], -v[82:83], v[158:159], v[12:13]
	v_fma_f64 v[8:9], -v[82:83], v[160:161], v[8:9]
	s_waitcnt lgkmcnt(0)
	v_fma_f64 v[10:11], -v[82:83], v[162:163], v[10:11]
	v_fma_f64 v[6:7], -v[82:83], v[164:165], v[6:7]
.LBB116_335:
	s_or_b32 exec_lo, exec_lo, s0
	v_lshl_add_u32 v0, v133, 3, v130
	s_barrier
	buffer_gl0_inv
	v_mov_b32_e32 v124, 20
	ds_write_b64 v0, v[80:81]
	s_waitcnt lgkmcnt(0)
	s_barrier
	buffer_gl0_inv
	ds_read_b64 v[0:1], v130 offset:160
	s_cmp_lt_i32 s7, 22
	s_cbranch_scc1 .LBB116_338
; %bb.336:
	v_add3_u32 v125, v131, 0, 0xa8
	v_mov_b32_e32 v124, 20
	s_mov_b32 s0, 21
.LBB116_337:                            ; =>This Inner Loop Header: Depth=1
	ds_read_b64 v[134:135], v125
	v_add_nc_u32_e32 v125, 8, v125
	s_waitcnt lgkmcnt(0)
	v_cmp_lt_f64_e64 vcc_lo, |v[0:1]|, |v[134:135]|
	v_cndmask_b32_e32 v1, v1, v135, vcc_lo
	v_cndmask_b32_e32 v0, v0, v134, vcc_lo
	v_cndmask_b32_e64 v124, v124, s0, vcc_lo
	s_add_i32 s0, s0, 1
	s_cmp_lg_u32 s7, s0
	s_cbranch_scc1 .LBB116_337
.LBB116_338:
	s_mov_b32 s0, exec_lo
	s_waitcnt lgkmcnt(0)
	v_cmpx_eq_f64_e32 0, v[0:1]
	s_xor_b32 s0, exec_lo, s0
; %bb.339:
	v_cmp_ne_u32_e32 vcc_lo, 0, v127
	v_cndmask_b32_e32 v127, 21, v127, vcc_lo
; %bb.340:
	s_andn2_saveexec_b32 s0, s0
	s_cbranch_execz .LBB116_342
; %bb.341:
	v_div_scale_f64 v[125:126], null, v[0:1], v[0:1], 1.0
	v_rcp_f64_e32 v[134:135], v[125:126]
	v_fma_f64 v[136:137], -v[125:126], v[134:135], 1.0
	v_fma_f64 v[134:135], v[134:135], v[136:137], v[134:135]
	v_fma_f64 v[136:137], -v[125:126], v[134:135], 1.0
	v_fma_f64 v[134:135], v[134:135], v[136:137], v[134:135]
	v_div_scale_f64 v[136:137], vcc_lo, 1.0, v[0:1], 1.0
	v_mul_f64 v[138:139], v[136:137], v[134:135]
	v_fma_f64 v[125:126], -v[125:126], v[138:139], v[136:137]
	v_div_fmas_f64 v[125:126], v[125:126], v[134:135], v[138:139]
	v_div_fixup_f64 v[0:1], v[125:126], v[0:1], 1.0
.LBB116_342:
	s_or_b32 exec_lo, exec_lo, s0
	s_mov_b32 s0, exec_lo
	v_cmpx_ne_u32_e64 v133, v124
	s_xor_b32 s0, exec_lo, s0
	s_cbranch_execz .LBB116_348
; %bb.343:
	s_mov_b32 s1, exec_lo
	v_cmpx_eq_u32_e32 20, v133
	s_cbranch_execz .LBB116_347
; %bb.344:
	v_cmp_ne_u32_e32 vcc_lo, 20, v124
	s_xor_b32 s2, s6, -1
	s_and_b32 s3, s2, vcc_lo
	s_and_saveexec_b32 s2, s3
	s_cbranch_execz .LBB116_346
; %bb.345:
	v_ashrrev_i32_e32 v125, 31, v124
	v_lshlrev_b64 v[125:126], 2, v[124:125]
	v_add_co_u32 v125, vcc_lo, v4, v125
	v_add_co_ci_u32_e64 v126, null, v5, v126, vcc_lo
	s_clause 0x1
	global_load_dword v132, v[125:126], off
	global_load_dword v133, v[4:5], off offset:80
	s_waitcnt vmcnt(1)
	global_store_dword v[4:5], v132, off offset:80
	s_waitcnt vmcnt(0)
	global_store_dword v[125:126], v133, off
.LBB116_346:
	s_or_b32 exec_lo, exec_lo, s2
	v_mov_b32_e32 v132, v124
	v_mov_b32_e32 v133, v124
.LBB116_347:
	s_or_b32 exec_lo, exec_lo, s1
.LBB116_348:
	s_andn2_saveexec_b32 s0, s0
	s_cbranch_execz .LBB116_350
; %bb.349:
	v_mov_b32_e32 v133, 20
	ds_write2_b64 v130, v[78:79], v[76:77] offset0:21 offset1:22
	ds_write2_b64 v130, v[74:75], v[72:73] offset0:23 offset1:24
	;; [unrolled: 1-line block ×19, first 2 shown]
.LBB116_350:
	s_or_b32 exec_lo, exec_lo, s0
	s_mov_b32 s0, exec_lo
	s_waitcnt lgkmcnt(0)
	s_waitcnt_vscnt null, 0x0
	s_barrier
	buffer_gl0_inv
	v_cmpx_lt_i32_e32 20, v133
	s_cbranch_execz .LBB116_352
; %bb.351:
	v_mul_f64 v[80:81], v[0:1], v[80:81]
	ds_read2_b64 v[134:137], v130 offset0:21 offset1:22
	ds_read2_b64 v[138:141], v130 offset0:23 offset1:24
	;; [unrolled: 1-line block ×12, first 2 shown]
	s_waitcnt lgkmcnt(11)
	v_fma_f64 v[78:79], -v[80:81], v[134:135], v[78:79]
	v_fma_f64 v[76:77], -v[80:81], v[136:137], v[76:77]
	s_waitcnt lgkmcnt(10)
	v_fma_f64 v[74:75], -v[80:81], v[138:139], v[74:75]
	v_fma_f64 v[72:73], -v[80:81], v[140:141], v[72:73]
	s_waitcnt lgkmcnt(9)
	v_fma_f64 v[68:69], -v[80:81], v[142:143], v[68:69]
	v_fma_f64 v[70:71], -v[80:81], v[144:145], v[70:71]
	s_waitcnt lgkmcnt(8)
	v_fma_f64 v[64:65], -v[80:81], v[146:147], v[64:65]
	v_fma_f64 v[66:67], -v[80:81], v[148:149], v[66:67]
	s_waitcnt lgkmcnt(7)
	v_fma_f64 v[62:63], -v[80:81], v[150:151], v[62:63]
	v_fma_f64 v[60:61], -v[80:81], v[152:153], v[60:61]
	s_waitcnt lgkmcnt(6)
	v_fma_f64 v[58:59], -v[80:81], v[154:155], v[58:59]
	ds_read2_b64 v[134:137], v130 offset0:45 offset1:46
	ds_read2_b64 v[138:141], v130 offset0:47 offset1:48
	v_fma_f64 v[56:57], -v[80:81], v[156:157], v[56:57]
	s_waitcnt lgkmcnt(7)
	v_fma_f64 v[54:55], -v[80:81], v[158:159], v[54:55]
	ds_read2_b64 v[142:145], v130 offset0:49 offset1:50
	ds_read2_b64 v[146:149], v130 offset0:51 offset1:52
	v_fma_f64 v[52:53], -v[80:81], v[160:161], v[52:53]
	ds_read2_b64 v[150:153], v130 offset0:53 offset1:54
	ds_read2_b64 v[154:157], v130 offset0:55 offset1:56
	;; [unrolled: 1-line block ×3, first 2 shown]
	s_waitcnt lgkmcnt(11)
	v_fma_f64 v[48:49], -v[80:81], v[162:163], v[48:49]
	v_fma_f64 v[50:51], -v[80:81], v[164:165], v[50:51]
	s_waitcnt lgkmcnt(10)
	v_fma_f64 v[44:45], -v[80:81], v[166:167], v[44:45]
	v_fma_f64 v[46:47], -v[80:81], v[168:169], v[46:47]
	;; [unrolled: 3-line block ×12, first 2 shown]
.LBB116_352:
	s_or_b32 exec_lo, exec_lo, s0
	v_lshl_add_u32 v0, v133, 3, v130
	s_barrier
	buffer_gl0_inv
	v_mov_b32_e32 v124, 21
	ds_write_b64 v0, v[78:79]
	s_waitcnt lgkmcnt(0)
	s_barrier
	buffer_gl0_inv
	ds_read_b64 v[0:1], v130 offset:168
	s_cmp_lt_i32 s7, 23
	s_cbranch_scc1 .LBB116_355
; %bb.353:
	v_add3_u32 v125, v131, 0, 0xb0
	v_mov_b32_e32 v124, 21
	s_mov_b32 s0, 22
.LBB116_354:                            ; =>This Inner Loop Header: Depth=1
	ds_read_b64 v[134:135], v125
	v_add_nc_u32_e32 v125, 8, v125
	s_waitcnt lgkmcnt(0)
	v_cmp_lt_f64_e64 vcc_lo, |v[0:1]|, |v[134:135]|
	v_cndmask_b32_e32 v1, v1, v135, vcc_lo
	v_cndmask_b32_e32 v0, v0, v134, vcc_lo
	v_cndmask_b32_e64 v124, v124, s0, vcc_lo
	s_add_i32 s0, s0, 1
	s_cmp_lg_u32 s7, s0
	s_cbranch_scc1 .LBB116_354
.LBB116_355:
	s_mov_b32 s0, exec_lo
	s_waitcnt lgkmcnt(0)
	v_cmpx_eq_f64_e32 0, v[0:1]
	s_xor_b32 s0, exec_lo, s0
; %bb.356:
	v_cmp_ne_u32_e32 vcc_lo, 0, v127
	v_cndmask_b32_e32 v127, 22, v127, vcc_lo
; %bb.357:
	s_andn2_saveexec_b32 s0, s0
	s_cbranch_execz .LBB116_359
; %bb.358:
	v_div_scale_f64 v[125:126], null, v[0:1], v[0:1], 1.0
	v_rcp_f64_e32 v[134:135], v[125:126]
	v_fma_f64 v[136:137], -v[125:126], v[134:135], 1.0
	v_fma_f64 v[134:135], v[134:135], v[136:137], v[134:135]
	v_fma_f64 v[136:137], -v[125:126], v[134:135], 1.0
	v_fma_f64 v[134:135], v[134:135], v[136:137], v[134:135]
	v_div_scale_f64 v[136:137], vcc_lo, 1.0, v[0:1], 1.0
	v_mul_f64 v[138:139], v[136:137], v[134:135]
	v_fma_f64 v[125:126], -v[125:126], v[138:139], v[136:137]
	v_div_fmas_f64 v[125:126], v[125:126], v[134:135], v[138:139]
	v_div_fixup_f64 v[0:1], v[125:126], v[0:1], 1.0
.LBB116_359:
	s_or_b32 exec_lo, exec_lo, s0
	s_mov_b32 s0, exec_lo
	v_cmpx_ne_u32_e64 v133, v124
	s_xor_b32 s0, exec_lo, s0
	s_cbranch_execz .LBB116_365
; %bb.360:
	s_mov_b32 s1, exec_lo
	v_cmpx_eq_u32_e32 21, v133
	s_cbranch_execz .LBB116_364
; %bb.361:
	v_cmp_ne_u32_e32 vcc_lo, 21, v124
	s_xor_b32 s2, s6, -1
	s_and_b32 s3, s2, vcc_lo
	s_and_saveexec_b32 s2, s3
	s_cbranch_execz .LBB116_363
; %bb.362:
	v_ashrrev_i32_e32 v125, 31, v124
	v_lshlrev_b64 v[125:126], 2, v[124:125]
	v_add_co_u32 v125, vcc_lo, v4, v125
	v_add_co_ci_u32_e64 v126, null, v5, v126, vcc_lo
	s_clause 0x1
	global_load_dword v132, v[125:126], off
	global_load_dword v133, v[4:5], off offset:84
	s_waitcnt vmcnt(1)
	global_store_dword v[4:5], v132, off offset:84
	s_waitcnt vmcnt(0)
	global_store_dword v[125:126], v133, off
.LBB116_363:
	s_or_b32 exec_lo, exec_lo, s2
	v_mov_b32_e32 v132, v124
	v_mov_b32_e32 v133, v124
.LBB116_364:
	s_or_b32 exec_lo, exec_lo, s1
.LBB116_365:
	s_andn2_saveexec_b32 s0, s0
	s_cbranch_execz .LBB116_367
; %bb.366:
	v_mov_b32_e32 v124, v76
	v_mov_b32_e32 v125, v77
	;; [unrolled: 1-line block ×16, first 2 shown]
	ds_write2_b64 v130, v[124:125], v[133:134] offset0:22 offset1:23
	ds_write2_b64 v130, v[135:136], v[137:138] offset0:24 offset1:25
	;; [unrolled: 1-line block ×4, first 2 shown]
	v_mov_b32_e32 v124, v60
	v_mov_b32_e32 v125, v61
	;; [unrolled: 1-line block ×20, first 2 shown]
	ds_write2_b64 v130, v[124:125], v[133:134] offset0:30 offset1:31
	ds_write2_b64 v130, v[135:136], v[137:138] offset0:32 offset1:33
	;; [unrolled: 1-line block ×5, first 2 shown]
	v_mov_b32_e32 v124, v40
	v_mov_b32_e32 v125, v41
	;; [unrolled: 1-line block ×20, first 2 shown]
	ds_write2_b64 v130, v[124:125], v[133:134] offset0:40 offset1:41
	ds_write2_b64 v130, v[135:136], v[137:138] offset0:42 offset1:43
	;; [unrolled: 1-line block ×5, first 2 shown]
	v_mov_b32_e32 v124, v20
	v_mov_b32_e32 v125, v21
	;; [unrolled: 1-line block ×8, first 2 shown]
	ds_write2_b64 v130, v[124:125], v[133:134] offset0:50 offset1:51
	v_mov_b32_e32 v133, 21
	v_mov_b32_e32 v139, v12
	v_mov_b32_e32 v140, v13
	v_mov_b32_e32 v141, v8
	v_mov_b32_e32 v142, v9
	v_mov_b32_e32 v143, v10
	v_mov_b32_e32 v144, v11
	v_mov_b32_e32 v145, v6
	v_mov_b32_e32 v146, v7
	ds_write2_b64 v130, v[135:136], v[137:138] offset0:52 offset1:53
	ds_write2_b64 v130, v[139:140], v[141:142] offset0:54 offset1:55
	;; [unrolled: 1-line block ×3, first 2 shown]
	ds_write_b64 v130, v[122:123] offset:464
.LBB116_367:
	s_or_b32 exec_lo, exec_lo, s0
	s_mov_b32 s0, exec_lo
	s_waitcnt lgkmcnt(0)
	s_waitcnt_vscnt null, 0x0
	s_barrier
	buffer_gl0_inv
	v_cmpx_lt_i32_e32 21, v133
	s_cbranch_execz .LBB116_369
; %bb.368:
	v_mul_f64 v[78:79], v[0:1], v[78:79]
	ds_read2_b64 v[134:137], v130 offset0:22 offset1:23
	ds_read2_b64 v[138:141], v130 offset0:24 offset1:25
	;; [unrolled: 1-line block ×12, first 2 shown]
	ds_read_b64 v[0:1], v130 offset:464
	s_waitcnt lgkmcnt(12)
	v_fma_f64 v[76:77], -v[78:79], v[134:135], v[76:77]
	v_fma_f64 v[74:75], -v[78:79], v[136:137], v[74:75]
	s_waitcnt lgkmcnt(11)
	v_fma_f64 v[72:73], -v[78:79], v[138:139], v[72:73]
	v_fma_f64 v[68:69], -v[78:79], v[140:141], v[68:69]
	;; [unrolled: 3-line block ×5, first 2 shown]
	s_waitcnt lgkmcnt(7)
	v_fma_f64 v[56:57], -v[78:79], v[154:155], v[56:57]
	ds_read2_b64 v[134:137], v130 offset0:46 offset1:47
	ds_read2_b64 v[138:141], v130 offset0:48 offset1:49
	v_fma_f64 v[54:55], -v[78:79], v[156:157], v[54:55]
	ds_read2_b64 v[142:145], v130 offset0:50 offset1:51
	ds_read2_b64 v[146:149], v130 offset0:52 offset1:53
	;; [unrolled: 1-line block ×4, first 2 shown]
	s_waitcnt lgkmcnt(12)
	v_fma_f64 v[52:53], -v[78:79], v[158:159], v[52:53]
	v_fma_f64 v[48:49], -v[78:79], v[160:161], v[48:49]
	s_waitcnt lgkmcnt(11)
	v_fma_f64 v[50:51], -v[78:79], v[162:163], v[50:51]
	v_fma_f64 v[44:45], -v[78:79], v[164:165], v[44:45]
	;; [unrolled: 3-line block ×6, first 2 shown]
	s_waitcnt lgkmcnt(6)
	v_fma_f64 v[122:123], -v[78:79], v[0:1], v[122:123]
	s_waitcnt lgkmcnt(5)
	v_fma_f64 v[30:31], -v[78:79], v[134:135], v[30:31]
	v_fma_f64 v[24:25], -v[78:79], v[136:137], v[24:25]
	s_waitcnt lgkmcnt(4)
	v_fma_f64 v[26:27], -v[78:79], v[138:139], v[26:27]
	;; [unrolled: 3-line block ×6, first 2 shown]
	v_fma_f64 v[6:7], -v[78:79], v[156:157], v[6:7]
.LBB116_369:
	s_or_b32 exec_lo, exec_lo, s0
	v_lshl_add_u32 v0, v133, 3, v130
	s_barrier
	buffer_gl0_inv
	v_mov_b32_e32 v124, 22
	ds_write_b64 v0, v[76:77]
	s_waitcnt lgkmcnt(0)
	s_barrier
	buffer_gl0_inv
	ds_read_b64 v[0:1], v130 offset:176
	s_cmp_lt_i32 s7, 24
	s_cbranch_scc1 .LBB116_372
; %bb.370:
	v_add3_u32 v125, v131, 0, 0xb8
	v_mov_b32_e32 v124, 22
	s_mov_b32 s0, 23
.LBB116_371:                            ; =>This Inner Loop Header: Depth=1
	ds_read_b64 v[134:135], v125
	v_add_nc_u32_e32 v125, 8, v125
	s_waitcnt lgkmcnt(0)
	v_cmp_lt_f64_e64 vcc_lo, |v[0:1]|, |v[134:135]|
	v_cndmask_b32_e32 v1, v1, v135, vcc_lo
	v_cndmask_b32_e32 v0, v0, v134, vcc_lo
	v_cndmask_b32_e64 v124, v124, s0, vcc_lo
	s_add_i32 s0, s0, 1
	s_cmp_lg_u32 s7, s0
	s_cbranch_scc1 .LBB116_371
.LBB116_372:
	s_mov_b32 s0, exec_lo
	s_waitcnt lgkmcnt(0)
	v_cmpx_eq_f64_e32 0, v[0:1]
	s_xor_b32 s0, exec_lo, s0
; %bb.373:
	v_cmp_ne_u32_e32 vcc_lo, 0, v127
	v_cndmask_b32_e32 v127, 23, v127, vcc_lo
; %bb.374:
	s_andn2_saveexec_b32 s0, s0
	s_cbranch_execz .LBB116_376
; %bb.375:
	v_div_scale_f64 v[125:126], null, v[0:1], v[0:1], 1.0
	v_rcp_f64_e32 v[134:135], v[125:126]
	v_fma_f64 v[136:137], -v[125:126], v[134:135], 1.0
	v_fma_f64 v[134:135], v[134:135], v[136:137], v[134:135]
	v_fma_f64 v[136:137], -v[125:126], v[134:135], 1.0
	v_fma_f64 v[134:135], v[134:135], v[136:137], v[134:135]
	v_div_scale_f64 v[136:137], vcc_lo, 1.0, v[0:1], 1.0
	v_mul_f64 v[138:139], v[136:137], v[134:135]
	v_fma_f64 v[125:126], -v[125:126], v[138:139], v[136:137]
	v_div_fmas_f64 v[125:126], v[125:126], v[134:135], v[138:139]
	v_div_fixup_f64 v[0:1], v[125:126], v[0:1], 1.0
.LBB116_376:
	s_or_b32 exec_lo, exec_lo, s0
	s_mov_b32 s0, exec_lo
	v_cmpx_ne_u32_e64 v133, v124
	s_xor_b32 s0, exec_lo, s0
	s_cbranch_execz .LBB116_382
; %bb.377:
	s_mov_b32 s1, exec_lo
	v_cmpx_eq_u32_e32 22, v133
	s_cbranch_execz .LBB116_381
; %bb.378:
	v_cmp_ne_u32_e32 vcc_lo, 22, v124
	s_xor_b32 s2, s6, -1
	s_and_b32 s3, s2, vcc_lo
	s_and_saveexec_b32 s2, s3
	s_cbranch_execz .LBB116_380
; %bb.379:
	v_ashrrev_i32_e32 v125, 31, v124
	v_lshlrev_b64 v[125:126], 2, v[124:125]
	v_add_co_u32 v125, vcc_lo, v4, v125
	v_add_co_ci_u32_e64 v126, null, v5, v126, vcc_lo
	s_clause 0x1
	global_load_dword v132, v[125:126], off
	global_load_dword v133, v[4:5], off offset:88
	s_waitcnt vmcnt(1)
	global_store_dword v[4:5], v132, off offset:88
	s_waitcnt vmcnt(0)
	global_store_dword v[125:126], v133, off
.LBB116_380:
	s_or_b32 exec_lo, exec_lo, s2
	v_mov_b32_e32 v132, v124
	v_mov_b32_e32 v133, v124
.LBB116_381:
	s_or_b32 exec_lo, exec_lo, s1
.LBB116_382:
	s_andn2_saveexec_b32 s0, s0
	s_cbranch_execz .LBB116_384
; %bb.383:
	v_mov_b32_e32 v133, 22
	ds_write2_b64 v130, v[74:75], v[72:73] offset0:23 offset1:24
	ds_write2_b64 v130, v[68:69], v[70:71] offset0:25 offset1:26
	;; [unrolled: 1-line block ×18, first 2 shown]
.LBB116_384:
	s_or_b32 exec_lo, exec_lo, s0
	s_mov_b32 s0, exec_lo
	s_waitcnt lgkmcnt(0)
	s_waitcnt_vscnt null, 0x0
	s_barrier
	buffer_gl0_inv
	v_cmpx_lt_i32_e32 22, v133
	s_cbranch_execz .LBB116_386
; %bb.385:
	v_mul_f64 v[76:77], v[0:1], v[76:77]
	ds_read2_b64 v[134:137], v130 offset0:23 offset1:24
	ds_read2_b64 v[138:141], v130 offset0:25 offset1:26
	;; [unrolled: 1-line block ×12, first 2 shown]
	s_waitcnt lgkmcnt(11)
	v_fma_f64 v[74:75], -v[76:77], v[134:135], v[74:75]
	v_fma_f64 v[72:73], -v[76:77], v[136:137], v[72:73]
	s_waitcnt lgkmcnt(10)
	v_fma_f64 v[68:69], -v[76:77], v[138:139], v[68:69]
	v_fma_f64 v[70:71], -v[76:77], v[140:141], v[70:71]
	;; [unrolled: 3-line block ×5, first 2 shown]
	ds_read2_b64 v[134:137], v130 offset0:47 offset1:48
	ds_read2_b64 v[138:141], v130 offset0:49 offset1:50
	s_waitcnt lgkmcnt(8)
	v_fma_f64 v[54:55], -v[76:77], v[154:155], v[54:55]
	v_fma_f64 v[52:53], -v[76:77], v[156:157], v[52:53]
	ds_read2_b64 v[142:145], v130 offset0:51 offset1:52
	ds_read2_b64 v[146:149], v130 offset0:53 offset1:54
	;; [unrolled: 1-line block ×4, first 2 shown]
	s_waitcnt lgkmcnt(11)
	v_fma_f64 v[48:49], -v[76:77], v[158:159], v[48:49]
	v_fma_f64 v[50:51], -v[76:77], v[160:161], v[50:51]
	s_waitcnt lgkmcnt(10)
	v_fma_f64 v[44:45], -v[76:77], v[162:163], v[44:45]
	v_fma_f64 v[46:47], -v[76:77], v[164:165], v[46:47]
	;; [unrolled: 3-line block ×12, first 2 shown]
.LBB116_386:
	s_or_b32 exec_lo, exec_lo, s0
	v_lshl_add_u32 v0, v133, 3, v130
	s_barrier
	buffer_gl0_inv
	v_mov_b32_e32 v124, 23
	ds_write_b64 v0, v[74:75]
	s_waitcnt lgkmcnt(0)
	s_barrier
	buffer_gl0_inv
	ds_read_b64 v[0:1], v130 offset:184
	s_cmp_lt_i32 s7, 25
	s_cbranch_scc1 .LBB116_389
; %bb.387:
	v_add3_u32 v125, v131, 0, 0xc0
	v_mov_b32_e32 v124, 23
	s_mov_b32 s0, 24
.LBB116_388:                            ; =>This Inner Loop Header: Depth=1
	ds_read_b64 v[134:135], v125
	v_add_nc_u32_e32 v125, 8, v125
	s_waitcnt lgkmcnt(0)
	v_cmp_lt_f64_e64 vcc_lo, |v[0:1]|, |v[134:135]|
	v_cndmask_b32_e32 v1, v1, v135, vcc_lo
	v_cndmask_b32_e32 v0, v0, v134, vcc_lo
	v_cndmask_b32_e64 v124, v124, s0, vcc_lo
	s_add_i32 s0, s0, 1
	s_cmp_lg_u32 s7, s0
	s_cbranch_scc1 .LBB116_388
.LBB116_389:
	s_mov_b32 s0, exec_lo
	s_waitcnt lgkmcnt(0)
	v_cmpx_eq_f64_e32 0, v[0:1]
	s_xor_b32 s0, exec_lo, s0
; %bb.390:
	v_cmp_ne_u32_e32 vcc_lo, 0, v127
	v_cndmask_b32_e32 v127, 24, v127, vcc_lo
; %bb.391:
	s_andn2_saveexec_b32 s0, s0
	s_cbranch_execz .LBB116_393
; %bb.392:
	v_div_scale_f64 v[125:126], null, v[0:1], v[0:1], 1.0
	v_rcp_f64_e32 v[134:135], v[125:126]
	v_fma_f64 v[136:137], -v[125:126], v[134:135], 1.0
	v_fma_f64 v[134:135], v[134:135], v[136:137], v[134:135]
	v_fma_f64 v[136:137], -v[125:126], v[134:135], 1.0
	v_fma_f64 v[134:135], v[134:135], v[136:137], v[134:135]
	v_div_scale_f64 v[136:137], vcc_lo, 1.0, v[0:1], 1.0
	v_mul_f64 v[138:139], v[136:137], v[134:135]
	v_fma_f64 v[125:126], -v[125:126], v[138:139], v[136:137]
	v_div_fmas_f64 v[125:126], v[125:126], v[134:135], v[138:139]
	v_div_fixup_f64 v[0:1], v[125:126], v[0:1], 1.0
.LBB116_393:
	s_or_b32 exec_lo, exec_lo, s0
	s_mov_b32 s0, exec_lo
	v_cmpx_ne_u32_e64 v133, v124
	s_xor_b32 s0, exec_lo, s0
	s_cbranch_execz .LBB116_399
; %bb.394:
	s_mov_b32 s1, exec_lo
	v_cmpx_eq_u32_e32 23, v133
	s_cbranch_execz .LBB116_398
; %bb.395:
	v_cmp_ne_u32_e32 vcc_lo, 23, v124
	s_xor_b32 s2, s6, -1
	s_and_b32 s3, s2, vcc_lo
	s_and_saveexec_b32 s2, s3
	s_cbranch_execz .LBB116_397
; %bb.396:
	v_ashrrev_i32_e32 v125, 31, v124
	v_lshlrev_b64 v[125:126], 2, v[124:125]
	v_add_co_u32 v125, vcc_lo, v4, v125
	v_add_co_ci_u32_e64 v126, null, v5, v126, vcc_lo
	s_clause 0x1
	global_load_dword v132, v[125:126], off
	global_load_dword v133, v[4:5], off offset:92
	s_waitcnt vmcnt(1)
	global_store_dword v[4:5], v132, off offset:92
	s_waitcnt vmcnt(0)
	global_store_dword v[125:126], v133, off
.LBB116_397:
	s_or_b32 exec_lo, exec_lo, s2
	v_mov_b32_e32 v132, v124
	v_mov_b32_e32 v133, v124
.LBB116_398:
	s_or_b32 exec_lo, exec_lo, s1
.LBB116_399:
	s_andn2_saveexec_b32 s0, s0
	s_cbranch_execz .LBB116_401
; %bb.400:
	v_mov_b32_e32 v124, v72
	v_mov_b32_e32 v125, v73
	;; [unrolled: 1-line block ×12, first 2 shown]
	ds_write2_b64 v130, v[124:125], v[133:134] offset0:24 offset1:25
	ds_write2_b64 v130, v[135:136], v[137:138] offset0:26 offset1:27
	;; [unrolled: 1-line block ×3, first 2 shown]
	v_mov_b32_e32 v124, v60
	v_mov_b32_e32 v125, v61
	;; [unrolled: 1-line block ×20, first 2 shown]
	ds_write2_b64 v130, v[124:125], v[133:134] offset0:30 offset1:31
	ds_write2_b64 v130, v[135:136], v[137:138] offset0:32 offset1:33
	;; [unrolled: 1-line block ×5, first 2 shown]
	v_mov_b32_e32 v124, v40
	v_mov_b32_e32 v125, v41
	;; [unrolled: 1-line block ×20, first 2 shown]
	ds_write2_b64 v130, v[124:125], v[133:134] offset0:40 offset1:41
	ds_write2_b64 v130, v[135:136], v[137:138] offset0:42 offset1:43
	;; [unrolled: 1-line block ×5, first 2 shown]
	v_mov_b32_e32 v124, v20
	v_mov_b32_e32 v125, v21
	;; [unrolled: 1-line block ×8, first 2 shown]
	ds_write2_b64 v130, v[124:125], v[133:134] offset0:50 offset1:51
	v_mov_b32_e32 v133, 23
	v_mov_b32_e32 v139, v12
	v_mov_b32_e32 v140, v13
	v_mov_b32_e32 v141, v8
	v_mov_b32_e32 v142, v9
	v_mov_b32_e32 v143, v10
	v_mov_b32_e32 v144, v11
	v_mov_b32_e32 v145, v6
	v_mov_b32_e32 v146, v7
	ds_write2_b64 v130, v[135:136], v[137:138] offset0:52 offset1:53
	ds_write2_b64 v130, v[139:140], v[141:142] offset0:54 offset1:55
	;; [unrolled: 1-line block ×3, first 2 shown]
	ds_write_b64 v130, v[122:123] offset:464
.LBB116_401:
	s_or_b32 exec_lo, exec_lo, s0
	s_mov_b32 s0, exec_lo
	s_waitcnt lgkmcnt(0)
	s_waitcnt_vscnt null, 0x0
	s_barrier
	buffer_gl0_inv
	v_cmpx_lt_i32_e32 23, v133
	s_cbranch_execz .LBB116_403
; %bb.402:
	v_mul_f64 v[74:75], v[0:1], v[74:75]
	ds_read2_b64 v[134:137], v130 offset0:24 offset1:25
	ds_read2_b64 v[138:141], v130 offset0:26 offset1:27
	ds_read2_b64 v[142:145], v130 offset0:28 offset1:29
	ds_read2_b64 v[146:149], v130 offset0:30 offset1:31
	ds_read2_b64 v[150:153], v130 offset0:32 offset1:33
	ds_read2_b64 v[154:157], v130 offset0:34 offset1:35
	ds_read2_b64 v[158:161], v130 offset0:36 offset1:37
	ds_read2_b64 v[162:165], v130 offset0:38 offset1:39
	ds_read2_b64 v[166:169], v130 offset0:40 offset1:41
	ds_read2_b64 v[170:173], v130 offset0:42 offset1:43
	ds_read2_b64 v[174:177], v130 offset0:44 offset1:45
	ds_read2_b64 v[178:181], v130 offset0:46 offset1:47
	ds_read_b64 v[0:1], v130 offset:464
	s_waitcnt lgkmcnt(12)
	v_fma_f64 v[72:73], -v[74:75], v[134:135], v[72:73]
	v_fma_f64 v[68:69], -v[74:75], v[136:137], v[68:69]
	s_waitcnt lgkmcnt(11)
	v_fma_f64 v[70:71], -v[74:75], v[138:139], v[70:71]
	v_fma_f64 v[64:65], -v[74:75], v[140:141], v[64:65]
	;; [unrolled: 3-line block ×5, first 2 shown]
	ds_read2_b64 v[134:137], v130 offset0:48 offset1:49
	ds_read2_b64 v[138:141], v130 offset0:50 offset1:51
	;; [unrolled: 1-line block ×5, first 2 shown]
	s_waitcnt lgkmcnt(12)
	v_fma_f64 v[52:53], -v[74:75], v[154:155], v[52:53]
	v_fma_f64 v[48:49], -v[74:75], v[156:157], v[48:49]
	s_waitcnt lgkmcnt(11)
	v_fma_f64 v[50:51], -v[74:75], v[158:159], v[50:51]
	v_fma_f64 v[44:45], -v[74:75], v[160:161], v[44:45]
	;; [unrolled: 3-line block ×7, first 2 shown]
	s_waitcnt lgkmcnt(5)
	v_fma_f64 v[122:123], -v[74:75], v[0:1], v[122:123]
	s_waitcnt lgkmcnt(4)
	v_fma_f64 v[26:27], -v[74:75], v[134:135], v[26:27]
	v_fma_f64 v[22:23], -v[74:75], v[136:137], v[22:23]
	s_waitcnt lgkmcnt(3)
	v_fma_f64 v[20:21], -v[74:75], v[138:139], v[20:21]
	;; [unrolled: 3-line block ×5, first 2 shown]
	v_fma_f64 v[6:7], -v[74:75], v[152:153], v[6:7]
.LBB116_403:
	s_or_b32 exec_lo, exec_lo, s0
	v_lshl_add_u32 v0, v133, 3, v130
	s_barrier
	buffer_gl0_inv
	v_mov_b32_e32 v124, 24
	ds_write_b64 v0, v[72:73]
	s_waitcnt lgkmcnt(0)
	s_barrier
	buffer_gl0_inv
	ds_read_b64 v[0:1], v130 offset:192
	s_cmp_lt_i32 s7, 26
	s_cbranch_scc1 .LBB116_406
; %bb.404:
	v_add3_u32 v125, v131, 0, 0xc8
	v_mov_b32_e32 v124, 24
	s_mov_b32 s0, 25
.LBB116_405:                            ; =>This Inner Loop Header: Depth=1
	ds_read_b64 v[134:135], v125
	v_add_nc_u32_e32 v125, 8, v125
	s_waitcnt lgkmcnt(0)
	v_cmp_lt_f64_e64 vcc_lo, |v[0:1]|, |v[134:135]|
	v_cndmask_b32_e32 v1, v1, v135, vcc_lo
	v_cndmask_b32_e32 v0, v0, v134, vcc_lo
	v_cndmask_b32_e64 v124, v124, s0, vcc_lo
	s_add_i32 s0, s0, 1
	s_cmp_lg_u32 s7, s0
	s_cbranch_scc1 .LBB116_405
.LBB116_406:
	s_mov_b32 s0, exec_lo
	s_waitcnt lgkmcnt(0)
	v_cmpx_eq_f64_e32 0, v[0:1]
	s_xor_b32 s0, exec_lo, s0
; %bb.407:
	v_cmp_ne_u32_e32 vcc_lo, 0, v127
	v_cndmask_b32_e32 v127, 25, v127, vcc_lo
; %bb.408:
	s_andn2_saveexec_b32 s0, s0
	s_cbranch_execz .LBB116_410
; %bb.409:
	v_div_scale_f64 v[125:126], null, v[0:1], v[0:1], 1.0
	v_rcp_f64_e32 v[134:135], v[125:126]
	v_fma_f64 v[136:137], -v[125:126], v[134:135], 1.0
	v_fma_f64 v[134:135], v[134:135], v[136:137], v[134:135]
	v_fma_f64 v[136:137], -v[125:126], v[134:135], 1.0
	v_fma_f64 v[134:135], v[134:135], v[136:137], v[134:135]
	v_div_scale_f64 v[136:137], vcc_lo, 1.0, v[0:1], 1.0
	v_mul_f64 v[138:139], v[136:137], v[134:135]
	v_fma_f64 v[125:126], -v[125:126], v[138:139], v[136:137]
	v_div_fmas_f64 v[125:126], v[125:126], v[134:135], v[138:139]
	v_div_fixup_f64 v[0:1], v[125:126], v[0:1], 1.0
.LBB116_410:
	s_or_b32 exec_lo, exec_lo, s0
	s_mov_b32 s0, exec_lo
	v_cmpx_ne_u32_e64 v133, v124
	s_xor_b32 s0, exec_lo, s0
	s_cbranch_execz .LBB116_416
; %bb.411:
	s_mov_b32 s1, exec_lo
	v_cmpx_eq_u32_e32 24, v133
	s_cbranch_execz .LBB116_415
; %bb.412:
	v_cmp_ne_u32_e32 vcc_lo, 24, v124
	s_xor_b32 s2, s6, -1
	s_and_b32 s3, s2, vcc_lo
	s_and_saveexec_b32 s2, s3
	s_cbranch_execz .LBB116_414
; %bb.413:
	v_ashrrev_i32_e32 v125, 31, v124
	v_lshlrev_b64 v[125:126], 2, v[124:125]
	v_add_co_u32 v125, vcc_lo, v4, v125
	v_add_co_ci_u32_e64 v126, null, v5, v126, vcc_lo
	s_clause 0x1
	global_load_dword v132, v[125:126], off
	global_load_dword v133, v[4:5], off offset:96
	s_waitcnt vmcnt(1)
	global_store_dword v[4:5], v132, off offset:96
	s_waitcnt vmcnt(0)
	global_store_dword v[125:126], v133, off
.LBB116_414:
	s_or_b32 exec_lo, exec_lo, s2
	v_mov_b32_e32 v132, v124
	v_mov_b32_e32 v133, v124
.LBB116_415:
	s_or_b32 exec_lo, exec_lo, s1
.LBB116_416:
	s_andn2_saveexec_b32 s0, s0
	s_cbranch_execz .LBB116_418
; %bb.417:
	v_mov_b32_e32 v133, 24
	ds_write2_b64 v130, v[68:69], v[70:71] offset0:25 offset1:26
	ds_write2_b64 v130, v[64:65], v[66:67] offset0:27 offset1:28
	;; [unrolled: 1-line block ×17, first 2 shown]
.LBB116_418:
	s_or_b32 exec_lo, exec_lo, s0
	s_mov_b32 s0, exec_lo
	s_waitcnt lgkmcnt(0)
	s_waitcnt_vscnt null, 0x0
	s_barrier
	buffer_gl0_inv
	v_cmpx_lt_i32_e32 24, v133
	s_cbranch_execz .LBB116_420
; %bb.419:
	v_mul_f64 v[72:73], v[0:1], v[72:73]
	ds_read2_b64 v[134:137], v130 offset0:25 offset1:26
	ds_read2_b64 v[138:141], v130 offset0:27 offset1:28
	;; [unrolled: 1-line block ×13, first 2 shown]
	s_waitcnt lgkmcnt(12)
	v_fma_f64 v[68:69], -v[72:73], v[134:135], v[68:69]
	v_fma_f64 v[70:71], -v[72:73], v[136:137], v[70:71]
	s_waitcnt lgkmcnt(11)
	v_fma_f64 v[64:65], -v[72:73], v[138:139], v[64:65]
	v_fma_f64 v[66:67], -v[72:73], v[140:141], v[66:67]
	;; [unrolled: 3-line block ×4, first 2 shown]
	ds_read2_b64 v[134:137], v130 offset0:51 offset1:52
	ds_read2_b64 v[138:141], v130 offset0:53 offset1:54
	;; [unrolled: 1-line block ×4, first 2 shown]
	s_waitcnt lgkmcnt(12)
	v_fma_f64 v[54:55], -v[72:73], v[150:151], v[54:55]
	v_fma_f64 v[52:53], -v[72:73], v[152:153], v[52:53]
	s_waitcnt lgkmcnt(11)
	v_fma_f64 v[48:49], -v[72:73], v[154:155], v[48:49]
	v_fma_f64 v[50:51], -v[72:73], v[156:157], v[50:51]
	;; [unrolled: 3-line block ×13, first 2 shown]
.LBB116_420:
	s_or_b32 exec_lo, exec_lo, s0
	v_lshl_add_u32 v0, v133, 3, v130
	s_barrier
	buffer_gl0_inv
	v_mov_b32_e32 v124, 25
	ds_write_b64 v0, v[68:69]
	s_waitcnt lgkmcnt(0)
	s_barrier
	buffer_gl0_inv
	ds_read_b64 v[0:1], v130 offset:200
	s_cmp_lt_i32 s7, 27
	s_cbranch_scc1 .LBB116_423
; %bb.421:
	v_add3_u32 v125, v131, 0, 0xd0
	v_mov_b32_e32 v124, 25
	s_mov_b32 s0, 26
.LBB116_422:                            ; =>This Inner Loop Header: Depth=1
	ds_read_b64 v[134:135], v125
	v_add_nc_u32_e32 v125, 8, v125
	s_waitcnt lgkmcnt(0)
	v_cmp_lt_f64_e64 vcc_lo, |v[0:1]|, |v[134:135]|
	v_cndmask_b32_e32 v1, v1, v135, vcc_lo
	v_cndmask_b32_e32 v0, v0, v134, vcc_lo
	v_cndmask_b32_e64 v124, v124, s0, vcc_lo
	s_add_i32 s0, s0, 1
	s_cmp_lg_u32 s7, s0
	s_cbranch_scc1 .LBB116_422
.LBB116_423:
	s_mov_b32 s0, exec_lo
	s_waitcnt lgkmcnt(0)
	v_cmpx_eq_f64_e32 0, v[0:1]
	s_xor_b32 s0, exec_lo, s0
; %bb.424:
	v_cmp_ne_u32_e32 vcc_lo, 0, v127
	v_cndmask_b32_e32 v127, 26, v127, vcc_lo
; %bb.425:
	s_andn2_saveexec_b32 s0, s0
	s_cbranch_execz .LBB116_427
; %bb.426:
	v_div_scale_f64 v[125:126], null, v[0:1], v[0:1], 1.0
	v_rcp_f64_e32 v[134:135], v[125:126]
	v_fma_f64 v[136:137], -v[125:126], v[134:135], 1.0
	v_fma_f64 v[134:135], v[134:135], v[136:137], v[134:135]
	v_fma_f64 v[136:137], -v[125:126], v[134:135], 1.0
	v_fma_f64 v[134:135], v[134:135], v[136:137], v[134:135]
	v_div_scale_f64 v[136:137], vcc_lo, 1.0, v[0:1], 1.0
	v_mul_f64 v[138:139], v[136:137], v[134:135]
	v_fma_f64 v[125:126], -v[125:126], v[138:139], v[136:137]
	v_div_fmas_f64 v[125:126], v[125:126], v[134:135], v[138:139]
	v_div_fixup_f64 v[0:1], v[125:126], v[0:1], 1.0
.LBB116_427:
	s_or_b32 exec_lo, exec_lo, s0
	s_mov_b32 s0, exec_lo
	v_cmpx_ne_u32_e64 v133, v124
	s_xor_b32 s0, exec_lo, s0
	s_cbranch_execz .LBB116_433
; %bb.428:
	s_mov_b32 s1, exec_lo
	v_cmpx_eq_u32_e32 25, v133
	s_cbranch_execz .LBB116_432
; %bb.429:
	v_cmp_ne_u32_e32 vcc_lo, 25, v124
	s_xor_b32 s2, s6, -1
	s_and_b32 s3, s2, vcc_lo
	s_and_saveexec_b32 s2, s3
	s_cbranch_execz .LBB116_431
; %bb.430:
	v_ashrrev_i32_e32 v125, 31, v124
	v_lshlrev_b64 v[125:126], 2, v[124:125]
	v_add_co_u32 v125, vcc_lo, v4, v125
	v_add_co_ci_u32_e64 v126, null, v5, v126, vcc_lo
	s_clause 0x1
	global_load_dword v132, v[125:126], off
	global_load_dword v133, v[4:5], off offset:100
	s_waitcnt vmcnt(1)
	global_store_dword v[4:5], v132, off offset:100
	s_waitcnt vmcnt(0)
	global_store_dword v[125:126], v133, off
.LBB116_431:
	s_or_b32 exec_lo, exec_lo, s2
	v_mov_b32_e32 v132, v124
	v_mov_b32_e32 v133, v124
.LBB116_432:
	s_or_b32 exec_lo, exec_lo, s1
.LBB116_433:
	s_andn2_saveexec_b32 s0, s0
	s_cbranch_execz .LBB116_435
; %bb.434:
	v_mov_b32_e32 v124, v70
	v_mov_b32_e32 v125, v71
	;; [unrolled: 1-line block ×8, first 2 shown]
	ds_write2_b64 v130, v[124:125], v[133:134] offset0:26 offset1:27
	ds_write2_b64 v130, v[135:136], v[137:138] offset0:28 offset1:29
	v_mov_b32_e32 v124, v60
	v_mov_b32_e32 v125, v61
	;; [unrolled: 1-line block ×20, first 2 shown]
	ds_write2_b64 v130, v[124:125], v[133:134] offset0:30 offset1:31
	ds_write2_b64 v130, v[135:136], v[137:138] offset0:32 offset1:33
	;; [unrolled: 1-line block ×5, first 2 shown]
	v_mov_b32_e32 v124, v40
	v_mov_b32_e32 v125, v41
	v_mov_b32_e32 v133, v38
	v_mov_b32_e32 v134, v39
	v_mov_b32_e32 v135, v36
	v_mov_b32_e32 v136, v37
	v_mov_b32_e32 v137, v34
	v_mov_b32_e32 v138, v35
	v_mov_b32_e32 v139, v32
	v_mov_b32_e32 v140, v33
	v_mov_b32_e32 v141, v28
	v_mov_b32_e32 v142, v29
	v_mov_b32_e32 v143, v30
	v_mov_b32_e32 v144, v31
	v_mov_b32_e32 v145, v24
	v_mov_b32_e32 v146, v25
	v_mov_b32_e32 v147, v26
	v_mov_b32_e32 v148, v27
	v_mov_b32_e32 v149, v22
	v_mov_b32_e32 v150, v23
	ds_write2_b64 v130, v[124:125], v[133:134] offset0:40 offset1:41
	ds_write2_b64 v130, v[135:136], v[137:138] offset0:42 offset1:43
	;; [unrolled: 1-line block ×5, first 2 shown]
	v_mov_b32_e32 v124, v20
	v_mov_b32_e32 v125, v21
	;; [unrolled: 1-line block ×8, first 2 shown]
	ds_write2_b64 v130, v[124:125], v[133:134] offset0:50 offset1:51
	v_mov_b32_e32 v133, 25
	v_mov_b32_e32 v139, v12
	;; [unrolled: 1-line block ×9, first 2 shown]
	ds_write2_b64 v130, v[135:136], v[137:138] offset0:52 offset1:53
	ds_write2_b64 v130, v[139:140], v[141:142] offset0:54 offset1:55
	;; [unrolled: 1-line block ×3, first 2 shown]
	ds_write_b64 v130, v[122:123] offset:464
.LBB116_435:
	s_or_b32 exec_lo, exec_lo, s0
	s_mov_b32 s0, exec_lo
	s_waitcnt lgkmcnt(0)
	s_waitcnt_vscnt null, 0x0
	s_barrier
	buffer_gl0_inv
	v_cmpx_lt_i32_e32 25, v133
	s_cbranch_execz .LBB116_437
; %bb.436:
	v_mul_f64 v[68:69], v[0:1], v[68:69]
	ds_read2_b64 v[134:137], v130 offset0:26 offset1:27
	ds_read2_b64 v[138:141], v130 offset0:28 offset1:29
	ds_read2_b64 v[142:145], v130 offset0:30 offset1:31
	ds_read2_b64 v[146:149], v130 offset0:32 offset1:33
	ds_read2_b64 v[150:153], v130 offset0:34 offset1:35
	ds_read2_b64 v[154:157], v130 offset0:36 offset1:37
	ds_read2_b64 v[158:161], v130 offset0:38 offset1:39
	ds_read2_b64 v[162:165], v130 offset0:40 offset1:41
	ds_read2_b64 v[166:169], v130 offset0:42 offset1:43
	ds_read2_b64 v[170:173], v130 offset0:44 offset1:45
	ds_read2_b64 v[174:177], v130 offset0:46 offset1:47
	ds_read2_b64 v[178:181], v130 offset0:48 offset1:49
	ds_read2_b64 v[182:185], v130 offset0:50 offset1:51
	ds_read_b64 v[0:1], v130 offset:464
	s_waitcnt lgkmcnt(13)
	v_fma_f64 v[70:71], -v[68:69], v[134:135], v[70:71]
	v_fma_f64 v[64:65], -v[68:69], v[136:137], v[64:65]
	s_waitcnt lgkmcnt(12)
	v_fma_f64 v[66:67], -v[68:69], v[138:139], v[66:67]
	v_fma_f64 v[62:63], -v[68:69], v[140:141], v[62:63]
	;; [unrolled: 3-line block ×3, first 2 shown]
	ds_read2_b64 v[134:137], v130 offset0:52 offset1:53
	ds_read2_b64 v[138:141], v130 offset0:54 offset1:55
	;; [unrolled: 1-line block ×3, first 2 shown]
	s_waitcnt lgkmcnt(13)
	v_fma_f64 v[56:57], -v[68:69], v[146:147], v[56:57]
	v_fma_f64 v[54:55], -v[68:69], v[148:149], v[54:55]
	s_waitcnt lgkmcnt(12)
	v_fma_f64 v[52:53], -v[68:69], v[150:151], v[52:53]
	v_fma_f64 v[48:49], -v[68:69], v[152:153], v[48:49]
	;; [unrolled: 3-line block ×13, first 2 shown]
	v_fma_f64 v[122:123], -v[68:69], v[0:1], v[122:123]
.LBB116_437:
	s_or_b32 exec_lo, exec_lo, s0
	v_lshl_add_u32 v0, v133, 3, v130
	s_barrier
	buffer_gl0_inv
	v_mov_b32_e32 v124, 26
	ds_write_b64 v0, v[70:71]
	s_waitcnt lgkmcnt(0)
	s_barrier
	buffer_gl0_inv
	ds_read_b64 v[0:1], v130 offset:208
	s_cmp_lt_i32 s7, 28
	s_cbranch_scc1 .LBB116_440
; %bb.438:
	v_add3_u32 v125, v131, 0, 0xd8
	v_mov_b32_e32 v124, 26
	s_mov_b32 s0, 27
.LBB116_439:                            ; =>This Inner Loop Header: Depth=1
	ds_read_b64 v[134:135], v125
	v_add_nc_u32_e32 v125, 8, v125
	s_waitcnt lgkmcnt(0)
	v_cmp_lt_f64_e64 vcc_lo, |v[0:1]|, |v[134:135]|
	v_cndmask_b32_e32 v1, v1, v135, vcc_lo
	v_cndmask_b32_e32 v0, v0, v134, vcc_lo
	v_cndmask_b32_e64 v124, v124, s0, vcc_lo
	s_add_i32 s0, s0, 1
	s_cmp_lg_u32 s7, s0
	s_cbranch_scc1 .LBB116_439
.LBB116_440:
	s_mov_b32 s0, exec_lo
	s_waitcnt lgkmcnt(0)
	v_cmpx_eq_f64_e32 0, v[0:1]
	s_xor_b32 s0, exec_lo, s0
; %bb.441:
	v_cmp_ne_u32_e32 vcc_lo, 0, v127
	v_cndmask_b32_e32 v127, 27, v127, vcc_lo
; %bb.442:
	s_andn2_saveexec_b32 s0, s0
	s_cbranch_execz .LBB116_444
; %bb.443:
	v_div_scale_f64 v[125:126], null, v[0:1], v[0:1], 1.0
	v_rcp_f64_e32 v[134:135], v[125:126]
	v_fma_f64 v[136:137], -v[125:126], v[134:135], 1.0
	v_fma_f64 v[134:135], v[134:135], v[136:137], v[134:135]
	v_fma_f64 v[136:137], -v[125:126], v[134:135], 1.0
	v_fma_f64 v[134:135], v[134:135], v[136:137], v[134:135]
	v_div_scale_f64 v[136:137], vcc_lo, 1.0, v[0:1], 1.0
	v_mul_f64 v[138:139], v[136:137], v[134:135]
	v_fma_f64 v[125:126], -v[125:126], v[138:139], v[136:137]
	v_div_fmas_f64 v[125:126], v[125:126], v[134:135], v[138:139]
	v_div_fixup_f64 v[0:1], v[125:126], v[0:1], 1.0
.LBB116_444:
	s_or_b32 exec_lo, exec_lo, s0
	s_mov_b32 s0, exec_lo
	v_cmpx_ne_u32_e64 v133, v124
	s_xor_b32 s0, exec_lo, s0
	s_cbranch_execz .LBB116_450
; %bb.445:
	s_mov_b32 s1, exec_lo
	v_cmpx_eq_u32_e32 26, v133
	s_cbranch_execz .LBB116_449
; %bb.446:
	v_cmp_ne_u32_e32 vcc_lo, 26, v124
	s_xor_b32 s2, s6, -1
	s_and_b32 s3, s2, vcc_lo
	s_and_saveexec_b32 s2, s3
	s_cbranch_execz .LBB116_448
; %bb.447:
	v_ashrrev_i32_e32 v125, 31, v124
	v_lshlrev_b64 v[125:126], 2, v[124:125]
	v_add_co_u32 v125, vcc_lo, v4, v125
	v_add_co_ci_u32_e64 v126, null, v5, v126, vcc_lo
	s_clause 0x1
	global_load_dword v132, v[125:126], off
	global_load_dword v133, v[4:5], off offset:104
	s_waitcnt vmcnt(1)
	global_store_dword v[4:5], v132, off offset:104
	s_waitcnt vmcnt(0)
	global_store_dword v[125:126], v133, off
.LBB116_448:
	s_or_b32 exec_lo, exec_lo, s2
	v_mov_b32_e32 v132, v124
	v_mov_b32_e32 v133, v124
.LBB116_449:
	s_or_b32 exec_lo, exec_lo, s1
.LBB116_450:
	s_andn2_saveexec_b32 s0, s0
	s_cbranch_execz .LBB116_452
; %bb.451:
	v_mov_b32_e32 v133, 26
	ds_write2_b64 v130, v[64:65], v[66:67] offset0:27 offset1:28
	ds_write2_b64 v130, v[62:63], v[60:61] offset0:29 offset1:30
	;; [unrolled: 1-line block ×16, first 2 shown]
.LBB116_452:
	s_or_b32 exec_lo, exec_lo, s0
	s_mov_b32 s0, exec_lo
	s_waitcnt lgkmcnt(0)
	s_waitcnt_vscnt null, 0x0
	s_barrier
	buffer_gl0_inv
	v_cmpx_lt_i32_e32 26, v133
	s_cbranch_execz .LBB116_454
; %bb.453:
	v_mul_f64 v[70:71], v[0:1], v[70:71]
	ds_read2_b64 v[134:137], v130 offset0:27 offset1:28
	ds_read2_b64 v[138:141], v130 offset0:29 offset1:30
	;; [unrolled: 1-line block ×13, first 2 shown]
	s_waitcnt lgkmcnt(12)
	v_fma_f64 v[64:65], -v[70:71], v[134:135], v[64:65]
	v_fma_f64 v[66:67], -v[70:71], v[136:137], v[66:67]
	s_waitcnt lgkmcnt(11)
	v_fma_f64 v[62:63], -v[70:71], v[138:139], v[62:63]
	v_fma_f64 v[60:61], -v[70:71], v[140:141], v[60:61]
	;; [unrolled: 3-line block ×3, first 2 shown]
	ds_read2_b64 v[134:137], v130 offset0:53 offset1:54
	ds_read2_b64 v[138:141], v130 offset0:55 offset1:56
	ds_read2_b64 v[142:145], v130 offset0:57 offset1:58
	s_waitcnt lgkmcnt(12)
	v_fma_f64 v[54:55], -v[70:71], v[146:147], v[54:55]
	v_fma_f64 v[52:53], -v[70:71], v[148:149], v[52:53]
	s_waitcnt lgkmcnt(11)
	v_fma_f64 v[48:49], -v[70:71], v[150:151], v[48:49]
	v_fma_f64 v[50:51], -v[70:71], v[152:153], v[50:51]
	;; [unrolled: 3-line block ×13, first 2 shown]
.LBB116_454:
	s_or_b32 exec_lo, exec_lo, s0
	v_lshl_add_u32 v0, v133, 3, v130
	s_barrier
	buffer_gl0_inv
	v_mov_b32_e32 v124, 27
	ds_write_b64 v0, v[64:65]
	s_waitcnt lgkmcnt(0)
	s_barrier
	buffer_gl0_inv
	ds_read_b64 v[0:1], v130 offset:216
	s_cmp_lt_i32 s7, 29
	s_cbranch_scc1 .LBB116_457
; %bb.455:
	v_add3_u32 v125, v131, 0, 0xe0
	v_mov_b32_e32 v124, 27
	s_mov_b32 s0, 28
.LBB116_456:                            ; =>This Inner Loop Header: Depth=1
	ds_read_b64 v[134:135], v125
	v_add_nc_u32_e32 v125, 8, v125
	s_waitcnt lgkmcnt(0)
	v_cmp_lt_f64_e64 vcc_lo, |v[0:1]|, |v[134:135]|
	v_cndmask_b32_e32 v1, v1, v135, vcc_lo
	v_cndmask_b32_e32 v0, v0, v134, vcc_lo
	v_cndmask_b32_e64 v124, v124, s0, vcc_lo
	s_add_i32 s0, s0, 1
	s_cmp_lg_u32 s7, s0
	s_cbranch_scc1 .LBB116_456
.LBB116_457:
	s_mov_b32 s0, exec_lo
	s_waitcnt lgkmcnt(0)
	v_cmpx_eq_f64_e32 0, v[0:1]
	s_xor_b32 s0, exec_lo, s0
; %bb.458:
	v_cmp_ne_u32_e32 vcc_lo, 0, v127
	v_cndmask_b32_e32 v127, 28, v127, vcc_lo
; %bb.459:
	s_andn2_saveexec_b32 s0, s0
	s_cbranch_execz .LBB116_461
; %bb.460:
	v_div_scale_f64 v[125:126], null, v[0:1], v[0:1], 1.0
	v_rcp_f64_e32 v[134:135], v[125:126]
	v_fma_f64 v[136:137], -v[125:126], v[134:135], 1.0
	v_fma_f64 v[134:135], v[134:135], v[136:137], v[134:135]
	v_fma_f64 v[136:137], -v[125:126], v[134:135], 1.0
	v_fma_f64 v[134:135], v[134:135], v[136:137], v[134:135]
	v_div_scale_f64 v[136:137], vcc_lo, 1.0, v[0:1], 1.0
	v_mul_f64 v[138:139], v[136:137], v[134:135]
	v_fma_f64 v[125:126], -v[125:126], v[138:139], v[136:137]
	v_div_fmas_f64 v[125:126], v[125:126], v[134:135], v[138:139]
	v_div_fixup_f64 v[0:1], v[125:126], v[0:1], 1.0
.LBB116_461:
	s_or_b32 exec_lo, exec_lo, s0
	s_mov_b32 s0, exec_lo
	v_cmpx_ne_u32_e64 v133, v124
	s_xor_b32 s0, exec_lo, s0
	s_cbranch_execz .LBB116_467
; %bb.462:
	s_mov_b32 s1, exec_lo
	v_cmpx_eq_u32_e32 27, v133
	s_cbranch_execz .LBB116_466
; %bb.463:
	v_cmp_ne_u32_e32 vcc_lo, 27, v124
	s_xor_b32 s2, s6, -1
	s_and_b32 s3, s2, vcc_lo
	s_and_saveexec_b32 s2, s3
	s_cbranch_execz .LBB116_465
; %bb.464:
	v_ashrrev_i32_e32 v125, 31, v124
	v_lshlrev_b64 v[125:126], 2, v[124:125]
	v_add_co_u32 v125, vcc_lo, v4, v125
	v_add_co_ci_u32_e64 v126, null, v5, v126, vcc_lo
	s_clause 0x1
	global_load_dword v132, v[125:126], off
	global_load_dword v133, v[4:5], off offset:108
	s_waitcnt vmcnt(1)
	global_store_dword v[4:5], v132, off offset:108
	s_waitcnt vmcnt(0)
	global_store_dword v[125:126], v133, off
.LBB116_465:
	s_or_b32 exec_lo, exec_lo, s2
	v_mov_b32_e32 v132, v124
	v_mov_b32_e32 v133, v124
.LBB116_466:
	s_or_b32 exec_lo, exec_lo, s1
.LBB116_467:
	s_andn2_saveexec_b32 s0, s0
	s_cbranch_execz .LBB116_469
; %bb.468:
	v_mov_b32_e32 v124, v66
	v_mov_b32_e32 v125, v67
	;; [unrolled: 1-line block ×8, first 2 shown]
	ds_write2_b64 v130, v[124:125], v[133:134] offset0:28 offset1:29
	v_mov_b32_e32 v124, v58
	v_mov_b32_e32 v125, v59
	v_mov_b32_e32 v133, v56
	v_mov_b32_e32 v134, v57
	v_mov_b32_e32 v139, v52
	v_mov_b32_e32 v140, v53
	v_mov_b32_e32 v141, v48
	v_mov_b32_e32 v142, v49
	v_mov_b32_e32 v143, v50
	v_mov_b32_e32 v144, v51
	v_mov_b32_e32 v145, v44
	v_mov_b32_e32 v146, v45
	v_mov_b32_e32 v147, v46
	v_mov_b32_e32 v148, v47
	v_mov_b32_e32 v149, v42
	v_mov_b32_e32 v150, v43
	ds_write2_b64 v130, v[135:136], v[124:125] offset0:30 offset1:31
	ds_write2_b64 v130, v[133:134], v[137:138] offset0:32 offset1:33
	;; [unrolled: 1-line block ×5, first 2 shown]
	v_mov_b32_e32 v124, v40
	v_mov_b32_e32 v125, v41
	;; [unrolled: 1-line block ×20, first 2 shown]
	ds_write2_b64 v130, v[124:125], v[133:134] offset0:40 offset1:41
	ds_write2_b64 v130, v[135:136], v[137:138] offset0:42 offset1:43
	;; [unrolled: 1-line block ×5, first 2 shown]
	v_mov_b32_e32 v124, v20
	v_mov_b32_e32 v125, v21
	;; [unrolled: 1-line block ×8, first 2 shown]
	ds_write2_b64 v130, v[124:125], v[133:134] offset0:50 offset1:51
	v_mov_b32_e32 v133, 27
	v_mov_b32_e32 v139, v12
	;; [unrolled: 1-line block ×9, first 2 shown]
	ds_write2_b64 v130, v[135:136], v[137:138] offset0:52 offset1:53
	ds_write2_b64 v130, v[139:140], v[141:142] offset0:54 offset1:55
	;; [unrolled: 1-line block ×3, first 2 shown]
	ds_write_b64 v130, v[122:123] offset:464
.LBB116_469:
	s_or_b32 exec_lo, exec_lo, s0
	s_mov_b32 s0, exec_lo
	s_waitcnt lgkmcnt(0)
	s_waitcnt_vscnt null, 0x0
	s_barrier
	buffer_gl0_inv
	v_cmpx_lt_i32_e32 27, v133
	s_cbranch_execz .LBB116_471
; %bb.470:
	v_mul_f64 v[64:65], v[0:1], v[64:65]
	ds_read2_b64 v[134:137], v130 offset0:28 offset1:29
	ds_read2_b64 v[138:141], v130 offset0:30 offset1:31
	ds_read2_b64 v[142:145], v130 offset0:32 offset1:33
	ds_read2_b64 v[146:149], v130 offset0:34 offset1:35
	ds_read2_b64 v[150:153], v130 offset0:36 offset1:37
	ds_read2_b64 v[154:157], v130 offset0:38 offset1:39
	ds_read2_b64 v[158:161], v130 offset0:40 offset1:41
	ds_read2_b64 v[162:165], v130 offset0:42 offset1:43
	ds_read2_b64 v[166:169], v130 offset0:44 offset1:45
	ds_read2_b64 v[170:173], v130 offset0:46 offset1:47
	ds_read2_b64 v[174:177], v130 offset0:48 offset1:49
	ds_read2_b64 v[178:181], v130 offset0:50 offset1:51
	ds_read2_b64 v[182:185], v130 offset0:52 offset1:53
	ds_read_b64 v[0:1], v130 offset:464
	s_waitcnt lgkmcnt(13)
	v_fma_f64 v[66:67], -v[64:65], v[134:135], v[66:67]
	v_fma_f64 v[62:63], -v[64:65], v[136:137], v[62:63]
	s_waitcnt lgkmcnt(12)
	v_fma_f64 v[60:61], -v[64:65], v[138:139], v[60:61]
	v_fma_f64 v[58:59], -v[64:65], v[140:141], v[58:59]
	ds_read2_b64 v[134:137], v130 offset0:54 offset1:55
	ds_read2_b64 v[138:141], v130 offset0:56 offset1:57
	s_waitcnt lgkmcnt(13)
	v_fma_f64 v[56:57], -v[64:65], v[142:143], v[56:57]
	v_fma_f64 v[54:55], -v[64:65], v[144:145], v[54:55]
	s_waitcnt lgkmcnt(12)
	v_fma_f64 v[52:53], -v[64:65], v[146:147], v[52:53]
	v_fma_f64 v[48:49], -v[64:65], v[148:149], v[48:49]
	;; [unrolled: 3-line block ×13, first 2 shown]
	v_fma_f64 v[122:123], -v[64:65], v[0:1], v[122:123]
.LBB116_471:
	s_or_b32 exec_lo, exec_lo, s0
	v_lshl_add_u32 v0, v133, 3, v130
	s_barrier
	buffer_gl0_inv
	v_mov_b32_e32 v124, 28
	ds_write_b64 v0, v[66:67]
	s_waitcnt lgkmcnt(0)
	s_barrier
	buffer_gl0_inv
	ds_read_b64 v[0:1], v130 offset:224
	s_cmp_lt_i32 s7, 30
	s_cbranch_scc1 .LBB116_474
; %bb.472:
	v_add3_u32 v125, v131, 0, 0xe8
	v_mov_b32_e32 v124, 28
	s_mov_b32 s0, 29
.LBB116_473:                            ; =>This Inner Loop Header: Depth=1
	ds_read_b64 v[134:135], v125
	v_add_nc_u32_e32 v125, 8, v125
	s_waitcnt lgkmcnt(0)
	v_cmp_lt_f64_e64 vcc_lo, |v[0:1]|, |v[134:135]|
	v_cndmask_b32_e32 v1, v1, v135, vcc_lo
	v_cndmask_b32_e32 v0, v0, v134, vcc_lo
	v_cndmask_b32_e64 v124, v124, s0, vcc_lo
	s_add_i32 s0, s0, 1
	s_cmp_lg_u32 s7, s0
	s_cbranch_scc1 .LBB116_473
.LBB116_474:
	s_mov_b32 s0, exec_lo
	s_waitcnt lgkmcnt(0)
	v_cmpx_eq_f64_e32 0, v[0:1]
	s_xor_b32 s0, exec_lo, s0
; %bb.475:
	v_cmp_ne_u32_e32 vcc_lo, 0, v127
	v_cndmask_b32_e32 v127, 29, v127, vcc_lo
; %bb.476:
	s_andn2_saveexec_b32 s0, s0
	s_cbranch_execz .LBB116_478
; %bb.477:
	v_div_scale_f64 v[125:126], null, v[0:1], v[0:1], 1.0
	v_rcp_f64_e32 v[134:135], v[125:126]
	v_fma_f64 v[136:137], -v[125:126], v[134:135], 1.0
	v_fma_f64 v[134:135], v[134:135], v[136:137], v[134:135]
	v_fma_f64 v[136:137], -v[125:126], v[134:135], 1.0
	v_fma_f64 v[134:135], v[134:135], v[136:137], v[134:135]
	v_div_scale_f64 v[136:137], vcc_lo, 1.0, v[0:1], 1.0
	v_mul_f64 v[138:139], v[136:137], v[134:135]
	v_fma_f64 v[125:126], -v[125:126], v[138:139], v[136:137]
	v_div_fmas_f64 v[125:126], v[125:126], v[134:135], v[138:139]
	v_div_fixup_f64 v[0:1], v[125:126], v[0:1], 1.0
.LBB116_478:
	s_or_b32 exec_lo, exec_lo, s0
	s_mov_b32 s0, exec_lo
	v_cmpx_ne_u32_e64 v133, v124
	s_xor_b32 s0, exec_lo, s0
	s_cbranch_execz .LBB116_484
; %bb.479:
	s_mov_b32 s1, exec_lo
	v_cmpx_eq_u32_e32 28, v133
	s_cbranch_execz .LBB116_483
; %bb.480:
	v_cmp_ne_u32_e32 vcc_lo, 28, v124
	s_xor_b32 s2, s6, -1
	s_and_b32 s3, s2, vcc_lo
	s_and_saveexec_b32 s2, s3
	s_cbranch_execz .LBB116_482
; %bb.481:
	v_ashrrev_i32_e32 v125, 31, v124
	v_lshlrev_b64 v[125:126], 2, v[124:125]
	v_add_co_u32 v125, vcc_lo, v4, v125
	v_add_co_ci_u32_e64 v126, null, v5, v126, vcc_lo
	s_clause 0x1
	global_load_dword v132, v[125:126], off
	global_load_dword v133, v[4:5], off offset:112
	s_waitcnt vmcnt(1)
	global_store_dword v[4:5], v132, off offset:112
	s_waitcnt vmcnt(0)
	global_store_dword v[125:126], v133, off
.LBB116_482:
	s_or_b32 exec_lo, exec_lo, s2
	v_mov_b32_e32 v132, v124
	v_mov_b32_e32 v133, v124
.LBB116_483:
	s_or_b32 exec_lo, exec_lo, s1
.LBB116_484:
	s_andn2_saveexec_b32 s0, s0
	s_cbranch_execz .LBB116_486
; %bb.485:
	v_mov_b32_e32 v133, 28
	ds_write2_b64 v130, v[62:63], v[60:61] offset0:29 offset1:30
	ds_write2_b64 v130, v[58:59], v[56:57] offset0:31 offset1:32
	;; [unrolled: 1-line block ×15, first 2 shown]
.LBB116_486:
	s_or_b32 exec_lo, exec_lo, s0
	s_mov_b32 s0, exec_lo
	s_waitcnt lgkmcnt(0)
	s_waitcnt_vscnt null, 0x0
	s_barrier
	buffer_gl0_inv
	v_cmpx_lt_i32_e32 28, v133
	s_cbranch_execz .LBB116_488
; %bb.487:
	v_mul_f64 v[66:67], v[0:1], v[66:67]
	ds_read2_b64 v[134:137], v130 offset0:29 offset1:30
	ds_read2_b64 v[138:141], v130 offset0:31 offset1:32
	;; [unrolled: 1-line block ×14, first 2 shown]
	s_waitcnt lgkmcnt(13)
	v_fma_f64 v[62:63], -v[66:67], v[134:135], v[62:63]
	v_fma_f64 v[60:61], -v[66:67], v[136:137], v[60:61]
	ds_read2_b64 v[134:137], v130 offset0:57 offset1:58
	s_waitcnt lgkmcnt(13)
	v_fma_f64 v[58:59], -v[66:67], v[138:139], v[58:59]
	v_fma_f64 v[56:57], -v[66:67], v[140:141], v[56:57]
	s_waitcnt lgkmcnt(12)
	v_fma_f64 v[54:55], -v[66:67], v[142:143], v[54:55]
	v_fma_f64 v[52:53], -v[66:67], v[144:145], v[52:53]
	;; [unrolled: 3-line block ×14, first 2 shown]
.LBB116_488:
	s_or_b32 exec_lo, exec_lo, s0
	v_lshl_add_u32 v0, v133, 3, v130
	s_barrier
	buffer_gl0_inv
	v_mov_b32_e32 v124, 29
	ds_write_b64 v0, v[62:63]
	s_waitcnt lgkmcnt(0)
	s_barrier
	buffer_gl0_inv
	ds_read_b64 v[0:1], v130 offset:232
	s_cmp_lt_i32 s7, 31
	s_cbranch_scc1 .LBB116_491
; %bb.489:
	v_add3_u32 v125, v131, 0, 0xf0
	v_mov_b32_e32 v124, 29
	s_mov_b32 s0, 30
.LBB116_490:                            ; =>This Inner Loop Header: Depth=1
	ds_read_b64 v[134:135], v125
	v_add_nc_u32_e32 v125, 8, v125
	s_waitcnt lgkmcnt(0)
	v_cmp_lt_f64_e64 vcc_lo, |v[0:1]|, |v[134:135]|
	v_cndmask_b32_e32 v1, v1, v135, vcc_lo
	v_cndmask_b32_e32 v0, v0, v134, vcc_lo
	v_cndmask_b32_e64 v124, v124, s0, vcc_lo
	s_add_i32 s0, s0, 1
	s_cmp_lg_u32 s7, s0
	s_cbranch_scc1 .LBB116_490
.LBB116_491:
	s_mov_b32 s0, exec_lo
	s_waitcnt lgkmcnt(0)
	v_cmpx_eq_f64_e32 0, v[0:1]
	s_xor_b32 s0, exec_lo, s0
; %bb.492:
	v_cmp_ne_u32_e32 vcc_lo, 0, v127
	v_cndmask_b32_e32 v127, 30, v127, vcc_lo
; %bb.493:
	s_andn2_saveexec_b32 s0, s0
	s_cbranch_execz .LBB116_495
; %bb.494:
	v_div_scale_f64 v[125:126], null, v[0:1], v[0:1], 1.0
	v_rcp_f64_e32 v[134:135], v[125:126]
	v_fma_f64 v[136:137], -v[125:126], v[134:135], 1.0
	v_fma_f64 v[134:135], v[134:135], v[136:137], v[134:135]
	v_fma_f64 v[136:137], -v[125:126], v[134:135], 1.0
	v_fma_f64 v[134:135], v[134:135], v[136:137], v[134:135]
	v_div_scale_f64 v[136:137], vcc_lo, 1.0, v[0:1], 1.0
	v_mul_f64 v[138:139], v[136:137], v[134:135]
	v_fma_f64 v[125:126], -v[125:126], v[138:139], v[136:137]
	v_div_fmas_f64 v[125:126], v[125:126], v[134:135], v[138:139]
	v_div_fixup_f64 v[0:1], v[125:126], v[0:1], 1.0
.LBB116_495:
	s_or_b32 exec_lo, exec_lo, s0
	s_mov_b32 s0, exec_lo
	v_cmpx_ne_u32_e64 v133, v124
	s_xor_b32 s0, exec_lo, s0
	s_cbranch_execz .LBB116_501
; %bb.496:
	s_mov_b32 s1, exec_lo
	v_cmpx_eq_u32_e32 29, v133
	s_cbranch_execz .LBB116_500
; %bb.497:
	v_cmp_ne_u32_e32 vcc_lo, 29, v124
	s_xor_b32 s2, s6, -1
	s_and_b32 s3, s2, vcc_lo
	s_and_saveexec_b32 s2, s3
	s_cbranch_execz .LBB116_499
; %bb.498:
	v_ashrrev_i32_e32 v125, 31, v124
	v_lshlrev_b64 v[125:126], 2, v[124:125]
	v_add_co_u32 v125, vcc_lo, v4, v125
	v_add_co_ci_u32_e64 v126, null, v5, v126, vcc_lo
	s_clause 0x1
	global_load_dword v132, v[125:126], off
	global_load_dword v133, v[4:5], off offset:116
	s_waitcnt vmcnt(1)
	global_store_dword v[4:5], v132, off offset:116
	s_waitcnt vmcnt(0)
	global_store_dword v[125:126], v133, off
.LBB116_499:
	s_or_b32 exec_lo, exec_lo, s2
	v_mov_b32_e32 v132, v124
	v_mov_b32_e32 v133, v124
.LBB116_500:
	s_or_b32 exec_lo, exec_lo, s1
.LBB116_501:
	s_andn2_saveexec_b32 s0, s0
	s_cbranch_execz .LBB116_503
; %bb.502:
	v_mov_b32_e32 v124, v60
	v_mov_b32_e32 v125, v61
	;; [unrolled: 1-line block ×20, first 2 shown]
	ds_write2_b64 v130, v[124:125], v[133:134] offset0:30 offset1:31
	ds_write2_b64 v130, v[135:136], v[137:138] offset0:32 offset1:33
	;; [unrolled: 1-line block ×5, first 2 shown]
	v_mov_b32_e32 v124, v40
	v_mov_b32_e32 v125, v41
	v_mov_b32_e32 v133, v38
	v_mov_b32_e32 v134, v39
	v_mov_b32_e32 v135, v36
	v_mov_b32_e32 v136, v37
	v_mov_b32_e32 v137, v34
	v_mov_b32_e32 v138, v35
	v_mov_b32_e32 v139, v32
	v_mov_b32_e32 v140, v33
	v_mov_b32_e32 v141, v28
	v_mov_b32_e32 v142, v29
	v_mov_b32_e32 v143, v30
	v_mov_b32_e32 v144, v31
	v_mov_b32_e32 v145, v24
	v_mov_b32_e32 v146, v25
	v_mov_b32_e32 v147, v26
	v_mov_b32_e32 v148, v27
	v_mov_b32_e32 v149, v22
	v_mov_b32_e32 v150, v23
	ds_write2_b64 v130, v[124:125], v[133:134] offset0:40 offset1:41
	ds_write2_b64 v130, v[135:136], v[137:138] offset0:42 offset1:43
	;; [unrolled: 1-line block ×5, first 2 shown]
	v_mov_b32_e32 v124, v20
	v_mov_b32_e32 v125, v21
	;; [unrolled: 1-line block ×8, first 2 shown]
	ds_write2_b64 v130, v[124:125], v[133:134] offset0:50 offset1:51
	v_mov_b32_e32 v133, 29
	v_mov_b32_e32 v139, v12
	;; [unrolled: 1-line block ×9, first 2 shown]
	ds_write2_b64 v130, v[135:136], v[137:138] offset0:52 offset1:53
	ds_write2_b64 v130, v[139:140], v[141:142] offset0:54 offset1:55
	;; [unrolled: 1-line block ×3, first 2 shown]
	ds_write_b64 v130, v[122:123] offset:464
.LBB116_503:
	s_or_b32 exec_lo, exec_lo, s0
	s_mov_b32 s0, exec_lo
	s_waitcnt lgkmcnt(0)
	s_waitcnt_vscnt null, 0x0
	s_barrier
	buffer_gl0_inv
	v_cmpx_lt_i32_e32 29, v133
	s_cbranch_execz .LBB116_505
; %bb.504:
	v_mul_f64 v[62:63], v[0:1], v[62:63]
	ds_read2_b64 v[134:137], v130 offset0:30 offset1:31
	ds_read2_b64 v[138:141], v130 offset0:32 offset1:33
	ds_read2_b64 v[142:145], v130 offset0:34 offset1:35
	ds_read2_b64 v[146:149], v130 offset0:36 offset1:37
	ds_read2_b64 v[150:153], v130 offset0:38 offset1:39
	ds_read2_b64 v[154:157], v130 offset0:40 offset1:41
	ds_read2_b64 v[158:161], v130 offset0:42 offset1:43
	ds_read2_b64 v[162:165], v130 offset0:44 offset1:45
	ds_read2_b64 v[166:169], v130 offset0:46 offset1:47
	ds_read2_b64 v[170:173], v130 offset0:48 offset1:49
	ds_read2_b64 v[174:177], v130 offset0:50 offset1:51
	ds_read2_b64 v[178:181], v130 offset0:52 offset1:53
	ds_read2_b64 v[182:185], v130 offset0:54 offset1:55
	ds_read2_b64 v[186:189], v130 offset0:56 offset1:57
	ds_read_b64 v[0:1], v130 offset:464
	s_waitcnt lgkmcnt(14)
	v_fma_f64 v[60:61], -v[62:63], v[134:135], v[60:61]
	v_fma_f64 v[58:59], -v[62:63], v[136:137], v[58:59]
	s_waitcnt lgkmcnt(13)
	v_fma_f64 v[56:57], -v[62:63], v[138:139], v[56:57]
	v_fma_f64 v[54:55], -v[62:63], v[140:141], v[54:55]
	;; [unrolled: 3-line block ×14, first 2 shown]
	s_waitcnt lgkmcnt(0)
	v_fma_f64 v[122:123], -v[62:63], v[0:1], v[122:123]
.LBB116_505:
	s_or_b32 exec_lo, exec_lo, s0
	v_lshl_add_u32 v0, v133, 3, v130
	s_barrier
	buffer_gl0_inv
	v_mov_b32_e32 v124, 30
	ds_write_b64 v0, v[60:61]
	s_waitcnt lgkmcnt(0)
	s_barrier
	buffer_gl0_inv
	ds_read_b64 v[0:1], v130 offset:240
	s_cmp_lt_i32 s7, 32
	s_cbranch_scc1 .LBB116_508
; %bb.506:
	v_add3_u32 v125, v131, 0, 0xf8
	v_mov_b32_e32 v124, 30
	s_mov_b32 s0, 31
.LBB116_507:                            ; =>This Inner Loop Header: Depth=1
	ds_read_b64 v[134:135], v125
	v_add_nc_u32_e32 v125, 8, v125
	s_waitcnt lgkmcnt(0)
	v_cmp_lt_f64_e64 vcc_lo, |v[0:1]|, |v[134:135]|
	v_cndmask_b32_e32 v1, v1, v135, vcc_lo
	v_cndmask_b32_e32 v0, v0, v134, vcc_lo
	v_cndmask_b32_e64 v124, v124, s0, vcc_lo
	s_add_i32 s0, s0, 1
	s_cmp_lg_u32 s7, s0
	s_cbranch_scc1 .LBB116_507
.LBB116_508:
	s_mov_b32 s0, exec_lo
	s_waitcnt lgkmcnt(0)
	v_cmpx_eq_f64_e32 0, v[0:1]
	s_xor_b32 s0, exec_lo, s0
; %bb.509:
	v_cmp_ne_u32_e32 vcc_lo, 0, v127
	v_cndmask_b32_e32 v127, 31, v127, vcc_lo
; %bb.510:
	s_andn2_saveexec_b32 s0, s0
	s_cbranch_execz .LBB116_512
; %bb.511:
	v_div_scale_f64 v[125:126], null, v[0:1], v[0:1], 1.0
	v_rcp_f64_e32 v[134:135], v[125:126]
	v_fma_f64 v[136:137], -v[125:126], v[134:135], 1.0
	v_fma_f64 v[134:135], v[134:135], v[136:137], v[134:135]
	v_fma_f64 v[136:137], -v[125:126], v[134:135], 1.0
	v_fma_f64 v[134:135], v[134:135], v[136:137], v[134:135]
	v_div_scale_f64 v[136:137], vcc_lo, 1.0, v[0:1], 1.0
	v_mul_f64 v[138:139], v[136:137], v[134:135]
	v_fma_f64 v[125:126], -v[125:126], v[138:139], v[136:137]
	v_div_fmas_f64 v[125:126], v[125:126], v[134:135], v[138:139]
	v_div_fixup_f64 v[0:1], v[125:126], v[0:1], 1.0
.LBB116_512:
	s_or_b32 exec_lo, exec_lo, s0
	s_mov_b32 s0, exec_lo
	v_cmpx_ne_u32_e64 v133, v124
	s_xor_b32 s0, exec_lo, s0
	s_cbranch_execz .LBB116_518
; %bb.513:
	s_mov_b32 s1, exec_lo
	v_cmpx_eq_u32_e32 30, v133
	s_cbranch_execz .LBB116_517
; %bb.514:
	v_cmp_ne_u32_e32 vcc_lo, 30, v124
	s_xor_b32 s2, s6, -1
	s_and_b32 s3, s2, vcc_lo
	s_and_saveexec_b32 s2, s3
	s_cbranch_execz .LBB116_516
; %bb.515:
	v_ashrrev_i32_e32 v125, 31, v124
	v_lshlrev_b64 v[125:126], 2, v[124:125]
	v_add_co_u32 v125, vcc_lo, v4, v125
	v_add_co_ci_u32_e64 v126, null, v5, v126, vcc_lo
	s_clause 0x1
	global_load_dword v132, v[125:126], off
	global_load_dword v133, v[4:5], off offset:120
	s_waitcnt vmcnt(1)
	global_store_dword v[4:5], v132, off offset:120
	s_waitcnt vmcnt(0)
	global_store_dword v[125:126], v133, off
.LBB116_516:
	s_or_b32 exec_lo, exec_lo, s2
	v_mov_b32_e32 v132, v124
	v_mov_b32_e32 v133, v124
.LBB116_517:
	s_or_b32 exec_lo, exec_lo, s1
.LBB116_518:
	s_andn2_saveexec_b32 s0, s0
	s_cbranch_execz .LBB116_520
; %bb.519:
	v_mov_b32_e32 v133, 30
	ds_write2_b64 v130, v[58:59], v[56:57] offset0:31 offset1:32
	ds_write2_b64 v130, v[54:55], v[52:53] offset0:33 offset1:34
	;; [unrolled: 1-line block ×14, first 2 shown]
.LBB116_520:
	s_or_b32 exec_lo, exec_lo, s0
	s_mov_b32 s0, exec_lo
	s_waitcnt lgkmcnt(0)
	s_waitcnt_vscnt null, 0x0
	s_barrier
	buffer_gl0_inv
	v_cmpx_lt_i32_e32 30, v133
	s_cbranch_execz .LBB116_522
; %bb.521:
	v_mul_f64 v[60:61], v[0:1], v[60:61]
	ds_read2_b64 v[134:137], v130 offset0:31 offset1:32
	ds_read2_b64 v[138:141], v130 offset0:33 offset1:34
	;; [unrolled: 1-line block ×14, first 2 shown]
	s_waitcnt lgkmcnt(13)
	v_fma_f64 v[58:59], -v[60:61], v[134:135], v[58:59]
	v_fma_f64 v[56:57], -v[60:61], v[136:137], v[56:57]
	s_waitcnt lgkmcnt(12)
	v_fma_f64 v[54:55], -v[60:61], v[138:139], v[54:55]
	v_fma_f64 v[52:53], -v[60:61], v[140:141], v[52:53]
	;; [unrolled: 3-line block ×14, first 2 shown]
.LBB116_522:
	s_or_b32 exec_lo, exec_lo, s0
	v_lshl_add_u32 v0, v133, 3, v130
	s_barrier
	buffer_gl0_inv
	v_mov_b32_e32 v124, 31
	ds_write_b64 v0, v[58:59]
	s_waitcnt lgkmcnt(0)
	s_barrier
	buffer_gl0_inv
	ds_read_b64 v[0:1], v130 offset:248
	s_cmp_lt_i32 s7, 33
	s_cbranch_scc1 .LBB116_525
; %bb.523:
	v_add3_u32 v125, v131, 0, 0x100
	v_mov_b32_e32 v124, 31
	s_mov_b32 s0, 32
.LBB116_524:                            ; =>This Inner Loop Header: Depth=1
	ds_read_b64 v[134:135], v125
	v_add_nc_u32_e32 v125, 8, v125
	s_waitcnt lgkmcnt(0)
	v_cmp_lt_f64_e64 vcc_lo, |v[0:1]|, |v[134:135]|
	v_cndmask_b32_e32 v1, v1, v135, vcc_lo
	v_cndmask_b32_e32 v0, v0, v134, vcc_lo
	v_cndmask_b32_e64 v124, v124, s0, vcc_lo
	s_add_i32 s0, s0, 1
	s_cmp_lg_u32 s7, s0
	s_cbranch_scc1 .LBB116_524
.LBB116_525:
	s_mov_b32 s0, exec_lo
	s_waitcnt lgkmcnt(0)
	v_cmpx_eq_f64_e32 0, v[0:1]
	s_xor_b32 s0, exec_lo, s0
; %bb.526:
	v_cmp_ne_u32_e32 vcc_lo, 0, v127
	v_cndmask_b32_e32 v127, 32, v127, vcc_lo
; %bb.527:
	s_andn2_saveexec_b32 s0, s0
	s_cbranch_execz .LBB116_529
; %bb.528:
	v_div_scale_f64 v[125:126], null, v[0:1], v[0:1], 1.0
	v_rcp_f64_e32 v[134:135], v[125:126]
	v_fma_f64 v[136:137], -v[125:126], v[134:135], 1.0
	v_fma_f64 v[134:135], v[134:135], v[136:137], v[134:135]
	v_fma_f64 v[136:137], -v[125:126], v[134:135], 1.0
	v_fma_f64 v[134:135], v[134:135], v[136:137], v[134:135]
	v_div_scale_f64 v[136:137], vcc_lo, 1.0, v[0:1], 1.0
	v_mul_f64 v[138:139], v[136:137], v[134:135]
	v_fma_f64 v[125:126], -v[125:126], v[138:139], v[136:137]
	v_div_fmas_f64 v[125:126], v[125:126], v[134:135], v[138:139]
	v_div_fixup_f64 v[0:1], v[125:126], v[0:1], 1.0
.LBB116_529:
	s_or_b32 exec_lo, exec_lo, s0
	s_mov_b32 s0, exec_lo
	v_cmpx_ne_u32_e64 v133, v124
	s_xor_b32 s0, exec_lo, s0
	s_cbranch_execz .LBB116_535
; %bb.530:
	s_mov_b32 s1, exec_lo
	v_cmpx_eq_u32_e32 31, v133
	s_cbranch_execz .LBB116_534
; %bb.531:
	v_cmp_ne_u32_e32 vcc_lo, 31, v124
	s_xor_b32 s2, s6, -1
	s_and_b32 s3, s2, vcc_lo
	s_and_saveexec_b32 s2, s3
	s_cbranch_execz .LBB116_533
; %bb.532:
	v_ashrrev_i32_e32 v125, 31, v124
	v_lshlrev_b64 v[125:126], 2, v[124:125]
	v_add_co_u32 v125, vcc_lo, v4, v125
	v_add_co_ci_u32_e64 v126, null, v5, v126, vcc_lo
	s_clause 0x1
	global_load_dword v132, v[125:126], off
	global_load_dword v133, v[4:5], off offset:124
	s_waitcnt vmcnt(1)
	global_store_dword v[4:5], v132, off offset:124
	s_waitcnt vmcnt(0)
	global_store_dword v[125:126], v133, off
.LBB116_533:
	s_or_b32 exec_lo, exec_lo, s2
	v_mov_b32_e32 v132, v124
	v_mov_b32_e32 v133, v124
.LBB116_534:
	s_or_b32 exec_lo, exec_lo, s1
.LBB116_535:
	s_andn2_saveexec_b32 s0, s0
	s_cbranch_execz .LBB116_537
; %bb.536:
	v_mov_b32_e32 v124, v56
	v_mov_b32_e32 v125, v57
	v_mov_b32_e32 v133, v54
	v_mov_b32_e32 v134, v55
	v_mov_b32_e32 v135, v52
	v_mov_b32_e32 v136, v53
	v_mov_b32_e32 v137, v48
	v_mov_b32_e32 v138, v49
	v_mov_b32_e32 v139, v50
	v_mov_b32_e32 v140, v51
	v_mov_b32_e32 v141, v44
	v_mov_b32_e32 v142, v45
	v_mov_b32_e32 v143, v46
	v_mov_b32_e32 v144, v47
	v_mov_b32_e32 v145, v42
	v_mov_b32_e32 v146, v43
	ds_write2_b64 v130, v[124:125], v[133:134] offset0:32 offset1:33
	ds_write2_b64 v130, v[135:136], v[137:138] offset0:34 offset1:35
	;; [unrolled: 1-line block ×4, first 2 shown]
	v_mov_b32_e32 v124, v40
	v_mov_b32_e32 v125, v41
	;; [unrolled: 1-line block ×20, first 2 shown]
	ds_write2_b64 v130, v[124:125], v[133:134] offset0:40 offset1:41
	ds_write2_b64 v130, v[135:136], v[137:138] offset0:42 offset1:43
	;; [unrolled: 1-line block ×5, first 2 shown]
	v_mov_b32_e32 v124, v20
	v_mov_b32_e32 v125, v21
	;; [unrolled: 1-line block ×8, first 2 shown]
	ds_write2_b64 v130, v[124:125], v[133:134] offset0:50 offset1:51
	v_mov_b32_e32 v133, 31
	v_mov_b32_e32 v139, v12
	;; [unrolled: 1-line block ×9, first 2 shown]
	ds_write2_b64 v130, v[135:136], v[137:138] offset0:52 offset1:53
	ds_write2_b64 v130, v[139:140], v[141:142] offset0:54 offset1:55
	;; [unrolled: 1-line block ×3, first 2 shown]
	ds_write_b64 v130, v[122:123] offset:464
.LBB116_537:
	s_or_b32 exec_lo, exec_lo, s0
	s_mov_b32 s0, exec_lo
	s_waitcnt lgkmcnt(0)
	s_waitcnt_vscnt null, 0x0
	s_barrier
	buffer_gl0_inv
	v_cmpx_lt_i32_e32 31, v133
	s_cbranch_execz .LBB116_539
; %bb.538:
	v_mul_f64 v[58:59], v[0:1], v[58:59]
	ds_read2_b64 v[134:137], v130 offset0:32 offset1:33
	ds_read2_b64 v[138:141], v130 offset0:34 offset1:35
	;; [unrolled: 1-line block ×13, first 2 shown]
	ds_read_b64 v[0:1], v130 offset:464
	s_waitcnt lgkmcnt(13)
	v_fma_f64 v[56:57], -v[58:59], v[134:135], v[56:57]
	v_fma_f64 v[54:55], -v[58:59], v[136:137], v[54:55]
	s_waitcnt lgkmcnt(12)
	v_fma_f64 v[52:53], -v[58:59], v[138:139], v[52:53]
	v_fma_f64 v[48:49], -v[58:59], v[140:141], v[48:49]
	s_waitcnt lgkmcnt(11)
	v_fma_f64 v[50:51], -v[58:59], v[142:143], v[50:51]
	v_fma_f64 v[44:45], -v[58:59], v[144:145], v[44:45]
	s_waitcnt lgkmcnt(10)
	v_fma_f64 v[46:47], -v[58:59], v[146:147], v[46:47]
	v_fma_f64 v[42:43], -v[58:59], v[148:149], v[42:43]
	s_waitcnt lgkmcnt(9)
	v_fma_f64 v[40:41], -v[58:59], v[150:151], v[40:41]
	v_fma_f64 v[38:39], -v[58:59], v[152:153], v[38:39]
	s_waitcnt lgkmcnt(8)
	v_fma_f64 v[36:37], -v[58:59], v[154:155], v[36:37]
	v_fma_f64 v[34:35], -v[58:59], v[156:157], v[34:35]
	s_waitcnt lgkmcnt(7)
	v_fma_f64 v[32:33], -v[58:59], v[158:159], v[32:33]
	v_fma_f64 v[28:29], -v[58:59], v[160:161], v[28:29]
	s_waitcnt lgkmcnt(6)
	v_fma_f64 v[30:31], -v[58:59], v[162:163], v[30:31]
	v_fma_f64 v[24:25], -v[58:59], v[164:165], v[24:25]
	s_waitcnt lgkmcnt(5)
	v_fma_f64 v[26:27], -v[58:59], v[166:167], v[26:27]
	v_fma_f64 v[22:23], -v[58:59], v[168:169], v[22:23]
	s_waitcnt lgkmcnt(4)
	v_fma_f64 v[20:21], -v[58:59], v[170:171], v[20:21]
	v_fma_f64 v[18:19], -v[58:59], v[172:173], v[18:19]
	s_waitcnt lgkmcnt(3)
	v_fma_f64 v[16:17], -v[58:59], v[174:175], v[16:17]
	v_fma_f64 v[14:15], -v[58:59], v[176:177], v[14:15]
	s_waitcnt lgkmcnt(2)
	v_fma_f64 v[12:13], -v[58:59], v[178:179], v[12:13]
	v_fma_f64 v[8:9], -v[58:59], v[180:181], v[8:9]
	s_waitcnt lgkmcnt(1)
	v_fma_f64 v[10:11], -v[58:59], v[182:183], v[10:11]
	v_fma_f64 v[6:7], -v[58:59], v[184:185], v[6:7]
	s_waitcnt lgkmcnt(0)
	v_fma_f64 v[122:123], -v[58:59], v[0:1], v[122:123]
.LBB116_539:
	s_or_b32 exec_lo, exec_lo, s0
	v_lshl_add_u32 v0, v133, 3, v130
	s_barrier
	buffer_gl0_inv
	v_mov_b32_e32 v124, 32
	ds_write_b64 v0, v[56:57]
	s_waitcnt lgkmcnt(0)
	s_barrier
	buffer_gl0_inv
	ds_read_b64 v[0:1], v130 offset:256
	s_cmp_lt_i32 s7, 34
	s_cbranch_scc1 .LBB116_542
; %bb.540:
	v_add3_u32 v125, v131, 0, 0x108
	v_mov_b32_e32 v124, 32
	s_mov_b32 s0, 33
.LBB116_541:                            ; =>This Inner Loop Header: Depth=1
	ds_read_b64 v[134:135], v125
	v_add_nc_u32_e32 v125, 8, v125
	s_waitcnt lgkmcnt(0)
	v_cmp_lt_f64_e64 vcc_lo, |v[0:1]|, |v[134:135]|
	v_cndmask_b32_e32 v1, v1, v135, vcc_lo
	v_cndmask_b32_e32 v0, v0, v134, vcc_lo
	v_cndmask_b32_e64 v124, v124, s0, vcc_lo
	s_add_i32 s0, s0, 1
	s_cmp_lg_u32 s7, s0
	s_cbranch_scc1 .LBB116_541
.LBB116_542:
	s_mov_b32 s0, exec_lo
	s_waitcnt lgkmcnt(0)
	v_cmpx_eq_f64_e32 0, v[0:1]
	s_xor_b32 s0, exec_lo, s0
; %bb.543:
	v_cmp_ne_u32_e32 vcc_lo, 0, v127
	v_cndmask_b32_e32 v127, 33, v127, vcc_lo
; %bb.544:
	s_andn2_saveexec_b32 s0, s0
	s_cbranch_execz .LBB116_546
; %bb.545:
	v_div_scale_f64 v[125:126], null, v[0:1], v[0:1], 1.0
	v_rcp_f64_e32 v[134:135], v[125:126]
	v_fma_f64 v[136:137], -v[125:126], v[134:135], 1.0
	v_fma_f64 v[134:135], v[134:135], v[136:137], v[134:135]
	v_fma_f64 v[136:137], -v[125:126], v[134:135], 1.0
	v_fma_f64 v[134:135], v[134:135], v[136:137], v[134:135]
	v_div_scale_f64 v[136:137], vcc_lo, 1.0, v[0:1], 1.0
	v_mul_f64 v[138:139], v[136:137], v[134:135]
	v_fma_f64 v[125:126], -v[125:126], v[138:139], v[136:137]
	v_div_fmas_f64 v[125:126], v[125:126], v[134:135], v[138:139]
	v_div_fixup_f64 v[0:1], v[125:126], v[0:1], 1.0
.LBB116_546:
	s_or_b32 exec_lo, exec_lo, s0
	s_mov_b32 s0, exec_lo
	v_cmpx_ne_u32_e64 v133, v124
	s_xor_b32 s0, exec_lo, s0
	s_cbranch_execz .LBB116_552
; %bb.547:
	s_mov_b32 s1, exec_lo
	v_cmpx_eq_u32_e32 32, v133
	s_cbranch_execz .LBB116_551
; %bb.548:
	v_cmp_ne_u32_e32 vcc_lo, 32, v124
	s_xor_b32 s2, s6, -1
	s_and_b32 s3, s2, vcc_lo
	s_and_saveexec_b32 s2, s3
	s_cbranch_execz .LBB116_550
; %bb.549:
	v_ashrrev_i32_e32 v125, 31, v124
	v_lshlrev_b64 v[125:126], 2, v[124:125]
	v_add_co_u32 v125, vcc_lo, v4, v125
	v_add_co_ci_u32_e64 v126, null, v5, v126, vcc_lo
	s_clause 0x1
	global_load_dword v132, v[125:126], off
	global_load_dword v133, v[4:5], off offset:128
	s_waitcnt vmcnt(1)
	global_store_dword v[4:5], v132, off offset:128
	s_waitcnt vmcnt(0)
	global_store_dword v[125:126], v133, off
.LBB116_550:
	s_or_b32 exec_lo, exec_lo, s2
	v_mov_b32_e32 v132, v124
	v_mov_b32_e32 v133, v124
.LBB116_551:
	s_or_b32 exec_lo, exec_lo, s1
.LBB116_552:
	s_andn2_saveexec_b32 s0, s0
	s_cbranch_execz .LBB116_554
; %bb.553:
	v_mov_b32_e32 v133, 32
	ds_write2_b64 v130, v[54:55], v[52:53] offset0:33 offset1:34
	ds_write2_b64 v130, v[48:49], v[50:51] offset0:35 offset1:36
	;; [unrolled: 1-line block ×13, first 2 shown]
.LBB116_554:
	s_or_b32 exec_lo, exec_lo, s0
	s_mov_b32 s0, exec_lo
	s_waitcnt lgkmcnt(0)
	s_waitcnt_vscnt null, 0x0
	s_barrier
	buffer_gl0_inv
	v_cmpx_lt_i32_e32 32, v133
	s_cbranch_execz .LBB116_556
; %bb.555:
	v_mul_f64 v[56:57], v[0:1], v[56:57]
	ds_read2_b64 v[134:137], v130 offset0:33 offset1:34
	ds_read2_b64 v[138:141], v130 offset0:35 offset1:36
	;; [unrolled: 1-line block ×13, first 2 shown]
	s_waitcnt lgkmcnt(12)
	v_fma_f64 v[54:55], -v[56:57], v[134:135], v[54:55]
	v_fma_f64 v[52:53], -v[56:57], v[136:137], v[52:53]
	s_waitcnt lgkmcnt(11)
	v_fma_f64 v[48:49], -v[56:57], v[138:139], v[48:49]
	v_fma_f64 v[50:51], -v[56:57], v[140:141], v[50:51]
	;; [unrolled: 3-line block ×13, first 2 shown]
.LBB116_556:
	s_or_b32 exec_lo, exec_lo, s0
	v_lshl_add_u32 v0, v133, 3, v130
	s_barrier
	buffer_gl0_inv
	v_mov_b32_e32 v124, 33
	ds_write_b64 v0, v[54:55]
	s_waitcnt lgkmcnt(0)
	s_barrier
	buffer_gl0_inv
	ds_read_b64 v[0:1], v130 offset:264
	s_cmp_lt_i32 s7, 35
	s_cbranch_scc1 .LBB116_559
; %bb.557:
	v_add3_u32 v125, v131, 0, 0x110
	v_mov_b32_e32 v124, 33
	s_mov_b32 s0, 34
.LBB116_558:                            ; =>This Inner Loop Header: Depth=1
	ds_read_b64 v[134:135], v125
	v_add_nc_u32_e32 v125, 8, v125
	s_waitcnt lgkmcnt(0)
	v_cmp_lt_f64_e64 vcc_lo, |v[0:1]|, |v[134:135]|
	v_cndmask_b32_e32 v1, v1, v135, vcc_lo
	v_cndmask_b32_e32 v0, v0, v134, vcc_lo
	v_cndmask_b32_e64 v124, v124, s0, vcc_lo
	s_add_i32 s0, s0, 1
	s_cmp_lg_u32 s7, s0
	s_cbranch_scc1 .LBB116_558
.LBB116_559:
	s_mov_b32 s0, exec_lo
	s_waitcnt lgkmcnt(0)
	v_cmpx_eq_f64_e32 0, v[0:1]
	s_xor_b32 s0, exec_lo, s0
; %bb.560:
	v_cmp_ne_u32_e32 vcc_lo, 0, v127
	v_cndmask_b32_e32 v127, 34, v127, vcc_lo
; %bb.561:
	s_andn2_saveexec_b32 s0, s0
	s_cbranch_execz .LBB116_563
; %bb.562:
	v_div_scale_f64 v[125:126], null, v[0:1], v[0:1], 1.0
	v_rcp_f64_e32 v[134:135], v[125:126]
	v_fma_f64 v[136:137], -v[125:126], v[134:135], 1.0
	v_fma_f64 v[134:135], v[134:135], v[136:137], v[134:135]
	v_fma_f64 v[136:137], -v[125:126], v[134:135], 1.0
	v_fma_f64 v[134:135], v[134:135], v[136:137], v[134:135]
	v_div_scale_f64 v[136:137], vcc_lo, 1.0, v[0:1], 1.0
	v_mul_f64 v[138:139], v[136:137], v[134:135]
	v_fma_f64 v[125:126], -v[125:126], v[138:139], v[136:137]
	v_div_fmas_f64 v[125:126], v[125:126], v[134:135], v[138:139]
	v_div_fixup_f64 v[0:1], v[125:126], v[0:1], 1.0
.LBB116_563:
	s_or_b32 exec_lo, exec_lo, s0
	s_mov_b32 s0, exec_lo
	v_cmpx_ne_u32_e64 v133, v124
	s_xor_b32 s0, exec_lo, s0
	s_cbranch_execz .LBB116_569
; %bb.564:
	s_mov_b32 s1, exec_lo
	v_cmpx_eq_u32_e32 33, v133
	s_cbranch_execz .LBB116_568
; %bb.565:
	v_cmp_ne_u32_e32 vcc_lo, 33, v124
	s_xor_b32 s2, s6, -1
	s_and_b32 s3, s2, vcc_lo
	s_and_saveexec_b32 s2, s3
	s_cbranch_execz .LBB116_567
; %bb.566:
	v_ashrrev_i32_e32 v125, 31, v124
	v_lshlrev_b64 v[125:126], 2, v[124:125]
	v_add_co_u32 v125, vcc_lo, v4, v125
	v_add_co_ci_u32_e64 v126, null, v5, v126, vcc_lo
	s_clause 0x1
	global_load_dword v132, v[125:126], off
	global_load_dword v133, v[4:5], off offset:132
	s_waitcnt vmcnt(1)
	global_store_dword v[4:5], v132, off offset:132
	s_waitcnt vmcnt(0)
	global_store_dword v[125:126], v133, off
.LBB116_567:
	s_or_b32 exec_lo, exec_lo, s2
	v_mov_b32_e32 v132, v124
	v_mov_b32_e32 v133, v124
.LBB116_568:
	s_or_b32 exec_lo, exec_lo, s1
.LBB116_569:
	s_andn2_saveexec_b32 s0, s0
	s_cbranch_execz .LBB116_571
; %bb.570:
	v_mov_b32_e32 v124, v52
	v_mov_b32_e32 v125, v53
	;; [unrolled: 1-line block ×12, first 2 shown]
	ds_write2_b64 v130, v[124:125], v[133:134] offset0:34 offset1:35
	ds_write2_b64 v130, v[135:136], v[137:138] offset0:36 offset1:37
	;; [unrolled: 1-line block ×3, first 2 shown]
	v_mov_b32_e32 v124, v40
	v_mov_b32_e32 v125, v41
	;; [unrolled: 1-line block ×20, first 2 shown]
	ds_write2_b64 v130, v[124:125], v[133:134] offset0:40 offset1:41
	ds_write2_b64 v130, v[135:136], v[137:138] offset0:42 offset1:43
	;; [unrolled: 1-line block ×5, first 2 shown]
	v_mov_b32_e32 v124, v20
	v_mov_b32_e32 v125, v21
	;; [unrolled: 1-line block ×8, first 2 shown]
	ds_write2_b64 v130, v[124:125], v[133:134] offset0:50 offset1:51
	v_mov_b32_e32 v133, 33
	v_mov_b32_e32 v139, v12
	;; [unrolled: 1-line block ×9, first 2 shown]
	ds_write2_b64 v130, v[135:136], v[137:138] offset0:52 offset1:53
	ds_write2_b64 v130, v[139:140], v[141:142] offset0:54 offset1:55
	;; [unrolled: 1-line block ×3, first 2 shown]
	ds_write_b64 v130, v[122:123] offset:464
.LBB116_571:
	s_or_b32 exec_lo, exec_lo, s0
	s_mov_b32 s0, exec_lo
	s_waitcnt lgkmcnt(0)
	s_waitcnt_vscnt null, 0x0
	s_barrier
	buffer_gl0_inv
	v_cmpx_lt_i32_e32 33, v133
	s_cbranch_execz .LBB116_573
; %bb.572:
	v_mul_f64 v[54:55], v[0:1], v[54:55]
	ds_read2_b64 v[134:137], v130 offset0:34 offset1:35
	ds_read2_b64 v[138:141], v130 offset0:36 offset1:37
	;; [unrolled: 1-line block ×12, first 2 shown]
	ds_read_b64 v[0:1], v130 offset:464
	s_waitcnt lgkmcnt(12)
	v_fma_f64 v[52:53], -v[54:55], v[134:135], v[52:53]
	v_fma_f64 v[48:49], -v[54:55], v[136:137], v[48:49]
	s_waitcnt lgkmcnt(11)
	v_fma_f64 v[50:51], -v[54:55], v[138:139], v[50:51]
	v_fma_f64 v[44:45], -v[54:55], v[140:141], v[44:45]
	;; [unrolled: 3-line block ×12, first 2 shown]
	s_waitcnt lgkmcnt(0)
	v_fma_f64 v[122:123], -v[54:55], v[0:1], v[122:123]
.LBB116_573:
	s_or_b32 exec_lo, exec_lo, s0
	v_lshl_add_u32 v0, v133, 3, v130
	s_barrier
	buffer_gl0_inv
	v_mov_b32_e32 v124, 34
	ds_write_b64 v0, v[52:53]
	s_waitcnt lgkmcnt(0)
	s_barrier
	buffer_gl0_inv
	ds_read_b64 v[0:1], v130 offset:272
	s_cmp_lt_i32 s7, 36
	s_cbranch_scc1 .LBB116_576
; %bb.574:
	v_add3_u32 v125, v131, 0, 0x118
	v_mov_b32_e32 v124, 34
	s_mov_b32 s0, 35
.LBB116_575:                            ; =>This Inner Loop Header: Depth=1
	ds_read_b64 v[134:135], v125
	v_add_nc_u32_e32 v125, 8, v125
	s_waitcnt lgkmcnt(0)
	v_cmp_lt_f64_e64 vcc_lo, |v[0:1]|, |v[134:135]|
	v_cndmask_b32_e32 v1, v1, v135, vcc_lo
	v_cndmask_b32_e32 v0, v0, v134, vcc_lo
	v_cndmask_b32_e64 v124, v124, s0, vcc_lo
	s_add_i32 s0, s0, 1
	s_cmp_lg_u32 s7, s0
	s_cbranch_scc1 .LBB116_575
.LBB116_576:
	s_mov_b32 s0, exec_lo
	s_waitcnt lgkmcnt(0)
	v_cmpx_eq_f64_e32 0, v[0:1]
	s_xor_b32 s0, exec_lo, s0
; %bb.577:
	v_cmp_ne_u32_e32 vcc_lo, 0, v127
	v_cndmask_b32_e32 v127, 35, v127, vcc_lo
; %bb.578:
	s_andn2_saveexec_b32 s0, s0
	s_cbranch_execz .LBB116_580
; %bb.579:
	v_div_scale_f64 v[125:126], null, v[0:1], v[0:1], 1.0
	v_rcp_f64_e32 v[134:135], v[125:126]
	v_fma_f64 v[136:137], -v[125:126], v[134:135], 1.0
	v_fma_f64 v[134:135], v[134:135], v[136:137], v[134:135]
	v_fma_f64 v[136:137], -v[125:126], v[134:135], 1.0
	v_fma_f64 v[134:135], v[134:135], v[136:137], v[134:135]
	v_div_scale_f64 v[136:137], vcc_lo, 1.0, v[0:1], 1.0
	v_mul_f64 v[138:139], v[136:137], v[134:135]
	v_fma_f64 v[125:126], -v[125:126], v[138:139], v[136:137]
	v_div_fmas_f64 v[125:126], v[125:126], v[134:135], v[138:139]
	v_div_fixup_f64 v[0:1], v[125:126], v[0:1], 1.0
.LBB116_580:
	s_or_b32 exec_lo, exec_lo, s0
	s_mov_b32 s0, exec_lo
	v_cmpx_ne_u32_e64 v133, v124
	s_xor_b32 s0, exec_lo, s0
	s_cbranch_execz .LBB116_586
; %bb.581:
	s_mov_b32 s1, exec_lo
	v_cmpx_eq_u32_e32 34, v133
	s_cbranch_execz .LBB116_585
; %bb.582:
	v_cmp_ne_u32_e32 vcc_lo, 34, v124
	s_xor_b32 s2, s6, -1
	s_and_b32 s3, s2, vcc_lo
	s_and_saveexec_b32 s2, s3
	s_cbranch_execz .LBB116_584
; %bb.583:
	v_ashrrev_i32_e32 v125, 31, v124
	v_lshlrev_b64 v[125:126], 2, v[124:125]
	v_add_co_u32 v125, vcc_lo, v4, v125
	v_add_co_ci_u32_e64 v126, null, v5, v126, vcc_lo
	s_clause 0x1
	global_load_dword v132, v[125:126], off
	global_load_dword v133, v[4:5], off offset:136
	s_waitcnt vmcnt(1)
	global_store_dword v[4:5], v132, off offset:136
	s_waitcnt vmcnt(0)
	global_store_dword v[125:126], v133, off
.LBB116_584:
	s_or_b32 exec_lo, exec_lo, s2
	v_mov_b32_e32 v132, v124
	v_mov_b32_e32 v133, v124
.LBB116_585:
	s_or_b32 exec_lo, exec_lo, s1
.LBB116_586:
	s_andn2_saveexec_b32 s0, s0
	s_cbranch_execz .LBB116_588
; %bb.587:
	v_mov_b32_e32 v133, 34
	ds_write2_b64 v130, v[48:49], v[50:51] offset0:35 offset1:36
	ds_write2_b64 v130, v[44:45], v[46:47] offset0:37 offset1:38
	;; [unrolled: 1-line block ×12, first 2 shown]
.LBB116_588:
	s_or_b32 exec_lo, exec_lo, s0
	s_mov_b32 s0, exec_lo
	s_waitcnt lgkmcnt(0)
	s_waitcnt_vscnt null, 0x0
	s_barrier
	buffer_gl0_inv
	v_cmpx_lt_i32_e32 34, v133
	s_cbranch_execz .LBB116_590
; %bb.589:
	v_mul_f64 v[52:53], v[0:1], v[52:53]
	ds_read2_b64 v[134:137], v130 offset0:35 offset1:36
	ds_read2_b64 v[138:141], v130 offset0:37 offset1:38
	ds_read2_b64 v[142:145], v130 offset0:39 offset1:40
	ds_read2_b64 v[146:149], v130 offset0:41 offset1:42
	ds_read2_b64 v[150:153], v130 offset0:43 offset1:44
	ds_read2_b64 v[154:157], v130 offset0:45 offset1:46
	ds_read2_b64 v[158:161], v130 offset0:47 offset1:48
	ds_read2_b64 v[162:165], v130 offset0:49 offset1:50
	ds_read2_b64 v[166:169], v130 offset0:51 offset1:52
	ds_read2_b64 v[170:173], v130 offset0:53 offset1:54
	ds_read2_b64 v[174:177], v130 offset0:55 offset1:56
	ds_read2_b64 v[178:181], v130 offset0:57 offset1:58
	s_waitcnt lgkmcnt(11)
	v_fma_f64 v[48:49], -v[52:53], v[134:135], v[48:49]
	v_fma_f64 v[50:51], -v[52:53], v[136:137], v[50:51]
	s_waitcnt lgkmcnt(10)
	v_fma_f64 v[44:45], -v[52:53], v[138:139], v[44:45]
	v_fma_f64 v[46:47], -v[52:53], v[140:141], v[46:47]
	;; [unrolled: 3-line block ×12, first 2 shown]
.LBB116_590:
	s_or_b32 exec_lo, exec_lo, s0
	v_lshl_add_u32 v0, v133, 3, v130
	s_barrier
	buffer_gl0_inv
	v_mov_b32_e32 v124, 35
	ds_write_b64 v0, v[48:49]
	s_waitcnt lgkmcnt(0)
	s_barrier
	buffer_gl0_inv
	ds_read_b64 v[0:1], v130 offset:280
	s_cmp_lt_i32 s7, 37
	s_cbranch_scc1 .LBB116_593
; %bb.591:
	v_add3_u32 v125, v131, 0, 0x120
	v_mov_b32_e32 v124, 35
	s_mov_b32 s0, 36
.LBB116_592:                            ; =>This Inner Loop Header: Depth=1
	ds_read_b64 v[134:135], v125
	v_add_nc_u32_e32 v125, 8, v125
	s_waitcnt lgkmcnt(0)
	v_cmp_lt_f64_e64 vcc_lo, |v[0:1]|, |v[134:135]|
	v_cndmask_b32_e32 v1, v1, v135, vcc_lo
	v_cndmask_b32_e32 v0, v0, v134, vcc_lo
	v_cndmask_b32_e64 v124, v124, s0, vcc_lo
	s_add_i32 s0, s0, 1
	s_cmp_lg_u32 s7, s0
	s_cbranch_scc1 .LBB116_592
.LBB116_593:
	s_mov_b32 s0, exec_lo
	s_waitcnt lgkmcnt(0)
	v_cmpx_eq_f64_e32 0, v[0:1]
	s_xor_b32 s0, exec_lo, s0
; %bb.594:
	v_cmp_ne_u32_e32 vcc_lo, 0, v127
	v_cndmask_b32_e32 v127, 36, v127, vcc_lo
; %bb.595:
	s_andn2_saveexec_b32 s0, s0
	s_cbranch_execz .LBB116_597
; %bb.596:
	v_div_scale_f64 v[125:126], null, v[0:1], v[0:1], 1.0
	v_rcp_f64_e32 v[134:135], v[125:126]
	v_fma_f64 v[136:137], -v[125:126], v[134:135], 1.0
	v_fma_f64 v[134:135], v[134:135], v[136:137], v[134:135]
	v_fma_f64 v[136:137], -v[125:126], v[134:135], 1.0
	v_fma_f64 v[134:135], v[134:135], v[136:137], v[134:135]
	v_div_scale_f64 v[136:137], vcc_lo, 1.0, v[0:1], 1.0
	v_mul_f64 v[138:139], v[136:137], v[134:135]
	v_fma_f64 v[125:126], -v[125:126], v[138:139], v[136:137]
	v_div_fmas_f64 v[125:126], v[125:126], v[134:135], v[138:139]
	v_div_fixup_f64 v[0:1], v[125:126], v[0:1], 1.0
.LBB116_597:
	s_or_b32 exec_lo, exec_lo, s0
	s_mov_b32 s0, exec_lo
	v_cmpx_ne_u32_e64 v133, v124
	s_xor_b32 s0, exec_lo, s0
	s_cbranch_execz .LBB116_603
; %bb.598:
	s_mov_b32 s1, exec_lo
	v_cmpx_eq_u32_e32 35, v133
	s_cbranch_execz .LBB116_602
; %bb.599:
	v_cmp_ne_u32_e32 vcc_lo, 35, v124
	s_xor_b32 s2, s6, -1
	s_and_b32 s3, s2, vcc_lo
	s_and_saveexec_b32 s2, s3
	s_cbranch_execz .LBB116_601
; %bb.600:
	v_ashrrev_i32_e32 v125, 31, v124
	v_lshlrev_b64 v[125:126], 2, v[124:125]
	v_add_co_u32 v125, vcc_lo, v4, v125
	v_add_co_ci_u32_e64 v126, null, v5, v126, vcc_lo
	s_clause 0x1
	global_load_dword v132, v[125:126], off
	global_load_dword v133, v[4:5], off offset:140
	s_waitcnt vmcnt(1)
	global_store_dword v[4:5], v132, off offset:140
	s_waitcnt vmcnt(0)
	global_store_dword v[125:126], v133, off
.LBB116_601:
	s_or_b32 exec_lo, exec_lo, s2
	v_mov_b32_e32 v132, v124
	v_mov_b32_e32 v133, v124
.LBB116_602:
	s_or_b32 exec_lo, exec_lo, s1
.LBB116_603:
	s_andn2_saveexec_b32 s0, s0
	s_cbranch_execz .LBB116_605
; %bb.604:
	v_mov_b32_e32 v124, v50
	v_mov_b32_e32 v125, v51
	;; [unrolled: 1-line block ×8, first 2 shown]
	ds_write2_b64 v130, v[124:125], v[133:134] offset0:36 offset1:37
	ds_write2_b64 v130, v[135:136], v[137:138] offset0:38 offset1:39
	v_mov_b32_e32 v124, v40
	v_mov_b32_e32 v125, v41
	;; [unrolled: 1-line block ×20, first 2 shown]
	ds_write2_b64 v130, v[124:125], v[133:134] offset0:40 offset1:41
	ds_write2_b64 v130, v[135:136], v[137:138] offset0:42 offset1:43
	;; [unrolled: 1-line block ×5, first 2 shown]
	v_mov_b32_e32 v124, v20
	v_mov_b32_e32 v125, v21
	;; [unrolled: 1-line block ×8, first 2 shown]
	ds_write2_b64 v130, v[124:125], v[133:134] offset0:50 offset1:51
	v_mov_b32_e32 v133, 35
	v_mov_b32_e32 v139, v12
	;; [unrolled: 1-line block ×9, first 2 shown]
	ds_write2_b64 v130, v[135:136], v[137:138] offset0:52 offset1:53
	ds_write2_b64 v130, v[139:140], v[141:142] offset0:54 offset1:55
	;; [unrolled: 1-line block ×3, first 2 shown]
	ds_write_b64 v130, v[122:123] offset:464
.LBB116_605:
	s_or_b32 exec_lo, exec_lo, s0
	s_mov_b32 s0, exec_lo
	s_waitcnt lgkmcnt(0)
	s_waitcnt_vscnt null, 0x0
	s_barrier
	buffer_gl0_inv
	v_cmpx_lt_i32_e32 35, v133
	s_cbranch_execz .LBB116_607
; %bb.606:
	v_mul_f64 v[48:49], v[0:1], v[48:49]
	ds_read2_b64 v[134:137], v130 offset0:36 offset1:37
	ds_read2_b64 v[138:141], v130 offset0:38 offset1:39
	;; [unrolled: 1-line block ×11, first 2 shown]
	ds_read_b64 v[0:1], v130 offset:464
	s_waitcnt lgkmcnt(11)
	v_fma_f64 v[50:51], -v[48:49], v[134:135], v[50:51]
	v_fma_f64 v[44:45], -v[48:49], v[136:137], v[44:45]
	s_waitcnt lgkmcnt(10)
	v_fma_f64 v[46:47], -v[48:49], v[138:139], v[46:47]
	v_fma_f64 v[42:43], -v[48:49], v[140:141], v[42:43]
	;; [unrolled: 3-line block ×11, first 2 shown]
	s_waitcnt lgkmcnt(0)
	v_fma_f64 v[122:123], -v[48:49], v[0:1], v[122:123]
.LBB116_607:
	s_or_b32 exec_lo, exec_lo, s0
	v_lshl_add_u32 v0, v133, 3, v130
	s_barrier
	buffer_gl0_inv
	v_mov_b32_e32 v124, 36
	ds_write_b64 v0, v[50:51]
	s_waitcnt lgkmcnt(0)
	s_barrier
	buffer_gl0_inv
	ds_read_b64 v[0:1], v130 offset:288
	s_cmp_lt_i32 s7, 38
	s_cbranch_scc1 .LBB116_610
; %bb.608:
	v_add3_u32 v125, v131, 0, 0x128
	v_mov_b32_e32 v124, 36
	s_mov_b32 s0, 37
.LBB116_609:                            ; =>This Inner Loop Header: Depth=1
	ds_read_b64 v[134:135], v125
	v_add_nc_u32_e32 v125, 8, v125
	s_waitcnt lgkmcnt(0)
	v_cmp_lt_f64_e64 vcc_lo, |v[0:1]|, |v[134:135]|
	v_cndmask_b32_e32 v1, v1, v135, vcc_lo
	v_cndmask_b32_e32 v0, v0, v134, vcc_lo
	v_cndmask_b32_e64 v124, v124, s0, vcc_lo
	s_add_i32 s0, s0, 1
	s_cmp_lg_u32 s7, s0
	s_cbranch_scc1 .LBB116_609
.LBB116_610:
	s_mov_b32 s0, exec_lo
	s_waitcnt lgkmcnt(0)
	v_cmpx_eq_f64_e32 0, v[0:1]
	s_xor_b32 s0, exec_lo, s0
; %bb.611:
	v_cmp_ne_u32_e32 vcc_lo, 0, v127
	v_cndmask_b32_e32 v127, 37, v127, vcc_lo
; %bb.612:
	s_andn2_saveexec_b32 s0, s0
	s_cbranch_execz .LBB116_614
; %bb.613:
	v_div_scale_f64 v[125:126], null, v[0:1], v[0:1], 1.0
	v_rcp_f64_e32 v[134:135], v[125:126]
	v_fma_f64 v[136:137], -v[125:126], v[134:135], 1.0
	v_fma_f64 v[134:135], v[134:135], v[136:137], v[134:135]
	v_fma_f64 v[136:137], -v[125:126], v[134:135], 1.0
	v_fma_f64 v[134:135], v[134:135], v[136:137], v[134:135]
	v_div_scale_f64 v[136:137], vcc_lo, 1.0, v[0:1], 1.0
	v_mul_f64 v[138:139], v[136:137], v[134:135]
	v_fma_f64 v[125:126], -v[125:126], v[138:139], v[136:137]
	v_div_fmas_f64 v[125:126], v[125:126], v[134:135], v[138:139]
	v_div_fixup_f64 v[0:1], v[125:126], v[0:1], 1.0
.LBB116_614:
	s_or_b32 exec_lo, exec_lo, s0
	s_mov_b32 s0, exec_lo
	v_cmpx_ne_u32_e64 v133, v124
	s_xor_b32 s0, exec_lo, s0
	s_cbranch_execz .LBB116_620
; %bb.615:
	s_mov_b32 s1, exec_lo
	v_cmpx_eq_u32_e32 36, v133
	s_cbranch_execz .LBB116_619
; %bb.616:
	v_cmp_ne_u32_e32 vcc_lo, 36, v124
	s_xor_b32 s2, s6, -1
	s_and_b32 s3, s2, vcc_lo
	s_and_saveexec_b32 s2, s3
	s_cbranch_execz .LBB116_618
; %bb.617:
	v_ashrrev_i32_e32 v125, 31, v124
	v_lshlrev_b64 v[125:126], 2, v[124:125]
	v_add_co_u32 v125, vcc_lo, v4, v125
	v_add_co_ci_u32_e64 v126, null, v5, v126, vcc_lo
	s_clause 0x1
	global_load_dword v132, v[125:126], off
	global_load_dword v133, v[4:5], off offset:144
	s_waitcnt vmcnt(1)
	global_store_dword v[4:5], v132, off offset:144
	s_waitcnt vmcnt(0)
	global_store_dword v[125:126], v133, off
.LBB116_618:
	s_or_b32 exec_lo, exec_lo, s2
	v_mov_b32_e32 v132, v124
	v_mov_b32_e32 v133, v124
.LBB116_619:
	s_or_b32 exec_lo, exec_lo, s1
.LBB116_620:
	s_andn2_saveexec_b32 s0, s0
	s_cbranch_execz .LBB116_622
; %bb.621:
	v_mov_b32_e32 v133, 36
	ds_write2_b64 v130, v[44:45], v[46:47] offset0:37 offset1:38
	ds_write2_b64 v130, v[42:43], v[40:41] offset0:39 offset1:40
	;; [unrolled: 1-line block ×11, first 2 shown]
.LBB116_622:
	s_or_b32 exec_lo, exec_lo, s0
	s_mov_b32 s0, exec_lo
	s_waitcnt lgkmcnt(0)
	s_waitcnt_vscnt null, 0x0
	s_barrier
	buffer_gl0_inv
	v_cmpx_lt_i32_e32 36, v133
	s_cbranch_execz .LBB116_624
; %bb.623:
	v_mul_f64 v[50:51], v[0:1], v[50:51]
	ds_read2_b64 v[134:137], v130 offset0:37 offset1:38
	ds_read2_b64 v[138:141], v130 offset0:39 offset1:40
	;; [unrolled: 1-line block ×11, first 2 shown]
	s_waitcnt lgkmcnt(10)
	v_fma_f64 v[44:45], -v[50:51], v[134:135], v[44:45]
	v_fma_f64 v[46:47], -v[50:51], v[136:137], v[46:47]
	s_waitcnt lgkmcnt(9)
	v_fma_f64 v[42:43], -v[50:51], v[138:139], v[42:43]
	v_fma_f64 v[40:41], -v[50:51], v[140:141], v[40:41]
	;; [unrolled: 3-line block ×11, first 2 shown]
.LBB116_624:
	s_or_b32 exec_lo, exec_lo, s0
	v_lshl_add_u32 v0, v133, 3, v130
	s_barrier
	buffer_gl0_inv
	v_mov_b32_e32 v124, 37
	ds_write_b64 v0, v[44:45]
	s_waitcnt lgkmcnt(0)
	s_barrier
	buffer_gl0_inv
	ds_read_b64 v[0:1], v130 offset:296
	s_cmp_lt_i32 s7, 39
	s_cbranch_scc1 .LBB116_627
; %bb.625:
	v_add3_u32 v125, v131, 0, 0x130
	v_mov_b32_e32 v124, 37
	s_mov_b32 s0, 38
.LBB116_626:                            ; =>This Inner Loop Header: Depth=1
	ds_read_b64 v[134:135], v125
	v_add_nc_u32_e32 v125, 8, v125
	s_waitcnt lgkmcnt(0)
	v_cmp_lt_f64_e64 vcc_lo, |v[0:1]|, |v[134:135]|
	v_cndmask_b32_e32 v1, v1, v135, vcc_lo
	v_cndmask_b32_e32 v0, v0, v134, vcc_lo
	v_cndmask_b32_e64 v124, v124, s0, vcc_lo
	s_add_i32 s0, s0, 1
	s_cmp_lg_u32 s7, s0
	s_cbranch_scc1 .LBB116_626
.LBB116_627:
	s_mov_b32 s0, exec_lo
	s_waitcnt lgkmcnt(0)
	v_cmpx_eq_f64_e32 0, v[0:1]
	s_xor_b32 s0, exec_lo, s0
; %bb.628:
	v_cmp_ne_u32_e32 vcc_lo, 0, v127
	v_cndmask_b32_e32 v127, 38, v127, vcc_lo
; %bb.629:
	s_andn2_saveexec_b32 s0, s0
	s_cbranch_execz .LBB116_631
; %bb.630:
	v_div_scale_f64 v[125:126], null, v[0:1], v[0:1], 1.0
	v_rcp_f64_e32 v[134:135], v[125:126]
	v_fma_f64 v[136:137], -v[125:126], v[134:135], 1.0
	v_fma_f64 v[134:135], v[134:135], v[136:137], v[134:135]
	v_fma_f64 v[136:137], -v[125:126], v[134:135], 1.0
	v_fma_f64 v[134:135], v[134:135], v[136:137], v[134:135]
	v_div_scale_f64 v[136:137], vcc_lo, 1.0, v[0:1], 1.0
	v_mul_f64 v[138:139], v[136:137], v[134:135]
	v_fma_f64 v[125:126], -v[125:126], v[138:139], v[136:137]
	v_div_fmas_f64 v[125:126], v[125:126], v[134:135], v[138:139]
	v_div_fixup_f64 v[0:1], v[125:126], v[0:1], 1.0
.LBB116_631:
	s_or_b32 exec_lo, exec_lo, s0
	s_mov_b32 s0, exec_lo
	v_cmpx_ne_u32_e64 v133, v124
	s_xor_b32 s0, exec_lo, s0
	s_cbranch_execz .LBB116_637
; %bb.632:
	s_mov_b32 s1, exec_lo
	v_cmpx_eq_u32_e32 37, v133
	s_cbranch_execz .LBB116_636
; %bb.633:
	v_cmp_ne_u32_e32 vcc_lo, 37, v124
	s_xor_b32 s2, s6, -1
	s_and_b32 s3, s2, vcc_lo
	s_and_saveexec_b32 s2, s3
	s_cbranch_execz .LBB116_635
; %bb.634:
	v_ashrrev_i32_e32 v125, 31, v124
	v_lshlrev_b64 v[125:126], 2, v[124:125]
	v_add_co_u32 v125, vcc_lo, v4, v125
	v_add_co_ci_u32_e64 v126, null, v5, v126, vcc_lo
	s_clause 0x1
	global_load_dword v132, v[125:126], off
	global_load_dword v133, v[4:5], off offset:148
	s_waitcnt vmcnt(1)
	global_store_dword v[4:5], v132, off offset:148
	s_waitcnt vmcnt(0)
	global_store_dword v[125:126], v133, off
.LBB116_635:
	s_or_b32 exec_lo, exec_lo, s2
	v_mov_b32_e32 v132, v124
	v_mov_b32_e32 v133, v124
.LBB116_636:
	s_or_b32 exec_lo, exec_lo, s1
.LBB116_637:
	s_andn2_saveexec_b32 s0, s0
	s_cbranch_execz .LBB116_639
; %bb.638:
	v_mov_b32_e32 v124, v46
	v_mov_b32_e32 v125, v47
	;; [unrolled: 1-line block ×8, first 2 shown]
	ds_write2_b64 v130, v[124:125], v[133:134] offset0:38 offset1:39
	v_mov_b32_e32 v124, v38
	v_mov_b32_e32 v125, v39
	;; [unrolled: 1-line block ×16, first 2 shown]
	ds_write2_b64 v130, v[135:136], v[124:125] offset0:40 offset1:41
	ds_write2_b64 v130, v[133:134], v[137:138] offset0:42 offset1:43
	;; [unrolled: 1-line block ×5, first 2 shown]
	v_mov_b32_e32 v124, v20
	v_mov_b32_e32 v125, v21
	;; [unrolled: 1-line block ×8, first 2 shown]
	ds_write2_b64 v130, v[124:125], v[133:134] offset0:50 offset1:51
	v_mov_b32_e32 v133, 37
	v_mov_b32_e32 v139, v12
	;; [unrolled: 1-line block ×9, first 2 shown]
	ds_write2_b64 v130, v[135:136], v[137:138] offset0:52 offset1:53
	ds_write2_b64 v130, v[139:140], v[141:142] offset0:54 offset1:55
	;; [unrolled: 1-line block ×3, first 2 shown]
	ds_write_b64 v130, v[122:123] offset:464
.LBB116_639:
	s_or_b32 exec_lo, exec_lo, s0
	s_mov_b32 s0, exec_lo
	s_waitcnt lgkmcnt(0)
	s_waitcnt_vscnt null, 0x0
	s_barrier
	buffer_gl0_inv
	v_cmpx_lt_i32_e32 37, v133
	s_cbranch_execz .LBB116_641
; %bb.640:
	v_mul_f64 v[44:45], v[0:1], v[44:45]
	ds_read2_b64 v[134:137], v130 offset0:38 offset1:39
	ds_read2_b64 v[138:141], v130 offset0:40 offset1:41
	ds_read2_b64 v[142:145], v130 offset0:42 offset1:43
	ds_read2_b64 v[146:149], v130 offset0:44 offset1:45
	ds_read2_b64 v[150:153], v130 offset0:46 offset1:47
	ds_read2_b64 v[154:157], v130 offset0:48 offset1:49
	ds_read2_b64 v[158:161], v130 offset0:50 offset1:51
	ds_read2_b64 v[162:165], v130 offset0:52 offset1:53
	ds_read2_b64 v[166:169], v130 offset0:54 offset1:55
	ds_read2_b64 v[170:173], v130 offset0:56 offset1:57
	ds_read_b64 v[0:1], v130 offset:464
	s_waitcnt lgkmcnt(10)
	v_fma_f64 v[46:47], -v[44:45], v[134:135], v[46:47]
	v_fma_f64 v[42:43], -v[44:45], v[136:137], v[42:43]
	s_waitcnt lgkmcnt(9)
	v_fma_f64 v[40:41], -v[44:45], v[138:139], v[40:41]
	v_fma_f64 v[38:39], -v[44:45], v[140:141], v[38:39]
	s_waitcnt lgkmcnt(8)
	v_fma_f64 v[36:37], -v[44:45], v[142:143], v[36:37]
	v_fma_f64 v[34:35], -v[44:45], v[144:145], v[34:35]
	s_waitcnt lgkmcnt(7)
	v_fma_f64 v[32:33], -v[44:45], v[146:147], v[32:33]
	v_fma_f64 v[28:29], -v[44:45], v[148:149], v[28:29]
	s_waitcnt lgkmcnt(6)
	v_fma_f64 v[30:31], -v[44:45], v[150:151], v[30:31]
	v_fma_f64 v[24:25], -v[44:45], v[152:153], v[24:25]
	s_waitcnt lgkmcnt(5)
	v_fma_f64 v[26:27], -v[44:45], v[154:155], v[26:27]
	v_fma_f64 v[22:23], -v[44:45], v[156:157], v[22:23]
	s_waitcnt lgkmcnt(4)
	v_fma_f64 v[20:21], -v[44:45], v[158:159], v[20:21]
	v_fma_f64 v[18:19], -v[44:45], v[160:161], v[18:19]
	s_waitcnt lgkmcnt(3)
	v_fma_f64 v[16:17], -v[44:45], v[162:163], v[16:17]
	v_fma_f64 v[14:15], -v[44:45], v[164:165], v[14:15]
	s_waitcnt lgkmcnt(2)
	v_fma_f64 v[12:13], -v[44:45], v[166:167], v[12:13]
	v_fma_f64 v[8:9], -v[44:45], v[168:169], v[8:9]
	s_waitcnt lgkmcnt(1)
	v_fma_f64 v[10:11], -v[44:45], v[170:171], v[10:11]
	v_fma_f64 v[6:7], -v[44:45], v[172:173], v[6:7]
	s_waitcnt lgkmcnt(0)
	v_fma_f64 v[122:123], -v[44:45], v[0:1], v[122:123]
.LBB116_641:
	s_or_b32 exec_lo, exec_lo, s0
	v_lshl_add_u32 v0, v133, 3, v130
	s_barrier
	buffer_gl0_inv
	v_mov_b32_e32 v124, 38
	ds_write_b64 v0, v[46:47]
	s_waitcnt lgkmcnt(0)
	s_barrier
	buffer_gl0_inv
	ds_read_b64 v[0:1], v130 offset:304
	s_cmp_lt_i32 s7, 40
	s_cbranch_scc1 .LBB116_644
; %bb.642:
	v_add3_u32 v125, v131, 0, 0x138
	v_mov_b32_e32 v124, 38
	s_mov_b32 s0, 39
.LBB116_643:                            ; =>This Inner Loop Header: Depth=1
	ds_read_b64 v[134:135], v125
	v_add_nc_u32_e32 v125, 8, v125
	s_waitcnt lgkmcnt(0)
	v_cmp_lt_f64_e64 vcc_lo, |v[0:1]|, |v[134:135]|
	v_cndmask_b32_e32 v1, v1, v135, vcc_lo
	v_cndmask_b32_e32 v0, v0, v134, vcc_lo
	v_cndmask_b32_e64 v124, v124, s0, vcc_lo
	s_add_i32 s0, s0, 1
	s_cmp_lg_u32 s7, s0
	s_cbranch_scc1 .LBB116_643
.LBB116_644:
	s_mov_b32 s0, exec_lo
	s_waitcnt lgkmcnt(0)
	v_cmpx_eq_f64_e32 0, v[0:1]
	s_xor_b32 s0, exec_lo, s0
; %bb.645:
	v_cmp_ne_u32_e32 vcc_lo, 0, v127
	v_cndmask_b32_e32 v127, 39, v127, vcc_lo
; %bb.646:
	s_andn2_saveexec_b32 s0, s0
	s_cbranch_execz .LBB116_648
; %bb.647:
	v_div_scale_f64 v[125:126], null, v[0:1], v[0:1], 1.0
	v_rcp_f64_e32 v[134:135], v[125:126]
	v_fma_f64 v[136:137], -v[125:126], v[134:135], 1.0
	v_fma_f64 v[134:135], v[134:135], v[136:137], v[134:135]
	v_fma_f64 v[136:137], -v[125:126], v[134:135], 1.0
	v_fma_f64 v[134:135], v[134:135], v[136:137], v[134:135]
	v_div_scale_f64 v[136:137], vcc_lo, 1.0, v[0:1], 1.0
	v_mul_f64 v[138:139], v[136:137], v[134:135]
	v_fma_f64 v[125:126], -v[125:126], v[138:139], v[136:137]
	v_div_fmas_f64 v[125:126], v[125:126], v[134:135], v[138:139]
	v_div_fixup_f64 v[0:1], v[125:126], v[0:1], 1.0
.LBB116_648:
	s_or_b32 exec_lo, exec_lo, s0
	s_mov_b32 s0, exec_lo
	v_cmpx_ne_u32_e64 v133, v124
	s_xor_b32 s0, exec_lo, s0
	s_cbranch_execz .LBB116_654
; %bb.649:
	s_mov_b32 s1, exec_lo
	v_cmpx_eq_u32_e32 38, v133
	s_cbranch_execz .LBB116_653
; %bb.650:
	v_cmp_ne_u32_e32 vcc_lo, 38, v124
	s_xor_b32 s2, s6, -1
	s_and_b32 s3, s2, vcc_lo
	s_and_saveexec_b32 s2, s3
	s_cbranch_execz .LBB116_652
; %bb.651:
	v_ashrrev_i32_e32 v125, 31, v124
	v_lshlrev_b64 v[125:126], 2, v[124:125]
	v_add_co_u32 v125, vcc_lo, v4, v125
	v_add_co_ci_u32_e64 v126, null, v5, v126, vcc_lo
	s_clause 0x1
	global_load_dword v132, v[125:126], off
	global_load_dword v133, v[4:5], off offset:152
	s_waitcnt vmcnt(1)
	global_store_dword v[4:5], v132, off offset:152
	s_waitcnt vmcnt(0)
	global_store_dword v[125:126], v133, off
.LBB116_652:
	s_or_b32 exec_lo, exec_lo, s2
	v_mov_b32_e32 v132, v124
	v_mov_b32_e32 v133, v124
.LBB116_653:
	s_or_b32 exec_lo, exec_lo, s1
.LBB116_654:
	s_andn2_saveexec_b32 s0, s0
	s_cbranch_execz .LBB116_656
; %bb.655:
	v_mov_b32_e32 v133, 38
	ds_write2_b64 v130, v[42:43], v[40:41] offset0:39 offset1:40
	ds_write2_b64 v130, v[38:39], v[36:37] offset0:41 offset1:42
	;; [unrolled: 1-line block ×10, first 2 shown]
.LBB116_656:
	s_or_b32 exec_lo, exec_lo, s0
	s_mov_b32 s0, exec_lo
	s_waitcnt lgkmcnt(0)
	s_waitcnt_vscnt null, 0x0
	s_barrier
	buffer_gl0_inv
	v_cmpx_lt_i32_e32 38, v133
	s_cbranch_execz .LBB116_658
; %bb.657:
	v_mul_f64 v[46:47], v[0:1], v[46:47]
	ds_read2_b64 v[134:137], v130 offset0:39 offset1:40
	ds_read2_b64 v[138:141], v130 offset0:41 offset1:42
	ds_read2_b64 v[142:145], v130 offset0:43 offset1:44
	ds_read2_b64 v[146:149], v130 offset0:45 offset1:46
	ds_read2_b64 v[150:153], v130 offset0:47 offset1:48
	ds_read2_b64 v[154:157], v130 offset0:49 offset1:50
	ds_read2_b64 v[158:161], v130 offset0:51 offset1:52
	ds_read2_b64 v[162:165], v130 offset0:53 offset1:54
	ds_read2_b64 v[166:169], v130 offset0:55 offset1:56
	ds_read2_b64 v[170:173], v130 offset0:57 offset1:58
	s_waitcnt lgkmcnt(9)
	v_fma_f64 v[42:43], -v[46:47], v[134:135], v[42:43]
	v_fma_f64 v[40:41], -v[46:47], v[136:137], v[40:41]
	s_waitcnt lgkmcnt(8)
	v_fma_f64 v[38:39], -v[46:47], v[138:139], v[38:39]
	v_fma_f64 v[36:37], -v[46:47], v[140:141], v[36:37]
	;; [unrolled: 3-line block ×10, first 2 shown]
.LBB116_658:
	s_or_b32 exec_lo, exec_lo, s0
	v_lshl_add_u32 v0, v133, 3, v130
	s_barrier
	buffer_gl0_inv
	v_mov_b32_e32 v124, 39
	ds_write_b64 v0, v[42:43]
	s_waitcnt lgkmcnt(0)
	s_barrier
	buffer_gl0_inv
	ds_read_b64 v[0:1], v130 offset:312
	s_cmp_lt_i32 s7, 41
	s_cbranch_scc1 .LBB116_661
; %bb.659:
	v_add3_u32 v125, v131, 0, 0x140
	v_mov_b32_e32 v124, 39
	s_mov_b32 s0, 40
.LBB116_660:                            ; =>This Inner Loop Header: Depth=1
	ds_read_b64 v[134:135], v125
	v_add_nc_u32_e32 v125, 8, v125
	s_waitcnt lgkmcnt(0)
	v_cmp_lt_f64_e64 vcc_lo, |v[0:1]|, |v[134:135]|
	v_cndmask_b32_e32 v1, v1, v135, vcc_lo
	v_cndmask_b32_e32 v0, v0, v134, vcc_lo
	v_cndmask_b32_e64 v124, v124, s0, vcc_lo
	s_add_i32 s0, s0, 1
	s_cmp_lg_u32 s7, s0
	s_cbranch_scc1 .LBB116_660
.LBB116_661:
	s_mov_b32 s0, exec_lo
	s_waitcnt lgkmcnt(0)
	v_cmpx_eq_f64_e32 0, v[0:1]
	s_xor_b32 s0, exec_lo, s0
; %bb.662:
	v_cmp_ne_u32_e32 vcc_lo, 0, v127
	v_cndmask_b32_e32 v127, 40, v127, vcc_lo
; %bb.663:
	s_andn2_saveexec_b32 s0, s0
	s_cbranch_execz .LBB116_665
; %bb.664:
	v_div_scale_f64 v[125:126], null, v[0:1], v[0:1], 1.0
	v_rcp_f64_e32 v[134:135], v[125:126]
	v_fma_f64 v[136:137], -v[125:126], v[134:135], 1.0
	v_fma_f64 v[134:135], v[134:135], v[136:137], v[134:135]
	v_fma_f64 v[136:137], -v[125:126], v[134:135], 1.0
	v_fma_f64 v[134:135], v[134:135], v[136:137], v[134:135]
	v_div_scale_f64 v[136:137], vcc_lo, 1.0, v[0:1], 1.0
	v_mul_f64 v[138:139], v[136:137], v[134:135]
	v_fma_f64 v[125:126], -v[125:126], v[138:139], v[136:137]
	v_div_fmas_f64 v[125:126], v[125:126], v[134:135], v[138:139]
	v_div_fixup_f64 v[0:1], v[125:126], v[0:1], 1.0
.LBB116_665:
	s_or_b32 exec_lo, exec_lo, s0
	s_mov_b32 s0, exec_lo
	v_cmpx_ne_u32_e64 v133, v124
	s_xor_b32 s0, exec_lo, s0
	s_cbranch_execz .LBB116_671
; %bb.666:
	s_mov_b32 s1, exec_lo
	v_cmpx_eq_u32_e32 39, v133
	s_cbranch_execz .LBB116_670
; %bb.667:
	v_cmp_ne_u32_e32 vcc_lo, 39, v124
	s_xor_b32 s2, s6, -1
	s_and_b32 s3, s2, vcc_lo
	s_and_saveexec_b32 s2, s3
	s_cbranch_execz .LBB116_669
; %bb.668:
	v_ashrrev_i32_e32 v125, 31, v124
	v_lshlrev_b64 v[125:126], 2, v[124:125]
	v_add_co_u32 v125, vcc_lo, v4, v125
	v_add_co_ci_u32_e64 v126, null, v5, v126, vcc_lo
	s_clause 0x1
	global_load_dword v132, v[125:126], off
	global_load_dword v133, v[4:5], off offset:156
	s_waitcnt vmcnt(1)
	global_store_dword v[4:5], v132, off offset:156
	s_waitcnt vmcnt(0)
	global_store_dword v[125:126], v133, off
.LBB116_669:
	s_or_b32 exec_lo, exec_lo, s2
	v_mov_b32_e32 v132, v124
	v_mov_b32_e32 v133, v124
.LBB116_670:
	s_or_b32 exec_lo, exec_lo, s1
.LBB116_671:
	s_andn2_saveexec_b32 s0, s0
	s_cbranch_execz .LBB116_673
; %bb.672:
	v_mov_b32_e32 v124, v40
	v_mov_b32_e32 v125, v41
	;; [unrolled: 1-line block ×20, first 2 shown]
	ds_write2_b64 v130, v[124:125], v[133:134] offset0:40 offset1:41
	ds_write2_b64 v130, v[135:136], v[137:138] offset0:42 offset1:43
	;; [unrolled: 1-line block ×5, first 2 shown]
	v_mov_b32_e32 v124, v20
	v_mov_b32_e32 v125, v21
	;; [unrolled: 1-line block ×8, first 2 shown]
	ds_write2_b64 v130, v[124:125], v[133:134] offset0:50 offset1:51
	v_mov_b32_e32 v133, 39
	v_mov_b32_e32 v139, v12
	;; [unrolled: 1-line block ×9, first 2 shown]
	ds_write2_b64 v130, v[135:136], v[137:138] offset0:52 offset1:53
	ds_write2_b64 v130, v[139:140], v[141:142] offset0:54 offset1:55
	;; [unrolled: 1-line block ×3, first 2 shown]
	ds_write_b64 v130, v[122:123] offset:464
.LBB116_673:
	s_or_b32 exec_lo, exec_lo, s0
	s_mov_b32 s0, exec_lo
	s_waitcnt lgkmcnt(0)
	s_waitcnt_vscnt null, 0x0
	s_barrier
	buffer_gl0_inv
	v_cmpx_lt_i32_e32 39, v133
	s_cbranch_execz .LBB116_675
; %bb.674:
	v_mul_f64 v[42:43], v[0:1], v[42:43]
	ds_read2_b64 v[134:137], v130 offset0:40 offset1:41
	ds_read2_b64 v[138:141], v130 offset0:42 offset1:43
	ds_read2_b64 v[142:145], v130 offset0:44 offset1:45
	ds_read2_b64 v[146:149], v130 offset0:46 offset1:47
	ds_read2_b64 v[150:153], v130 offset0:48 offset1:49
	ds_read2_b64 v[154:157], v130 offset0:50 offset1:51
	ds_read2_b64 v[158:161], v130 offset0:52 offset1:53
	ds_read2_b64 v[162:165], v130 offset0:54 offset1:55
	ds_read2_b64 v[166:169], v130 offset0:56 offset1:57
	ds_read_b64 v[0:1], v130 offset:464
	s_waitcnt lgkmcnt(9)
	v_fma_f64 v[40:41], -v[42:43], v[134:135], v[40:41]
	v_fma_f64 v[38:39], -v[42:43], v[136:137], v[38:39]
	s_waitcnt lgkmcnt(8)
	v_fma_f64 v[36:37], -v[42:43], v[138:139], v[36:37]
	v_fma_f64 v[34:35], -v[42:43], v[140:141], v[34:35]
	;; [unrolled: 3-line block ×9, first 2 shown]
	s_waitcnt lgkmcnt(0)
	v_fma_f64 v[122:123], -v[42:43], v[0:1], v[122:123]
.LBB116_675:
	s_or_b32 exec_lo, exec_lo, s0
	v_lshl_add_u32 v0, v133, 3, v130
	s_barrier
	buffer_gl0_inv
	v_mov_b32_e32 v124, 40
	ds_write_b64 v0, v[40:41]
	s_waitcnt lgkmcnt(0)
	s_barrier
	buffer_gl0_inv
	ds_read_b64 v[0:1], v130 offset:320
	s_cmp_lt_i32 s7, 42
	s_cbranch_scc1 .LBB116_678
; %bb.676:
	v_add3_u32 v125, v131, 0, 0x148
	v_mov_b32_e32 v124, 40
	s_mov_b32 s0, 41
.LBB116_677:                            ; =>This Inner Loop Header: Depth=1
	ds_read_b64 v[134:135], v125
	v_add_nc_u32_e32 v125, 8, v125
	s_waitcnt lgkmcnt(0)
	v_cmp_lt_f64_e64 vcc_lo, |v[0:1]|, |v[134:135]|
	v_cndmask_b32_e32 v1, v1, v135, vcc_lo
	v_cndmask_b32_e32 v0, v0, v134, vcc_lo
	v_cndmask_b32_e64 v124, v124, s0, vcc_lo
	s_add_i32 s0, s0, 1
	s_cmp_lg_u32 s7, s0
	s_cbranch_scc1 .LBB116_677
.LBB116_678:
	s_mov_b32 s0, exec_lo
	s_waitcnt lgkmcnt(0)
	v_cmpx_eq_f64_e32 0, v[0:1]
	s_xor_b32 s0, exec_lo, s0
; %bb.679:
	v_cmp_ne_u32_e32 vcc_lo, 0, v127
	v_cndmask_b32_e32 v127, 41, v127, vcc_lo
; %bb.680:
	s_andn2_saveexec_b32 s0, s0
	s_cbranch_execz .LBB116_682
; %bb.681:
	v_div_scale_f64 v[125:126], null, v[0:1], v[0:1], 1.0
	v_rcp_f64_e32 v[134:135], v[125:126]
	v_fma_f64 v[136:137], -v[125:126], v[134:135], 1.0
	v_fma_f64 v[134:135], v[134:135], v[136:137], v[134:135]
	v_fma_f64 v[136:137], -v[125:126], v[134:135], 1.0
	v_fma_f64 v[134:135], v[134:135], v[136:137], v[134:135]
	v_div_scale_f64 v[136:137], vcc_lo, 1.0, v[0:1], 1.0
	v_mul_f64 v[138:139], v[136:137], v[134:135]
	v_fma_f64 v[125:126], -v[125:126], v[138:139], v[136:137]
	v_div_fmas_f64 v[125:126], v[125:126], v[134:135], v[138:139]
	v_div_fixup_f64 v[0:1], v[125:126], v[0:1], 1.0
.LBB116_682:
	s_or_b32 exec_lo, exec_lo, s0
	s_mov_b32 s0, exec_lo
	v_cmpx_ne_u32_e64 v133, v124
	s_xor_b32 s0, exec_lo, s0
	s_cbranch_execz .LBB116_688
; %bb.683:
	s_mov_b32 s1, exec_lo
	v_cmpx_eq_u32_e32 40, v133
	s_cbranch_execz .LBB116_687
; %bb.684:
	v_cmp_ne_u32_e32 vcc_lo, 40, v124
	s_xor_b32 s2, s6, -1
	s_and_b32 s3, s2, vcc_lo
	s_and_saveexec_b32 s2, s3
	s_cbranch_execz .LBB116_686
; %bb.685:
	v_ashrrev_i32_e32 v125, 31, v124
	v_lshlrev_b64 v[125:126], 2, v[124:125]
	v_add_co_u32 v125, vcc_lo, v4, v125
	v_add_co_ci_u32_e64 v126, null, v5, v126, vcc_lo
	s_clause 0x1
	global_load_dword v132, v[125:126], off
	global_load_dword v133, v[4:5], off offset:160
	s_waitcnt vmcnt(1)
	global_store_dword v[4:5], v132, off offset:160
	s_waitcnt vmcnt(0)
	global_store_dword v[125:126], v133, off
.LBB116_686:
	s_or_b32 exec_lo, exec_lo, s2
	v_mov_b32_e32 v132, v124
	v_mov_b32_e32 v133, v124
.LBB116_687:
	s_or_b32 exec_lo, exec_lo, s1
.LBB116_688:
	s_andn2_saveexec_b32 s0, s0
	s_cbranch_execz .LBB116_690
; %bb.689:
	v_mov_b32_e32 v133, 40
	ds_write2_b64 v130, v[38:39], v[36:37] offset0:41 offset1:42
	ds_write2_b64 v130, v[34:35], v[32:33] offset0:43 offset1:44
	;; [unrolled: 1-line block ×9, first 2 shown]
.LBB116_690:
	s_or_b32 exec_lo, exec_lo, s0
	s_mov_b32 s0, exec_lo
	s_waitcnt lgkmcnt(0)
	s_waitcnt_vscnt null, 0x0
	s_barrier
	buffer_gl0_inv
	v_cmpx_lt_i32_e32 40, v133
	s_cbranch_execz .LBB116_692
; %bb.691:
	v_mul_f64 v[40:41], v[0:1], v[40:41]
	ds_read2_b64 v[134:137], v130 offset0:41 offset1:42
	ds_read2_b64 v[138:141], v130 offset0:43 offset1:44
	;; [unrolled: 1-line block ×9, first 2 shown]
	s_waitcnt lgkmcnt(8)
	v_fma_f64 v[38:39], -v[40:41], v[134:135], v[38:39]
	v_fma_f64 v[36:37], -v[40:41], v[136:137], v[36:37]
	s_waitcnt lgkmcnt(7)
	v_fma_f64 v[34:35], -v[40:41], v[138:139], v[34:35]
	v_fma_f64 v[32:33], -v[40:41], v[140:141], v[32:33]
	;; [unrolled: 3-line block ×9, first 2 shown]
.LBB116_692:
	s_or_b32 exec_lo, exec_lo, s0
	v_lshl_add_u32 v0, v133, 3, v130
	s_barrier
	buffer_gl0_inv
	v_mov_b32_e32 v124, 41
	ds_write_b64 v0, v[38:39]
	s_waitcnt lgkmcnt(0)
	s_barrier
	buffer_gl0_inv
	ds_read_b64 v[0:1], v130 offset:328
	s_cmp_lt_i32 s7, 43
	s_cbranch_scc1 .LBB116_695
; %bb.693:
	v_add3_u32 v125, v131, 0, 0x150
	v_mov_b32_e32 v124, 41
	s_mov_b32 s0, 42
.LBB116_694:                            ; =>This Inner Loop Header: Depth=1
	ds_read_b64 v[134:135], v125
	v_add_nc_u32_e32 v125, 8, v125
	s_waitcnt lgkmcnt(0)
	v_cmp_lt_f64_e64 vcc_lo, |v[0:1]|, |v[134:135]|
	v_cndmask_b32_e32 v1, v1, v135, vcc_lo
	v_cndmask_b32_e32 v0, v0, v134, vcc_lo
	v_cndmask_b32_e64 v124, v124, s0, vcc_lo
	s_add_i32 s0, s0, 1
	s_cmp_lg_u32 s7, s0
	s_cbranch_scc1 .LBB116_694
.LBB116_695:
	s_mov_b32 s0, exec_lo
	s_waitcnt lgkmcnt(0)
	v_cmpx_eq_f64_e32 0, v[0:1]
	s_xor_b32 s0, exec_lo, s0
; %bb.696:
	v_cmp_ne_u32_e32 vcc_lo, 0, v127
	v_cndmask_b32_e32 v127, 42, v127, vcc_lo
; %bb.697:
	s_andn2_saveexec_b32 s0, s0
	s_cbranch_execz .LBB116_699
; %bb.698:
	v_div_scale_f64 v[125:126], null, v[0:1], v[0:1], 1.0
	v_rcp_f64_e32 v[134:135], v[125:126]
	v_fma_f64 v[136:137], -v[125:126], v[134:135], 1.0
	v_fma_f64 v[134:135], v[134:135], v[136:137], v[134:135]
	v_fma_f64 v[136:137], -v[125:126], v[134:135], 1.0
	v_fma_f64 v[134:135], v[134:135], v[136:137], v[134:135]
	v_div_scale_f64 v[136:137], vcc_lo, 1.0, v[0:1], 1.0
	v_mul_f64 v[138:139], v[136:137], v[134:135]
	v_fma_f64 v[125:126], -v[125:126], v[138:139], v[136:137]
	v_div_fmas_f64 v[125:126], v[125:126], v[134:135], v[138:139]
	v_div_fixup_f64 v[0:1], v[125:126], v[0:1], 1.0
.LBB116_699:
	s_or_b32 exec_lo, exec_lo, s0
	s_mov_b32 s0, exec_lo
	v_cmpx_ne_u32_e64 v133, v124
	s_xor_b32 s0, exec_lo, s0
	s_cbranch_execz .LBB116_705
; %bb.700:
	s_mov_b32 s1, exec_lo
	v_cmpx_eq_u32_e32 41, v133
	s_cbranch_execz .LBB116_704
; %bb.701:
	v_cmp_ne_u32_e32 vcc_lo, 41, v124
	s_xor_b32 s2, s6, -1
	s_and_b32 s3, s2, vcc_lo
	s_and_saveexec_b32 s2, s3
	s_cbranch_execz .LBB116_703
; %bb.702:
	v_ashrrev_i32_e32 v125, 31, v124
	v_lshlrev_b64 v[125:126], 2, v[124:125]
	v_add_co_u32 v125, vcc_lo, v4, v125
	v_add_co_ci_u32_e64 v126, null, v5, v126, vcc_lo
	s_clause 0x1
	global_load_dword v132, v[125:126], off
	global_load_dword v133, v[4:5], off offset:164
	s_waitcnt vmcnt(1)
	global_store_dword v[4:5], v132, off offset:164
	s_waitcnt vmcnt(0)
	global_store_dword v[125:126], v133, off
.LBB116_703:
	s_or_b32 exec_lo, exec_lo, s2
	v_mov_b32_e32 v132, v124
	v_mov_b32_e32 v133, v124
.LBB116_704:
	s_or_b32 exec_lo, exec_lo, s1
.LBB116_705:
	s_andn2_saveexec_b32 s0, s0
	s_cbranch_execz .LBB116_707
; %bb.706:
	v_mov_b32_e32 v124, v36
	v_mov_b32_e32 v125, v37
	;; [unrolled: 1-line block ×16, first 2 shown]
	ds_write2_b64 v130, v[124:125], v[133:134] offset0:42 offset1:43
	ds_write2_b64 v130, v[135:136], v[137:138] offset0:44 offset1:45
	;; [unrolled: 1-line block ×4, first 2 shown]
	v_mov_b32_e32 v124, v20
	v_mov_b32_e32 v125, v21
	;; [unrolled: 1-line block ×8, first 2 shown]
	ds_write2_b64 v130, v[124:125], v[133:134] offset0:50 offset1:51
	v_mov_b32_e32 v133, 41
	v_mov_b32_e32 v139, v12
	v_mov_b32_e32 v140, v13
	v_mov_b32_e32 v141, v8
	v_mov_b32_e32 v142, v9
	v_mov_b32_e32 v143, v10
	v_mov_b32_e32 v144, v11
	v_mov_b32_e32 v145, v6
	v_mov_b32_e32 v146, v7
	ds_write2_b64 v130, v[135:136], v[137:138] offset0:52 offset1:53
	ds_write2_b64 v130, v[139:140], v[141:142] offset0:54 offset1:55
	;; [unrolled: 1-line block ×3, first 2 shown]
	ds_write_b64 v130, v[122:123] offset:464
.LBB116_707:
	s_or_b32 exec_lo, exec_lo, s0
	s_mov_b32 s0, exec_lo
	s_waitcnt lgkmcnt(0)
	s_waitcnt_vscnt null, 0x0
	s_barrier
	buffer_gl0_inv
	v_cmpx_lt_i32_e32 41, v133
	s_cbranch_execz .LBB116_709
; %bb.708:
	v_mul_f64 v[38:39], v[0:1], v[38:39]
	ds_read2_b64 v[134:137], v130 offset0:42 offset1:43
	ds_read2_b64 v[138:141], v130 offset0:44 offset1:45
	;; [unrolled: 1-line block ×8, first 2 shown]
	ds_read_b64 v[0:1], v130 offset:464
	s_waitcnt lgkmcnt(8)
	v_fma_f64 v[36:37], -v[38:39], v[134:135], v[36:37]
	v_fma_f64 v[34:35], -v[38:39], v[136:137], v[34:35]
	s_waitcnt lgkmcnt(7)
	v_fma_f64 v[32:33], -v[38:39], v[138:139], v[32:33]
	v_fma_f64 v[28:29], -v[38:39], v[140:141], v[28:29]
	;; [unrolled: 3-line block ×8, first 2 shown]
	s_waitcnt lgkmcnt(0)
	v_fma_f64 v[122:123], -v[38:39], v[0:1], v[122:123]
.LBB116_709:
	s_or_b32 exec_lo, exec_lo, s0
	v_lshl_add_u32 v0, v133, 3, v130
	s_barrier
	buffer_gl0_inv
	v_mov_b32_e32 v124, 42
	ds_write_b64 v0, v[36:37]
	s_waitcnt lgkmcnt(0)
	s_barrier
	buffer_gl0_inv
	ds_read_b64 v[0:1], v130 offset:336
	s_cmp_lt_i32 s7, 44
	s_cbranch_scc1 .LBB116_712
; %bb.710:
	v_add3_u32 v125, v131, 0, 0x158
	v_mov_b32_e32 v124, 42
	s_mov_b32 s0, 43
.LBB116_711:                            ; =>This Inner Loop Header: Depth=1
	ds_read_b64 v[134:135], v125
	v_add_nc_u32_e32 v125, 8, v125
	s_waitcnt lgkmcnt(0)
	v_cmp_lt_f64_e64 vcc_lo, |v[0:1]|, |v[134:135]|
	v_cndmask_b32_e32 v1, v1, v135, vcc_lo
	v_cndmask_b32_e32 v0, v0, v134, vcc_lo
	v_cndmask_b32_e64 v124, v124, s0, vcc_lo
	s_add_i32 s0, s0, 1
	s_cmp_lg_u32 s7, s0
	s_cbranch_scc1 .LBB116_711
.LBB116_712:
	s_mov_b32 s0, exec_lo
	s_waitcnt lgkmcnt(0)
	v_cmpx_eq_f64_e32 0, v[0:1]
	s_xor_b32 s0, exec_lo, s0
; %bb.713:
	v_cmp_ne_u32_e32 vcc_lo, 0, v127
	v_cndmask_b32_e32 v127, 43, v127, vcc_lo
; %bb.714:
	s_andn2_saveexec_b32 s0, s0
	s_cbranch_execz .LBB116_716
; %bb.715:
	v_div_scale_f64 v[125:126], null, v[0:1], v[0:1], 1.0
	v_rcp_f64_e32 v[134:135], v[125:126]
	v_fma_f64 v[136:137], -v[125:126], v[134:135], 1.0
	v_fma_f64 v[134:135], v[134:135], v[136:137], v[134:135]
	v_fma_f64 v[136:137], -v[125:126], v[134:135], 1.0
	v_fma_f64 v[134:135], v[134:135], v[136:137], v[134:135]
	v_div_scale_f64 v[136:137], vcc_lo, 1.0, v[0:1], 1.0
	v_mul_f64 v[138:139], v[136:137], v[134:135]
	v_fma_f64 v[125:126], -v[125:126], v[138:139], v[136:137]
	v_div_fmas_f64 v[125:126], v[125:126], v[134:135], v[138:139]
	v_div_fixup_f64 v[0:1], v[125:126], v[0:1], 1.0
.LBB116_716:
	s_or_b32 exec_lo, exec_lo, s0
	s_mov_b32 s0, exec_lo
	v_cmpx_ne_u32_e64 v133, v124
	s_xor_b32 s0, exec_lo, s0
	s_cbranch_execz .LBB116_722
; %bb.717:
	s_mov_b32 s1, exec_lo
	v_cmpx_eq_u32_e32 42, v133
	s_cbranch_execz .LBB116_721
; %bb.718:
	v_cmp_ne_u32_e32 vcc_lo, 42, v124
	s_xor_b32 s2, s6, -1
	s_and_b32 s3, s2, vcc_lo
	s_and_saveexec_b32 s2, s3
	s_cbranch_execz .LBB116_720
; %bb.719:
	v_ashrrev_i32_e32 v125, 31, v124
	v_lshlrev_b64 v[125:126], 2, v[124:125]
	v_add_co_u32 v125, vcc_lo, v4, v125
	v_add_co_ci_u32_e64 v126, null, v5, v126, vcc_lo
	s_clause 0x1
	global_load_dword v132, v[125:126], off
	global_load_dword v133, v[4:5], off offset:168
	s_waitcnt vmcnt(1)
	global_store_dword v[4:5], v132, off offset:168
	s_waitcnt vmcnt(0)
	global_store_dword v[125:126], v133, off
.LBB116_720:
	s_or_b32 exec_lo, exec_lo, s2
	v_mov_b32_e32 v132, v124
	v_mov_b32_e32 v133, v124
.LBB116_721:
	s_or_b32 exec_lo, exec_lo, s1
.LBB116_722:
	s_andn2_saveexec_b32 s0, s0
	s_cbranch_execz .LBB116_724
; %bb.723:
	v_mov_b32_e32 v133, 42
	ds_write2_b64 v130, v[34:35], v[32:33] offset0:43 offset1:44
	ds_write2_b64 v130, v[28:29], v[30:31] offset0:45 offset1:46
	;; [unrolled: 1-line block ×8, first 2 shown]
.LBB116_724:
	s_or_b32 exec_lo, exec_lo, s0
	s_mov_b32 s0, exec_lo
	s_waitcnt lgkmcnt(0)
	s_waitcnt_vscnt null, 0x0
	s_barrier
	buffer_gl0_inv
	v_cmpx_lt_i32_e32 42, v133
	s_cbranch_execz .LBB116_726
; %bb.725:
	v_mul_f64 v[36:37], v[0:1], v[36:37]
	ds_read2_b64 v[134:137], v130 offset0:43 offset1:44
	ds_read2_b64 v[138:141], v130 offset0:45 offset1:46
	;; [unrolled: 1-line block ×8, first 2 shown]
	s_waitcnt lgkmcnt(7)
	v_fma_f64 v[34:35], -v[36:37], v[134:135], v[34:35]
	v_fma_f64 v[32:33], -v[36:37], v[136:137], v[32:33]
	s_waitcnt lgkmcnt(6)
	v_fma_f64 v[28:29], -v[36:37], v[138:139], v[28:29]
	v_fma_f64 v[30:31], -v[36:37], v[140:141], v[30:31]
	;; [unrolled: 3-line block ×8, first 2 shown]
.LBB116_726:
	s_or_b32 exec_lo, exec_lo, s0
	v_lshl_add_u32 v0, v133, 3, v130
	s_barrier
	buffer_gl0_inv
	v_mov_b32_e32 v124, 43
	ds_write_b64 v0, v[34:35]
	s_waitcnt lgkmcnt(0)
	s_barrier
	buffer_gl0_inv
	ds_read_b64 v[0:1], v130 offset:344
	s_cmp_lt_i32 s7, 45
	s_cbranch_scc1 .LBB116_729
; %bb.727:
	v_add3_u32 v125, v131, 0, 0x160
	v_mov_b32_e32 v124, 43
	s_mov_b32 s0, 44
.LBB116_728:                            ; =>This Inner Loop Header: Depth=1
	ds_read_b64 v[134:135], v125
	v_add_nc_u32_e32 v125, 8, v125
	s_waitcnt lgkmcnt(0)
	v_cmp_lt_f64_e64 vcc_lo, |v[0:1]|, |v[134:135]|
	v_cndmask_b32_e32 v1, v1, v135, vcc_lo
	v_cndmask_b32_e32 v0, v0, v134, vcc_lo
	v_cndmask_b32_e64 v124, v124, s0, vcc_lo
	s_add_i32 s0, s0, 1
	s_cmp_lg_u32 s7, s0
	s_cbranch_scc1 .LBB116_728
.LBB116_729:
	s_mov_b32 s0, exec_lo
	s_waitcnt lgkmcnt(0)
	v_cmpx_eq_f64_e32 0, v[0:1]
	s_xor_b32 s0, exec_lo, s0
; %bb.730:
	v_cmp_ne_u32_e32 vcc_lo, 0, v127
	v_cndmask_b32_e32 v127, 44, v127, vcc_lo
; %bb.731:
	s_andn2_saveexec_b32 s0, s0
	s_cbranch_execz .LBB116_733
; %bb.732:
	v_div_scale_f64 v[125:126], null, v[0:1], v[0:1], 1.0
	v_rcp_f64_e32 v[134:135], v[125:126]
	v_fma_f64 v[136:137], -v[125:126], v[134:135], 1.0
	v_fma_f64 v[134:135], v[134:135], v[136:137], v[134:135]
	v_fma_f64 v[136:137], -v[125:126], v[134:135], 1.0
	v_fma_f64 v[134:135], v[134:135], v[136:137], v[134:135]
	v_div_scale_f64 v[136:137], vcc_lo, 1.0, v[0:1], 1.0
	v_mul_f64 v[138:139], v[136:137], v[134:135]
	v_fma_f64 v[125:126], -v[125:126], v[138:139], v[136:137]
	v_div_fmas_f64 v[125:126], v[125:126], v[134:135], v[138:139]
	v_div_fixup_f64 v[0:1], v[125:126], v[0:1], 1.0
.LBB116_733:
	s_or_b32 exec_lo, exec_lo, s0
	s_mov_b32 s0, exec_lo
	v_cmpx_ne_u32_e64 v133, v124
	s_xor_b32 s0, exec_lo, s0
	s_cbranch_execz .LBB116_739
; %bb.734:
	s_mov_b32 s1, exec_lo
	v_cmpx_eq_u32_e32 43, v133
	s_cbranch_execz .LBB116_738
; %bb.735:
	v_cmp_ne_u32_e32 vcc_lo, 43, v124
	s_xor_b32 s2, s6, -1
	s_and_b32 s3, s2, vcc_lo
	s_and_saveexec_b32 s2, s3
	s_cbranch_execz .LBB116_737
; %bb.736:
	v_ashrrev_i32_e32 v125, 31, v124
	v_lshlrev_b64 v[125:126], 2, v[124:125]
	v_add_co_u32 v125, vcc_lo, v4, v125
	v_add_co_ci_u32_e64 v126, null, v5, v126, vcc_lo
	s_clause 0x1
	global_load_dword v132, v[125:126], off
	global_load_dword v133, v[4:5], off offset:172
	s_waitcnt vmcnt(1)
	global_store_dword v[4:5], v132, off offset:172
	s_waitcnt vmcnt(0)
	global_store_dword v[125:126], v133, off
.LBB116_737:
	s_or_b32 exec_lo, exec_lo, s2
	v_mov_b32_e32 v132, v124
	v_mov_b32_e32 v133, v124
.LBB116_738:
	s_or_b32 exec_lo, exec_lo, s1
.LBB116_739:
	s_andn2_saveexec_b32 s0, s0
	s_cbranch_execz .LBB116_741
; %bb.740:
	v_mov_b32_e32 v124, v32
	v_mov_b32_e32 v125, v33
	;; [unrolled: 1-line block ×12, first 2 shown]
	ds_write2_b64 v130, v[124:125], v[133:134] offset0:44 offset1:45
	ds_write2_b64 v130, v[135:136], v[137:138] offset0:46 offset1:47
	;; [unrolled: 1-line block ×3, first 2 shown]
	v_mov_b32_e32 v124, v20
	v_mov_b32_e32 v125, v21
	;; [unrolled: 1-line block ×8, first 2 shown]
	ds_write2_b64 v130, v[124:125], v[133:134] offset0:50 offset1:51
	v_mov_b32_e32 v133, 43
	v_mov_b32_e32 v139, v12
	;; [unrolled: 1-line block ×9, first 2 shown]
	ds_write2_b64 v130, v[135:136], v[137:138] offset0:52 offset1:53
	ds_write2_b64 v130, v[139:140], v[141:142] offset0:54 offset1:55
	;; [unrolled: 1-line block ×3, first 2 shown]
	ds_write_b64 v130, v[122:123] offset:464
.LBB116_741:
	s_or_b32 exec_lo, exec_lo, s0
	s_mov_b32 s0, exec_lo
	s_waitcnt lgkmcnt(0)
	s_waitcnt_vscnt null, 0x0
	s_barrier
	buffer_gl0_inv
	v_cmpx_lt_i32_e32 43, v133
	s_cbranch_execz .LBB116_743
; %bb.742:
	v_mul_f64 v[34:35], v[0:1], v[34:35]
	ds_read2_b64 v[134:137], v130 offset0:44 offset1:45
	ds_read2_b64 v[138:141], v130 offset0:46 offset1:47
	;; [unrolled: 1-line block ×7, first 2 shown]
	ds_read_b64 v[0:1], v130 offset:464
	s_waitcnt lgkmcnt(7)
	v_fma_f64 v[32:33], -v[34:35], v[134:135], v[32:33]
	v_fma_f64 v[28:29], -v[34:35], v[136:137], v[28:29]
	s_waitcnt lgkmcnt(6)
	v_fma_f64 v[30:31], -v[34:35], v[138:139], v[30:31]
	v_fma_f64 v[24:25], -v[34:35], v[140:141], v[24:25]
	;; [unrolled: 3-line block ×7, first 2 shown]
	s_waitcnt lgkmcnt(0)
	v_fma_f64 v[122:123], -v[34:35], v[0:1], v[122:123]
.LBB116_743:
	s_or_b32 exec_lo, exec_lo, s0
	v_lshl_add_u32 v0, v133, 3, v130
	s_barrier
	buffer_gl0_inv
	v_mov_b32_e32 v124, 44
	ds_write_b64 v0, v[32:33]
	s_waitcnt lgkmcnt(0)
	s_barrier
	buffer_gl0_inv
	ds_read_b64 v[0:1], v130 offset:352
	s_cmp_lt_i32 s7, 46
	s_cbranch_scc1 .LBB116_746
; %bb.744:
	v_add3_u32 v125, v131, 0, 0x168
	v_mov_b32_e32 v124, 44
	s_mov_b32 s0, 45
.LBB116_745:                            ; =>This Inner Loop Header: Depth=1
	ds_read_b64 v[134:135], v125
	v_add_nc_u32_e32 v125, 8, v125
	s_waitcnt lgkmcnt(0)
	v_cmp_lt_f64_e64 vcc_lo, |v[0:1]|, |v[134:135]|
	v_cndmask_b32_e32 v1, v1, v135, vcc_lo
	v_cndmask_b32_e32 v0, v0, v134, vcc_lo
	v_cndmask_b32_e64 v124, v124, s0, vcc_lo
	s_add_i32 s0, s0, 1
	s_cmp_lg_u32 s7, s0
	s_cbranch_scc1 .LBB116_745
.LBB116_746:
	s_mov_b32 s0, exec_lo
	s_waitcnt lgkmcnt(0)
	v_cmpx_eq_f64_e32 0, v[0:1]
	s_xor_b32 s0, exec_lo, s0
; %bb.747:
	v_cmp_ne_u32_e32 vcc_lo, 0, v127
	v_cndmask_b32_e32 v127, 45, v127, vcc_lo
; %bb.748:
	s_andn2_saveexec_b32 s0, s0
	s_cbranch_execz .LBB116_750
; %bb.749:
	v_div_scale_f64 v[125:126], null, v[0:1], v[0:1], 1.0
	v_rcp_f64_e32 v[134:135], v[125:126]
	v_fma_f64 v[136:137], -v[125:126], v[134:135], 1.0
	v_fma_f64 v[134:135], v[134:135], v[136:137], v[134:135]
	v_fma_f64 v[136:137], -v[125:126], v[134:135], 1.0
	v_fma_f64 v[134:135], v[134:135], v[136:137], v[134:135]
	v_div_scale_f64 v[136:137], vcc_lo, 1.0, v[0:1], 1.0
	v_mul_f64 v[138:139], v[136:137], v[134:135]
	v_fma_f64 v[125:126], -v[125:126], v[138:139], v[136:137]
	v_div_fmas_f64 v[125:126], v[125:126], v[134:135], v[138:139]
	v_div_fixup_f64 v[0:1], v[125:126], v[0:1], 1.0
.LBB116_750:
	s_or_b32 exec_lo, exec_lo, s0
	s_mov_b32 s0, exec_lo
	v_cmpx_ne_u32_e64 v133, v124
	s_xor_b32 s0, exec_lo, s0
	s_cbranch_execz .LBB116_756
; %bb.751:
	s_mov_b32 s1, exec_lo
	v_cmpx_eq_u32_e32 44, v133
	s_cbranch_execz .LBB116_755
; %bb.752:
	v_cmp_ne_u32_e32 vcc_lo, 44, v124
	s_xor_b32 s2, s6, -1
	s_and_b32 s3, s2, vcc_lo
	s_and_saveexec_b32 s2, s3
	s_cbranch_execz .LBB116_754
; %bb.753:
	v_ashrrev_i32_e32 v125, 31, v124
	v_lshlrev_b64 v[125:126], 2, v[124:125]
	v_add_co_u32 v125, vcc_lo, v4, v125
	v_add_co_ci_u32_e64 v126, null, v5, v126, vcc_lo
	s_clause 0x1
	global_load_dword v132, v[125:126], off
	global_load_dword v133, v[4:5], off offset:176
	s_waitcnt vmcnt(1)
	global_store_dword v[4:5], v132, off offset:176
	s_waitcnt vmcnt(0)
	global_store_dword v[125:126], v133, off
.LBB116_754:
	s_or_b32 exec_lo, exec_lo, s2
	v_mov_b32_e32 v132, v124
	v_mov_b32_e32 v133, v124
.LBB116_755:
	s_or_b32 exec_lo, exec_lo, s1
.LBB116_756:
	s_andn2_saveexec_b32 s0, s0
	s_cbranch_execz .LBB116_758
; %bb.757:
	v_mov_b32_e32 v133, 44
	ds_write2_b64 v130, v[28:29], v[30:31] offset0:45 offset1:46
	ds_write2_b64 v130, v[24:25], v[26:27] offset0:47 offset1:48
	;; [unrolled: 1-line block ×7, first 2 shown]
.LBB116_758:
	s_or_b32 exec_lo, exec_lo, s0
	s_mov_b32 s0, exec_lo
	s_waitcnt lgkmcnt(0)
	s_waitcnt_vscnt null, 0x0
	s_barrier
	buffer_gl0_inv
	v_cmpx_lt_i32_e32 44, v133
	s_cbranch_execz .LBB116_760
; %bb.759:
	v_mul_f64 v[32:33], v[0:1], v[32:33]
	ds_read2_b64 v[134:137], v130 offset0:45 offset1:46
	ds_read2_b64 v[138:141], v130 offset0:47 offset1:48
	;; [unrolled: 1-line block ×7, first 2 shown]
	s_waitcnt lgkmcnt(6)
	v_fma_f64 v[28:29], -v[32:33], v[134:135], v[28:29]
	v_fma_f64 v[30:31], -v[32:33], v[136:137], v[30:31]
	s_waitcnt lgkmcnt(5)
	v_fma_f64 v[24:25], -v[32:33], v[138:139], v[24:25]
	v_fma_f64 v[26:27], -v[32:33], v[140:141], v[26:27]
	s_waitcnt lgkmcnt(4)
	v_fma_f64 v[22:23], -v[32:33], v[142:143], v[22:23]
	v_fma_f64 v[20:21], -v[32:33], v[144:145], v[20:21]
	s_waitcnt lgkmcnt(3)
	v_fma_f64 v[18:19], -v[32:33], v[146:147], v[18:19]
	v_fma_f64 v[16:17], -v[32:33], v[148:149], v[16:17]
	s_waitcnt lgkmcnt(2)
	v_fma_f64 v[14:15], -v[32:33], v[150:151], v[14:15]
	v_fma_f64 v[12:13], -v[32:33], v[152:153], v[12:13]
	s_waitcnt lgkmcnt(1)
	v_fma_f64 v[8:9], -v[32:33], v[154:155], v[8:9]
	v_fma_f64 v[10:11], -v[32:33], v[156:157], v[10:11]
	s_waitcnt lgkmcnt(0)
	v_fma_f64 v[6:7], -v[32:33], v[158:159], v[6:7]
	v_fma_f64 v[122:123], -v[32:33], v[160:161], v[122:123]
.LBB116_760:
	s_or_b32 exec_lo, exec_lo, s0
	v_lshl_add_u32 v0, v133, 3, v130
	s_barrier
	buffer_gl0_inv
	v_mov_b32_e32 v124, 45
	ds_write_b64 v0, v[28:29]
	s_waitcnt lgkmcnt(0)
	s_barrier
	buffer_gl0_inv
	ds_read_b64 v[0:1], v130 offset:360
	s_cmp_lt_i32 s7, 47
	s_cbranch_scc1 .LBB116_763
; %bb.761:
	v_add3_u32 v125, v131, 0, 0x170
	v_mov_b32_e32 v124, 45
	s_mov_b32 s0, 46
.LBB116_762:                            ; =>This Inner Loop Header: Depth=1
	ds_read_b64 v[134:135], v125
	v_add_nc_u32_e32 v125, 8, v125
	s_waitcnt lgkmcnt(0)
	v_cmp_lt_f64_e64 vcc_lo, |v[0:1]|, |v[134:135]|
	v_cndmask_b32_e32 v1, v1, v135, vcc_lo
	v_cndmask_b32_e32 v0, v0, v134, vcc_lo
	v_cndmask_b32_e64 v124, v124, s0, vcc_lo
	s_add_i32 s0, s0, 1
	s_cmp_lg_u32 s7, s0
	s_cbranch_scc1 .LBB116_762
.LBB116_763:
	s_mov_b32 s0, exec_lo
	s_waitcnt lgkmcnt(0)
	v_cmpx_eq_f64_e32 0, v[0:1]
	s_xor_b32 s0, exec_lo, s0
; %bb.764:
	v_cmp_ne_u32_e32 vcc_lo, 0, v127
	v_cndmask_b32_e32 v127, 46, v127, vcc_lo
; %bb.765:
	s_andn2_saveexec_b32 s0, s0
	s_cbranch_execz .LBB116_767
; %bb.766:
	v_div_scale_f64 v[125:126], null, v[0:1], v[0:1], 1.0
	v_rcp_f64_e32 v[134:135], v[125:126]
	v_fma_f64 v[136:137], -v[125:126], v[134:135], 1.0
	v_fma_f64 v[134:135], v[134:135], v[136:137], v[134:135]
	v_fma_f64 v[136:137], -v[125:126], v[134:135], 1.0
	v_fma_f64 v[134:135], v[134:135], v[136:137], v[134:135]
	v_div_scale_f64 v[136:137], vcc_lo, 1.0, v[0:1], 1.0
	v_mul_f64 v[138:139], v[136:137], v[134:135]
	v_fma_f64 v[125:126], -v[125:126], v[138:139], v[136:137]
	v_div_fmas_f64 v[125:126], v[125:126], v[134:135], v[138:139]
	v_div_fixup_f64 v[0:1], v[125:126], v[0:1], 1.0
.LBB116_767:
	s_or_b32 exec_lo, exec_lo, s0
	s_mov_b32 s0, exec_lo
	v_cmpx_ne_u32_e64 v133, v124
	s_xor_b32 s0, exec_lo, s0
	s_cbranch_execz .LBB116_773
; %bb.768:
	s_mov_b32 s1, exec_lo
	v_cmpx_eq_u32_e32 45, v133
	s_cbranch_execz .LBB116_772
; %bb.769:
	v_cmp_ne_u32_e32 vcc_lo, 45, v124
	s_xor_b32 s2, s6, -1
	s_and_b32 s3, s2, vcc_lo
	s_and_saveexec_b32 s2, s3
	s_cbranch_execz .LBB116_771
; %bb.770:
	v_ashrrev_i32_e32 v125, 31, v124
	v_lshlrev_b64 v[125:126], 2, v[124:125]
	v_add_co_u32 v125, vcc_lo, v4, v125
	v_add_co_ci_u32_e64 v126, null, v5, v126, vcc_lo
	s_clause 0x1
	global_load_dword v132, v[125:126], off
	global_load_dword v133, v[4:5], off offset:180
	s_waitcnt vmcnt(1)
	global_store_dword v[4:5], v132, off offset:180
	s_waitcnt vmcnt(0)
	global_store_dword v[125:126], v133, off
.LBB116_771:
	s_or_b32 exec_lo, exec_lo, s2
	v_mov_b32_e32 v132, v124
	v_mov_b32_e32 v133, v124
.LBB116_772:
	s_or_b32 exec_lo, exec_lo, s1
.LBB116_773:
	s_andn2_saveexec_b32 s0, s0
	s_cbranch_execz .LBB116_775
; %bb.774:
	v_mov_b32_e32 v124, v30
	v_mov_b32_e32 v125, v31
	;; [unrolled: 1-line block ×8, first 2 shown]
	ds_write2_b64 v130, v[124:125], v[133:134] offset0:46 offset1:47
	ds_write2_b64 v130, v[135:136], v[137:138] offset0:48 offset1:49
	v_mov_b32_e32 v124, v20
	v_mov_b32_e32 v125, v21
	;; [unrolled: 1-line block ×8, first 2 shown]
	ds_write2_b64 v130, v[124:125], v[133:134] offset0:50 offset1:51
	v_mov_b32_e32 v133, 45
	v_mov_b32_e32 v139, v12
	;; [unrolled: 1-line block ×9, first 2 shown]
	ds_write2_b64 v130, v[135:136], v[137:138] offset0:52 offset1:53
	ds_write2_b64 v130, v[139:140], v[141:142] offset0:54 offset1:55
	;; [unrolled: 1-line block ×3, first 2 shown]
	ds_write_b64 v130, v[122:123] offset:464
.LBB116_775:
	s_or_b32 exec_lo, exec_lo, s0
	s_mov_b32 s0, exec_lo
	s_waitcnt lgkmcnt(0)
	s_waitcnt_vscnt null, 0x0
	s_barrier
	buffer_gl0_inv
	v_cmpx_lt_i32_e32 45, v133
	s_cbranch_execz .LBB116_777
; %bb.776:
	v_mul_f64 v[28:29], v[0:1], v[28:29]
	ds_read2_b64 v[134:137], v130 offset0:46 offset1:47
	ds_read2_b64 v[138:141], v130 offset0:48 offset1:49
	;; [unrolled: 1-line block ×6, first 2 shown]
	ds_read_b64 v[0:1], v130 offset:464
	s_waitcnt lgkmcnt(6)
	v_fma_f64 v[30:31], -v[28:29], v[134:135], v[30:31]
	v_fma_f64 v[24:25], -v[28:29], v[136:137], v[24:25]
	s_waitcnt lgkmcnt(5)
	v_fma_f64 v[26:27], -v[28:29], v[138:139], v[26:27]
	v_fma_f64 v[22:23], -v[28:29], v[140:141], v[22:23]
	;; [unrolled: 3-line block ×6, first 2 shown]
	s_waitcnt lgkmcnt(0)
	v_fma_f64 v[122:123], -v[28:29], v[0:1], v[122:123]
.LBB116_777:
	s_or_b32 exec_lo, exec_lo, s0
	v_lshl_add_u32 v0, v133, 3, v130
	s_barrier
	buffer_gl0_inv
	v_mov_b32_e32 v124, 46
	ds_write_b64 v0, v[30:31]
	s_waitcnt lgkmcnt(0)
	s_barrier
	buffer_gl0_inv
	ds_read_b64 v[0:1], v130 offset:368
	s_cmp_lt_i32 s7, 48
	s_cbranch_scc1 .LBB116_780
; %bb.778:
	v_add3_u32 v125, v131, 0, 0x178
	v_mov_b32_e32 v124, 46
	s_mov_b32 s0, 47
.LBB116_779:                            ; =>This Inner Loop Header: Depth=1
	ds_read_b64 v[134:135], v125
	v_add_nc_u32_e32 v125, 8, v125
	s_waitcnt lgkmcnt(0)
	v_cmp_lt_f64_e64 vcc_lo, |v[0:1]|, |v[134:135]|
	v_cndmask_b32_e32 v1, v1, v135, vcc_lo
	v_cndmask_b32_e32 v0, v0, v134, vcc_lo
	v_cndmask_b32_e64 v124, v124, s0, vcc_lo
	s_add_i32 s0, s0, 1
	s_cmp_lg_u32 s7, s0
	s_cbranch_scc1 .LBB116_779
.LBB116_780:
	s_mov_b32 s0, exec_lo
	s_waitcnt lgkmcnt(0)
	v_cmpx_eq_f64_e32 0, v[0:1]
	s_xor_b32 s0, exec_lo, s0
; %bb.781:
	v_cmp_ne_u32_e32 vcc_lo, 0, v127
	v_cndmask_b32_e32 v127, 47, v127, vcc_lo
; %bb.782:
	s_andn2_saveexec_b32 s0, s0
	s_cbranch_execz .LBB116_784
; %bb.783:
	v_div_scale_f64 v[125:126], null, v[0:1], v[0:1], 1.0
	v_rcp_f64_e32 v[134:135], v[125:126]
	v_fma_f64 v[136:137], -v[125:126], v[134:135], 1.0
	v_fma_f64 v[134:135], v[134:135], v[136:137], v[134:135]
	v_fma_f64 v[136:137], -v[125:126], v[134:135], 1.0
	v_fma_f64 v[134:135], v[134:135], v[136:137], v[134:135]
	v_div_scale_f64 v[136:137], vcc_lo, 1.0, v[0:1], 1.0
	v_mul_f64 v[138:139], v[136:137], v[134:135]
	v_fma_f64 v[125:126], -v[125:126], v[138:139], v[136:137]
	v_div_fmas_f64 v[125:126], v[125:126], v[134:135], v[138:139]
	v_div_fixup_f64 v[0:1], v[125:126], v[0:1], 1.0
.LBB116_784:
	s_or_b32 exec_lo, exec_lo, s0
	s_mov_b32 s0, exec_lo
	v_cmpx_ne_u32_e64 v133, v124
	s_xor_b32 s0, exec_lo, s0
	s_cbranch_execz .LBB116_790
; %bb.785:
	s_mov_b32 s1, exec_lo
	v_cmpx_eq_u32_e32 46, v133
	s_cbranch_execz .LBB116_789
; %bb.786:
	v_cmp_ne_u32_e32 vcc_lo, 46, v124
	s_xor_b32 s2, s6, -1
	s_and_b32 s3, s2, vcc_lo
	s_and_saveexec_b32 s2, s3
	s_cbranch_execz .LBB116_788
; %bb.787:
	v_ashrrev_i32_e32 v125, 31, v124
	v_lshlrev_b64 v[125:126], 2, v[124:125]
	v_add_co_u32 v125, vcc_lo, v4, v125
	v_add_co_ci_u32_e64 v126, null, v5, v126, vcc_lo
	s_clause 0x1
	global_load_dword v132, v[125:126], off
	global_load_dword v133, v[4:5], off offset:184
	s_waitcnt vmcnt(1)
	global_store_dword v[4:5], v132, off offset:184
	s_waitcnt vmcnt(0)
	global_store_dword v[125:126], v133, off
.LBB116_788:
	s_or_b32 exec_lo, exec_lo, s2
	v_mov_b32_e32 v132, v124
	v_mov_b32_e32 v133, v124
.LBB116_789:
	s_or_b32 exec_lo, exec_lo, s1
.LBB116_790:
	s_andn2_saveexec_b32 s0, s0
	s_cbranch_execz .LBB116_792
; %bb.791:
	v_mov_b32_e32 v133, 46
	ds_write2_b64 v130, v[24:25], v[26:27] offset0:47 offset1:48
	ds_write2_b64 v130, v[22:23], v[20:21] offset0:49 offset1:50
	;; [unrolled: 1-line block ×6, first 2 shown]
.LBB116_792:
	s_or_b32 exec_lo, exec_lo, s0
	s_mov_b32 s0, exec_lo
	s_waitcnt lgkmcnt(0)
	s_waitcnt_vscnt null, 0x0
	s_barrier
	buffer_gl0_inv
	v_cmpx_lt_i32_e32 46, v133
	s_cbranch_execz .LBB116_794
; %bb.793:
	v_mul_f64 v[30:31], v[0:1], v[30:31]
	ds_read2_b64 v[134:137], v130 offset0:47 offset1:48
	ds_read2_b64 v[138:141], v130 offset0:49 offset1:50
	;; [unrolled: 1-line block ×6, first 2 shown]
	s_waitcnt lgkmcnt(5)
	v_fma_f64 v[24:25], -v[30:31], v[134:135], v[24:25]
	v_fma_f64 v[26:27], -v[30:31], v[136:137], v[26:27]
	s_waitcnt lgkmcnt(4)
	v_fma_f64 v[22:23], -v[30:31], v[138:139], v[22:23]
	v_fma_f64 v[20:21], -v[30:31], v[140:141], v[20:21]
	;; [unrolled: 3-line block ×6, first 2 shown]
.LBB116_794:
	s_or_b32 exec_lo, exec_lo, s0
	v_lshl_add_u32 v0, v133, 3, v130
	s_barrier
	buffer_gl0_inv
	v_mov_b32_e32 v124, 47
	ds_write_b64 v0, v[24:25]
	s_waitcnt lgkmcnt(0)
	s_barrier
	buffer_gl0_inv
	ds_read_b64 v[0:1], v130 offset:376
	s_cmp_lt_i32 s7, 49
	s_cbranch_scc1 .LBB116_797
; %bb.795:
	v_add3_u32 v125, v131, 0, 0x180
	v_mov_b32_e32 v124, 47
	s_mov_b32 s0, 48
.LBB116_796:                            ; =>This Inner Loop Header: Depth=1
	ds_read_b64 v[134:135], v125
	v_add_nc_u32_e32 v125, 8, v125
	s_waitcnt lgkmcnt(0)
	v_cmp_lt_f64_e64 vcc_lo, |v[0:1]|, |v[134:135]|
	v_cndmask_b32_e32 v1, v1, v135, vcc_lo
	v_cndmask_b32_e32 v0, v0, v134, vcc_lo
	v_cndmask_b32_e64 v124, v124, s0, vcc_lo
	s_add_i32 s0, s0, 1
	s_cmp_lg_u32 s7, s0
	s_cbranch_scc1 .LBB116_796
.LBB116_797:
	s_mov_b32 s0, exec_lo
	s_waitcnt lgkmcnt(0)
	v_cmpx_eq_f64_e32 0, v[0:1]
	s_xor_b32 s0, exec_lo, s0
; %bb.798:
	v_cmp_ne_u32_e32 vcc_lo, 0, v127
	v_cndmask_b32_e32 v127, 48, v127, vcc_lo
; %bb.799:
	s_andn2_saveexec_b32 s0, s0
	s_cbranch_execz .LBB116_801
; %bb.800:
	v_div_scale_f64 v[125:126], null, v[0:1], v[0:1], 1.0
	v_rcp_f64_e32 v[134:135], v[125:126]
	v_fma_f64 v[136:137], -v[125:126], v[134:135], 1.0
	v_fma_f64 v[134:135], v[134:135], v[136:137], v[134:135]
	v_fma_f64 v[136:137], -v[125:126], v[134:135], 1.0
	v_fma_f64 v[134:135], v[134:135], v[136:137], v[134:135]
	v_div_scale_f64 v[136:137], vcc_lo, 1.0, v[0:1], 1.0
	v_mul_f64 v[138:139], v[136:137], v[134:135]
	v_fma_f64 v[125:126], -v[125:126], v[138:139], v[136:137]
	v_div_fmas_f64 v[125:126], v[125:126], v[134:135], v[138:139]
	v_div_fixup_f64 v[0:1], v[125:126], v[0:1], 1.0
.LBB116_801:
	s_or_b32 exec_lo, exec_lo, s0
	s_mov_b32 s0, exec_lo
	v_cmpx_ne_u32_e64 v133, v124
	s_xor_b32 s0, exec_lo, s0
	s_cbranch_execz .LBB116_807
; %bb.802:
	s_mov_b32 s1, exec_lo
	v_cmpx_eq_u32_e32 47, v133
	s_cbranch_execz .LBB116_806
; %bb.803:
	v_cmp_ne_u32_e32 vcc_lo, 47, v124
	s_xor_b32 s2, s6, -1
	s_and_b32 s3, s2, vcc_lo
	s_and_saveexec_b32 s2, s3
	s_cbranch_execz .LBB116_805
; %bb.804:
	v_ashrrev_i32_e32 v125, 31, v124
	v_lshlrev_b64 v[125:126], 2, v[124:125]
	v_add_co_u32 v125, vcc_lo, v4, v125
	v_add_co_ci_u32_e64 v126, null, v5, v126, vcc_lo
	s_clause 0x1
	global_load_dword v132, v[125:126], off
	global_load_dword v133, v[4:5], off offset:188
	s_waitcnt vmcnt(1)
	global_store_dword v[4:5], v132, off offset:188
	s_waitcnt vmcnt(0)
	global_store_dword v[125:126], v133, off
.LBB116_805:
	s_or_b32 exec_lo, exec_lo, s2
	v_mov_b32_e32 v132, v124
	v_mov_b32_e32 v133, v124
.LBB116_806:
	s_or_b32 exec_lo, exec_lo, s1
.LBB116_807:
	s_andn2_saveexec_b32 s0, s0
	s_cbranch_execz .LBB116_809
; %bb.808:
	v_mov_b32_e32 v124, v26
	v_mov_b32_e32 v125, v27
	;; [unrolled: 1-line block ×8, first 2 shown]
	ds_write2_b64 v130, v[124:125], v[133:134] offset0:48 offset1:49
	v_mov_b32_e32 v124, v18
	v_mov_b32_e32 v125, v19
	;; [unrolled: 1-line block ×13, first 2 shown]
	ds_write2_b64 v130, v[135:136], v[124:125] offset0:50 offset1:51
	ds_write2_b64 v130, v[137:138], v[139:140] offset0:52 offset1:53
	;; [unrolled: 1-line block ×4, first 2 shown]
	ds_write_b64 v130, v[122:123] offset:464
.LBB116_809:
	s_or_b32 exec_lo, exec_lo, s0
	s_mov_b32 s0, exec_lo
	s_waitcnt lgkmcnt(0)
	s_waitcnt_vscnt null, 0x0
	s_barrier
	buffer_gl0_inv
	v_cmpx_lt_i32_e32 47, v133
	s_cbranch_execz .LBB116_811
; %bb.810:
	v_mul_f64 v[24:25], v[0:1], v[24:25]
	ds_read2_b64 v[134:137], v130 offset0:48 offset1:49
	ds_read2_b64 v[138:141], v130 offset0:50 offset1:51
	;; [unrolled: 1-line block ×5, first 2 shown]
	ds_read_b64 v[0:1], v130 offset:464
	s_waitcnt lgkmcnt(5)
	v_fma_f64 v[26:27], -v[24:25], v[134:135], v[26:27]
	v_fma_f64 v[22:23], -v[24:25], v[136:137], v[22:23]
	s_waitcnt lgkmcnt(4)
	v_fma_f64 v[20:21], -v[24:25], v[138:139], v[20:21]
	v_fma_f64 v[18:19], -v[24:25], v[140:141], v[18:19]
	;; [unrolled: 3-line block ×5, first 2 shown]
	s_waitcnt lgkmcnt(0)
	v_fma_f64 v[122:123], -v[24:25], v[0:1], v[122:123]
.LBB116_811:
	s_or_b32 exec_lo, exec_lo, s0
	v_lshl_add_u32 v0, v133, 3, v130
	s_barrier
	buffer_gl0_inv
	v_mov_b32_e32 v124, 48
	ds_write_b64 v0, v[26:27]
	s_waitcnt lgkmcnt(0)
	s_barrier
	buffer_gl0_inv
	ds_read_b64 v[0:1], v130 offset:384
	s_cmp_lt_i32 s7, 50
	s_cbranch_scc1 .LBB116_814
; %bb.812:
	v_add3_u32 v125, v131, 0, 0x188
	v_mov_b32_e32 v124, 48
	s_mov_b32 s0, 49
.LBB116_813:                            ; =>This Inner Loop Header: Depth=1
	ds_read_b64 v[134:135], v125
	v_add_nc_u32_e32 v125, 8, v125
	s_waitcnt lgkmcnt(0)
	v_cmp_lt_f64_e64 vcc_lo, |v[0:1]|, |v[134:135]|
	v_cndmask_b32_e32 v1, v1, v135, vcc_lo
	v_cndmask_b32_e32 v0, v0, v134, vcc_lo
	v_cndmask_b32_e64 v124, v124, s0, vcc_lo
	s_add_i32 s0, s0, 1
	s_cmp_lg_u32 s7, s0
	s_cbranch_scc1 .LBB116_813
.LBB116_814:
	s_mov_b32 s0, exec_lo
	s_waitcnt lgkmcnt(0)
	v_cmpx_eq_f64_e32 0, v[0:1]
	s_xor_b32 s0, exec_lo, s0
; %bb.815:
	v_cmp_ne_u32_e32 vcc_lo, 0, v127
	v_cndmask_b32_e32 v127, 49, v127, vcc_lo
; %bb.816:
	s_andn2_saveexec_b32 s0, s0
	s_cbranch_execz .LBB116_818
; %bb.817:
	v_div_scale_f64 v[125:126], null, v[0:1], v[0:1], 1.0
	v_rcp_f64_e32 v[134:135], v[125:126]
	v_fma_f64 v[136:137], -v[125:126], v[134:135], 1.0
	v_fma_f64 v[134:135], v[134:135], v[136:137], v[134:135]
	v_fma_f64 v[136:137], -v[125:126], v[134:135], 1.0
	v_fma_f64 v[134:135], v[134:135], v[136:137], v[134:135]
	v_div_scale_f64 v[136:137], vcc_lo, 1.0, v[0:1], 1.0
	v_mul_f64 v[138:139], v[136:137], v[134:135]
	v_fma_f64 v[125:126], -v[125:126], v[138:139], v[136:137]
	v_div_fmas_f64 v[125:126], v[125:126], v[134:135], v[138:139]
	v_div_fixup_f64 v[0:1], v[125:126], v[0:1], 1.0
.LBB116_818:
	s_or_b32 exec_lo, exec_lo, s0
	s_mov_b32 s0, exec_lo
	v_cmpx_ne_u32_e64 v133, v124
	s_xor_b32 s0, exec_lo, s0
	s_cbranch_execz .LBB116_824
; %bb.819:
	s_mov_b32 s1, exec_lo
	v_cmpx_eq_u32_e32 48, v133
	s_cbranch_execz .LBB116_823
; %bb.820:
	v_cmp_ne_u32_e32 vcc_lo, 48, v124
	s_xor_b32 s2, s6, -1
	s_and_b32 s3, s2, vcc_lo
	s_and_saveexec_b32 s2, s3
	s_cbranch_execz .LBB116_822
; %bb.821:
	v_ashrrev_i32_e32 v125, 31, v124
	v_lshlrev_b64 v[125:126], 2, v[124:125]
	v_add_co_u32 v125, vcc_lo, v4, v125
	v_add_co_ci_u32_e64 v126, null, v5, v126, vcc_lo
	s_clause 0x1
	global_load_dword v132, v[125:126], off
	global_load_dword v133, v[4:5], off offset:192
	s_waitcnt vmcnt(1)
	global_store_dword v[4:5], v132, off offset:192
	s_waitcnt vmcnt(0)
	global_store_dword v[125:126], v133, off
.LBB116_822:
	s_or_b32 exec_lo, exec_lo, s2
	v_mov_b32_e32 v132, v124
	v_mov_b32_e32 v133, v124
.LBB116_823:
	s_or_b32 exec_lo, exec_lo, s1
.LBB116_824:
	s_andn2_saveexec_b32 s0, s0
	s_cbranch_execz .LBB116_826
; %bb.825:
	v_mov_b32_e32 v133, 48
	ds_write2_b64 v130, v[22:23], v[20:21] offset0:49 offset1:50
	ds_write2_b64 v130, v[18:19], v[16:17] offset0:51 offset1:52
	;; [unrolled: 1-line block ×5, first 2 shown]
.LBB116_826:
	s_or_b32 exec_lo, exec_lo, s0
	s_mov_b32 s0, exec_lo
	s_waitcnt lgkmcnt(0)
	s_waitcnt_vscnt null, 0x0
	s_barrier
	buffer_gl0_inv
	v_cmpx_lt_i32_e32 48, v133
	s_cbranch_execz .LBB116_828
; %bb.827:
	v_mul_f64 v[26:27], v[0:1], v[26:27]
	ds_read2_b64 v[134:137], v130 offset0:49 offset1:50
	ds_read2_b64 v[138:141], v130 offset0:51 offset1:52
	;; [unrolled: 1-line block ×5, first 2 shown]
	s_waitcnt lgkmcnt(4)
	v_fma_f64 v[22:23], -v[26:27], v[134:135], v[22:23]
	v_fma_f64 v[20:21], -v[26:27], v[136:137], v[20:21]
	s_waitcnt lgkmcnt(3)
	v_fma_f64 v[18:19], -v[26:27], v[138:139], v[18:19]
	v_fma_f64 v[16:17], -v[26:27], v[140:141], v[16:17]
	;; [unrolled: 3-line block ×5, first 2 shown]
.LBB116_828:
	s_or_b32 exec_lo, exec_lo, s0
	v_lshl_add_u32 v0, v133, 3, v130
	s_barrier
	buffer_gl0_inv
	v_mov_b32_e32 v124, 49
	ds_write_b64 v0, v[22:23]
	s_waitcnt lgkmcnt(0)
	s_barrier
	buffer_gl0_inv
	ds_read_b64 v[0:1], v130 offset:392
	s_cmp_lt_i32 s7, 51
	s_cbranch_scc1 .LBB116_831
; %bb.829:
	v_add3_u32 v125, v131, 0, 0x190
	v_mov_b32_e32 v124, 49
	s_mov_b32 s0, 50
.LBB116_830:                            ; =>This Inner Loop Header: Depth=1
	ds_read_b64 v[134:135], v125
	v_add_nc_u32_e32 v125, 8, v125
	s_waitcnt lgkmcnt(0)
	v_cmp_lt_f64_e64 vcc_lo, |v[0:1]|, |v[134:135]|
	v_cndmask_b32_e32 v1, v1, v135, vcc_lo
	v_cndmask_b32_e32 v0, v0, v134, vcc_lo
	v_cndmask_b32_e64 v124, v124, s0, vcc_lo
	s_add_i32 s0, s0, 1
	s_cmp_lg_u32 s7, s0
	s_cbranch_scc1 .LBB116_830
.LBB116_831:
	s_mov_b32 s0, exec_lo
	s_waitcnt lgkmcnt(0)
	v_cmpx_eq_f64_e32 0, v[0:1]
	s_xor_b32 s0, exec_lo, s0
; %bb.832:
	v_cmp_ne_u32_e32 vcc_lo, 0, v127
	v_cndmask_b32_e32 v127, 50, v127, vcc_lo
; %bb.833:
	s_andn2_saveexec_b32 s0, s0
	s_cbranch_execz .LBB116_835
; %bb.834:
	v_div_scale_f64 v[125:126], null, v[0:1], v[0:1], 1.0
	v_rcp_f64_e32 v[134:135], v[125:126]
	v_fma_f64 v[136:137], -v[125:126], v[134:135], 1.0
	v_fma_f64 v[134:135], v[134:135], v[136:137], v[134:135]
	v_fma_f64 v[136:137], -v[125:126], v[134:135], 1.0
	v_fma_f64 v[134:135], v[134:135], v[136:137], v[134:135]
	v_div_scale_f64 v[136:137], vcc_lo, 1.0, v[0:1], 1.0
	v_mul_f64 v[138:139], v[136:137], v[134:135]
	v_fma_f64 v[125:126], -v[125:126], v[138:139], v[136:137]
	v_div_fmas_f64 v[125:126], v[125:126], v[134:135], v[138:139]
	v_div_fixup_f64 v[0:1], v[125:126], v[0:1], 1.0
.LBB116_835:
	s_or_b32 exec_lo, exec_lo, s0
	s_mov_b32 s0, exec_lo
	v_cmpx_ne_u32_e64 v133, v124
	s_xor_b32 s0, exec_lo, s0
	s_cbranch_execz .LBB116_841
; %bb.836:
	s_mov_b32 s1, exec_lo
	v_cmpx_eq_u32_e32 49, v133
	s_cbranch_execz .LBB116_840
; %bb.837:
	v_cmp_ne_u32_e32 vcc_lo, 49, v124
	s_xor_b32 s2, s6, -1
	s_and_b32 s3, s2, vcc_lo
	s_and_saveexec_b32 s2, s3
	s_cbranch_execz .LBB116_839
; %bb.838:
	v_ashrrev_i32_e32 v125, 31, v124
	v_lshlrev_b64 v[125:126], 2, v[124:125]
	v_add_co_u32 v125, vcc_lo, v4, v125
	v_add_co_ci_u32_e64 v126, null, v5, v126, vcc_lo
	s_clause 0x1
	global_load_dword v132, v[125:126], off
	global_load_dword v133, v[4:5], off offset:196
	s_waitcnt vmcnt(1)
	global_store_dword v[4:5], v132, off offset:196
	s_waitcnt vmcnt(0)
	global_store_dword v[125:126], v133, off
.LBB116_839:
	s_or_b32 exec_lo, exec_lo, s2
	v_mov_b32_e32 v132, v124
	v_mov_b32_e32 v133, v124
.LBB116_840:
	s_or_b32 exec_lo, exec_lo, s1
.LBB116_841:
	s_andn2_saveexec_b32 s0, s0
	s_cbranch_execz .LBB116_843
; %bb.842:
	v_mov_b32_e32 v124, v20
	v_mov_b32_e32 v125, v21
	v_mov_b32_e32 v133, v18
	v_mov_b32_e32 v134, v19
	v_mov_b32_e32 v135, v16
	v_mov_b32_e32 v136, v17
	v_mov_b32_e32 v137, v14
	v_mov_b32_e32 v138, v15
	ds_write2_b64 v130, v[124:125], v[133:134] offset0:50 offset1:51
	v_mov_b32_e32 v133, 49
	v_mov_b32_e32 v139, v12
	;; [unrolled: 1-line block ×9, first 2 shown]
	ds_write2_b64 v130, v[135:136], v[137:138] offset0:52 offset1:53
	ds_write2_b64 v130, v[139:140], v[141:142] offset0:54 offset1:55
	;; [unrolled: 1-line block ×3, first 2 shown]
	ds_write_b64 v130, v[122:123] offset:464
.LBB116_843:
	s_or_b32 exec_lo, exec_lo, s0
	s_mov_b32 s0, exec_lo
	s_waitcnt lgkmcnt(0)
	s_waitcnt_vscnt null, 0x0
	s_barrier
	buffer_gl0_inv
	v_cmpx_lt_i32_e32 49, v133
	s_cbranch_execz .LBB116_845
; %bb.844:
	v_mul_f64 v[22:23], v[0:1], v[22:23]
	ds_read2_b64 v[134:137], v130 offset0:50 offset1:51
	ds_read2_b64 v[138:141], v130 offset0:52 offset1:53
	;; [unrolled: 1-line block ×4, first 2 shown]
	ds_read_b64 v[0:1], v130 offset:464
	s_waitcnt lgkmcnt(4)
	v_fma_f64 v[20:21], -v[22:23], v[134:135], v[20:21]
	v_fma_f64 v[18:19], -v[22:23], v[136:137], v[18:19]
	s_waitcnt lgkmcnt(3)
	v_fma_f64 v[16:17], -v[22:23], v[138:139], v[16:17]
	v_fma_f64 v[14:15], -v[22:23], v[140:141], v[14:15]
	;; [unrolled: 3-line block ×4, first 2 shown]
	s_waitcnt lgkmcnt(0)
	v_fma_f64 v[122:123], -v[22:23], v[0:1], v[122:123]
.LBB116_845:
	s_or_b32 exec_lo, exec_lo, s0
	v_lshl_add_u32 v0, v133, 3, v130
	s_barrier
	buffer_gl0_inv
	v_mov_b32_e32 v124, 50
	ds_write_b64 v0, v[20:21]
	s_waitcnt lgkmcnt(0)
	s_barrier
	buffer_gl0_inv
	ds_read_b64 v[0:1], v130 offset:400
	s_cmp_lt_i32 s7, 52
	s_cbranch_scc1 .LBB116_848
; %bb.846:
	v_add3_u32 v125, v131, 0, 0x198
	v_mov_b32_e32 v124, 50
	s_mov_b32 s0, 51
.LBB116_847:                            ; =>This Inner Loop Header: Depth=1
	ds_read_b64 v[134:135], v125
	v_add_nc_u32_e32 v125, 8, v125
	s_waitcnt lgkmcnt(0)
	v_cmp_lt_f64_e64 vcc_lo, |v[0:1]|, |v[134:135]|
	v_cndmask_b32_e32 v1, v1, v135, vcc_lo
	v_cndmask_b32_e32 v0, v0, v134, vcc_lo
	v_cndmask_b32_e64 v124, v124, s0, vcc_lo
	s_add_i32 s0, s0, 1
	s_cmp_lg_u32 s7, s0
	s_cbranch_scc1 .LBB116_847
.LBB116_848:
	s_mov_b32 s0, exec_lo
	s_waitcnt lgkmcnt(0)
	v_cmpx_eq_f64_e32 0, v[0:1]
	s_xor_b32 s0, exec_lo, s0
; %bb.849:
	v_cmp_ne_u32_e32 vcc_lo, 0, v127
	v_cndmask_b32_e32 v127, 51, v127, vcc_lo
; %bb.850:
	s_andn2_saveexec_b32 s0, s0
	s_cbranch_execz .LBB116_852
; %bb.851:
	v_div_scale_f64 v[125:126], null, v[0:1], v[0:1], 1.0
	v_rcp_f64_e32 v[134:135], v[125:126]
	v_fma_f64 v[136:137], -v[125:126], v[134:135], 1.0
	v_fma_f64 v[134:135], v[134:135], v[136:137], v[134:135]
	v_fma_f64 v[136:137], -v[125:126], v[134:135], 1.0
	v_fma_f64 v[134:135], v[134:135], v[136:137], v[134:135]
	v_div_scale_f64 v[136:137], vcc_lo, 1.0, v[0:1], 1.0
	v_mul_f64 v[138:139], v[136:137], v[134:135]
	v_fma_f64 v[125:126], -v[125:126], v[138:139], v[136:137]
	v_div_fmas_f64 v[125:126], v[125:126], v[134:135], v[138:139]
	v_div_fixup_f64 v[0:1], v[125:126], v[0:1], 1.0
.LBB116_852:
	s_or_b32 exec_lo, exec_lo, s0
	s_mov_b32 s0, exec_lo
	v_cmpx_ne_u32_e64 v133, v124
	s_xor_b32 s0, exec_lo, s0
	s_cbranch_execz .LBB116_858
; %bb.853:
	s_mov_b32 s1, exec_lo
	v_cmpx_eq_u32_e32 50, v133
	s_cbranch_execz .LBB116_857
; %bb.854:
	v_cmp_ne_u32_e32 vcc_lo, 50, v124
	s_xor_b32 s2, s6, -1
	s_and_b32 s3, s2, vcc_lo
	s_and_saveexec_b32 s2, s3
	s_cbranch_execz .LBB116_856
; %bb.855:
	v_ashrrev_i32_e32 v125, 31, v124
	v_lshlrev_b64 v[125:126], 2, v[124:125]
	v_add_co_u32 v125, vcc_lo, v4, v125
	v_add_co_ci_u32_e64 v126, null, v5, v126, vcc_lo
	s_clause 0x1
	global_load_dword v132, v[125:126], off
	global_load_dword v133, v[4:5], off offset:200
	s_waitcnt vmcnt(1)
	global_store_dword v[4:5], v132, off offset:200
	s_waitcnt vmcnt(0)
	global_store_dword v[125:126], v133, off
.LBB116_856:
	s_or_b32 exec_lo, exec_lo, s2
	v_mov_b32_e32 v132, v124
	v_mov_b32_e32 v133, v124
.LBB116_857:
	s_or_b32 exec_lo, exec_lo, s1
.LBB116_858:
	s_andn2_saveexec_b32 s0, s0
	s_cbranch_execz .LBB116_860
; %bb.859:
	v_mov_b32_e32 v133, 50
	ds_write2_b64 v130, v[18:19], v[16:17] offset0:51 offset1:52
	ds_write2_b64 v130, v[14:15], v[12:13] offset0:53 offset1:54
	;; [unrolled: 1-line block ×4, first 2 shown]
.LBB116_860:
	s_or_b32 exec_lo, exec_lo, s0
	s_mov_b32 s0, exec_lo
	s_waitcnt lgkmcnt(0)
	s_waitcnt_vscnt null, 0x0
	s_barrier
	buffer_gl0_inv
	v_cmpx_lt_i32_e32 50, v133
	s_cbranch_execz .LBB116_862
; %bb.861:
	v_mul_f64 v[20:21], v[0:1], v[20:21]
	ds_read2_b64 v[134:137], v130 offset0:51 offset1:52
	ds_read2_b64 v[138:141], v130 offset0:53 offset1:54
	;; [unrolled: 1-line block ×4, first 2 shown]
	s_waitcnt lgkmcnt(3)
	v_fma_f64 v[18:19], -v[20:21], v[134:135], v[18:19]
	v_fma_f64 v[16:17], -v[20:21], v[136:137], v[16:17]
	s_waitcnt lgkmcnt(2)
	v_fma_f64 v[14:15], -v[20:21], v[138:139], v[14:15]
	v_fma_f64 v[12:13], -v[20:21], v[140:141], v[12:13]
	;; [unrolled: 3-line block ×4, first 2 shown]
.LBB116_862:
	s_or_b32 exec_lo, exec_lo, s0
	v_lshl_add_u32 v0, v133, 3, v130
	s_barrier
	buffer_gl0_inv
	v_mov_b32_e32 v124, 51
	ds_write_b64 v0, v[18:19]
	s_waitcnt lgkmcnt(0)
	s_barrier
	buffer_gl0_inv
	ds_read_b64 v[0:1], v130 offset:408
	s_cmp_lt_i32 s7, 53
	s_cbranch_scc1 .LBB116_865
; %bb.863:
	v_add3_u32 v125, v131, 0, 0x1a0
	v_mov_b32_e32 v124, 51
	s_mov_b32 s0, 52
.LBB116_864:                            ; =>This Inner Loop Header: Depth=1
	ds_read_b64 v[134:135], v125
	v_add_nc_u32_e32 v125, 8, v125
	s_waitcnt lgkmcnt(0)
	v_cmp_lt_f64_e64 vcc_lo, |v[0:1]|, |v[134:135]|
	v_cndmask_b32_e32 v1, v1, v135, vcc_lo
	v_cndmask_b32_e32 v0, v0, v134, vcc_lo
	v_cndmask_b32_e64 v124, v124, s0, vcc_lo
	s_add_i32 s0, s0, 1
	s_cmp_lg_u32 s7, s0
	s_cbranch_scc1 .LBB116_864
.LBB116_865:
	s_mov_b32 s0, exec_lo
	s_waitcnt lgkmcnt(0)
	v_cmpx_eq_f64_e32 0, v[0:1]
	s_xor_b32 s0, exec_lo, s0
; %bb.866:
	v_cmp_ne_u32_e32 vcc_lo, 0, v127
	v_cndmask_b32_e32 v127, 52, v127, vcc_lo
; %bb.867:
	s_andn2_saveexec_b32 s0, s0
	s_cbranch_execz .LBB116_869
; %bb.868:
	v_div_scale_f64 v[125:126], null, v[0:1], v[0:1], 1.0
	v_rcp_f64_e32 v[134:135], v[125:126]
	v_fma_f64 v[136:137], -v[125:126], v[134:135], 1.0
	v_fma_f64 v[134:135], v[134:135], v[136:137], v[134:135]
	v_fma_f64 v[136:137], -v[125:126], v[134:135], 1.0
	v_fma_f64 v[134:135], v[134:135], v[136:137], v[134:135]
	v_div_scale_f64 v[136:137], vcc_lo, 1.0, v[0:1], 1.0
	v_mul_f64 v[138:139], v[136:137], v[134:135]
	v_fma_f64 v[125:126], -v[125:126], v[138:139], v[136:137]
	v_div_fmas_f64 v[125:126], v[125:126], v[134:135], v[138:139]
	v_div_fixup_f64 v[0:1], v[125:126], v[0:1], 1.0
.LBB116_869:
	s_or_b32 exec_lo, exec_lo, s0
	s_mov_b32 s0, exec_lo
	v_cmpx_ne_u32_e64 v133, v124
	s_xor_b32 s0, exec_lo, s0
	s_cbranch_execz .LBB116_875
; %bb.870:
	s_mov_b32 s1, exec_lo
	v_cmpx_eq_u32_e32 51, v133
	s_cbranch_execz .LBB116_874
; %bb.871:
	v_cmp_ne_u32_e32 vcc_lo, 51, v124
	s_xor_b32 s2, s6, -1
	s_and_b32 s3, s2, vcc_lo
	s_and_saveexec_b32 s2, s3
	s_cbranch_execz .LBB116_873
; %bb.872:
	v_ashrrev_i32_e32 v125, 31, v124
	v_lshlrev_b64 v[125:126], 2, v[124:125]
	v_add_co_u32 v125, vcc_lo, v4, v125
	v_add_co_ci_u32_e64 v126, null, v5, v126, vcc_lo
	s_clause 0x1
	global_load_dword v132, v[125:126], off
	global_load_dword v133, v[4:5], off offset:204
	s_waitcnt vmcnt(1)
	global_store_dword v[4:5], v132, off offset:204
	s_waitcnt vmcnt(0)
	global_store_dword v[125:126], v133, off
.LBB116_873:
	s_or_b32 exec_lo, exec_lo, s2
	v_mov_b32_e32 v132, v124
	v_mov_b32_e32 v133, v124
.LBB116_874:
	s_or_b32 exec_lo, exec_lo, s1
.LBB116_875:
	s_andn2_saveexec_b32 s0, s0
	s_cbranch_execz .LBB116_877
; %bb.876:
	v_mov_b32_e32 v124, v16
	v_mov_b32_e32 v125, v17
	;; [unrolled: 1-line block ×13, first 2 shown]
	ds_write2_b64 v130, v[124:125], v[134:135] offset0:52 offset1:53
	ds_write2_b64 v130, v[136:137], v[138:139] offset0:54 offset1:55
	;; [unrolled: 1-line block ×3, first 2 shown]
	ds_write_b64 v130, v[122:123] offset:464
.LBB116_877:
	s_or_b32 exec_lo, exec_lo, s0
	s_mov_b32 s0, exec_lo
	s_waitcnt lgkmcnt(0)
	s_waitcnt_vscnt null, 0x0
	s_barrier
	buffer_gl0_inv
	v_cmpx_lt_i32_e32 51, v133
	s_cbranch_execz .LBB116_879
; %bb.878:
	v_mul_f64 v[18:19], v[0:1], v[18:19]
	ds_read2_b64 v[134:137], v130 offset0:52 offset1:53
	ds_read2_b64 v[138:141], v130 offset0:54 offset1:55
	;; [unrolled: 1-line block ×3, first 2 shown]
	ds_read_b64 v[0:1], v130 offset:464
	s_waitcnt lgkmcnt(3)
	v_fma_f64 v[16:17], -v[18:19], v[134:135], v[16:17]
	v_fma_f64 v[14:15], -v[18:19], v[136:137], v[14:15]
	s_waitcnt lgkmcnt(2)
	v_fma_f64 v[12:13], -v[18:19], v[138:139], v[12:13]
	v_fma_f64 v[8:9], -v[18:19], v[140:141], v[8:9]
	;; [unrolled: 3-line block ×3, first 2 shown]
	s_waitcnt lgkmcnt(0)
	v_fma_f64 v[122:123], -v[18:19], v[0:1], v[122:123]
.LBB116_879:
	s_or_b32 exec_lo, exec_lo, s0
	v_lshl_add_u32 v0, v133, 3, v130
	s_barrier
	buffer_gl0_inv
	v_mov_b32_e32 v124, 52
	ds_write_b64 v0, v[16:17]
	s_waitcnt lgkmcnt(0)
	s_barrier
	buffer_gl0_inv
	ds_read_b64 v[0:1], v130 offset:416
	s_cmp_lt_i32 s7, 54
	s_cbranch_scc1 .LBB116_882
; %bb.880:
	v_add3_u32 v125, v131, 0, 0x1a8
	v_mov_b32_e32 v124, 52
	s_mov_b32 s0, 53
.LBB116_881:                            ; =>This Inner Loop Header: Depth=1
	ds_read_b64 v[134:135], v125
	v_add_nc_u32_e32 v125, 8, v125
	s_waitcnt lgkmcnt(0)
	v_cmp_lt_f64_e64 vcc_lo, |v[0:1]|, |v[134:135]|
	v_cndmask_b32_e32 v1, v1, v135, vcc_lo
	v_cndmask_b32_e32 v0, v0, v134, vcc_lo
	v_cndmask_b32_e64 v124, v124, s0, vcc_lo
	s_add_i32 s0, s0, 1
	s_cmp_lg_u32 s7, s0
	s_cbranch_scc1 .LBB116_881
.LBB116_882:
	s_mov_b32 s0, exec_lo
	s_waitcnt lgkmcnt(0)
	v_cmpx_eq_f64_e32 0, v[0:1]
	s_xor_b32 s0, exec_lo, s0
; %bb.883:
	v_cmp_ne_u32_e32 vcc_lo, 0, v127
	v_cndmask_b32_e32 v127, 53, v127, vcc_lo
; %bb.884:
	s_andn2_saveexec_b32 s0, s0
	s_cbranch_execz .LBB116_886
; %bb.885:
	v_div_scale_f64 v[125:126], null, v[0:1], v[0:1], 1.0
	v_rcp_f64_e32 v[134:135], v[125:126]
	v_fma_f64 v[136:137], -v[125:126], v[134:135], 1.0
	v_fma_f64 v[134:135], v[134:135], v[136:137], v[134:135]
	v_fma_f64 v[136:137], -v[125:126], v[134:135], 1.0
	v_fma_f64 v[134:135], v[134:135], v[136:137], v[134:135]
	v_div_scale_f64 v[136:137], vcc_lo, 1.0, v[0:1], 1.0
	v_mul_f64 v[138:139], v[136:137], v[134:135]
	v_fma_f64 v[125:126], -v[125:126], v[138:139], v[136:137]
	v_div_fmas_f64 v[125:126], v[125:126], v[134:135], v[138:139]
	v_div_fixup_f64 v[0:1], v[125:126], v[0:1], 1.0
.LBB116_886:
	s_or_b32 exec_lo, exec_lo, s0
	s_mov_b32 s0, exec_lo
	v_cmpx_ne_u32_e64 v133, v124
	s_xor_b32 s0, exec_lo, s0
	s_cbranch_execz .LBB116_892
; %bb.887:
	s_mov_b32 s1, exec_lo
	v_cmpx_eq_u32_e32 52, v133
	s_cbranch_execz .LBB116_891
; %bb.888:
	v_cmp_ne_u32_e32 vcc_lo, 52, v124
	s_xor_b32 s2, s6, -1
	s_and_b32 s3, s2, vcc_lo
	s_and_saveexec_b32 s2, s3
	s_cbranch_execz .LBB116_890
; %bb.889:
	v_ashrrev_i32_e32 v125, 31, v124
	v_lshlrev_b64 v[125:126], 2, v[124:125]
	v_add_co_u32 v125, vcc_lo, v4, v125
	v_add_co_ci_u32_e64 v126, null, v5, v126, vcc_lo
	s_clause 0x1
	global_load_dword v132, v[125:126], off
	global_load_dword v133, v[4:5], off offset:208
	s_waitcnt vmcnt(1)
	global_store_dword v[4:5], v132, off offset:208
	s_waitcnt vmcnt(0)
	global_store_dword v[125:126], v133, off
.LBB116_890:
	s_or_b32 exec_lo, exec_lo, s2
	v_mov_b32_e32 v132, v124
	v_mov_b32_e32 v133, v124
.LBB116_891:
	s_or_b32 exec_lo, exec_lo, s1
.LBB116_892:
	s_andn2_saveexec_b32 s0, s0
	s_cbranch_execz .LBB116_894
; %bb.893:
	v_mov_b32_e32 v133, 52
	ds_write2_b64 v130, v[14:15], v[12:13] offset0:53 offset1:54
	ds_write2_b64 v130, v[8:9], v[10:11] offset0:55 offset1:56
	;; [unrolled: 1-line block ×3, first 2 shown]
.LBB116_894:
	s_or_b32 exec_lo, exec_lo, s0
	s_mov_b32 s0, exec_lo
	s_waitcnt lgkmcnt(0)
	s_waitcnt_vscnt null, 0x0
	s_barrier
	buffer_gl0_inv
	v_cmpx_lt_i32_e32 52, v133
	s_cbranch_execz .LBB116_896
; %bb.895:
	v_mul_f64 v[16:17], v[0:1], v[16:17]
	ds_read2_b64 v[134:137], v130 offset0:53 offset1:54
	ds_read2_b64 v[138:141], v130 offset0:55 offset1:56
	;; [unrolled: 1-line block ×3, first 2 shown]
	s_waitcnt lgkmcnt(2)
	v_fma_f64 v[14:15], -v[16:17], v[134:135], v[14:15]
	v_fma_f64 v[12:13], -v[16:17], v[136:137], v[12:13]
	s_waitcnt lgkmcnt(1)
	v_fma_f64 v[8:9], -v[16:17], v[138:139], v[8:9]
	v_fma_f64 v[10:11], -v[16:17], v[140:141], v[10:11]
	s_waitcnt lgkmcnt(0)
	v_fma_f64 v[6:7], -v[16:17], v[142:143], v[6:7]
	v_fma_f64 v[122:123], -v[16:17], v[144:145], v[122:123]
.LBB116_896:
	s_or_b32 exec_lo, exec_lo, s0
	v_lshl_add_u32 v0, v133, 3, v130
	s_barrier
	buffer_gl0_inv
	v_mov_b32_e32 v124, 53
	ds_write_b64 v0, v[14:15]
	s_waitcnt lgkmcnt(0)
	s_barrier
	buffer_gl0_inv
	ds_read_b64 v[0:1], v130 offset:424
	s_cmp_lt_i32 s7, 55
	s_cbranch_scc1 .LBB116_899
; %bb.897:
	v_add3_u32 v125, v131, 0, 0x1b0
	v_mov_b32_e32 v124, 53
	s_mov_b32 s0, 54
.LBB116_898:                            ; =>This Inner Loop Header: Depth=1
	ds_read_b64 v[134:135], v125
	v_add_nc_u32_e32 v125, 8, v125
	s_waitcnt lgkmcnt(0)
	v_cmp_lt_f64_e64 vcc_lo, |v[0:1]|, |v[134:135]|
	v_cndmask_b32_e32 v1, v1, v135, vcc_lo
	v_cndmask_b32_e32 v0, v0, v134, vcc_lo
	v_cndmask_b32_e64 v124, v124, s0, vcc_lo
	s_add_i32 s0, s0, 1
	s_cmp_lg_u32 s7, s0
	s_cbranch_scc1 .LBB116_898
.LBB116_899:
	s_mov_b32 s0, exec_lo
	s_waitcnt lgkmcnt(0)
	v_cmpx_eq_f64_e32 0, v[0:1]
	s_xor_b32 s0, exec_lo, s0
; %bb.900:
	v_cmp_ne_u32_e32 vcc_lo, 0, v127
	v_cndmask_b32_e32 v127, 54, v127, vcc_lo
; %bb.901:
	s_andn2_saveexec_b32 s0, s0
	s_cbranch_execz .LBB116_903
; %bb.902:
	v_div_scale_f64 v[125:126], null, v[0:1], v[0:1], 1.0
	v_rcp_f64_e32 v[134:135], v[125:126]
	v_fma_f64 v[136:137], -v[125:126], v[134:135], 1.0
	v_fma_f64 v[134:135], v[134:135], v[136:137], v[134:135]
	v_fma_f64 v[136:137], -v[125:126], v[134:135], 1.0
	v_fma_f64 v[134:135], v[134:135], v[136:137], v[134:135]
	v_div_scale_f64 v[136:137], vcc_lo, 1.0, v[0:1], 1.0
	v_mul_f64 v[138:139], v[136:137], v[134:135]
	v_fma_f64 v[125:126], -v[125:126], v[138:139], v[136:137]
	v_div_fmas_f64 v[125:126], v[125:126], v[134:135], v[138:139]
	v_div_fixup_f64 v[0:1], v[125:126], v[0:1], 1.0
.LBB116_903:
	s_or_b32 exec_lo, exec_lo, s0
	s_mov_b32 s0, exec_lo
	v_cmpx_ne_u32_e64 v133, v124
	s_xor_b32 s0, exec_lo, s0
	s_cbranch_execz .LBB116_909
; %bb.904:
	s_mov_b32 s1, exec_lo
	v_cmpx_eq_u32_e32 53, v133
	s_cbranch_execz .LBB116_908
; %bb.905:
	v_cmp_ne_u32_e32 vcc_lo, 53, v124
	s_xor_b32 s2, s6, -1
	s_and_b32 s3, s2, vcc_lo
	s_and_saveexec_b32 s2, s3
	s_cbranch_execz .LBB116_907
; %bb.906:
	v_ashrrev_i32_e32 v125, 31, v124
	v_lshlrev_b64 v[125:126], 2, v[124:125]
	v_add_co_u32 v125, vcc_lo, v4, v125
	v_add_co_ci_u32_e64 v126, null, v5, v126, vcc_lo
	s_clause 0x1
	global_load_dword v132, v[125:126], off
	global_load_dword v133, v[4:5], off offset:212
	s_waitcnt vmcnt(1)
	global_store_dword v[4:5], v132, off offset:212
	s_waitcnt vmcnt(0)
	global_store_dword v[125:126], v133, off
.LBB116_907:
	s_or_b32 exec_lo, exec_lo, s2
	v_mov_b32_e32 v132, v124
	v_mov_b32_e32 v133, v124
.LBB116_908:
	s_or_b32 exec_lo, exec_lo, s1
.LBB116_909:
	s_andn2_saveexec_b32 s0, s0
	s_cbranch_execz .LBB116_911
; %bb.910:
	v_mov_b32_e32 v124, v12
	v_mov_b32_e32 v125, v13
	;; [unrolled: 1-line block ×9, first 2 shown]
	ds_write2_b64 v130, v[124:125], v[134:135] offset0:54 offset1:55
	ds_write2_b64 v130, v[136:137], v[138:139] offset0:56 offset1:57
	ds_write_b64 v130, v[122:123] offset:464
.LBB116_911:
	s_or_b32 exec_lo, exec_lo, s0
	s_mov_b32 s0, exec_lo
	s_waitcnt lgkmcnt(0)
	s_waitcnt_vscnt null, 0x0
	s_barrier
	buffer_gl0_inv
	v_cmpx_lt_i32_e32 53, v133
	s_cbranch_execz .LBB116_913
; %bb.912:
	v_mul_f64 v[14:15], v[0:1], v[14:15]
	ds_read2_b64 v[134:137], v130 offset0:54 offset1:55
	ds_read2_b64 v[138:141], v130 offset0:56 offset1:57
	ds_read_b64 v[0:1], v130 offset:464
	s_waitcnt lgkmcnt(2)
	v_fma_f64 v[12:13], -v[14:15], v[134:135], v[12:13]
	v_fma_f64 v[8:9], -v[14:15], v[136:137], v[8:9]
	s_waitcnt lgkmcnt(1)
	v_fma_f64 v[10:11], -v[14:15], v[138:139], v[10:11]
	v_fma_f64 v[6:7], -v[14:15], v[140:141], v[6:7]
	s_waitcnt lgkmcnt(0)
	v_fma_f64 v[122:123], -v[14:15], v[0:1], v[122:123]
.LBB116_913:
	s_or_b32 exec_lo, exec_lo, s0
	v_lshl_add_u32 v0, v133, 3, v130
	s_barrier
	buffer_gl0_inv
	v_mov_b32_e32 v124, 54
	ds_write_b64 v0, v[12:13]
	s_waitcnt lgkmcnt(0)
	s_barrier
	buffer_gl0_inv
	ds_read_b64 v[0:1], v130 offset:432
	s_cmp_lt_i32 s7, 56
	s_cbranch_scc1 .LBB116_916
; %bb.914:
	v_add3_u32 v125, v131, 0, 0x1b8
	v_mov_b32_e32 v124, 54
	s_mov_b32 s0, 55
.LBB116_915:                            ; =>This Inner Loop Header: Depth=1
	ds_read_b64 v[134:135], v125
	v_add_nc_u32_e32 v125, 8, v125
	s_waitcnt lgkmcnt(0)
	v_cmp_lt_f64_e64 vcc_lo, |v[0:1]|, |v[134:135]|
	v_cndmask_b32_e32 v1, v1, v135, vcc_lo
	v_cndmask_b32_e32 v0, v0, v134, vcc_lo
	v_cndmask_b32_e64 v124, v124, s0, vcc_lo
	s_add_i32 s0, s0, 1
	s_cmp_lg_u32 s7, s0
	s_cbranch_scc1 .LBB116_915
.LBB116_916:
	s_mov_b32 s0, exec_lo
	s_waitcnt lgkmcnt(0)
	v_cmpx_eq_f64_e32 0, v[0:1]
	s_xor_b32 s0, exec_lo, s0
; %bb.917:
	v_cmp_ne_u32_e32 vcc_lo, 0, v127
	v_cndmask_b32_e32 v127, 55, v127, vcc_lo
; %bb.918:
	s_andn2_saveexec_b32 s0, s0
	s_cbranch_execz .LBB116_920
; %bb.919:
	v_div_scale_f64 v[125:126], null, v[0:1], v[0:1], 1.0
	v_rcp_f64_e32 v[134:135], v[125:126]
	v_fma_f64 v[136:137], -v[125:126], v[134:135], 1.0
	v_fma_f64 v[134:135], v[134:135], v[136:137], v[134:135]
	v_fma_f64 v[136:137], -v[125:126], v[134:135], 1.0
	v_fma_f64 v[134:135], v[134:135], v[136:137], v[134:135]
	v_div_scale_f64 v[136:137], vcc_lo, 1.0, v[0:1], 1.0
	v_mul_f64 v[138:139], v[136:137], v[134:135]
	v_fma_f64 v[125:126], -v[125:126], v[138:139], v[136:137]
	v_div_fmas_f64 v[125:126], v[125:126], v[134:135], v[138:139]
	v_div_fixup_f64 v[0:1], v[125:126], v[0:1], 1.0
.LBB116_920:
	s_or_b32 exec_lo, exec_lo, s0
	s_mov_b32 s0, exec_lo
	v_cmpx_ne_u32_e64 v133, v124
	s_xor_b32 s0, exec_lo, s0
	s_cbranch_execz .LBB116_926
; %bb.921:
	s_mov_b32 s1, exec_lo
	v_cmpx_eq_u32_e32 54, v133
	s_cbranch_execz .LBB116_925
; %bb.922:
	v_cmp_ne_u32_e32 vcc_lo, 54, v124
	s_xor_b32 s2, s6, -1
	s_and_b32 s3, s2, vcc_lo
	s_and_saveexec_b32 s2, s3
	s_cbranch_execz .LBB116_924
; %bb.923:
	v_ashrrev_i32_e32 v125, 31, v124
	v_lshlrev_b64 v[125:126], 2, v[124:125]
	v_add_co_u32 v125, vcc_lo, v4, v125
	v_add_co_ci_u32_e64 v126, null, v5, v126, vcc_lo
	s_clause 0x1
	global_load_dword v132, v[125:126], off
	global_load_dword v133, v[4:5], off offset:216
	s_waitcnt vmcnt(1)
	global_store_dword v[4:5], v132, off offset:216
	s_waitcnt vmcnt(0)
	global_store_dword v[125:126], v133, off
.LBB116_924:
	s_or_b32 exec_lo, exec_lo, s2
	v_mov_b32_e32 v132, v124
	v_mov_b32_e32 v133, v124
.LBB116_925:
	s_or_b32 exec_lo, exec_lo, s1
.LBB116_926:
	s_andn2_saveexec_b32 s0, s0
	s_cbranch_execz .LBB116_928
; %bb.927:
	v_mov_b32_e32 v133, 54
	ds_write2_b64 v130, v[8:9], v[10:11] offset0:55 offset1:56
	ds_write2_b64 v130, v[6:7], v[122:123] offset0:57 offset1:58
.LBB116_928:
	s_or_b32 exec_lo, exec_lo, s0
	s_mov_b32 s0, exec_lo
	s_waitcnt lgkmcnt(0)
	s_waitcnt_vscnt null, 0x0
	s_barrier
	buffer_gl0_inv
	v_cmpx_lt_i32_e32 54, v133
	s_cbranch_execz .LBB116_930
; %bb.929:
	v_mul_f64 v[12:13], v[0:1], v[12:13]
	ds_read2_b64 v[134:137], v130 offset0:55 offset1:56
	ds_read2_b64 v[138:141], v130 offset0:57 offset1:58
	s_waitcnt lgkmcnt(1)
	v_fma_f64 v[8:9], -v[12:13], v[134:135], v[8:9]
	v_fma_f64 v[10:11], -v[12:13], v[136:137], v[10:11]
	s_waitcnt lgkmcnt(0)
	v_fma_f64 v[6:7], -v[12:13], v[138:139], v[6:7]
	v_fma_f64 v[122:123], -v[12:13], v[140:141], v[122:123]
.LBB116_930:
	s_or_b32 exec_lo, exec_lo, s0
	v_lshl_add_u32 v0, v133, 3, v130
	s_barrier
	buffer_gl0_inv
	v_mov_b32_e32 v124, 55
	ds_write_b64 v0, v[8:9]
	s_waitcnt lgkmcnt(0)
	s_barrier
	buffer_gl0_inv
	ds_read_b64 v[0:1], v130 offset:440
	s_cmp_lt_i32 s7, 57
	s_cbranch_scc1 .LBB116_933
; %bb.931:
	v_add3_u32 v125, v131, 0, 0x1c0
	v_mov_b32_e32 v124, 55
	s_mov_b32 s0, 56
.LBB116_932:                            ; =>This Inner Loop Header: Depth=1
	ds_read_b64 v[134:135], v125
	v_add_nc_u32_e32 v125, 8, v125
	s_waitcnt lgkmcnt(0)
	v_cmp_lt_f64_e64 vcc_lo, |v[0:1]|, |v[134:135]|
	v_cndmask_b32_e32 v1, v1, v135, vcc_lo
	v_cndmask_b32_e32 v0, v0, v134, vcc_lo
	v_cndmask_b32_e64 v124, v124, s0, vcc_lo
	s_add_i32 s0, s0, 1
	s_cmp_lg_u32 s7, s0
	s_cbranch_scc1 .LBB116_932
.LBB116_933:
	s_mov_b32 s0, exec_lo
	s_waitcnt lgkmcnt(0)
	v_cmpx_eq_f64_e32 0, v[0:1]
	s_xor_b32 s0, exec_lo, s0
; %bb.934:
	v_cmp_ne_u32_e32 vcc_lo, 0, v127
	v_cndmask_b32_e32 v127, 56, v127, vcc_lo
; %bb.935:
	s_andn2_saveexec_b32 s0, s0
	s_cbranch_execz .LBB116_937
; %bb.936:
	v_div_scale_f64 v[125:126], null, v[0:1], v[0:1], 1.0
	v_rcp_f64_e32 v[134:135], v[125:126]
	v_fma_f64 v[136:137], -v[125:126], v[134:135], 1.0
	v_fma_f64 v[134:135], v[134:135], v[136:137], v[134:135]
	v_fma_f64 v[136:137], -v[125:126], v[134:135], 1.0
	v_fma_f64 v[134:135], v[134:135], v[136:137], v[134:135]
	v_div_scale_f64 v[136:137], vcc_lo, 1.0, v[0:1], 1.0
	v_mul_f64 v[138:139], v[136:137], v[134:135]
	v_fma_f64 v[125:126], -v[125:126], v[138:139], v[136:137]
	v_div_fmas_f64 v[125:126], v[125:126], v[134:135], v[138:139]
	v_div_fixup_f64 v[0:1], v[125:126], v[0:1], 1.0
.LBB116_937:
	s_or_b32 exec_lo, exec_lo, s0
	s_mov_b32 s0, exec_lo
	v_cmpx_ne_u32_e64 v133, v124
	s_xor_b32 s0, exec_lo, s0
	s_cbranch_execz .LBB116_943
; %bb.938:
	s_mov_b32 s1, exec_lo
	v_cmpx_eq_u32_e32 55, v133
	s_cbranch_execz .LBB116_942
; %bb.939:
	v_cmp_ne_u32_e32 vcc_lo, 55, v124
	s_xor_b32 s2, s6, -1
	s_and_b32 s3, s2, vcc_lo
	s_and_saveexec_b32 s2, s3
	s_cbranch_execz .LBB116_941
; %bb.940:
	v_ashrrev_i32_e32 v125, 31, v124
	v_lshlrev_b64 v[125:126], 2, v[124:125]
	v_add_co_u32 v125, vcc_lo, v4, v125
	v_add_co_ci_u32_e64 v126, null, v5, v126, vcc_lo
	s_clause 0x1
	global_load_dword v132, v[125:126], off
	global_load_dword v133, v[4:5], off offset:220
	s_waitcnt vmcnt(1)
	global_store_dword v[4:5], v132, off offset:220
	s_waitcnt vmcnt(0)
	global_store_dword v[125:126], v133, off
.LBB116_941:
	s_or_b32 exec_lo, exec_lo, s2
	v_mov_b32_e32 v132, v124
	v_mov_b32_e32 v133, v124
.LBB116_942:
	s_or_b32 exec_lo, exec_lo, s1
.LBB116_943:
	s_andn2_saveexec_b32 s0, s0
	s_cbranch_execz .LBB116_945
; %bb.944:
	v_mov_b32_e32 v124, v10
	v_mov_b32_e32 v125, v11
	;; [unrolled: 1-line block ×5, first 2 shown]
	ds_write2_b64 v130, v[124:125], v[134:135] offset0:56 offset1:57
	ds_write_b64 v130, v[122:123] offset:464
.LBB116_945:
	s_or_b32 exec_lo, exec_lo, s0
	s_mov_b32 s0, exec_lo
	s_waitcnt lgkmcnt(0)
	s_waitcnt_vscnt null, 0x0
	s_barrier
	buffer_gl0_inv
	v_cmpx_lt_i32_e32 55, v133
	s_cbranch_execz .LBB116_947
; %bb.946:
	v_mul_f64 v[8:9], v[0:1], v[8:9]
	ds_read2_b64 v[134:137], v130 offset0:56 offset1:57
	ds_read_b64 v[0:1], v130 offset:464
	s_waitcnt lgkmcnt(1)
	v_fma_f64 v[10:11], -v[8:9], v[134:135], v[10:11]
	v_fma_f64 v[6:7], -v[8:9], v[136:137], v[6:7]
	s_waitcnt lgkmcnt(0)
	v_fma_f64 v[122:123], -v[8:9], v[0:1], v[122:123]
.LBB116_947:
	s_or_b32 exec_lo, exec_lo, s0
	v_lshl_add_u32 v0, v133, 3, v130
	s_barrier
	buffer_gl0_inv
	v_mov_b32_e32 v124, 56
	ds_write_b64 v0, v[10:11]
	s_waitcnt lgkmcnt(0)
	s_barrier
	buffer_gl0_inv
	ds_read_b64 v[0:1], v130 offset:448
	s_cmp_lt_i32 s7, 58
	s_cbranch_scc1 .LBB116_950
; %bb.948:
	v_add3_u32 v125, v131, 0, 0x1c8
	v_mov_b32_e32 v124, 56
	s_mov_b32 s0, 57
.LBB116_949:                            ; =>This Inner Loop Header: Depth=1
	ds_read_b64 v[134:135], v125
	v_add_nc_u32_e32 v125, 8, v125
	s_waitcnt lgkmcnt(0)
	v_cmp_lt_f64_e64 vcc_lo, |v[0:1]|, |v[134:135]|
	v_cndmask_b32_e32 v1, v1, v135, vcc_lo
	v_cndmask_b32_e32 v0, v0, v134, vcc_lo
	v_cndmask_b32_e64 v124, v124, s0, vcc_lo
	s_add_i32 s0, s0, 1
	s_cmp_lg_u32 s7, s0
	s_cbranch_scc1 .LBB116_949
.LBB116_950:
	s_mov_b32 s0, exec_lo
	s_waitcnt lgkmcnt(0)
	v_cmpx_eq_f64_e32 0, v[0:1]
	s_xor_b32 s0, exec_lo, s0
; %bb.951:
	v_cmp_ne_u32_e32 vcc_lo, 0, v127
	v_cndmask_b32_e32 v127, 57, v127, vcc_lo
; %bb.952:
	s_andn2_saveexec_b32 s0, s0
	s_cbranch_execz .LBB116_954
; %bb.953:
	v_div_scale_f64 v[125:126], null, v[0:1], v[0:1], 1.0
	v_rcp_f64_e32 v[134:135], v[125:126]
	v_fma_f64 v[136:137], -v[125:126], v[134:135], 1.0
	v_fma_f64 v[134:135], v[134:135], v[136:137], v[134:135]
	v_fma_f64 v[136:137], -v[125:126], v[134:135], 1.0
	v_fma_f64 v[134:135], v[134:135], v[136:137], v[134:135]
	v_div_scale_f64 v[136:137], vcc_lo, 1.0, v[0:1], 1.0
	v_mul_f64 v[138:139], v[136:137], v[134:135]
	v_fma_f64 v[125:126], -v[125:126], v[138:139], v[136:137]
	v_div_fmas_f64 v[125:126], v[125:126], v[134:135], v[138:139]
	v_div_fixup_f64 v[0:1], v[125:126], v[0:1], 1.0
.LBB116_954:
	s_or_b32 exec_lo, exec_lo, s0
	s_mov_b32 s0, exec_lo
	v_cmpx_ne_u32_e64 v133, v124
	s_xor_b32 s0, exec_lo, s0
	s_cbranch_execz .LBB116_960
; %bb.955:
	s_mov_b32 s1, exec_lo
	v_cmpx_eq_u32_e32 56, v133
	s_cbranch_execz .LBB116_959
; %bb.956:
	v_cmp_ne_u32_e32 vcc_lo, 56, v124
	s_xor_b32 s2, s6, -1
	s_and_b32 s3, s2, vcc_lo
	s_and_saveexec_b32 s2, s3
	s_cbranch_execz .LBB116_958
; %bb.957:
	v_ashrrev_i32_e32 v125, 31, v124
	v_lshlrev_b64 v[125:126], 2, v[124:125]
	v_add_co_u32 v125, vcc_lo, v4, v125
	v_add_co_ci_u32_e64 v126, null, v5, v126, vcc_lo
	s_clause 0x1
	global_load_dword v132, v[125:126], off
	global_load_dword v133, v[4:5], off offset:224
	s_waitcnt vmcnt(1)
	global_store_dword v[4:5], v132, off offset:224
	s_waitcnt vmcnt(0)
	global_store_dword v[125:126], v133, off
.LBB116_958:
	s_or_b32 exec_lo, exec_lo, s2
	v_mov_b32_e32 v132, v124
	v_mov_b32_e32 v133, v124
.LBB116_959:
	s_or_b32 exec_lo, exec_lo, s1
.LBB116_960:
	s_andn2_saveexec_b32 s0, s0
; %bb.961:
	v_mov_b32_e32 v133, 56
	ds_write2_b64 v130, v[6:7], v[122:123] offset0:57 offset1:58
; %bb.962:
	s_or_b32 exec_lo, exec_lo, s0
	s_mov_b32 s0, exec_lo
	s_waitcnt lgkmcnt(0)
	s_waitcnt_vscnt null, 0x0
	s_barrier
	buffer_gl0_inv
	v_cmpx_lt_i32_e32 56, v133
	s_cbranch_execz .LBB116_964
; %bb.963:
	v_mul_f64 v[10:11], v[0:1], v[10:11]
	ds_read2_b64 v[134:137], v130 offset0:57 offset1:58
	s_waitcnt lgkmcnt(0)
	v_fma_f64 v[6:7], -v[10:11], v[134:135], v[6:7]
	v_fma_f64 v[122:123], -v[10:11], v[136:137], v[122:123]
.LBB116_964:
	s_or_b32 exec_lo, exec_lo, s0
	v_lshl_add_u32 v0, v133, 3, v130
	s_barrier
	buffer_gl0_inv
	v_mov_b32_e32 v124, 57
	ds_write_b64 v0, v[6:7]
	s_waitcnt lgkmcnt(0)
	s_barrier
	buffer_gl0_inv
	ds_read_b64 v[0:1], v130 offset:456
	s_cmp_lt_i32 s7, 59
	s_cbranch_scc1 .LBB116_967
; %bb.965:
	v_add3_u32 v125, v131, 0, 0x1d0
	v_mov_b32_e32 v124, 57
	s_mov_b32 s0, 58
.LBB116_966:                            ; =>This Inner Loop Header: Depth=1
	ds_read_b64 v[134:135], v125
	v_add_nc_u32_e32 v125, 8, v125
	s_waitcnt lgkmcnt(0)
	v_cmp_lt_f64_e64 vcc_lo, |v[0:1]|, |v[134:135]|
	v_cndmask_b32_e32 v1, v1, v135, vcc_lo
	v_cndmask_b32_e32 v0, v0, v134, vcc_lo
	v_cndmask_b32_e64 v124, v124, s0, vcc_lo
	s_add_i32 s0, s0, 1
	s_cmp_lg_u32 s7, s0
	s_cbranch_scc1 .LBB116_966
.LBB116_967:
	s_mov_b32 s0, exec_lo
	s_waitcnt lgkmcnt(0)
	v_cmpx_eq_f64_e32 0, v[0:1]
	s_xor_b32 s0, exec_lo, s0
; %bb.968:
	v_cmp_ne_u32_e32 vcc_lo, 0, v127
	v_cndmask_b32_e32 v127, 58, v127, vcc_lo
; %bb.969:
	s_andn2_saveexec_b32 s0, s0
	s_cbranch_execz .LBB116_971
; %bb.970:
	v_div_scale_f64 v[125:126], null, v[0:1], v[0:1], 1.0
	v_rcp_f64_e32 v[134:135], v[125:126]
	v_fma_f64 v[136:137], -v[125:126], v[134:135], 1.0
	v_fma_f64 v[134:135], v[134:135], v[136:137], v[134:135]
	v_fma_f64 v[136:137], -v[125:126], v[134:135], 1.0
	v_fma_f64 v[134:135], v[134:135], v[136:137], v[134:135]
	v_div_scale_f64 v[136:137], vcc_lo, 1.0, v[0:1], 1.0
	v_mul_f64 v[138:139], v[136:137], v[134:135]
	v_fma_f64 v[125:126], -v[125:126], v[138:139], v[136:137]
	v_div_fmas_f64 v[125:126], v[125:126], v[134:135], v[138:139]
	v_div_fixup_f64 v[0:1], v[125:126], v[0:1], 1.0
.LBB116_971:
	s_or_b32 exec_lo, exec_lo, s0
	s_mov_b32 s0, exec_lo
	v_cmpx_ne_u32_e64 v133, v124
	s_xor_b32 s0, exec_lo, s0
	s_cbranch_execz .LBB116_977
; %bb.972:
	s_mov_b32 s1, exec_lo
	v_cmpx_eq_u32_e32 57, v133
	s_cbranch_execz .LBB116_976
; %bb.973:
	v_cmp_ne_u32_e32 vcc_lo, 57, v124
	s_xor_b32 s2, s6, -1
	s_and_b32 s3, s2, vcc_lo
	s_and_saveexec_b32 s2, s3
	s_cbranch_execz .LBB116_975
; %bb.974:
	v_ashrrev_i32_e32 v125, 31, v124
	v_lshlrev_b64 v[125:126], 2, v[124:125]
	v_add_co_u32 v125, vcc_lo, v4, v125
	v_add_co_ci_u32_e64 v126, null, v5, v126, vcc_lo
	s_clause 0x1
	global_load_dword v132, v[125:126], off
	global_load_dword v133, v[4:5], off offset:228
	s_waitcnt vmcnt(1)
	global_store_dword v[4:5], v132, off offset:228
	s_waitcnt vmcnt(0)
	global_store_dword v[125:126], v133, off
.LBB116_975:
	s_or_b32 exec_lo, exec_lo, s2
	v_mov_b32_e32 v132, v124
	v_mov_b32_e32 v133, v124
.LBB116_976:
	s_or_b32 exec_lo, exec_lo, s1
.LBB116_977:
	s_andn2_saveexec_b32 s0, s0
; %bb.978:
	v_mov_b32_e32 v133, 57
	ds_write_b64 v130, v[122:123] offset:464
; %bb.979:
	s_or_b32 exec_lo, exec_lo, s0
	s_mov_b32 s0, exec_lo
	s_waitcnt lgkmcnt(0)
	s_waitcnt_vscnt null, 0x0
	s_barrier
	buffer_gl0_inv
	v_cmpx_lt_i32_e32 57, v133
	s_cbranch_execz .LBB116_981
; %bb.980:
	v_mul_f64 v[6:7], v[0:1], v[6:7]
	ds_read_b64 v[0:1], v130 offset:464
	s_waitcnt lgkmcnt(0)
	v_fma_f64 v[122:123], -v[6:7], v[0:1], v[122:123]
.LBB116_981:
	s_or_b32 exec_lo, exec_lo, s0
	v_lshl_add_u32 v0, v133, 3, v130
	s_barrier
	buffer_gl0_inv
	v_mov_b32_e32 v124, 58
	ds_write_b64 v0, v[122:123]
	s_waitcnt lgkmcnt(0)
	s_barrier
	buffer_gl0_inv
	ds_read_b64 v[0:1], v130 offset:464
	s_cmp_lt_i32 s7, 60
	s_cbranch_scc1 .LBB116_984
; %bb.982:
	v_add3_u32 v125, v131, 0, 0x1d8
	v_mov_b32_e32 v124, 58
	s_mov_b32 s0, 59
.LBB116_983:                            ; =>This Inner Loop Header: Depth=1
	ds_read_b64 v[130:131], v125
	v_add_nc_u32_e32 v125, 8, v125
	s_waitcnt lgkmcnt(0)
	v_cmp_lt_f64_e64 vcc_lo, |v[0:1]|, |v[130:131]|
	v_cndmask_b32_e32 v1, v1, v131, vcc_lo
	v_cndmask_b32_e32 v0, v0, v130, vcc_lo
	v_cndmask_b32_e64 v124, v124, s0, vcc_lo
	s_add_i32 s0, s0, 1
	s_cmp_lg_u32 s7, s0
	s_cbranch_scc1 .LBB116_983
.LBB116_984:
	s_mov_b32 s0, exec_lo
	s_waitcnt lgkmcnt(0)
	v_cmpx_eq_f64_e32 0, v[0:1]
	s_xor_b32 s0, exec_lo, s0
; %bb.985:
	v_cmp_ne_u32_e32 vcc_lo, 0, v127
	v_cndmask_b32_e32 v127, 59, v127, vcc_lo
; %bb.986:
	s_andn2_saveexec_b32 s0, s0
	s_cbranch_execz .LBB116_988
; %bb.987:
	v_div_scale_f64 v[125:126], null, v[0:1], v[0:1], 1.0
	v_rcp_f64_e32 v[130:131], v[125:126]
	v_fma_f64 v[134:135], -v[125:126], v[130:131], 1.0
	v_fma_f64 v[130:131], v[130:131], v[134:135], v[130:131]
	v_fma_f64 v[134:135], -v[125:126], v[130:131], 1.0
	v_fma_f64 v[130:131], v[130:131], v[134:135], v[130:131]
	v_div_scale_f64 v[134:135], vcc_lo, 1.0, v[0:1], 1.0
	v_mul_f64 v[136:137], v[134:135], v[130:131]
	v_fma_f64 v[125:126], -v[125:126], v[136:137], v[134:135]
	v_div_fmas_f64 v[125:126], v[125:126], v[130:131], v[136:137]
	v_div_fixup_f64 v[0:1], v[125:126], v[0:1], 1.0
.LBB116_988:
	s_or_b32 exec_lo, exec_lo, s0
	v_mov_b32_e32 v125, 58
	s_mov_b32 s0, exec_lo
	v_cmpx_ne_u32_e64 v133, v124
	s_cbranch_execz .LBB116_994
; %bb.989:
	s_mov_b32 s1, exec_lo
	v_cmpx_eq_u32_e32 58, v133
	s_cbranch_execz .LBB116_993
; %bb.990:
	v_cmp_ne_u32_e32 vcc_lo, 58, v124
	s_xor_b32 s2, s6, -1
	s_and_b32 s3, s2, vcc_lo
	s_and_saveexec_b32 s2, s3
	s_cbranch_execz .LBB116_992
; %bb.991:
	v_ashrrev_i32_e32 v125, 31, v124
	v_lshlrev_b64 v[125:126], 2, v[124:125]
	v_add_co_u32 v125, vcc_lo, v4, v125
	v_add_co_ci_u32_e64 v126, null, v5, v126, vcc_lo
	s_clause 0x1
	global_load_dword v130, v[125:126], off
	global_load_dword v131, v[4:5], off offset:232
	s_waitcnt vmcnt(1)
	global_store_dword v[4:5], v130, off offset:232
	s_waitcnt vmcnt(0)
	global_store_dword v[125:126], v131, off
.LBB116_992:
	s_or_b32 exec_lo, exec_lo, s2
	v_mov_b32_e32 v132, v124
	v_mov_b32_e32 v133, v124
.LBB116_993:
	s_or_b32 exec_lo, exec_lo, s1
	v_mov_b32_e32 v125, v133
.LBB116_994:
	s_or_b32 exec_lo, exec_lo, s0
	s_load_dwordx8 s[0:7], s[4:5], 0x28
	v_ashrrev_i32_e32 v126, 31, v125
	s_mov_b32 s9, exec_lo
	s_waitcnt lgkmcnt(0)
	s_waitcnt_vscnt null, 0x0
	s_barrier
	buffer_gl0_inv
	s_barrier
	buffer_gl0_inv
	v_cmpx_gt_i32_e32 59, v125
	s_cbranch_execz .LBB116_996
; %bb.995:
	v_mul_lo_u32 v124, s5, v2
	v_mul_lo_u32 v130, s4, v3
	v_mad_u64_u32 v[4:5], null, s4, v2, 0
	s_lshl_b64 s[2:3], s[2:3], 2
	v_add3_u32 v5, v5, v130, v124
	v_lshlrev_b64 v[4:5], 2, v[4:5]
	v_add_co_u32 v124, vcc_lo, s0, v4
	v_add_co_ci_u32_e64 v130, null, s1, v5, vcc_lo
	v_lshlrev_b64 v[4:5], 2, v[125:126]
	v_add_co_u32 v124, vcc_lo, v124, s2
	v_add_co_ci_u32_e64 v130, null, s3, v130, vcc_lo
	v_add_co_u32 v4, vcc_lo, v124, v4
	v_add_co_ci_u32_e64 v5, null, v130, v5, vcc_lo
	v_add3_u32 v124, v132, s13, 1
	global_store_dword v[4:5], v124, off
.LBB116_996:
	s_or_b32 exec_lo, exec_lo, s9
	s_mov_b32 s1, exec_lo
	v_cmpx_eq_u32_e32 0, v125
	s_cbranch_execz .LBB116_999
; %bb.997:
	v_lshlrev_b64 v[2:3], 2, v[2:3]
	v_cmp_ne_u32_e64 s0, 0, v127
	v_add_co_u32 v2, vcc_lo, s6, v2
	v_add_co_ci_u32_e64 v3, null, s7, v3, vcc_lo
	global_load_dword v4, v[2:3], off
	s_waitcnt vmcnt(0)
	v_cmp_eq_u32_e32 vcc_lo, 0, v4
	s_and_b32 s0, vcc_lo, s0
	s_and_b32 exec_lo, exec_lo, s0
	s_cbranch_execz .LBB116_999
; %bb.998:
	v_add_nc_u32_e32 v4, s13, v127
	global_store_dword v[2:3], v4, off
.LBB116_999:
	s_or_b32 exec_lo, exec_lo, s1
	v_lshlrev_b64 v[4:5], 3, v[125:126]
	v_mul_f64 v[0:1], v[0:1], v[122:123]
	v_add3_u32 v2, s8, s8, v125
	v_cmp_lt_i32_e32 vcc_lo, 58, v125
	v_add_co_u32 v4, s0, v128, v4
	v_add_nc_u32_e32 v124, s8, v2
	v_add_co_ci_u32_e64 v5, null, v129, v5, s0
	v_add_co_u32 v126, s0, v4, s10
	v_ashrrev_i32_e32 v3, 31, v2
	v_add_co_ci_u32_e64 v127, null, s11, v5, s0
	v_add_nc_u32_e32 v130, s8, v124
	v_ashrrev_i32_e32 v125, 31, v124
	v_lshlrev_b64 v[2:3], 3, v[2:3]
	flat_store_dwordx2 v[4:5], v[120:121]
	flat_store_dwordx2 v[126:127], v[118:119]
	v_add_nc_u32_e32 v118, s8, v130
	v_lshlrev_b64 v[4:5], 3, v[124:125]
	v_cndmask_b32_e32 v1, v123, v1, vcc_lo
	v_cndmask_b32_e32 v0, v122, v0, vcc_lo
	v_add_co_u32 v2, vcc_lo, v128, v2
	v_add_nc_u32_e32 v120, s8, v118
	v_ashrrev_i32_e32 v131, 31, v130
	v_add_co_ci_u32_e64 v3, null, v129, v3, vcc_lo
	v_add_co_u32 v4, vcc_lo, v128, v4
	v_ashrrev_i32_e32 v119, 31, v118
	v_add_co_ci_u32_e64 v5, null, v129, v5, vcc_lo
	v_ashrrev_i32_e32 v121, 31, v120
	v_lshlrev_b64 v[122:123], 3, v[130:131]
	flat_store_dwordx2 v[2:3], v[116:117]
	flat_store_dwordx2 v[4:5], v[114:115]
	v_lshlrev_b64 v[2:3], 3, v[118:119]
	v_add_nc_u32_e32 v116, s8, v120
	v_lshlrev_b64 v[114:115], 3, v[120:121]
	v_add_co_u32 v4, vcc_lo, v128, v122
	v_add_co_ci_u32_e64 v5, null, v129, v123, vcc_lo
	v_add_co_u32 v2, vcc_lo, v128, v2
	v_add_co_ci_u32_e64 v3, null, v129, v3, vcc_lo
	v_add_co_u32 v114, vcc_lo, v128, v114
	v_add_nc_u32_e32 v118, s8, v116
	v_add_co_ci_u32_e64 v115, null, v129, v115, vcc_lo
	v_ashrrev_i32_e32 v117, 31, v116
	flat_store_dwordx2 v[4:5], v[112:113]
	flat_store_dwordx2 v[2:3], v[108:109]
	flat_store_dwordx2 v[114:115], v[110:111]
	v_add_nc_u32_e32 v108, s8, v118
	v_ashrrev_i32_e32 v119, 31, v118
	v_lshlrev_b64 v[4:5], 3, v[116:117]
	v_add_nc_u32_e32 v110, s8, v108
	v_lshlrev_b64 v[2:3], 3, v[118:119]
	v_ashrrev_i32_e32 v109, 31, v108
	v_add_co_u32 v4, vcc_lo, v128, v4
	v_add_nc_u32_e32 v112, s8, v110
	v_add_co_ci_u32_e64 v5, null, v129, v5, vcc_lo
	v_add_co_u32 v2, vcc_lo, v128, v2
	v_ashrrev_i32_e32 v111, 31, v110
	v_add_co_ci_u32_e64 v3, null, v129, v3, vcc_lo
	v_ashrrev_i32_e32 v113, 31, v112
	v_lshlrev_b64 v[108:109], 3, v[108:109]
	flat_store_dwordx2 v[4:5], v[104:105]
	flat_store_dwordx2 v[2:3], v[106:107]
	v_lshlrev_b64 v[2:3], 3, v[110:111]
	v_add_nc_u32_e32 v106, s8, v112
	v_lshlrev_b64 v[104:105], 3, v[112:113]
	v_add_co_u32 v4, vcc_lo, v128, v108
	v_add_co_ci_u32_e64 v5, null, v129, v109, vcc_lo
	v_add_co_u32 v2, vcc_lo, v128, v2
	v_add_co_ci_u32_e64 v3, null, v129, v3, vcc_lo
	v_add_co_u32 v104, vcc_lo, v128, v104
	v_add_nc_u32_e32 v108, s8, v106
	v_add_co_ci_u32_e64 v105, null, v129, v105, vcc_lo
	v_ashrrev_i32_e32 v107, 31, v106
	flat_store_dwordx2 v[4:5], v[102:103]
	flat_store_dwordx2 v[2:3], v[100:101]
	flat_store_dwordx2 v[104:105], v[98:99]
	v_add_nc_u32_e32 v98, s8, v108
	v_ashrrev_i32_e32 v109, 31, v108
	v_lshlrev_b64 v[4:5], 3, v[106:107]
	v_add_nc_u32_e32 v100, s8, v98
	v_lshlrev_b64 v[2:3], 3, v[108:109]
	v_ashrrev_i32_e32 v99, 31, v98
	v_add_co_u32 v4, vcc_lo, v128, v4
	v_add_nc_u32_e32 v102, s8, v100
	;; [unrolled: 30-line block ×9, first 2 shown]
	v_add_co_ci_u32_e64 v5, null, v129, v5, vcc_lo
	v_add_co_u32 v2, vcc_lo, v128, v2
	v_ashrrev_i32_e32 v31, 31, v30
	v_add_co_ci_u32_e64 v3, null, v129, v3, vcc_lo
	v_ashrrev_i32_e32 v33, 31, v32
	v_lshlrev_b64 v[28:29], 3, v[28:29]
	flat_store_dwordx2 v[4:5], v[24:25]
	flat_store_dwordx2 v[2:3], v[26:27]
	v_lshlrev_b64 v[2:3], 3, v[30:31]
	v_add_nc_u32_e32 v26, s8, v32
	v_lshlrev_b64 v[24:25], 3, v[32:33]
	v_add_co_u32 v4, vcc_lo, v128, v28
	v_add_co_ci_u32_e64 v5, null, v129, v29, vcc_lo
	v_add_co_u32 v2, vcc_lo, v128, v2
	v_add_nc_u32_e32 v28, s8, v26
	v_add_co_ci_u32_e64 v3, null, v129, v3, vcc_lo
	v_add_co_u32 v24, vcc_lo, v128, v24
	v_ashrrev_i32_e32 v27, 31, v26
	v_add_co_ci_u32_e64 v25, null, v129, v25, vcc_lo
	v_ashrrev_i32_e32 v29, 31, v28
	flat_store_dwordx2 v[4:5], v[22:23]
	v_lshlrev_b64 v[4:5], 3, v[26:27]
	flat_store_dwordx2 v[2:3], v[20:21]
	flat_store_dwordx2 v[24:25], v[18:19]
	v_add_nc_u32_e32 v18, s8, v28
	v_lshlrev_b64 v[2:3], 3, v[28:29]
	v_add_co_u32 v4, vcc_lo, v128, v4
	v_add_nc_u32_e32 v20, s8, v18
	v_add_co_ci_u32_e64 v5, null, v129, v5, vcc_lo
	v_add_co_u32 v2, vcc_lo, v128, v2
	v_add_co_ci_u32_e64 v3, null, v129, v3, vcc_lo
	v_add_nc_u32_e32 v22, s8, v20
	v_ashrrev_i32_e32 v19, 31, v18
	flat_store_dwordx2 v[4:5], v[16:17]
	flat_store_dwordx2 v[2:3], v[14:15]
	v_ashrrev_i32_e32 v21, 31, v20
	v_add_nc_u32_e32 v14, s8, v22
	v_lshlrev_b64 v[4:5], 3, v[18:19]
	v_ashrrev_i32_e32 v23, 31, v22
	v_lshlrev_b64 v[2:3], 3, v[20:21]
	v_add_nc_u32_e32 v18, s8, v14
	v_ashrrev_i32_e32 v15, 31, v14
	v_lshlrev_b64 v[16:17], 3, v[22:23]
	v_add_co_u32 v4, vcc_lo, v128, v4
	v_ashrrev_i32_e32 v19, 31, v18
	v_lshlrev_b64 v[14:15], 3, v[14:15]
	v_add_co_ci_u32_e64 v5, null, v129, v5, vcc_lo
	v_add_co_u32 v2, vcc_lo, v128, v2
	v_lshlrev_b64 v[18:19], 3, v[18:19]
	v_add_co_ci_u32_e64 v3, null, v129, v3, vcc_lo
	v_add_co_u32 v16, vcc_lo, v128, v16
	v_add_co_ci_u32_e64 v17, null, v129, v17, vcc_lo
	v_add_co_u32 v14, vcc_lo, v128, v14
	;; [unrolled: 2-line block ×3, first 2 shown]
	v_add_co_ci_u32_e64 v19, null, v129, v19, vcc_lo
	flat_store_dwordx2 v[4:5], v[12:13]
	flat_store_dwordx2 v[2:3], v[8:9]
	;; [unrolled: 1-line block ×5, first 2 shown]
.LBB116_1000:
	s_endpgm
	.section	.rodata,"a",@progbits
	.p2align	6, 0x0
	.amdhsa_kernel _ZN9rocsolver6v33100L18getf2_small_kernelILi59EdiiPKPdEEvT1_T3_lS5_lPS5_llPT2_S5_S5_S7_l
		.amdhsa_group_segment_fixed_size 0
		.amdhsa_private_segment_fixed_size 0
		.amdhsa_kernarg_size 352
		.amdhsa_user_sgpr_count 6
		.amdhsa_user_sgpr_private_segment_buffer 1
		.amdhsa_user_sgpr_dispatch_ptr 0
		.amdhsa_user_sgpr_queue_ptr 0
		.amdhsa_user_sgpr_kernarg_segment_ptr 1
		.amdhsa_user_sgpr_dispatch_id 0
		.amdhsa_user_sgpr_flat_scratch_init 0
		.amdhsa_user_sgpr_private_segment_size 0
		.amdhsa_wavefront_size32 1
		.amdhsa_uses_dynamic_stack 0
		.amdhsa_system_sgpr_private_segment_wavefront_offset 0
		.amdhsa_system_sgpr_workgroup_id_x 1
		.amdhsa_system_sgpr_workgroup_id_y 1
		.amdhsa_system_sgpr_workgroup_id_z 0
		.amdhsa_system_sgpr_workgroup_info 0
		.amdhsa_system_vgpr_workitem_id 1
		.amdhsa_next_free_vgpr 242
		.amdhsa_next_free_sgpr 14
		.amdhsa_reserve_vcc 1
		.amdhsa_reserve_flat_scratch 1
		.amdhsa_float_round_mode_32 0
		.amdhsa_float_round_mode_16_64 0
		.amdhsa_float_denorm_mode_32 3
		.amdhsa_float_denorm_mode_16_64 3
		.amdhsa_dx10_clamp 1
		.amdhsa_ieee_mode 1
		.amdhsa_fp16_overflow 0
		.amdhsa_workgroup_processor_mode 1
		.amdhsa_memory_ordered 1
		.amdhsa_forward_progress 1
		.amdhsa_shared_vgpr_count 0
		.amdhsa_exception_fp_ieee_invalid_op 0
		.amdhsa_exception_fp_denorm_src 0
		.amdhsa_exception_fp_ieee_div_zero 0
		.amdhsa_exception_fp_ieee_overflow 0
		.amdhsa_exception_fp_ieee_underflow 0
		.amdhsa_exception_fp_ieee_inexact 0
		.amdhsa_exception_int_div_zero 0
	.end_amdhsa_kernel
	.section	.text._ZN9rocsolver6v33100L18getf2_small_kernelILi59EdiiPKPdEEvT1_T3_lS5_lPS5_llPT2_S5_S5_S7_l,"axG",@progbits,_ZN9rocsolver6v33100L18getf2_small_kernelILi59EdiiPKPdEEvT1_T3_lS5_lPS5_llPT2_S5_S5_S7_l,comdat
.Lfunc_end116:
	.size	_ZN9rocsolver6v33100L18getf2_small_kernelILi59EdiiPKPdEEvT1_T3_lS5_lPS5_llPT2_S5_S5_S7_l, .Lfunc_end116-_ZN9rocsolver6v33100L18getf2_small_kernelILi59EdiiPKPdEEvT1_T3_lS5_lPS5_llPT2_S5_S5_S7_l
                                        ; -- End function
	.set _ZN9rocsolver6v33100L18getf2_small_kernelILi59EdiiPKPdEEvT1_T3_lS5_lPS5_llPT2_S5_S5_S7_l.num_vgpr, 242
	.set _ZN9rocsolver6v33100L18getf2_small_kernelILi59EdiiPKPdEEvT1_T3_lS5_lPS5_llPT2_S5_S5_S7_l.num_agpr, 0
	.set _ZN9rocsolver6v33100L18getf2_small_kernelILi59EdiiPKPdEEvT1_T3_lS5_lPS5_llPT2_S5_S5_S7_l.numbered_sgpr, 14
	.set _ZN9rocsolver6v33100L18getf2_small_kernelILi59EdiiPKPdEEvT1_T3_lS5_lPS5_llPT2_S5_S5_S7_l.num_named_barrier, 0
	.set _ZN9rocsolver6v33100L18getf2_small_kernelILi59EdiiPKPdEEvT1_T3_lS5_lPS5_llPT2_S5_S5_S7_l.private_seg_size, 0
	.set _ZN9rocsolver6v33100L18getf2_small_kernelILi59EdiiPKPdEEvT1_T3_lS5_lPS5_llPT2_S5_S5_S7_l.uses_vcc, 1
	.set _ZN9rocsolver6v33100L18getf2_small_kernelILi59EdiiPKPdEEvT1_T3_lS5_lPS5_llPT2_S5_S5_S7_l.uses_flat_scratch, 1
	.set _ZN9rocsolver6v33100L18getf2_small_kernelILi59EdiiPKPdEEvT1_T3_lS5_lPS5_llPT2_S5_S5_S7_l.has_dyn_sized_stack, 0
	.set _ZN9rocsolver6v33100L18getf2_small_kernelILi59EdiiPKPdEEvT1_T3_lS5_lPS5_llPT2_S5_S5_S7_l.has_recursion, 0
	.set _ZN9rocsolver6v33100L18getf2_small_kernelILi59EdiiPKPdEEvT1_T3_lS5_lPS5_llPT2_S5_S5_S7_l.has_indirect_call, 0
	.section	.AMDGPU.csdata,"",@progbits
; Kernel info:
; codeLenInByte = 69524
; TotalNumSgprs: 16
; NumVgprs: 242
; ScratchSize: 0
; MemoryBound: 0
; FloatMode: 240
; IeeeMode: 1
; LDSByteSize: 0 bytes/workgroup (compile time only)
; SGPRBlocks: 0
; VGPRBlocks: 30
; NumSGPRsForWavesPerEU: 16
; NumVGPRsForWavesPerEU: 242
; Occupancy: 4
; WaveLimiterHint : 1
; COMPUTE_PGM_RSRC2:SCRATCH_EN: 0
; COMPUTE_PGM_RSRC2:USER_SGPR: 6
; COMPUTE_PGM_RSRC2:TRAP_HANDLER: 0
; COMPUTE_PGM_RSRC2:TGID_X_EN: 1
; COMPUTE_PGM_RSRC2:TGID_Y_EN: 1
; COMPUTE_PGM_RSRC2:TGID_Z_EN: 0
; COMPUTE_PGM_RSRC2:TIDIG_COMP_CNT: 1
	.section	.text._ZN9rocsolver6v33100L23getf2_npvt_small_kernelILi59EdiiPKPdEEvT1_T3_lS5_lPT2_S5_S5_,"axG",@progbits,_ZN9rocsolver6v33100L23getf2_npvt_small_kernelILi59EdiiPKPdEEvT1_T3_lS5_lPT2_S5_S5_,comdat
	.globl	_ZN9rocsolver6v33100L23getf2_npvt_small_kernelILi59EdiiPKPdEEvT1_T3_lS5_lPT2_S5_S5_ ; -- Begin function _ZN9rocsolver6v33100L23getf2_npvt_small_kernelILi59EdiiPKPdEEvT1_T3_lS5_lPT2_S5_S5_
	.p2align	8
	.type	_ZN9rocsolver6v33100L23getf2_npvt_small_kernelILi59EdiiPKPdEEvT1_T3_lS5_lPT2_S5_S5_,@function
_ZN9rocsolver6v33100L23getf2_npvt_small_kernelILi59EdiiPKPdEEvT1_T3_lS5_lPT2_S5_S5_: ; @_ZN9rocsolver6v33100L23getf2_npvt_small_kernelILi59EdiiPKPdEEvT1_T3_lS5_lPT2_S5_S5_
; %bb.0:
	s_mov_b64 s[14:15], s[2:3]
	s_mov_b64 s[12:13], s[0:1]
	s_add_u32 s12, s12, s8
	s_clause 0x1
	s_load_dword s0, s[4:5], 0x44
	s_load_dwordx2 s[8:9], s[4:5], 0x30
	s_addc_u32 s13, s13, 0
	s_waitcnt lgkmcnt(0)
	s_lshr_b32 s10, s0, 16
	s_mov_b32 s0, exec_lo
	v_mad_u64_u32 v[2:3], null, s7, s10, v[1:2]
	v_cmpx_gt_i32_e64 s8, v2
	s_cbranch_execz .LBB117_298
; %bb.1:
	s_clause 0x1
	s_load_dwordx4 s[0:3], s[4:5], 0x8
	s_load_dword s6, s[4:5], 0x18
	v_ashrrev_i32_e32 v3, 31, v2
	s_mulk_i32 s10, 0x1d8
	v_lshlrev_b64 v[4:5], 3, v[2:3]
	s_waitcnt lgkmcnt(0)
	v_add_co_u32 v4, vcc_lo, s0, v4
	v_add_co_ci_u32_e64 v5, null, s1, v5, vcc_lo
	v_add3_u32 v6, s6, s6, v0
	s_lshl_b64 s[0:1], s[2:3], 3
	s_ashr_i32 s7, s6, 31
	global_load_dwordx2 v[4:5], v[4:5], off
	v_add_nc_u32_e32 v8, s6, v6
	v_ashrrev_i32_e32 v7, 31, v6
	v_add_nc_u32_e32 v10, s6, v8
	v_ashrrev_i32_e32 v9, 31, v8
	v_lshlrev_b64 v[6:7], 3, v[6:7]
	v_add_nc_u32_e32 v12, s6, v10
	v_ashrrev_i32_e32 v11, 31, v10
	v_lshlrev_b64 v[8:9], 3, v[8:9]
	;; [unrolled: 3-line block ×48, first 2 shown]
	v_ashrrev_i32_e32 v105, 31, v104
	v_lshlrev_b64 v[102:103], 3, v[102:103]
	s_waitcnt vmcnt(0)
	v_add_co_u32 v116, vcc_lo, v4, s0
	v_add_co_ci_u32_e64 v117, null, s1, v5, vcc_lo
	s_lshl_b64 s[0:1], s[6:7], 3
	v_add_co_u32 v4, vcc_lo, v116, v6
	v_add_co_ci_u32_e64 v5, null, v117, v7, vcc_lo
	v_add_co_u32 v6, vcc_lo, v116, v8
	v_add_co_ci_u32_e64 v7, null, v117, v9, vcc_lo
	;; [unrolled: 2-line block ×41, first 2 shown]
	v_add_co_u32 v77, vcc_lo, v116, v88
	v_mov_b32_e32 v49, v5
	v_add_co_ci_u32_e64 v78, null, v117, v89, vcc_lo
	v_add_co_u32 v79, vcc_lo, v116, v90
	v_mov_b32_e32 v48, v4
	v_add_nc_u32_e32 v4, s6, v104
	v_add_co_ci_u32_e64 v80, null, v117, v91, vcc_lo
	v_add_co_u32 v81, vcc_lo, v116, v92
	v_add_co_ci_u32_e64 v82, null, v117, v93, vcc_lo
	v_add_co_u32 v83, vcc_lo, v116, v94
	v_mov_b32_e32 v53, v9
	v_mov_b32_e32 v52, v8
	v_add_co_ci_u32_e64 v84, null, v117, v95, vcc_lo
	v_add_co_u32 v85, vcc_lo, v116, v96
	v_add_nc_u32_e32 v8, s6, v4
	v_mov_b32_e32 v51, v7
	v_mov_b32_e32 v50, v6
	v_add_co_ci_u32_e64 v86, null, v117, v97, vcc_lo
	v_add_co_u32 v87, vcc_lo, v116, v98
	v_lshlrev_b64 v[6:7], 3, v[104:105]
	v_ashrrev_i32_e32 v5, 31, v4
	v_mov_b32_e32 v55, v11
	v_add_co_ci_u32_e64 v88, null, v117, v99, vcc_lo
	v_add_co_u32 v89, vcc_lo, v116, v100
	v_mov_b32_e32 v54, v10
	v_ashrrev_i32_e32 v9, 31, v8
	v_add_nc_u32_e32 v10, s6, v8
	v_add_co_ci_u32_e64 v90, null, v117, v101, vcc_lo
	v_add_co_u32 v91, vcc_lo, v116, v102
	v_lshlrev_b64 v[4:5], 3, v[4:5]
	v_add_co_ci_u32_e64 v92, null, v117, v103, vcc_lo
	v_add_co_u32 v93, vcc_lo, v116, v6
	v_add_co_ci_u32_e64 v94, null, v117, v7, vcc_lo
	v_lshlrev_b64 v[6:7], 3, v[8:9]
	v_ashrrev_i32_e32 v11, 31, v10
	v_add_nc_u32_e32 v8, s6, v10
	v_add_co_u32 v95, vcc_lo, v116, v4
	v_add_co_ci_u32_e64 v96, null, v117, v5, vcc_lo
	v_lshlrev_b64 v[4:5], 3, v[10:11]
	v_ashrrev_i32_e32 v9, 31, v8
	v_add_nc_u32_e32 v10, s6, v8
	v_add_co_u32 v97, vcc_lo, v116, v6
	v_add_co_ci_u32_e64 v98, null, v117, v7, vcc_lo
	v_lshlrev_b64 v[6:7], 3, v[8:9]
	v_add_nc_u32_e32 v8, s6, v10
	v_ashrrev_i32_e32 v11, 31, v10
	v_add_co_u32 v99, vcc_lo, v116, v4
	v_add_co_ci_u32_e64 v100, null, v117, v5, vcc_lo
	v_ashrrev_i32_e32 v9, 31, v8
	v_lshlrev_b64 v[4:5], 3, v[10:11]
	v_add_co_u32 v101, vcc_lo, v116, v6
	v_add_co_ci_u32_e64 v102, null, v117, v7, vcc_lo
	v_lshlrev_b64 v[6:7], 3, v[8:9]
	v_add_nc_u32_e32 v8, s6, v8
	v_lshlrev_b32_e32 v10, 3, v0
	v_add_co_u32 v66, vcc_lo, v116, v4
	v_add_co_ci_u32_e64 v67, null, v117, v5, vcc_lo
	v_add_co_u32 v103, vcc_lo, v116, v6
	v_ashrrev_i32_e32 v9, 31, v8
	v_add_co_ci_u32_e64 v104, null, v117, v7, vcc_lo
	v_add_co_u32 v6, vcc_lo, v116, v10
	v_add_co_ci_u32_e64 v7, null, 0, v117, vcc_lo
	v_lshlrev_b64 v[4:5], 3, v[8:9]
	v_add_co_u32 v8, vcc_lo, v6, s0
	v_add_co_ci_u32_e64 v9, null, s1, v7, vcc_lo
	buffer_store_dword v6, off, s[12:15], 0 offset:224 ; 4-byte Folded Spill
	buffer_store_dword v7, off, s[12:15], 0 offset:228 ; 4-byte Folded Spill
	v_add_co_u32 v4, vcc_lo, v116, v4
	v_add_co_ci_u32_e64 v5, null, v117, v5, vcc_lo
	v_cmp_ne_u32_e64 s1, 0, v0
	v_cmp_eq_u32_e64 s0, 0, v0
	flat_load_dwordx2 v[200:201], v[6:7]
	buffer_store_dword v8, off, s[12:15], 0 offset:200 ; 4-byte Folded Spill
	buffer_store_dword v9, off, s[12:15], 0 offset:204 ; 4-byte Folded Spill
	flat_load_dwordx2 v[218:219], v[8:9]
	buffer_store_dword v48, off, s[12:15], 0 ; 4-byte Folded Spill
	buffer_store_dword v49, off, s[12:15], 0 offset:4 ; 4-byte Folded Spill
	flat_load_dwordx2 v[236:237], v[48:49]
	buffer_store_dword v50, off, s[12:15], 0 offset:8 ; 4-byte Folded Spill
	buffer_store_dword v51, off, s[12:15], 0 offset:12 ; 4-byte Folded Spill
	flat_load_dwordx2 v[216:217], v[50:51]
	buffer_store_dword v52, off, s[12:15], 0 offset:16 ; 4-byte Folded Spill
	;; [unrolled: 3-line block ×22, first 2 shown]
	buffer_store_dword v109, off, s[12:15], 0 offset:188 ; 4-byte Folded Spill
	v_mov_b32_e32 v106, v5
	v_mov_b32_e32 v105, v4
	flat_load_dwordx2 v[194:195], v[108:109]
	buffer_store_dword v110, off, s[12:15], 0 offset:192 ; 4-byte Folded Spill
	buffer_store_dword v111, off, s[12:15], 0 offset:196 ; 4-byte Folded Spill
	flat_load_dwordx2 v[154:155], v[110:111]
	buffer_store_dword v112, off, s[12:15], 0 offset:208 ; 4-byte Folded Spill
	buffer_store_dword v113, off, s[12:15], 0 offset:212 ; 4-byte Folded Spill
	;; [unrolled: 3-line block ×6, first 2 shown]
	v_mad_u32_u24 v58, 0x1d8, v1, 0
	flat_load_dwordx2 v[188:189], v[60:61]
	buffer_store_dword v62, off, s[12:15], 0 offset:400 ; 4-byte Folded Spill
	buffer_store_dword v63, off, s[12:15], 0 offset:404 ; 4-byte Folded Spill
	flat_load_dwordx2 v[148:149], v[62:63]
	buffer_store_dword v114, off, s[12:15], 0 offset:408 ; 4-byte Folded Spill
	buffer_store_dword v115, off, s[12:15], 0 offset:412 ; 4-byte Folded Spill
	;; [unrolled: 3-line block ×6, first 2 shown]
	s_clause 0x16
	flat_load_dwordx2 v[182:183], v[126:127]
	flat_load_dwordx2 v[142:143], v[118:119]
	;; [unrolled: 1-line block ×23, first 2 shown]
	v_lshlrev_b32_e32 v4, 3, v1
	v_add3_u32 v1, 0, s10, v4
	s_and_saveexec_b32 s2, s0
	s_cbranch_execz .LBB117_4
; %bb.2:
	s_waitcnt vmcnt(58) lgkmcnt(58)
	ds_write_b64 v1, v[200:201]
	s_waitcnt vmcnt(56) lgkmcnt(57)
	ds_write2_b64 v58, v[218:219], v[236:237] offset0:1 offset1:2
	s_waitcnt vmcnt(54) lgkmcnt(56)
	ds_write2_b64 v58, v[216:217], v[234:235] offset0:3 offset1:4
	;; [unrolled: 2-line block ×29, first 2 shown]
	ds_read_b64 v[4:5], v1
	s_waitcnt lgkmcnt(0)
	v_cmp_neq_f64_e32 vcc_lo, 0, v[4:5]
	s_and_b32 exec_lo, exec_lo, vcc_lo
	s_cbranch_execz .LBB117_4
; %bb.3:
	v_div_scale_f64 v[6:7], null, v[4:5], v[4:5], 1.0
	v_rcp_f64_e32 v[8:9], v[6:7]
	v_fma_f64 v[10:11], -v[6:7], v[8:9], 1.0
	v_fma_f64 v[8:9], v[8:9], v[10:11], v[8:9]
	v_fma_f64 v[10:11], -v[6:7], v[8:9], 1.0
	v_fma_f64 v[8:9], v[8:9], v[10:11], v[8:9]
	v_div_scale_f64 v[10:11], vcc_lo, 1.0, v[4:5], 1.0
	v_mul_f64 v[12:13], v[10:11], v[8:9]
	v_fma_f64 v[6:7], -v[6:7], v[12:13], v[10:11]
	v_div_fmas_f64 v[6:7], v[6:7], v[8:9], v[12:13]
	v_div_fixup_f64 v[4:5], v[6:7], v[4:5], 1.0
	ds_write_b64 v1, v[4:5]
.LBB117_4:
	s_or_b32 exec_lo, exec_lo, s2
	s_waitcnt vmcnt(0) lgkmcnt(0)
	s_waitcnt_vscnt null, 0x0
	s_barrier
	buffer_gl0_inv
	ds_read_b64 v[107:108], v1
	s_and_saveexec_b32 s2, s1
	s_cbranch_execz .LBB117_6
; %bb.5:
	s_waitcnt lgkmcnt(0)
	v_mul_f64 v[200:201], v[107:108], v[200:201]
	ds_read2_b64 v[4:7], v58 offset0:1 offset1:2
	s_waitcnt lgkmcnt(0)
	v_fma_f64 v[218:219], -v[200:201], v[4:5], v[218:219]
	v_fma_f64 v[236:237], -v[200:201], v[6:7], v[236:237]
	ds_read2_b64 v[4:7], v58 offset0:3 offset1:4
	s_waitcnt lgkmcnt(0)
	v_fma_f64 v[216:217], -v[200:201], v[4:5], v[216:217]
	v_fma_f64 v[234:235], -v[200:201], v[6:7], v[234:235]
	;; [unrolled: 4-line block ×29, first 2 shown]
.LBB117_6:
	s_or_b32 exec_lo, exec_lo, s2
	s_mov_b32 s1, exec_lo
	s_waitcnt lgkmcnt(0)
	s_barrier
	buffer_gl0_inv
	v_cmpx_eq_u32_e32 1, v0
	s_cbranch_execz .LBB117_9
; %bb.7:
	v_mov_b32_e32 v4, v236
	v_mov_b32_e32 v5, v237
	;; [unrolled: 1-line block ×4, first 2 shown]
	ds_write_b64 v1, v[218:219]
	ds_write2_b64 v58, v[4:5], v[6:7] offset0:2 offset1:3
	v_mov_b32_e32 v4, v234
	v_mov_b32_e32 v5, v235
	v_mov_b32_e32 v6, v214
	v_mov_b32_e32 v7, v215
	ds_write2_b64 v58, v[4:5], v[6:7] offset0:4 offset1:5
	v_mov_b32_e32 v4, v232
	v_mov_b32_e32 v5, v233
	v_mov_b32_e32 v6, v212
	v_mov_b32_e32 v7, v213
	;; [unrolled: 5-line block ×27, first 2 shown]
	ds_write2_b64 v58, v[4:5], v[6:7] offset0:56 offset1:57
	ds_write_b64 v58, v[238:239] offset:464
	ds_read_b64 v[4:5], v1
	s_waitcnt lgkmcnt(0)
	v_cmp_neq_f64_e32 vcc_lo, 0, v[4:5]
	s_and_b32 exec_lo, exec_lo, vcc_lo
	s_cbranch_execz .LBB117_9
; %bb.8:
	v_div_scale_f64 v[6:7], null, v[4:5], v[4:5], 1.0
	v_rcp_f64_e32 v[8:9], v[6:7]
	v_fma_f64 v[10:11], -v[6:7], v[8:9], 1.0
	v_fma_f64 v[8:9], v[8:9], v[10:11], v[8:9]
	v_fma_f64 v[10:11], -v[6:7], v[8:9], 1.0
	v_fma_f64 v[8:9], v[8:9], v[10:11], v[8:9]
	v_div_scale_f64 v[10:11], vcc_lo, 1.0, v[4:5], 1.0
	v_mul_f64 v[12:13], v[10:11], v[8:9]
	v_fma_f64 v[6:7], -v[6:7], v[12:13], v[10:11]
	v_div_fmas_f64 v[6:7], v[6:7], v[8:9], v[12:13]
	v_div_fixup_f64 v[4:5], v[6:7], v[4:5], 1.0
	ds_write_b64 v1, v[4:5]
.LBB117_9:
	s_or_b32 exec_lo, exec_lo, s1
	s_waitcnt lgkmcnt(0)
	s_barrier
	buffer_gl0_inv
	ds_read_b64 v[4:5], v1
	s_mov_b32 s1, exec_lo
	s_waitcnt lgkmcnt(0)
	buffer_store_dword v4, off, s[12:15], 0 offset:232 ; 4-byte Folded Spill
	buffer_store_dword v5, off, s[12:15], 0 offset:236 ; 4-byte Folded Spill
	v_cmpx_lt_u32_e32 1, v0
	s_cbranch_execz .LBB117_11
; %bb.10:
	s_clause 0x1
	buffer_load_dword v4, off, s[12:15], 0 offset:232
	buffer_load_dword v5, off, s[12:15], 0 offset:236
	s_waitcnt vmcnt(0)
	v_mul_f64 v[218:219], v[4:5], v[218:219]
	ds_read2_b64 v[4:7], v58 offset0:2 offset1:3
	s_waitcnt lgkmcnt(0)
	v_fma_f64 v[236:237], -v[218:219], v[4:5], v[236:237]
	v_fma_f64 v[216:217], -v[218:219], v[6:7], v[216:217]
	ds_read2_b64 v[4:7], v58 offset0:4 offset1:5
	s_waitcnt lgkmcnt(0)
	v_fma_f64 v[234:235], -v[218:219], v[4:5], v[234:235]
	v_fma_f64 v[214:215], -v[218:219], v[6:7], v[214:215]
	;; [unrolled: 4-line block ×27, first 2 shown]
	ds_read2_b64 v[4:7], v58 offset0:56 offset1:57
	s_waitcnt lgkmcnt(0)
	v_fma_f64 v[162:163], -v[218:219], v[4:5], v[162:163]
	ds_read_b64 v[4:5], v58 offset:464
	v_fma_f64 v[122:123], -v[218:219], v[6:7], v[122:123]
	s_waitcnt lgkmcnt(0)
	v_fma_f64 v[238:239], -v[218:219], v[4:5], v[238:239]
.LBB117_11:
	s_or_b32 exec_lo, exec_lo, s1
	s_mov_b32 s1, exec_lo
	s_waitcnt_vscnt null, 0x0
	s_barrier
	buffer_gl0_inv
	v_cmpx_eq_u32_e32 2, v0
	s_cbranch_execz .LBB117_14
; %bb.12:
	ds_write_b64 v1, v[236:237]
	ds_write2_b64 v58, v[216:217], v[234:235] offset0:3 offset1:4
	ds_write2_b64 v58, v[214:215], v[232:233] offset0:5 offset1:6
	;; [unrolled: 1-line block ×28, first 2 shown]
	ds_read_b64 v[4:5], v1
	s_waitcnt lgkmcnt(0)
	v_cmp_neq_f64_e32 vcc_lo, 0, v[4:5]
	s_and_b32 exec_lo, exec_lo, vcc_lo
	s_cbranch_execz .LBB117_14
; %bb.13:
	v_div_scale_f64 v[6:7], null, v[4:5], v[4:5], 1.0
	v_rcp_f64_e32 v[8:9], v[6:7]
	v_fma_f64 v[10:11], -v[6:7], v[8:9], 1.0
	v_fma_f64 v[8:9], v[8:9], v[10:11], v[8:9]
	v_fma_f64 v[10:11], -v[6:7], v[8:9], 1.0
	v_fma_f64 v[8:9], v[8:9], v[10:11], v[8:9]
	v_div_scale_f64 v[10:11], vcc_lo, 1.0, v[4:5], 1.0
	v_mul_f64 v[12:13], v[10:11], v[8:9]
	v_fma_f64 v[6:7], -v[6:7], v[12:13], v[10:11]
	v_div_fmas_f64 v[6:7], v[6:7], v[8:9], v[12:13]
	v_div_fixup_f64 v[4:5], v[6:7], v[4:5], 1.0
	ds_write_b64 v1, v[4:5]
.LBB117_14:
	s_or_b32 exec_lo, exec_lo, s1
	s_waitcnt lgkmcnt(0)
	s_barrier
	buffer_gl0_inv
	ds_read_b64 v[111:112], v1
	s_mov_b32 s1, exec_lo
	v_cmpx_lt_u32_e32 2, v0
	s_cbranch_execz .LBB117_16
; %bb.15:
	s_waitcnt lgkmcnt(0)
	v_mul_f64 v[236:237], v[111:112], v[236:237]
	ds_read2_b64 v[4:7], v58 offset0:3 offset1:4
	s_waitcnt lgkmcnt(0)
	v_fma_f64 v[216:217], -v[236:237], v[4:5], v[216:217]
	v_fma_f64 v[234:235], -v[236:237], v[6:7], v[234:235]
	ds_read2_b64 v[4:7], v58 offset0:5 offset1:6
	s_waitcnt lgkmcnt(0)
	v_fma_f64 v[214:215], -v[236:237], v[4:5], v[214:215]
	v_fma_f64 v[232:233], -v[236:237], v[6:7], v[232:233]
	;; [unrolled: 4-line block ×28, first 2 shown]
.LBB117_16:
	s_or_b32 exec_lo, exec_lo, s1
	s_mov_b32 s1, exec_lo
	s_waitcnt lgkmcnt(0)
	s_barrier
	buffer_gl0_inv
	v_cmpx_eq_u32_e32 3, v0
	s_cbranch_execz .LBB117_19
; %bb.17:
	v_mov_b32_e32 v4, v234
	v_mov_b32_e32 v5, v235
	;; [unrolled: 1-line block ×4, first 2 shown]
	ds_write_b64 v1, v[216:217]
	ds_write2_b64 v58, v[4:5], v[6:7] offset0:4 offset1:5
	v_mov_b32_e32 v4, v232
	v_mov_b32_e32 v5, v233
	v_mov_b32_e32 v6, v212
	v_mov_b32_e32 v7, v213
	ds_write2_b64 v58, v[4:5], v[6:7] offset0:6 offset1:7
	v_mov_b32_e32 v4, v230
	v_mov_b32_e32 v5, v231
	v_mov_b32_e32 v6, v210
	v_mov_b32_e32 v7, v211
	ds_write2_b64 v58, v[4:5], v[6:7] offset0:8 offset1:9
	v_mov_b32_e32 v4, v228
	v_mov_b32_e32 v5, v229
	v_mov_b32_e32 v6, v208
	v_mov_b32_e32 v7, v209
	ds_write2_b64 v58, v[4:5], v[6:7] offset0:10 offset1:11
	v_mov_b32_e32 v4, v226
	v_mov_b32_e32 v5, v227
	v_mov_b32_e32 v6, v206
	v_mov_b32_e32 v7, v207
	ds_write2_b64 v58, v[4:5], v[6:7] offset0:12 offset1:13
	v_mov_b32_e32 v4, v224
	v_mov_b32_e32 v5, v225
	v_mov_b32_e32 v6, v204
	v_mov_b32_e32 v7, v205
	ds_write2_b64 v58, v[4:5], v[6:7] offset0:14 offset1:15
	v_mov_b32_e32 v4, v222
	v_mov_b32_e32 v5, v223
	v_mov_b32_e32 v6, v202
	v_mov_b32_e32 v7, v203
	ds_write2_b64 v58, v[4:5], v[6:7] offset0:16 offset1:17
	v_mov_b32_e32 v4, v220
	v_mov_b32_e32 v5, v221
	v_mov_b32_e32 v6, v160
	v_mov_b32_e32 v7, v161
	ds_write2_b64 v58, v[4:5], v[6:7] offset0:18 offset1:19
	v_mov_b32_e32 v4, v198
	v_mov_b32_e32 v5, v199
	v_mov_b32_e32 v6, v158
	v_mov_b32_e32 v7, v159
	ds_write2_b64 v58, v[4:5], v[6:7] offset0:20 offset1:21
	v_mov_b32_e32 v4, v196
	v_mov_b32_e32 v5, v197
	v_mov_b32_e32 v6, v156
	v_mov_b32_e32 v7, v157
	ds_write2_b64 v58, v[4:5], v[6:7] offset0:22 offset1:23
	v_mov_b32_e32 v4, v194
	v_mov_b32_e32 v5, v195
	v_mov_b32_e32 v6, v154
	v_mov_b32_e32 v7, v155
	ds_write2_b64 v58, v[4:5], v[6:7] offset0:24 offset1:25
	v_mov_b32_e32 v4, v192
	v_mov_b32_e32 v5, v193
	v_mov_b32_e32 v6, v152
	v_mov_b32_e32 v7, v153
	ds_write2_b64 v58, v[4:5], v[6:7] offset0:26 offset1:27
	v_mov_b32_e32 v4, v190
	v_mov_b32_e32 v5, v191
	v_mov_b32_e32 v6, v150
	v_mov_b32_e32 v7, v151
	ds_write2_b64 v58, v[4:5], v[6:7] offset0:28 offset1:29
	v_mov_b32_e32 v4, v188
	v_mov_b32_e32 v5, v189
	v_mov_b32_e32 v6, v148
	v_mov_b32_e32 v7, v149
	ds_write2_b64 v58, v[4:5], v[6:7] offset0:30 offset1:31
	v_mov_b32_e32 v4, v186
	v_mov_b32_e32 v5, v187
	v_mov_b32_e32 v6, v146
	v_mov_b32_e32 v7, v147
	ds_write2_b64 v58, v[4:5], v[6:7] offset0:32 offset1:33
	v_mov_b32_e32 v4, v184
	v_mov_b32_e32 v5, v185
	v_mov_b32_e32 v6, v144
	v_mov_b32_e32 v7, v145
	ds_write2_b64 v58, v[4:5], v[6:7] offset0:34 offset1:35
	v_mov_b32_e32 v4, v182
	v_mov_b32_e32 v5, v183
	v_mov_b32_e32 v6, v142
	v_mov_b32_e32 v7, v143
	ds_write2_b64 v58, v[4:5], v[6:7] offset0:36 offset1:37
	v_mov_b32_e32 v4, v180
	v_mov_b32_e32 v5, v181
	v_mov_b32_e32 v6, v140
	v_mov_b32_e32 v7, v141
	ds_write2_b64 v58, v[4:5], v[6:7] offset0:38 offset1:39
	v_mov_b32_e32 v4, v178
	v_mov_b32_e32 v5, v179
	v_mov_b32_e32 v6, v138
	v_mov_b32_e32 v7, v139
	ds_write2_b64 v58, v[4:5], v[6:7] offset0:40 offset1:41
	v_mov_b32_e32 v4, v176
	v_mov_b32_e32 v5, v177
	v_mov_b32_e32 v6, v136
	v_mov_b32_e32 v7, v137
	ds_write2_b64 v58, v[4:5], v[6:7] offset0:42 offset1:43
	v_mov_b32_e32 v4, v174
	v_mov_b32_e32 v5, v175
	v_mov_b32_e32 v6, v134
	v_mov_b32_e32 v7, v135
	ds_write2_b64 v58, v[4:5], v[6:7] offset0:44 offset1:45
	v_mov_b32_e32 v4, v172
	v_mov_b32_e32 v5, v173
	v_mov_b32_e32 v6, v132
	v_mov_b32_e32 v7, v133
	ds_write2_b64 v58, v[4:5], v[6:7] offset0:46 offset1:47
	v_mov_b32_e32 v4, v170
	v_mov_b32_e32 v5, v171
	v_mov_b32_e32 v6, v130
	v_mov_b32_e32 v7, v131
	ds_write2_b64 v58, v[4:5], v[6:7] offset0:48 offset1:49
	v_mov_b32_e32 v4, v168
	v_mov_b32_e32 v5, v169
	v_mov_b32_e32 v6, v128
	v_mov_b32_e32 v7, v129
	ds_write2_b64 v58, v[4:5], v[6:7] offset0:50 offset1:51
	v_mov_b32_e32 v4, v166
	v_mov_b32_e32 v5, v167
	v_mov_b32_e32 v6, v126
	v_mov_b32_e32 v7, v127
	ds_write2_b64 v58, v[4:5], v[6:7] offset0:52 offset1:53
	v_mov_b32_e32 v4, v164
	v_mov_b32_e32 v5, v165
	v_mov_b32_e32 v6, v124
	v_mov_b32_e32 v7, v125
	ds_write2_b64 v58, v[4:5], v[6:7] offset0:54 offset1:55
	v_mov_b32_e32 v4, v162
	v_mov_b32_e32 v5, v163
	v_mov_b32_e32 v6, v122
	v_mov_b32_e32 v7, v123
	ds_write2_b64 v58, v[4:5], v[6:7] offset0:56 offset1:57
	ds_write_b64 v58, v[238:239] offset:464
	ds_read_b64 v[4:5], v1
	s_waitcnt lgkmcnt(0)
	v_cmp_neq_f64_e32 vcc_lo, 0, v[4:5]
	s_and_b32 exec_lo, exec_lo, vcc_lo
	s_cbranch_execz .LBB117_19
; %bb.18:
	v_div_scale_f64 v[6:7], null, v[4:5], v[4:5], 1.0
	v_rcp_f64_e32 v[8:9], v[6:7]
	v_fma_f64 v[10:11], -v[6:7], v[8:9], 1.0
	v_fma_f64 v[8:9], v[8:9], v[10:11], v[8:9]
	v_fma_f64 v[10:11], -v[6:7], v[8:9], 1.0
	v_fma_f64 v[8:9], v[8:9], v[10:11], v[8:9]
	v_div_scale_f64 v[10:11], vcc_lo, 1.0, v[4:5], 1.0
	v_mul_f64 v[12:13], v[10:11], v[8:9]
	v_fma_f64 v[6:7], -v[6:7], v[12:13], v[10:11]
	v_div_fmas_f64 v[6:7], v[6:7], v[8:9], v[12:13]
	v_div_fixup_f64 v[4:5], v[6:7], v[4:5], 1.0
	ds_write_b64 v1, v[4:5]
.LBB117_19:
	s_or_b32 exec_lo, exec_lo, s1
	s_waitcnt lgkmcnt(0)
	s_barrier
	buffer_gl0_inv
	ds_read_b64 v[4:5], v1
	s_mov_b32 s1, exec_lo
	s_waitcnt lgkmcnt(0)
	buffer_store_dword v4, off, s[12:15], 0 offset:240 ; 4-byte Folded Spill
	buffer_store_dword v5, off, s[12:15], 0 offset:244 ; 4-byte Folded Spill
	v_cmpx_lt_u32_e32 3, v0
	s_cbranch_execz .LBB117_21
; %bb.20:
	s_clause 0x1
	buffer_load_dword v4, off, s[12:15], 0 offset:240
	buffer_load_dword v5, off, s[12:15], 0 offset:244
	s_waitcnt vmcnt(0)
	v_mul_f64 v[216:217], v[4:5], v[216:217]
	ds_read2_b64 v[4:7], v58 offset0:4 offset1:5
	s_waitcnt lgkmcnt(0)
	v_fma_f64 v[234:235], -v[216:217], v[4:5], v[234:235]
	v_fma_f64 v[214:215], -v[216:217], v[6:7], v[214:215]
	ds_read2_b64 v[4:7], v58 offset0:6 offset1:7
	s_waitcnt lgkmcnt(0)
	v_fma_f64 v[232:233], -v[216:217], v[4:5], v[232:233]
	v_fma_f64 v[212:213], -v[216:217], v[6:7], v[212:213]
	;; [unrolled: 4-line block ×26, first 2 shown]
	ds_read2_b64 v[4:7], v58 offset0:56 offset1:57
	s_waitcnt lgkmcnt(0)
	v_fma_f64 v[162:163], -v[216:217], v[4:5], v[162:163]
	ds_read_b64 v[4:5], v58 offset:464
	v_fma_f64 v[122:123], -v[216:217], v[6:7], v[122:123]
	s_waitcnt lgkmcnt(0)
	v_fma_f64 v[238:239], -v[216:217], v[4:5], v[238:239]
.LBB117_21:
	s_or_b32 exec_lo, exec_lo, s1
	s_mov_b32 s1, exec_lo
	s_waitcnt_vscnt null, 0x0
	s_barrier
	buffer_gl0_inv
	v_cmpx_eq_u32_e32 4, v0
	s_cbranch_execz .LBB117_24
; %bb.22:
	ds_write_b64 v1, v[234:235]
	ds_write2_b64 v58, v[214:215], v[232:233] offset0:5 offset1:6
	ds_write2_b64 v58, v[212:213], v[230:231] offset0:7 offset1:8
	;; [unrolled: 1-line block ×27, first 2 shown]
	ds_read_b64 v[4:5], v1
	s_waitcnt lgkmcnt(0)
	v_cmp_neq_f64_e32 vcc_lo, 0, v[4:5]
	s_and_b32 exec_lo, exec_lo, vcc_lo
	s_cbranch_execz .LBB117_24
; %bb.23:
	v_div_scale_f64 v[6:7], null, v[4:5], v[4:5], 1.0
	v_rcp_f64_e32 v[8:9], v[6:7]
	v_fma_f64 v[10:11], -v[6:7], v[8:9], 1.0
	v_fma_f64 v[8:9], v[8:9], v[10:11], v[8:9]
	v_fma_f64 v[10:11], -v[6:7], v[8:9], 1.0
	v_fma_f64 v[8:9], v[8:9], v[10:11], v[8:9]
	v_div_scale_f64 v[10:11], vcc_lo, 1.0, v[4:5], 1.0
	v_mul_f64 v[12:13], v[10:11], v[8:9]
	v_fma_f64 v[6:7], -v[6:7], v[12:13], v[10:11]
	v_div_fmas_f64 v[6:7], v[6:7], v[8:9], v[12:13]
	v_div_fixup_f64 v[4:5], v[6:7], v[4:5], 1.0
	ds_write_b64 v1, v[4:5]
.LBB117_24:
	s_or_b32 exec_lo, exec_lo, s1
	s_waitcnt lgkmcnt(0)
	s_barrier
	buffer_gl0_inv
	ds_read_b64 v[4:5], v1
	s_mov_b32 s1, exec_lo
	s_waitcnt lgkmcnt(0)
	buffer_store_dword v4, off, s[12:15], 0 offset:248 ; 4-byte Folded Spill
	buffer_store_dword v5, off, s[12:15], 0 offset:252 ; 4-byte Folded Spill
	v_cmpx_lt_u32_e32 4, v0
	s_cbranch_execz .LBB117_26
; %bb.25:
	s_clause 0x1
	buffer_load_dword v4, off, s[12:15], 0 offset:248
	buffer_load_dword v5, off, s[12:15], 0 offset:252
	s_waitcnt vmcnt(0)
	v_mul_f64 v[234:235], v[4:5], v[234:235]
	ds_read2_b64 v[4:7], v58 offset0:5 offset1:6
	s_waitcnt lgkmcnt(0)
	v_fma_f64 v[214:215], -v[234:235], v[4:5], v[214:215]
	v_fma_f64 v[232:233], -v[234:235], v[6:7], v[232:233]
	ds_read2_b64 v[4:7], v58 offset0:7 offset1:8
	s_waitcnt lgkmcnt(0)
	v_fma_f64 v[212:213], -v[234:235], v[4:5], v[212:213]
	v_fma_f64 v[230:231], -v[234:235], v[6:7], v[230:231]
	;; [unrolled: 4-line block ×27, first 2 shown]
.LBB117_26:
	s_or_b32 exec_lo, exec_lo, s1
	s_mov_b32 s1, exec_lo
	s_waitcnt_vscnt null, 0x0
	s_barrier
	buffer_gl0_inv
	v_cmpx_eq_u32_e32 5, v0
	s_cbranch_execz .LBB117_29
; %bb.27:
	v_mov_b32_e32 v4, v232
	v_mov_b32_e32 v5, v233
	;; [unrolled: 1-line block ×4, first 2 shown]
	ds_write_b64 v1, v[214:215]
	ds_write2_b64 v58, v[4:5], v[6:7] offset0:6 offset1:7
	v_mov_b32_e32 v4, v230
	v_mov_b32_e32 v5, v231
	v_mov_b32_e32 v6, v210
	v_mov_b32_e32 v7, v211
	ds_write2_b64 v58, v[4:5], v[6:7] offset0:8 offset1:9
	v_mov_b32_e32 v4, v228
	v_mov_b32_e32 v5, v229
	v_mov_b32_e32 v6, v208
	v_mov_b32_e32 v7, v209
	;; [unrolled: 5-line block ×25, first 2 shown]
	ds_write2_b64 v58, v[4:5], v[6:7] offset0:56 offset1:57
	ds_write_b64 v58, v[238:239] offset:464
	ds_read_b64 v[4:5], v1
	s_waitcnt lgkmcnt(0)
	v_cmp_neq_f64_e32 vcc_lo, 0, v[4:5]
	s_and_b32 exec_lo, exec_lo, vcc_lo
	s_cbranch_execz .LBB117_29
; %bb.28:
	v_div_scale_f64 v[6:7], null, v[4:5], v[4:5], 1.0
	v_rcp_f64_e32 v[8:9], v[6:7]
	v_fma_f64 v[10:11], -v[6:7], v[8:9], 1.0
	v_fma_f64 v[8:9], v[8:9], v[10:11], v[8:9]
	v_fma_f64 v[10:11], -v[6:7], v[8:9], 1.0
	v_fma_f64 v[8:9], v[8:9], v[10:11], v[8:9]
	v_div_scale_f64 v[10:11], vcc_lo, 1.0, v[4:5], 1.0
	v_mul_f64 v[12:13], v[10:11], v[8:9]
	v_fma_f64 v[6:7], -v[6:7], v[12:13], v[10:11]
	v_div_fmas_f64 v[6:7], v[6:7], v[8:9], v[12:13]
	v_div_fixup_f64 v[4:5], v[6:7], v[4:5], 1.0
	ds_write_b64 v1, v[4:5]
.LBB117_29:
	s_or_b32 exec_lo, exec_lo, s1
	s_waitcnt lgkmcnt(0)
	s_barrier
	buffer_gl0_inv
	ds_read_b64 v[4:5], v1
	s_mov_b32 s1, exec_lo
	s_waitcnt lgkmcnt(0)
	buffer_store_dword v4, off, s[12:15], 0 offset:256 ; 4-byte Folded Spill
	buffer_store_dword v5, off, s[12:15], 0 offset:260 ; 4-byte Folded Spill
	v_cmpx_lt_u32_e32 5, v0
	s_cbranch_execz .LBB117_31
; %bb.30:
	s_clause 0x1
	buffer_load_dword v4, off, s[12:15], 0 offset:256
	buffer_load_dword v5, off, s[12:15], 0 offset:260
	s_waitcnt vmcnt(0)
	v_mul_f64 v[214:215], v[4:5], v[214:215]
	ds_read2_b64 v[4:7], v58 offset0:6 offset1:7
	s_waitcnt lgkmcnt(0)
	v_fma_f64 v[232:233], -v[214:215], v[4:5], v[232:233]
	v_fma_f64 v[212:213], -v[214:215], v[6:7], v[212:213]
	ds_read2_b64 v[4:7], v58 offset0:8 offset1:9
	s_waitcnt lgkmcnt(0)
	v_fma_f64 v[230:231], -v[214:215], v[4:5], v[230:231]
	v_fma_f64 v[210:211], -v[214:215], v[6:7], v[210:211]
	;; [unrolled: 4-line block ×25, first 2 shown]
	ds_read2_b64 v[4:7], v58 offset0:56 offset1:57
	s_waitcnt lgkmcnt(0)
	v_fma_f64 v[162:163], -v[214:215], v[4:5], v[162:163]
	ds_read_b64 v[4:5], v58 offset:464
	v_fma_f64 v[122:123], -v[214:215], v[6:7], v[122:123]
	s_waitcnt lgkmcnt(0)
	v_fma_f64 v[238:239], -v[214:215], v[4:5], v[238:239]
.LBB117_31:
	s_or_b32 exec_lo, exec_lo, s1
	s_mov_b32 s1, exec_lo
	s_waitcnt_vscnt null, 0x0
	s_barrier
	buffer_gl0_inv
	v_cmpx_eq_u32_e32 6, v0
	s_cbranch_execz .LBB117_34
; %bb.32:
	ds_write_b64 v1, v[232:233]
	ds_write2_b64 v58, v[212:213], v[230:231] offset0:7 offset1:8
	ds_write2_b64 v58, v[210:211], v[228:229] offset0:9 offset1:10
	;; [unrolled: 1-line block ×26, first 2 shown]
	ds_read_b64 v[4:5], v1
	s_waitcnt lgkmcnt(0)
	v_cmp_neq_f64_e32 vcc_lo, 0, v[4:5]
	s_and_b32 exec_lo, exec_lo, vcc_lo
	s_cbranch_execz .LBB117_34
; %bb.33:
	v_div_scale_f64 v[6:7], null, v[4:5], v[4:5], 1.0
	v_rcp_f64_e32 v[8:9], v[6:7]
	v_fma_f64 v[10:11], -v[6:7], v[8:9], 1.0
	v_fma_f64 v[8:9], v[8:9], v[10:11], v[8:9]
	v_fma_f64 v[10:11], -v[6:7], v[8:9], 1.0
	v_fma_f64 v[8:9], v[8:9], v[10:11], v[8:9]
	v_div_scale_f64 v[10:11], vcc_lo, 1.0, v[4:5], 1.0
	v_mul_f64 v[12:13], v[10:11], v[8:9]
	v_fma_f64 v[6:7], -v[6:7], v[12:13], v[10:11]
	v_div_fmas_f64 v[6:7], v[6:7], v[8:9], v[12:13]
	v_div_fixup_f64 v[4:5], v[6:7], v[4:5], 1.0
	ds_write_b64 v1, v[4:5]
.LBB117_34:
	s_or_b32 exec_lo, exec_lo, s1
	s_waitcnt lgkmcnt(0)
	s_barrier
	buffer_gl0_inv
	ds_read_b64 v[4:5], v1
	s_mov_b32 s1, exec_lo
	s_waitcnt lgkmcnt(0)
	buffer_store_dword v4, off, s[12:15], 0 offset:264 ; 4-byte Folded Spill
	buffer_store_dword v5, off, s[12:15], 0 offset:268 ; 4-byte Folded Spill
	v_cmpx_lt_u32_e32 6, v0
	s_cbranch_execz .LBB117_36
; %bb.35:
	s_clause 0x1
	buffer_load_dword v4, off, s[12:15], 0 offset:264
	buffer_load_dword v5, off, s[12:15], 0 offset:268
	s_waitcnt vmcnt(0)
	v_mul_f64 v[232:233], v[4:5], v[232:233]
	ds_read2_b64 v[4:7], v58 offset0:7 offset1:8
	s_waitcnt lgkmcnt(0)
	v_fma_f64 v[212:213], -v[232:233], v[4:5], v[212:213]
	v_fma_f64 v[230:231], -v[232:233], v[6:7], v[230:231]
	ds_read2_b64 v[4:7], v58 offset0:9 offset1:10
	s_waitcnt lgkmcnt(0)
	v_fma_f64 v[210:211], -v[232:233], v[4:5], v[210:211]
	v_fma_f64 v[228:229], -v[232:233], v[6:7], v[228:229]
	ds_read2_b64 v[4:7], v58 offset0:11 offset1:12
	s_waitcnt lgkmcnt(0)
	v_fma_f64 v[208:209], -v[232:233], v[4:5], v[208:209]
	v_fma_f64 v[226:227], -v[232:233], v[6:7], v[226:227]
	ds_read2_b64 v[4:7], v58 offset0:13 offset1:14
	s_waitcnt lgkmcnt(0)
	v_fma_f64 v[206:207], -v[232:233], v[4:5], v[206:207]
	v_fma_f64 v[224:225], -v[232:233], v[6:7], v[224:225]
	ds_read2_b64 v[4:7], v58 offset0:15 offset1:16
	s_waitcnt lgkmcnt(0)
	v_fma_f64 v[204:205], -v[232:233], v[4:5], v[204:205]
	v_fma_f64 v[222:223], -v[232:233], v[6:7], v[222:223]
	ds_read2_b64 v[4:7], v58 offset0:17 offset1:18
	s_waitcnt lgkmcnt(0)
	v_fma_f64 v[202:203], -v[232:233], v[4:5], v[202:203]
	v_fma_f64 v[220:221], -v[232:233], v[6:7], v[220:221]
	ds_read2_b64 v[4:7], v58 offset0:19 offset1:20
	s_waitcnt lgkmcnt(0)
	v_fma_f64 v[160:161], -v[232:233], v[4:5], v[160:161]
	v_fma_f64 v[198:199], -v[232:233], v[6:7], v[198:199]
	ds_read2_b64 v[4:7], v58 offset0:21 offset1:22
	s_waitcnt lgkmcnt(0)
	v_fma_f64 v[158:159], -v[232:233], v[4:5], v[158:159]
	v_fma_f64 v[196:197], -v[232:233], v[6:7], v[196:197]
	ds_read2_b64 v[4:7], v58 offset0:23 offset1:24
	s_waitcnt lgkmcnt(0)
	v_fma_f64 v[156:157], -v[232:233], v[4:5], v[156:157]
	v_fma_f64 v[194:195], -v[232:233], v[6:7], v[194:195]
	ds_read2_b64 v[4:7], v58 offset0:25 offset1:26
	s_waitcnt lgkmcnt(0)
	v_fma_f64 v[154:155], -v[232:233], v[4:5], v[154:155]
	v_fma_f64 v[192:193], -v[232:233], v[6:7], v[192:193]
	ds_read2_b64 v[4:7], v58 offset0:27 offset1:28
	s_waitcnt lgkmcnt(0)
	v_fma_f64 v[152:153], -v[232:233], v[4:5], v[152:153]
	v_fma_f64 v[190:191], -v[232:233], v[6:7], v[190:191]
	ds_read2_b64 v[4:7], v58 offset0:29 offset1:30
	s_waitcnt lgkmcnt(0)
	v_fma_f64 v[150:151], -v[232:233], v[4:5], v[150:151]
	v_fma_f64 v[188:189], -v[232:233], v[6:7], v[188:189]
	ds_read2_b64 v[4:7], v58 offset0:31 offset1:32
	s_waitcnt lgkmcnt(0)
	v_fma_f64 v[148:149], -v[232:233], v[4:5], v[148:149]
	v_fma_f64 v[186:187], -v[232:233], v[6:7], v[186:187]
	ds_read2_b64 v[4:7], v58 offset0:33 offset1:34
	s_waitcnt lgkmcnt(0)
	v_fma_f64 v[146:147], -v[232:233], v[4:5], v[146:147]
	v_fma_f64 v[184:185], -v[232:233], v[6:7], v[184:185]
	ds_read2_b64 v[4:7], v58 offset0:35 offset1:36
	s_waitcnt lgkmcnt(0)
	v_fma_f64 v[144:145], -v[232:233], v[4:5], v[144:145]
	v_fma_f64 v[182:183], -v[232:233], v[6:7], v[182:183]
	ds_read2_b64 v[4:7], v58 offset0:37 offset1:38
	s_waitcnt lgkmcnt(0)
	v_fma_f64 v[142:143], -v[232:233], v[4:5], v[142:143]
	v_fma_f64 v[180:181], -v[232:233], v[6:7], v[180:181]
	ds_read2_b64 v[4:7], v58 offset0:39 offset1:40
	s_waitcnt lgkmcnt(0)
	v_fma_f64 v[140:141], -v[232:233], v[4:5], v[140:141]
	v_fma_f64 v[178:179], -v[232:233], v[6:7], v[178:179]
	ds_read2_b64 v[4:7], v58 offset0:41 offset1:42
	s_waitcnt lgkmcnt(0)
	v_fma_f64 v[138:139], -v[232:233], v[4:5], v[138:139]
	v_fma_f64 v[176:177], -v[232:233], v[6:7], v[176:177]
	ds_read2_b64 v[4:7], v58 offset0:43 offset1:44
	s_waitcnt lgkmcnt(0)
	v_fma_f64 v[136:137], -v[232:233], v[4:5], v[136:137]
	v_fma_f64 v[174:175], -v[232:233], v[6:7], v[174:175]
	ds_read2_b64 v[4:7], v58 offset0:45 offset1:46
	s_waitcnt lgkmcnt(0)
	v_fma_f64 v[134:135], -v[232:233], v[4:5], v[134:135]
	v_fma_f64 v[172:173], -v[232:233], v[6:7], v[172:173]
	ds_read2_b64 v[4:7], v58 offset0:47 offset1:48
	s_waitcnt lgkmcnt(0)
	v_fma_f64 v[132:133], -v[232:233], v[4:5], v[132:133]
	v_fma_f64 v[170:171], -v[232:233], v[6:7], v[170:171]
	ds_read2_b64 v[4:7], v58 offset0:49 offset1:50
	s_waitcnt lgkmcnt(0)
	v_fma_f64 v[130:131], -v[232:233], v[4:5], v[130:131]
	v_fma_f64 v[168:169], -v[232:233], v[6:7], v[168:169]
	ds_read2_b64 v[4:7], v58 offset0:51 offset1:52
	s_waitcnt lgkmcnt(0)
	v_fma_f64 v[128:129], -v[232:233], v[4:5], v[128:129]
	v_fma_f64 v[166:167], -v[232:233], v[6:7], v[166:167]
	ds_read2_b64 v[4:7], v58 offset0:53 offset1:54
	s_waitcnt lgkmcnt(0)
	v_fma_f64 v[126:127], -v[232:233], v[4:5], v[126:127]
	v_fma_f64 v[164:165], -v[232:233], v[6:7], v[164:165]
	ds_read2_b64 v[4:7], v58 offset0:55 offset1:56
	s_waitcnt lgkmcnt(0)
	v_fma_f64 v[124:125], -v[232:233], v[4:5], v[124:125]
	v_fma_f64 v[162:163], -v[232:233], v[6:7], v[162:163]
	ds_read2_b64 v[4:7], v58 offset0:57 offset1:58
	s_waitcnt lgkmcnt(0)
	v_fma_f64 v[122:123], -v[232:233], v[4:5], v[122:123]
	v_fma_f64 v[238:239], -v[232:233], v[6:7], v[238:239]
.LBB117_36:
	s_or_b32 exec_lo, exec_lo, s1
	s_mov_b32 s1, exec_lo
	s_waitcnt_vscnt null, 0x0
	s_barrier
	buffer_gl0_inv
	v_cmpx_eq_u32_e32 7, v0
	s_cbranch_execz .LBB117_39
; %bb.37:
	v_mov_b32_e32 v4, v230
	v_mov_b32_e32 v5, v231
	;; [unrolled: 1-line block ×4, first 2 shown]
	ds_write_b64 v1, v[212:213]
	ds_write2_b64 v58, v[4:5], v[6:7] offset0:8 offset1:9
	v_mov_b32_e32 v4, v228
	v_mov_b32_e32 v5, v229
	v_mov_b32_e32 v6, v208
	v_mov_b32_e32 v7, v209
	ds_write2_b64 v58, v[4:5], v[6:7] offset0:10 offset1:11
	v_mov_b32_e32 v4, v226
	v_mov_b32_e32 v5, v227
	v_mov_b32_e32 v6, v206
	v_mov_b32_e32 v7, v207
	;; [unrolled: 5-line block ×24, first 2 shown]
	ds_write2_b64 v58, v[4:5], v[6:7] offset0:56 offset1:57
	ds_write_b64 v58, v[238:239] offset:464
	ds_read_b64 v[4:5], v1
	s_waitcnt lgkmcnt(0)
	v_cmp_neq_f64_e32 vcc_lo, 0, v[4:5]
	s_and_b32 exec_lo, exec_lo, vcc_lo
	s_cbranch_execz .LBB117_39
; %bb.38:
	v_div_scale_f64 v[6:7], null, v[4:5], v[4:5], 1.0
	v_rcp_f64_e32 v[8:9], v[6:7]
	v_fma_f64 v[10:11], -v[6:7], v[8:9], 1.0
	v_fma_f64 v[8:9], v[8:9], v[10:11], v[8:9]
	v_fma_f64 v[10:11], -v[6:7], v[8:9], 1.0
	v_fma_f64 v[8:9], v[8:9], v[10:11], v[8:9]
	v_div_scale_f64 v[10:11], vcc_lo, 1.0, v[4:5], 1.0
	v_mul_f64 v[12:13], v[10:11], v[8:9]
	v_fma_f64 v[6:7], -v[6:7], v[12:13], v[10:11]
	v_div_fmas_f64 v[6:7], v[6:7], v[8:9], v[12:13]
	v_div_fixup_f64 v[4:5], v[6:7], v[4:5], 1.0
	ds_write_b64 v1, v[4:5]
.LBB117_39:
	s_or_b32 exec_lo, exec_lo, s1
	s_waitcnt lgkmcnt(0)
	s_barrier
	buffer_gl0_inv
	ds_read_b64 v[4:5], v1
	s_mov_b32 s1, exec_lo
	s_waitcnt lgkmcnt(0)
	buffer_store_dword v4, off, s[12:15], 0 offset:272 ; 4-byte Folded Spill
	buffer_store_dword v5, off, s[12:15], 0 offset:276 ; 4-byte Folded Spill
	v_cmpx_lt_u32_e32 7, v0
	s_cbranch_execz .LBB117_41
; %bb.40:
	s_clause 0x1
	buffer_load_dword v4, off, s[12:15], 0 offset:272
	buffer_load_dword v5, off, s[12:15], 0 offset:276
	s_waitcnt vmcnt(0)
	v_mul_f64 v[212:213], v[4:5], v[212:213]
	ds_read2_b64 v[4:7], v58 offset0:8 offset1:9
	s_waitcnt lgkmcnt(0)
	v_fma_f64 v[230:231], -v[212:213], v[4:5], v[230:231]
	v_fma_f64 v[210:211], -v[212:213], v[6:7], v[210:211]
	ds_read2_b64 v[4:7], v58 offset0:10 offset1:11
	s_waitcnt lgkmcnt(0)
	v_fma_f64 v[228:229], -v[212:213], v[4:5], v[228:229]
	v_fma_f64 v[208:209], -v[212:213], v[6:7], v[208:209]
	;; [unrolled: 4-line block ×24, first 2 shown]
	ds_read2_b64 v[4:7], v58 offset0:56 offset1:57
	s_waitcnt lgkmcnt(0)
	v_fma_f64 v[162:163], -v[212:213], v[4:5], v[162:163]
	ds_read_b64 v[4:5], v58 offset:464
	v_fma_f64 v[122:123], -v[212:213], v[6:7], v[122:123]
	s_waitcnt lgkmcnt(0)
	v_fma_f64 v[238:239], -v[212:213], v[4:5], v[238:239]
.LBB117_41:
	s_or_b32 exec_lo, exec_lo, s1
	s_mov_b32 s1, exec_lo
	s_waitcnt_vscnt null, 0x0
	s_barrier
	buffer_gl0_inv
	v_cmpx_eq_u32_e32 8, v0
	s_cbranch_execz .LBB117_44
; %bb.42:
	ds_write_b64 v1, v[230:231]
	ds_write2_b64 v58, v[210:211], v[228:229] offset0:9 offset1:10
	ds_write2_b64 v58, v[208:209], v[226:227] offset0:11 offset1:12
	;; [unrolled: 1-line block ×25, first 2 shown]
	ds_read_b64 v[4:5], v1
	s_waitcnt lgkmcnt(0)
	v_cmp_neq_f64_e32 vcc_lo, 0, v[4:5]
	s_and_b32 exec_lo, exec_lo, vcc_lo
	s_cbranch_execz .LBB117_44
; %bb.43:
	v_div_scale_f64 v[6:7], null, v[4:5], v[4:5], 1.0
	v_rcp_f64_e32 v[8:9], v[6:7]
	v_fma_f64 v[10:11], -v[6:7], v[8:9], 1.0
	v_fma_f64 v[8:9], v[8:9], v[10:11], v[8:9]
	v_fma_f64 v[10:11], -v[6:7], v[8:9], 1.0
	v_fma_f64 v[8:9], v[8:9], v[10:11], v[8:9]
	v_div_scale_f64 v[10:11], vcc_lo, 1.0, v[4:5], 1.0
	v_mul_f64 v[12:13], v[10:11], v[8:9]
	v_fma_f64 v[6:7], -v[6:7], v[12:13], v[10:11]
	v_div_fmas_f64 v[6:7], v[6:7], v[8:9], v[12:13]
	v_div_fixup_f64 v[4:5], v[6:7], v[4:5], 1.0
	ds_write_b64 v1, v[4:5]
.LBB117_44:
	s_or_b32 exec_lo, exec_lo, s1
	s_waitcnt lgkmcnt(0)
	s_barrier
	buffer_gl0_inv
	ds_read_b64 v[4:5], v1
	s_mov_b32 s1, exec_lo
	s_waitcnt lgkmcnt(0)
	buffer_store_dword v4, off, s[12:15], 0 offset:280 ; 4-byte Folded Spill
	buffer_store_dword v5, off, s[12:15], 0 offset:284 ; 4-byte Folded Spill
	v_cmpx_lt_u32_e32 8, v0
	s_cbranch_execz .LBB117_46
; %bb.45:
	s_clause 0x1
	buffer_load_dword v4, off, s[12:15], 0 offset:280
	buffer_load_dword v5, off, s[12:15], 0 offset:284
	s_waitcnt vmcnt(0)
	v_mul_f64 v[230:231], v[4:5], v[230:231]
	ds_read2_b64 v[4:7], v58 offset0:9 offset1:10
	s_waitcnt lgkmcnt(0)
	v_fma_f64 v[210:211], -v[230:231], v[4:5], v[210:211]
	v_fma_f64 v[228:229], -v[230:231], v[6:7], v[228:229]
	ds_read2_b64 v[4:7], v58 offset0:11 offset1:12
	s_waitcnt lgkmcnt(0)
	v_fma_f64 v[208:209], -v[230:231], v[4:5], v[208:209]
	v_fma_f64 v[226:227], -v[230:231], v[6:7], v[226:227]
	;; [unrolled: 4-line block ×25, first 2 shown]
.LBB117_46:
	s_or_b32 exec_lo, exec_lo, s1
	s_mov_b32 s1, exec_lo
	s_waitcnt_vscnt null, 0x0
	s_barrier
	buffer_gl0_inv
	v_cmpx_eq_u32_e32 9, v0
	s_cbranch_execz .LBB117_49
; %bb.47:
	v_mov_b32_e32 v4, v228
	v_mov_b32_e32 v5, v229
	;; [unrolled: 1-line block ×4, first 2 shown]
	ds_write_b64 v1, v[210:211]
	ds_write2_b64 v58, v[4:5], v[6:7] offset0:10 offset1:11
	v_mov_b32_e32 v4, v226
	v_mov_b32_e32 v5, v227
	v_mov_b32_e32 v6, v206
	v_mov_b32_e32 v7, v207
	ds_write2_b64 v58, v[4:5], v[6:7] offset0:12 offset1:13
	v_mov_b32_e32 v4, v224
	v_mov_b32_e32 v5, v225
	v_mov_b32_e32 v6, v204
	v_mov_b32_e32 v7, v205
	;; [unrolled: 5-line block ×23, first 2 shown]
	ds_write2_b64 v58, v[4:5], v[6:7] offset0:56 offset1:57
	ds_write_b64 v58, v[238:239] offset:464
	ds_read_b64 v[4:5], v1
	s_waitcnt lgkmcnt(0)
	v_cmp_neq_f64_e32 vcc_lo, 0, v[4:5]
	s_and_b32 exec_lo, exec_lo, vcc_lo
	s_cbranch_execz .LBB117_49
; %bb.48:
	v_div_scale_f64 v[6:7], null, v[4:5], v[4:5], 1.0
	v_rcp_f64_e32 v[8:9], v[6:7]
	v_fma_f64 v[10:11], -v[6:7], v[8:9], 1.0
	v_fma_f64 v[8:9], v[8:9], v[10:11], v[8:9]
	v_fma_f64 v[10:11], -v[6:7], v[8:9], 1.0
	v_fma_f64 v[8:9], v[8:9], v[10:11], v[8:9]
	v_div_scale_f64 v[10:11], vcc_lo, 1.0, v[4:5], 1.0
	v_mul_f64 v[12:13], v[10:11], v[8:9]
	v_fma_f64 v[6:7], -v[6:7], v[12:13], v[10:11]
	v_div_fmas_f64 v[6:7], v[6:7], v[8:9], v[12:13]
	v_div_fixup_f64 v[4:5], v[6:7], v[4:5], 1.0
	ds_write_b64 v1, v[4:5]
.LBB117_49:
	s_or_b32 exec_lo, exec_lo, s1
	s_waitcnt lgkmcnt(0)
	s_barrier
	buffer_gl0_inv
	ds_read_b64 v[4:5], v1
	s_mov_b32 s1, exec_lo
	s_waitcnt lgkmcnt(0)
	buffer_store_dword v4, off, s[12:15], 0 offset:288 ; 4-byte Folded Spill
	buffer_store_dword v5, off, s[12:15], 0 offset:292 ; 4-byte Folded Spill
	v_cmpx_lt_u32_e32 9, v0
	s_cbranch_execz .LBB117_51
; %bb.50:
	s_clause 0x1
	buffer_load_dword v4, off, s[12:15], 0 offset:288
	buffer_load_dword v5, off, s[12:15], 0 offset:292
	s_waitcnt vmcnt(0)
	v_mul_f64 v[210:211], v[4:5], v[210:211]
	ds_read2_b64 v[4:7], v58 offset0:10 offset1:11
	s_waitcnt lgkmcnt(0)
	v_fma_f64 v[228:229], -v[210:211], v[4:5], v[228:229]
	v_fma_f64 v[208:209], -v[210:211], v[6:7], v[208:209]
	ds_read2_b64 v[4:7], v58 offset0:12 offset1:13
	s_waitcnt lgkmcnt(0)
	v_fma_f64 v[226:227], -v[210:211], v[4:5], v[226:227]
	v_fma_f64 v[206:207], -v[210:211], v[6:7], v[206:207]
	;; [unrolled: 4-line block ×23, first 2 shown]
	ds_read2_b64 v[4:7], v58 offset0:56 offset1:57
	s_waitcnt lgkmcnt(0)
	v_fma_f64 v[162:163], -v[210:211], v[4:5], v[162:163]
	ds_read_b64 v[4:5], v58 offset:464
	v_fma_f64 v[122:123], -v[210:211], v[6:7], v[122:123]
	s_waitcnt lgkmcnt(0)
	v_fma_f64 v[238:239], -v[210:211], v[4:5], v[238:239]
.LBB117_51:
	s_or_b32 exec_lo, exec_lo, s1
	s_mov_b32 s1, exec_lo
	s_waitcnt_vscnt null, 0x0
	s_barrier
	buffer_gl0_inv
	v_cmpx_eq_u32_e32 10, v0
	s_cbranch_execz .LBB117_54
; %bb.52:
	ds_write_b64 v1, v[228:229]
	ds_write2_b64 v58, v[208:209], v[226:227] offset0:11 offset1:12
	ds_write2_b64 v58, v[206:207], v[224:225] offset0:13 offset1:14
	;; [unrolled: 1-line block ×24, first 2 shown]
	ds_read_b64 v[4:5], v1
	s_waitcnt lgkmcnt(0)
	v_cmp_neq_f64_e32 vcc_lo, 0, v[4:5]
	s_and_b32 exec_lo, exec_lo, vcc_lo
	s_cbranch_execz .LBB117_54
; %bb.53:
	v_div_scale_f64 v[6:7], null, v[4:5], v[4:5], 1.0
	v_rcp_f64_e32 v[8:9], v[6:7]
	v_fma_f64 v[10:11], -v[6:7], v[8:9], 1.0
	v_fma_f64 v[8:9], v[8:9], v[10:11], v[8:9]
	v_fma_f64 v[10:11], -v[6:7], v[8:9], 1.0
	v_fma_f64 v[8:9], v[8:9], v[10:11], v[8:9]
	v_div_scale_f64 v[10:11], vcc_lo, 1.0, v[4:5], 1.0
	v_mul_f64 v[12:13], v[10:11], v[8:9]
	v_fma_f64 v[6:7], -v[6:7], v[12:13], v[10:11]
	v_div_fmas_f64 v[6:7], v[6:7], v[8:9], v[12:13]
	v_div_fixup_f64 v[4:5], v[6:7], v[4:5], 1.0
	ds_write_b64 v1, v[4:5]
.LBB117_54:
	s_or_b32 exec_lo, exec_lo, s1
	s_waitcnt lgkmcnt(0)
	s_barrier
	buffer_gl0_inv
	ds_read_b64 v[4:5], v1
	s_mov_b32 s1, exec_lo
	s_waitcnt lgkmcnt(0)
	buffer_store_dword v4, off, s[12:15], 0 offset:296 ; 4-byte Folded Spill
	buffer_store_dword v5, off, s[12:15], 0 offset:300 ; 4-byte Folded Spill
	v_cmpx_lt_u32_e32 10, v0
	s_cbranch_execz .LBB117_56
; %bb.55:
	s_clause 0x1
	buffer_load_dword v4, off, s[12:15], 0 offset:296
	buffer_load_dword v5, off, s[12:15], 0 offset:300
	s_waitcnt vmcnt(0)
	v_mul_f64 v[228:229], v[4:5], v[228:229]
	ds_read2_b64 v[4:7], v58 offset0:11 offset1:12
	s_waitcnt lgkmcnt(0)
	v_fma_f64 v[208:209], -v[228:229], v[4:5], v[208:209]
	v_fma_f64 v[226:227], -v[228:229], v[6:7], v[226:227]
	ds_read2_b64 v[4:7], v58 offset0:13 offset1:14
	s_waitcnt lgkmcnt(0)
	v_fma_f64 v[206:207], -v[228:229], v[4:5], v[206:207]
	v_fma_f64 v[224:225], -v[228:229], v[6:7], v[224:225]
	;; [unrolled: 4-line block ×24, first 2 shown]
.LBB117_56:
	s_or_b32 exec_lo, exec_lo, s1
	s_mov_b32 s1, exec_lo
	s_waitcnt_vscnt null, 0x0
	s_barrier
	buffer_gl0_inv
	v_cmpx_eq_u32_e32 11, v0
	s_cbranch_execz .LBB117_59
; %bb.57:
	v_mov_b32_e32 v4, v226
	v_mov_b32_e32 v5, v227
	;; [unrolled: 1-line block ×4, first 2 shown]
	ds_write_b64 v1, v[208:209]
	ds_write2_b64 v58, v[4:5], v[6:7] offset0:12 offset1:13
	v_mov_b32_e32 v4, v224
	v_mov_b32_e32 v5, v225
	v_mov_b32_e32 v6, v204
	v_mov_b32_e32 v7, v205
	ds_write2_b64 v58, v[4:5], v[6:7] offset0:14 offset1:15
	v_mov_b32_e32 v4, v222
	v_mov_b32_e32 v5, v223
	v_mov_b32_e32 v6, v202
	v_mov_b32_e32 v7, v203
	;; [unrolled: 5-line block ×22, first 2 shown]
	ds_write2_b64 v58, v[4:5], v[6:7] offset0:56 offset1:57
	ds_write_b64 v58, v[238:239] offset:464
	ds_read_b64 v[4:5], v1
	s_waitcnt lgkmcnt(0)
	v_cmp_neq_f64_e32 vcc_lo, 0, v[4:5]
	s_and_b32 exec_lo, exec_lo, vcc_lo
	s_cbranch_execz .LBB117_59
; %bb.58:
	v_div_scale_f64 v[6:7], null, v[4:5], v[4:5], 1.0
	v_rcp_f64_e32 v[8:9], v[6:7]
	v_fma_f64 v[10:11], -v[6:7], v[8:9], 1.0
	v_fma_f64 v[8:9], v[8:9], v[10:11], v[8:9]
	v_fma_f64 v[10:11], -v[6:7], v[8:9], 1.0
	v_fma_f64 v[8:9], v[8:9], v[10:11], v[8:9]
	v_div_scale_f64 v[10:11], vcc_lo, 1.0, v[4:5], 1.0
	v_mul_f64 v[12:13], v[10:11], v[8:9]
	v_fma_f64 v[6:7], -v[6:7], v[12:13], v[10:11]
	v_div_fmas_f64 v[6:7], v[6:7], v[8:9], v[12:13]
	v_div_fixup_f64 v[4:5], v[6:7], v[4:5], 1.0
	ds_write_b64 v1, v[4:5]
.LBB117_59:
	s_or_b32 exec_lo, exec_lo, s1
	s_waitcnt lgkmcnt(0)
	s_barrier
	buffer_gl0_inv
	ds_read_b64 v[4:5], v1
	s_mov_b32 s1, exec_lo
	s_waitcnt lgkmcnt(0)
	buffer_store_dword v4, off, s[12:15], 0 offset:304 ; 4-byte Folded Spill
	buffer_store_dword v5, off, s[12:15], 0 offset:308 ; 4-byte Folded Spill
	v_cmpx_lt_u32_e32 11, v0
	s_cbranch_execz .LBB117_61
; %bb.60:
	s_clause 0x1
	buffer_load_dword v4, off, s[12:15], 0 offset:304
	buffer_load_dword v5, off, s[12:15], 0 offset:308
	s_waitcnt vmcnt(0)
	v_mul_f64 v[208:209], v[4:5], v[208:209]
	ds_read2_b64 v[4:7], v58 offset0:12 offset1:13
	s_waitcnt lgkmcnt(0)
	v_fma_f64 v[226:227], -v[208:209], v[4:5], v[226:227]
	v_fma_f64 v[206:207], -v[208:209], v[6:7], v[206:207]
	ds_read2_b64 v[4:7], v58 offset0:14 offset1:15
	s_waitcnt lgkmcnt(0)
	v_fma_f64 v[224:225], -v[208:209], v[4:5], v[224:225]
	v_fma_f64 v[204:205], -v[208:209], v[6:7], v[204:205]
	;; [unrolled: 4-line block ×22, first 2 shown]
	ds_read2_b64 v[4:7], v58 offset0:56 offset1:57
	s_waitcnt lgkmcnt(0)
	v_fma_f64 v[162:163], -v[208:209], v[4:5], v[162:163]
	ds_read_b64 v[4:5], v58 offset:464
	v_fma_f64 v[122:123], -v[208:209], v[6:7], v[122:123]
	s_waitcnt lgkmcnt(0)
	v_fma_f64 v[238:239], -v[208:209], v[4:5], v[238:239]
.LBB117_61:
	s_or_b32 exec_lo, exec_lo, s1
	s_mov_b32 s1, exec_lo
	s_waitcnt_vscnt null, 0x0
	s_barrier
	buffer_gl0_inv
	v_cmpx_eq_u32_e32 12, v0
	s_cbranch_execz .LBB117_64
; %bb.62:
	ds_write_b64 v1, v[226:227]
	ds_write2_b64 v58, v[206:207], v[224:225] offset0:13 offset1:14
	ds_write2_b64 v58, v[204:205], v[222:223] offset0:15 offset1:16
	;; [unrolled: 1-line block ×23, first 2 shown]
	ds_read_b64 v[4:5], v1
	s_waitcnt lgkmcnt(0)
	v_cmp_neq_f64_e32 vcc_lo, 0, v[4:5]
	s_and_b32 exec_lo, exec_lo, vcc_lo
	s_cbranch_execz .LBB117_64
; %bb.63:
	v_div_scale_f64 v[6:7], null, v[4:5], v[4:5], 1.0
	v_rcp_f64_e32 v[8:9], v[6:7]
	v_fma_f64 v[10:11], -v[6:7], v[8:9], 1.0
	v_fma_f64 v[8:9], v[8:9], v[10:11], v[8:9]
	v_fma_f64 v[10:11], -v[6:7], v[8:9], 1.0
	v_fma_f64 v[8:9], v[8:9], v[10:11], v[8:9]
	v_div_scale_f64 v[10:11], vcc_lo, 1.0, v[4:5], 1.0
	v_mul_f64 v[12:13], v[10:11], v[8:9]
	v_fma_f64 v[6:7], -v[6:7], v[12:13], v[10:11]
	v_div_fmas_f64 v[6:7], v[6:7], v[8:9], v[12:13]
	v_div_fixup_f64 v[4:5], v[6:7], v[4:5], 1.0
	ds_write_b64 v1, v[4:5]
.LBB117_64:
	s_or_b32 exec_lo, exec_lo, s1
	s_waitcnt lgkmcnt(0)
	s_barrier
	buffer_gl0_inv
	ds_read_b64 v[4:5], v1
	s_mov_b32 s1, exec_lo
	s_waitcnt lgkmcnt(0)
	buffer_store_dword v4, off, s[12:15], 0 offset:312 ; 4-byte Folded Spill
	buffer_store_dword v5, off, s[12:15], 0 offset:316 ; 4-byte Folded Spill
	v_cmpx_lt_u32_e32 12, v0
	s_cbranch_execz .LBB117_66
; %bb.65:
	s_clause 0x1
	buffer_load_dword v4, off, s[12:15], 0 offset:312
	buffer_load_dword v5, off, s[12:15], 0 offset:316
	s_waitcnt vmcnt(0)
	v_mul_f64 v[226:227], v[4:5], v[226:227]
	ds_read2_b64 v[4:7], v58 offset0:13 offset1:14
	s_waitcnt lgkmcnt(0)
	v_fma_f64 v[206:207], -v[226:227], v[4:5], v[206:207]
	v_fma_f64 v[224:225], -v[226:227], v[6:7], v[224:225]
	ds_read2_b64 v[4:7], v58 offset0:15 offset1:16
	s_waitcnt lgkmcnt(0)
	v_fma_f64 v[204:205], -v[226:227], v[4:5], v[204:205]
	v_fma_f64 v[222:223], -v[226:227], v[6:7], v[222:223]
	;; [unrolled: 4-line block ×23, first 2 shown]
.LBB117_66:
	s_or_b32 exec_lo, exec_lo, s1
	s_mov_b32 s1, exec_lo
	s_waitcnt_vscnt null, 0x0
	s_barrier
	buffer_gl0_inv
	v_cmpx_eq_u32_e32 13, v0
	s_cbranch_execz .LBB117_69
; %bb.67:
	v_mov_b32_e32 v4, v224
	v_mov_b32_e32 v5, v225
	;; [unrolled: 1-line block ×4, first 2 shown]
	ds_write_b64 v1, v[206:207]
	ds_write2_b64 v58, v[4:5], v[6:7] offset0:14 offset1:15
	v_mov_b32_e32 v4, v222
	v_mov_b32_e32 v5, v223
	v_mov_b32_e32 v6, v202
	v_mov_b32_e32 v7, v203
	ds_write2_b64 v58, v[4:5], v[6:7] offset0:16 offset1:17
	v_mov_b32_e32 v4, v220
	v_mov_b32_e32 v5, v221
	v_mov_b32_e32 v6, v160
	v_mov_b32_e32 v7, v161
	;; [unrolled: 5-line block ×21, first 2 shown]
	ds_write2_b64 v58, v[4:5], v[6:7] offset0:56 offset1:57
	ds_write_b64 v58, v[238:239] offset:464
	ds_read_b64 v[4:5], v1
	s_waitcnt lgkmcnt(0)
	v_cmp_neq_f64_e32 vcc_lo, 0, v[4:5]
	s_and_b32 exec_lo, exec_lo, vcc_lo
	s_cbranch_execz .LBB117_69
; %bb.68:
	v_div_scale_f64 v[6:7], null, v[4:5], v[4:5], 1.0
	v_rcp_f64_e32 v[8:9], v[6:7]
	v_fma_f64 v[10:11], -v[6:7], v[8:9], 1.0
	v_fma_f64 v[8:9], v[8:9], v[10:11], v[8:9]
	v_fma_f64 v[10:11], -v[6:7], v[8:9], 1.0
	v_fma_f64 v[8:9], v[8:9], v[10:11], v[8:9]
	v_div_scale_f64 v[10:11], vcc_lo, 1.0, v[4:5], 1.0
	v_mul_f64 v[12:13], v[10:11], v[8:9]
	v_fma_f64 v[6:7], -v[6:7], v[12:13], v[10:11]
	v_div_fmas_f64 v[6:7], v[6:7], v[8:9], v[12:13]
	v_div_fixup_f64 v[4:5], v[6:7], v[4:5], 1.0
	ds_write_b64 v1, v[4:5]
.LBB117_69:
	s_or_b32 exec_lo, exec_lo, s1
	s_waitcnt lgkmcnt(0)
	s_barrier
	buffer_gl0_inv
	ds_read_b64 v[4:5], v1
	s_mov_b32 s1, exec_lo
	s_waitcnt lgkmcnt(0)
	buffer_store_dword v4, off, s[12:15], 0 offset:320 ; 4-byte Folded Spill
	buffer_store_dword v5, off, s[12:15], 0 offset:324 ; 4-byte Folded Spill
	v_cmpx_lt_u32_e32 13, v0
	s_cbranch_execz .LBB117_71
; %bb.70:
	s_clause 0x1
	buffer_load_dword v4, off, s[12:15], 0 offset:320
	buffer_load_dword v5, off, s[12:15], 0 offset:324
	s_waitcnt vmcnt(0)
	v_mul_f64 v[206:207], v[4:5], v[206:207]
	ds_read2_b64 v[4:7], v58 offset0:14 offset1:15
	s_waitcnt lgkmcnt(0)
	v_fma_f64 v[224:225], -v[206:207], v[4:5], v[224:225]
	v_fma_f64 v[204:205], -v[206:207], v[6:7], v[204:205]
	ds_read2_b64 v[4:7], v58 offset0:16 offset1:17
	s_waitcnt lgkmcnt(0)
	v_fma_f64 v[222:223], -v[206:207], v[4:5], v[222:223]
	v_fma_f64 v[202:203], -v[206:207], v[6:7], v[202:203]
	;; [unrolled: 4-line block ×21, first 2 shown]
	ds_read2_b64 v[4:7], v58 offset0:56 offset1:57
	s_waitcnt lgkmcnt(0)
	v_fma_f64 v[162:163], -v[206:207], v[4:5], v[162:163]
	ds_read_b64 v[4:5], v58 offset:464
	v_fma_f64 v[122:123], -v[206:207], v[6:7], v[122:123]
	s_waitcnt lgkmcnt(0)
	v_fma_f64 v[238:239], -v[206:207], v[4:5], v[238:239]
.LBB117_71:
	s_or_b32 exec_lo, exec_lo, s1
	s_mov_b32 s1, exec_lo
	s_waitcnt_vscnt null, 0x0
	s_barrier
	buffer_gl0_inv
	v_cmpx_eq_u32_e32 14, v0
	s_cbranch_execz .LBB117_74
; %bb.72:
	ds_write_b64 v1, v[224:225]
	ds_write2_b64 v58, v[204:205], v[222:223] offset0:15 offset1:16
	ds_write2_b64 v58, v[202:203], v[220:221] offset0:17 offset1:18
	;; [unrolled: 1-line block ×22, first 2 shown]
	ds_read_b64 v[4:5], v1
	s_waitcnt lgkmcnt(0)
	v_cmp_neq_f64_e32 vcc_lo, 0, v[4:5]
	s_and_b32 exec_lo, exec_lo, vcc_lo
	s_cbranch_execz .LBB117_74
; %bb.73:
	v_div_scale_f64 v[6:7], null, v[4:5], v[4:5], 1.0
	v_rcp_f64_e32 v[8:9], v[6:7]
	v_fma_f64 v[10:11], -v[6:7], v[8:9], 1.0
	v_fma_f64 v[8:9], v[8:9], v[10:11], v[8:9]
	v_fma_f64 v[10:11], -v[6:7], v[8:9], 1.0
	v_fma_f64 v[8:9], v[8:9], v[10:11], v[8:9]
	v_div_scale_f64 v[10:11], vcc_lo, 1.0, v[4:5], 1.0
	v_mul_f64 v[12:13], v[10:11], v[8:9]
	v_fma_f64 v[6:7], -v[6:7], v[12:13], v[10:11]
	v_div_fmas_f64 v[6:7], v[6:7], v[8:9], v[12:13]
	v_div_fixup_f64 v[4:5], v[6:7], v[4:5], 1.0
	ds_write_b64 v1, v[4:5]
.LBB117_74:
	s_or_b32 exec_lo, exec_lo, s1
	s_waitcnt lgkmcnt(0)
	s_barrier
	buffer_gl0_inv
	ds_read_b64 v[4:5], v1
	s_mov_b32 s1, exec_lo
	s_waitcnt lgkmcnt(0)
	buffer_store_dword v4, off, s[12:15], 0 offset:328 ; 4-byte Folded Spill
	buffer_store_dword v5, off, s[12:15], 0 offset:332 ; 4-byte Folded Spill
	v_cmpx_lt_u32_e32 14, v0
	s_cbranch_execz .LBB117_76
; %bb.75:
	s_clause 0x1
	buffer_load_dword v4, off, s[12:15], 0 offset:328
	buffer_load_dword v5, off, s[12:15], 0 offset:332
	s_waitcnt vmcnt(0)
	v_mul_f64 v[224:225], v[4:5], v[224:225]
	ds_read2_b64 v[4:7], v58 offset0:15 offset1:16
	s_waitcnt lgkmcnt(0)
	v_fma_f64 v[204:205], -v[224:225], v[4:5], v[204:205]
	v_fma_f64 v[222:223], -v[224:225], v[6:7], v[222:223]
	ds_read2_b64 v[4:7], v58 offset0:17 offset1:18
	s_waitcnt lgkmcnt(0)
	v_fma_f64 v[202:203], -v[224:225], v[4:5], v[202:203]
	v_fma_f64 v[220:221], -v[224:225], v[6:7], v[220:221]
	;; [unrolled: 4-line block ×22, first 2 shown]
.LBB117_76:
	s_or_b32 exec_lo, exec_lo, s1
	s_mov_b32 s1, exec_lo
	s_waitcnt_vscnt null, 0x0
	s_barrier
	buffer_gl0_inv
	v_cmpx_eq_u32_e32 15, v0
	s_cbranch_execz .LBB117_79
; %bb.77:
	v_mov_b32_e32 v4, v222
	v_mov_b32_e32 v5, v223
	;; [unrolled: 1-line block ×4, first 2 shown]
	ds_write_b64 v1, v[204:205]
	ds_write2_b64 v58, v[4:5], v[6:7] offset0:16 offset1:17
	v_mov_b32_e32 v4, v220
	v_mov_b32_e32 v5, v221
	v_mov_b32_e32 v6, v160
	v_mov_b32_e32 v7, v161
	ds_write2_b64 v58, v[4:5], v[6:7] offset0:18 offset1:19
	v_mov_b32_e32 v4, v198
	v_mov_b32_e32 v5, v199
	v_mov_b32_e32 v6, v158
	v_mov_b32_e32 v7, v159
	ds_write2_b64 v58, v[4:5], v[6:7] offset0:20 offset1:21
	v_mov_b32_e32 v4, v196
	v_mov_b32_e32 v5, v197
	v_mov_b32_e32 v6, v156
	v_mov_b32_e32 v7, v157
	ds_write2_b64 v58, v[4:5], v[6:7] offset0:22 offset1:23
	v_mov_b32_e32 v4, v194
	v_mov_b32_e32 v5, v195
	v_mov_b32_e32 v6, v154
	v_mov_b32_e32 v7, v155
	ds_write2_b64 v58, v[4:5], v[6:7] offset0:24 offset1:25
	v_mov_b32_e32 v4, v192
	v_mov_b32_e32 v5, v193
	v_mov_b32_e32 v6, v152
	v_mov_b32_e32 v7, v153
	ds_write2_b64 v58, v[4:5], v[6:7] offset0:26 offset1:27
	v_mov_b32_e32 v4, v190
	v_mov_b32_e32 v5, v191
	v_mov_b32_e32 v6, v150
	v_mov_b32_e32 v7, v151
	ds_write2_b64 v58, v[4:5], v[6:7] offset0:28 offset1:29
	v_mov_b32_e32 v4, v188
	v_mov_b32_e32 v5, v189
	v_mov_b32_e32 v6, v148
	v_mov_b32_e32 v7, v149
	ds_write2_b64 v58, v[4:5], v[6:7] offset0:30 offset1:31
	v_mov_b32_e32 v4, v186
	v_mov_b32_e32 v5, v187
	v_mov_b32_e32 v6, v146
	v_mov_b32_e32 v7, v147
	ds_write2_b64 v58, v[4:5], v[6:7] offset0:32 offset1:33
	v_mov_b32_e32 v4, v184
	v_mov_b32_e32 v5, v185
	v_mov_b32_e32 v6, v144
	v_mov_b32_e32 v7, v145
	ds_write2_b64 v58, v[4:5], v[6:7] offset0:34 offset1:35
	v_mov_b32_e32 v4, v182
	v_mov_b32_e32 v5, v183
	v_mov_b32_e32 v6, v142
	v_mov_b32_e32 v7, v143
	ds_write2_b64 v58, v[4:5], v[6:7] offset0:36 offset1:37
	v_mov_b32_e32 v4, v180
	v_mov_b32_e32 v5, v181
	v_mov_b32_e32 v6, v140
	v_mov_b32_e32 v7, v141
	ds_write2_b64 v58, v[4:5], v[6:7] offset0:38 offset1:39
	v_mov_b32_e32 v4, v178
	v_mov_b32_e32 v5, v179
	v_mov_b32_e32 v6, v138
	v_mov_b32_e32 v7, v139
	ds_write2_b64 v58, v[4:5], v[6:7] offset0:40 offset1:41
	v_mov_b32_e32 v4, v176
	v_mov_b32_e32 v5, v177
	v_mov_b32_e32 v6, v136
	v_mov_b32_e32 v7, v137
	ds_write2_b64 v58, v[4:5], v[6:7] offset0:42 offset1:43
	v_mov_b32_e32 v4, v174
	v_mov_b32_e32 v5, v175
	v_mov_b32_e32 v6, v134
	v_mov_b32_e32 v7, v135
	ds_write2_b64 v58, v[4:5], v[6:7] offset0:44 offset1:45
	v_mov_b32_e32 v4, v172
	v_mov_b32_e32 v5, v173
	v_mov_b32_e32 v6, v132
	v_mov_b32_e32 v7, v133
	ds_write2_b64 v58, v[4:5], v[6:7] offset0:46 offset1:47
	v_mov_b32_e32 v4, v170
	v_mov_b32_e32 v5, v171
	v_mov_b32_e32 v6, v130
	v_mov_b32_e32 v7, v131
	ds_write2_b64 v58, v[4:5], v[6:7] offset0:48 offset1:49
	v_mov_b32_e32 v4, v168
	v_mov_b32_e32 v5, v169
	v_mov_b32_e32 v6, v128
	v_mov_b32_e32 v7, v129
	ds_write2_b64 v58, v[4:5], v[6:7] offset0:50 offset1:51
	v_mov_b32_e32 v4, v166
	v_mov_b32_e32 v5, v167
	v_mov_b32_e32 v6, v126
	v_mov_b32_e32 v7, v127
	ds_write2_b64 v58, v[4:5], v[6:7] offset0:52 offset1:53
	v_mov_b32_e32 v4, v164
	v_mov_b32_e32 v5, v165
	v_mov_b32_e32 v6, v124
	v_mov_b32_e32 v7, v125
	ds_write2_b64 v58, v[4:5], v[6:7] offset0:54 offset1:55
	v_mov_b32_e32 v4, v162
	v_mov_b32_e32 v5, v163
	v_mov_b32_e32 v6, v122
	v_mov_b32_e32 v7, v123
	ds_write2_b64 v58, v[4:5], v[6:7] offset0:56 offset1:57
	ds_write_b64 v58, v[238:239] offset:464
	ds_read_b64 v[4:5], v1
	s_waitcnt lgkmcnt(0)
	v_cmp_neq_f64_e32 vcc_lo, 0, v[4:5]
	s_and_b32 exec_lo, exec_lo, vcc_lo
	s_cbranch_execz .LBB117_79
; %bb.78:
	v_div_scale_f64 v[6:7], null, v[4:5], v[4:5], 1.0
	v_rcp_f64_e32 v[8:9], v[6:7]
	v_fma_f64 v[10:11], -v[6:7], v[8:9], 1.0
	v_fma_f64 v[8:9], v[8:9], v[10:11], v[8:9]
	v_fma_f64 v[10:11], -v[6:7], v[8:9], 1.0
	v_fma_f64 v[8:9], v[8:9], v[10:11], v[8:9]
	v_div_scale_f64 v[10:11], vcc_lo, 1.0, v[4:5], 1.0
	v_mul_f64 v[12:13], v[10:11], v[8:9]
	v_fma_f64 v[6:7], -v[6:7], v[12:13], v[10:11]
	v_div_fmas_f64 v[6:7], v[6:7], v[8:9], v[12:13]
	v_div_fixup_f64 v[4:5], v[6:7], v[4:5], 1.0
	ds_write_b64 v1, v[4:5]
.LBB117_79:
	s_or_b32 exec_lo, exec_lo, s1
	s_waitcnt lgkmcnt(0)
	s_barrier
	buffer_gl0_inv
	ds_read_b64 v[4:5], v1
	s_mov_b32 s1, exec_lo
	s_waitcnt lgkmcnt(0)
	buffer_store_dword v4, off, s[12:15], 0 offset:336 ; 4-byte Folded Spill
	buffer_store_dword v5, off, s[12:15], 0 offset:340 ; 4-byte Folded Spill
	v_cmpx_lt_u32_e32 15, v0
	s_cbranch_execz .LBB117_81
; %bb.80:
	s_clause 0x1
	buffer_load_dword v4, off, s[12:15], 0 offset:336
	buffer_load_dword v5, off, s[12:15], 0 offset:340
	s_waitcnt vmcnt(0)
	v_mul_f64 v[204:205], v[4:5], v[204:205]
	ds_read2_b64 v[4:7], v58 offset0:16 offset1:17
	s_waitcnt lgkmcnt(0)
	v_fma_f64 v[222:223], -v[204:205], v[4:5], v[222:223]
	v_fma_f64 v[202:203], -v[204:205], v[6:7], v[202:203]
	ds_read2_b64 v[4:7], v58 offset0:18 offset1:19
	s_waitcnt lgkmcnt(0)
	v_fma_f64 v[220:221], -v[204:205], v[4:5], v[220:221]
	v_fma_f64 v[160:161], -v[204:205], v[6:7], v[160:161]
	;; [unrolled: 4-line block ×20, first 2 shown]
	ds_read2_b64 v[4:7], v58 offset0:56 offset1:57
	s_waitcnt lgkmcnt(0)
	v_fma_f64 v[162:163], -v[204:205], v[4:5], v[162:163]
	ds_read_b64 v[4:5], v58 offset:464
	v_fma_f64 v[122:123], -v[204:205], v[6:7], v[122:123]
	s_waitcnt lgkmcnt(0)
	v_fma_f64 v[238:239], -v[204:205], v[4:5], v[238:239]
.LBB117_81:
	s_or_b32 exec_lo, exec_lo, s1
	s_mov_b32 s1, exec_lo
	s_waitcnt_vscnt null, 0x0
	s_barrier
	buffer_gl0_inv
	v_cmpx_eq_u32_e32 16, v0
	s_cbranch_execz .LBB117_84
; %bb.82:
	ds_write_b64 v1, v[222:223]
	ds_write2_b64 v58, v[202:203], v[220:221] offset0:17 offset1:18
	ds_write2_b64 v58, v[160:161], v[198:199] offset0:19 offset1:20
	;; [unrolled: 1-line block ×21, first 2 shown]
	ds_read_b64 v[4:5], v1
	s_waitcnt lgkmcnt(0)
	v_cmp_neq_f64_e32 vcc_lo, 0, v[4:5]
	s_and_b32 exec_lo, exec_lo, vcc_lo
	s_cbranch_execz .LBB117_84
; %bb.83:
	v_div_scale_f64 v[6:7], null, v[4:5], v[4:5], 1.0
	v_rcp_f64_e32 v[8:9], v[6:7]
	v_fma_f64 v[10:11], -v[6:7], v[8:9], 1.0
	v_fma_f64 v[8:9], v[8:9], v[10:11], v[8:9]
	v_fma_f64 v[10:11], -v[6:7], v[8:9], 1.0
	v_fma_f64 v[8:9], v[8:9], v[10:11], v[8:9]
	v_div_scale_f64 v[10:11], vcc_lo, 1.0, v[4:5], 1.0
	v_mul_f64 v[12:13], v[10:11], v[8:9]
	v_fma_f64 v[6:7], -v[6:7], v[12:13], v[10:11]
	v_div_fmas_f64 v[6:7], v[6:7], v[8:9], v[12:13]
	v_div_fixup_f64 v[4:5], v[6:7], v[4:5], 1.0
	ds_write_b64 v1, v[4:5]
.LBB117_84:
	s_or_b32 exec_lo, exec_lo, s1
	s_waitcnt lgkmcnt(0)
	s_barrier
	buffer_gl0_inv
	ds_read_b64 v[4:5], v1
	s_mov_b32 s1, exec_lo
	s_waitcnt lgkmcnt(0)
	buffer_store_dword v4, off, s[12:15], 0 offset:344 ; 4-byte Folded Spill
	buffer_store_dword v5, off, s[12:15], 0 offset:348 ; 4-byte Folded Spill
	v_cmpx_lt_u32_e32 16, v0
	s_cbranch_execz .LBB117_86
; %bb.85:
	s_clause 0x1
	buffer_load_dword v4, off, s[12:15], 0 offset:344
	buffer_load_dword v5, off, s[12:15], 0 offset:348
	s_waitcnt vmcnt(0)
	v_mul_f64 v[222:223], v[4:5], v[222:223]
	ds_read2_b64 v[4:7], v58 offset0:17 offset1:18
	s_waitcnt lgkmcnt(0)
	v_fma_f64 v[202:203], -v[222:223], v[4:5], v[202:203]
	v_fma_f64 v[220:221], -v[222:223], v[6:7], v[220:221]
	ds_read2_b64 v[4:7], v58 offset0:19 offset1:20
	s_waitcnt lgkmcnt(0)
	v_fma_f64 v[160:161], -v[222:223], v[4:5], v[160:161]
	v_fma_f64 v[198:199], -v[222:223], v[6:7], v[198:199]
	;; [unrolled: 4-line block ×21, first 2 shown]
.LBB117_86:
	s_or_b32 exec_lo, exec_lo, s1
	s_mov_b32 s1, exec_lo
	s_waitcnt_vscnt null, 0x0
	s_barrier
	buffer_gl0_inv
	v_cmpx_eq_u32_e32 17, v0
	s_cbranch_execz .LBB117_89
; %bb.87:
	v_mov_b32_e32 v4, v220
	v_mov_b32_e32 v5, v221
	;; [unrolled: 1-line block ×4, first 2 shown]
	ds_write_b64 v1, v[202:203]
	ds_write2_b64 v58, v[4:5], v[6:7] offset0:18 offset1:19
	v_mov_b32_e32 v4, v198
	v_mov_b32_e32 v5, v199
	v_mov_b32_e32 v6, v158
	v_mov_b32_e32 v7, v159
	ds_write2_b64 v58, v[4:5], v[6:7] offset0:20 offset1:21
	v_mov_b32_e32 v4, v196
	v_mov_b32_e32 v5, v197
	v_mov_b32_e32 v6, v156
	v_mov_b32_e32 v7, v157
	;; [unrolled: 5-line block ×19, first 2 shown]
	ds_write2_b64 v58, v[4:5], v[6:7] offset0:56 offset1:57
	ds_write_b64 v58, v[238:239] offset:464
	ds_read_b64 v[4:5], v1
	s_waitcnt lgkmcnt(0)
	v_cmp_neq_f64_e32 vcc_lo, 0, v[4:5]
	s_and_b32 exec_lo, exec_lo, vcc_lo
	s_cbranch_execz .LBB117_89
; %bb.88:
	v_div_scale_f64 v[6:7], null, v[4:5], v[4:5], 1.0
	v_rcp_f64_e32 v[8:9], v[6:7]
	v_fma_f64 v[10:11], -v[6:7], v[8:9], 1.0
	v_fma_f64 v[8:9], v[8:9], v[10:11], v[8:9]
	v_fma_f64 v[10:11], -v[6:7], v[8:9], 1.0
	v_fma_f64 v[8:9], v[8:9], v[10:11], v[8:9]
	v_div_scale_f64 v[10:11], vcc_lo, 1.0, v[4:5], 1.0
	v_mul_f64 v[12:13], v[10:11], v[8:9]
	v_fma_f64 v[6:7], -v[6:7], v[12:13], v[10:11]
	v_div_fmas_f64 v[6:7], v[6:7], v[8:9], v[12:13]
	v_div_fixup_f64 v[4:5], v[6:7], v[4:5], 1.0
	ds_write_b64 v1, v[4:5]
.LBB117_89:
	s_or_b32 exec_lo, exec_lo, s1
	s_waitcnt lgkmcnt(0)
	s_barrier
	buffer_gl0_inv
	ds_read_b64 v[4:5], v1
	s_mov_b32 s1, exec_lo
	s_waitcnt lgkmcnt(0)
	buffer_store_dword v4, off, s[12:15], 0 offset:352 ; 4-byte Folded Spill
	buffer_store_dword v5, off, s[12:15], 0 offset:356 ; 4-byte Folded Spill
	v_cmpx_lt_u32_e32 17, v0
	s_cbranch_execz .LBB117_91
; %bb.90:
	s_clause 0x1
	buffer_load_dword v4, off, s[12:15], 0 offset:352
	buffer_load_dword v5, off, s[12:15], 0 offset:356
	s_waitcnt vmcnt(0)
	v_mul_f64 v[202:203], v[4:5], v[202:203]
	ds_read2_b64 v[4:7], v58 offset0:18 offset1:19
	s_waitcnt lgkmcnt(0)
	v_fma_f64 v[220:221], -v[202:203], v[4:5], v[220:221]
	v_fma_f64 v[160:161], -v[202:203], v[6:7], v[160:161]
	ds_read2_b64 v[4:7], v58 offset0:20 offset1:21
	s_waitcnt lgkmcnt(0)
	v_fma_f64 v[198:199], -v[202:203], v[4:5], v[198:199]
	v_fma_f64 v[158:159], -v[202:203], v[6:7], v[158:159]
	;; [unrolled: 4-line block ×19, first 2 shown]
	ds_read2_b64 v[4:7], v58 offset0:56 offset1:57
	s_waitcnt lgkmcnt(0)
	v_fma_f64 v[162:163], -v[202:203], v[4:5], v[162:163]
	ds_read_b64 v[4:5], v58 offset:464
	v_fma_f64 v[122:123], -v[202:203], v[6:7], v[122:123]
	s_waitcnt lgkmcnt(0)
	v_fma_f64 v[238:239], -v[202:203], v[4:5], v[238:239]
.LBB117_91:
	s_or_b32 exec_lo, exec_lo, s1
	s_mov_b32 s1, exec_lo
	s_waitcnt_vscnt null, 0x0
	s_barrier
	buffer_gl0_inv
	v_cmpx_eq_u32_e32 18, v0
	s_cbranch_execz .LBB117_94
; %bb.92:
	ds_write_b64 v1, v[220:221]
	ds_write2_b64 v58, v[160:161], v[198:199] offset0:19 offset1:20
	ds_write2_b64 v58, v[158:159], v[196:197] offset0:21 offset1:22
	;; [unrolled: 1-line block ×20, first 2 shown]
	ds_read_b64 v[4:5], v1
	s_waitcnt lgkmcnt(0)
	v_cmp_neq_f64_e32 vcc_lo, 0, v[4:5]
	s_and_b32 exec_lo, exec_lo, vcc_lo
	s_cbranch_execz .LBB117_94
; %bb.93:
	v_div_scale_f64 v[6:7], null, v[4:5], v[4:5], 1.0
	v_rcp_f64_e32 v[8:9], v[6:7]
	v_fma_f64 v[10:11], -v[6:7], v[8:9], 1.0
	v_fma_f64 v[8:9], v[8:9], v[10:11], v[8:9]
	v_fma_f64 v[10:11], -v[6:7], v[8:9], 1.0
	v_fma_f64 v[8:9], v[8:9], v[10:11], v[8:9]
	v_div_scale_f64 v[10:11], vcc_lo, 1.0, v[4:5], 1.0
	v_mul_f64 v[12:13], v[10:11], v[8:9]
	v_fma_f64 v[6:7], -v[6:7], v[12:13], v[10:11]
	v_div_fmas_f64 v[6:7], v[6:7], v[8:9], v[12:13]
	v_div_fixup_f64 v[4:5], v[6:7], v[4:5], 1.0
	ds_write_b64 v1, v[4:5]
.LBB117_94:
	s_or_b32 exec_lo, exec_lo, s1
	s_waitcnt lgkmcnt(0)
	s_barrier
	buffer_gl0_inv
	ds_read_b64 v[4:5], v1
	s_mov_b32 s1, exec_lo
	s_waitcnt lgkmcnt(0)
	buffer_store_dword v4, off, s[12:15], 0 offset:360 ; 4-byte Folded Spill
	buffer_store_dword v5, off, s[12:15], 0 offset:364 ; 4-byte Folded Spill
	v_cmpx_lt_u32_e32 18, v0
	s_cbranch_execz .LBB117_96
; %bb.95:
	s_clause 0x1
	buffer_load_dword v4, off, s[12:15], 0 offset:360
	buffer_load_dword v5, off, s[12:15], 0 offset:364
	s_waitcnt vmcnt(0)
	v_mul_f64 v[220:221], v[4:5], v[220:221]
	ds_read2_b64 v[4:7], v58 offset0:19 offset1:20
	s_waitcnt lgkmcnt(0)
	v_fma_f64 v[160:161], -v[220:221], v[4:5], v[160:161]
	v_fma_f64 v[198:199], -v[220:221], v[6:7], v[198:199]
	ds_read2_b64 v[4:7], v58 offset0:21 offset1:22
	s_waitcnt lgkmcnt(0)
	v_fma_f64 v[158:159], -v[220:221], v[4:5], v[158:159]
	v_fma_f64 v[196:197], -v[220:221], v[6:7], v[196:197]
	;; [unrolled: 4-line block ×20, first 2 shown]
.LBB117_96:
	s_or_b32 exec_lo, exec_lo, s1
	s_mov_b32 s1, exec_lo
	s_waitcnt_vscnt null, 0x0
	s_barrier
	buffer_gl0_inv
	v_cmpx_eq_u32_e32 19, v0
	s_cbranch_execz .LBB117_99
; %bb.97:
	v_mov_b32_e32 v4, v198
	v_mov_b32_e32 v5, v199
	;; [unrolled: 1-line block ×4, first 2 shown]
	ds_write_b64 v1, v[160:161]
	ds_write2_b64 v58, v[4:5], v[6:7] offset0:20 offset1:21
	v_mov_b32_e32 v4, v196
	v_mov_b32_e32 v5, v197
	v_mov_b32_e32 v6, v156
	v_mov_b32_e32 v7, v157
	ds_write2_b64 v58, v[4:5], v[6:7] offset0:22 offset1:23
	v_mov_b32_e32 v4, v194
	v_mov_b32_e32 v5, v195
	v_mov_b32_e32 v6, v154
	v_mov_b32_e32 v7, v155
	;; [unrolled: 5-line block ×18, first 2 shown]
	ds_write2_b64 v58, v[4:5], v[6:7] offset0:56 offset1:57
	ds_write_b64 v58, v[238:239] offset:464
	ds_read_b64 v[4:5], v1
	s_waitcnt lgkmcnt(0)
	v_cmp_neq_f64_e32 vcc_lo, 0, v[4:5]
	s_and_b32 exec_lo, exec_lo, vcc_lo
	s_cbranch_execz .LBB117_99
; %bb.98:
	v_div_scale_f64 v[6:7], null, v[4:5], v[4:5], 1.0
	v_rcp_f64_e32 v[8:9], v[6:7]
	v_fma_f64 v[10:11], -v[6:7], v[8:9], 1.0
	v_fma_f64 v[8:9], v[8:9], v[10:11], v[8:9]
	v_fma_f64 v[10:11], -v[6:7], v[8:9], 1.0
	v_fma_f64 v[8:9], v[8:9], v[10:11], v[8:9]
	v_div_scale_f64 v[10:11], vcc_lo, 1.0, v[4:5], 1.0
	v_mul_f64 v[12:13], v[10:11], v[8:9]
	v_fma_f64 v[6:7], -v[6:7], v[12:13], v[10:11]
	v_div_fmas_f64 v[6:7], v[6:7], v[8:9], v[12:13]
	v_div_fixup_f64 v[4:5], v[6:7], v[4:5], 1.0
	ds_write_b64 v1, v[4:5]
.LBB117_99:
	s_or_b32 exec_lo, exec_lo, s1
	s_waitcnt lgkmcnt(0)
	s_barrier
	buffer_gl0_inv
	ds_read_b64 v[4:5], v1
	s_mov_b32 s1, exec_lo
	s_waitcnt lgkmcnt(0)
	buffer_store_dword v4, off, s[12:15], 0 offset:368 ; 4-byte Folded Spill
	buffer_store_dword v5, off, s[12:15], 0 offset:372 ; 4-byte Folded Spill
	v_cmpx_lt_u32_e32 19, v0
	s_cbranch_execz .LBB117_101
; %bb.100:
	s_clause 0x1
	buffer_load_dword v4, off, s[12:15], 0 offset:368
	buffer_load_dword v5, off, s[12:15], 0 offset:372
	s_waitcnt vmcnt(0)
	v_mul_f64 v[160:161], v[4:5], v[160:161]
	ds_read2_b64 v[4:7], v58 offset0:20 offset1:21
	s_waitcnt lgkmcnt(0)
	v_fma_f64 v[198:199], -v[160:161], v[4:5], v[198:199]
	v_fma_f64 v[158:159], -v[160:161], v[6:7], v[158:159]
	ds_read2_b64 v[4:7], v58 offset0:22 offset1:23
	s_waitcnt lgkmcnt(0)
	v_fma_f64 v[196:197], -v[160:161], v[4:5], v[196:197]
	v_fma_f64 v[156:157], -v[160:161], v[6:7], v[156:157]
	;; [unrolled: 4-line block ×18, first 2 shown]
	ds_read2_b64 v[4:7], v58 offset0:56 offset1:57
	s_waitcnt lgkmcnt(0)
	v_fma_f64 v[162:163], -v[160:161], v[4:5], v[162:163]
	ds_read_b64 v[4:5], v58 offset:464
	v_fma_f64 v[122:123], -v[160:161], v[6:7], v[122:123]
	s_waitcnt lgkmcnt(0)
	v_fma_f64 v[238:239], -v[160:161], v[4:5], v[238:239]
.LBB117_101:
	s_or_b32 exec_lo, exec_lo, s1
	s_mov_b32 s1, exec_lo
	s_waitcnt_vscnt null, 0x0
	s_barrier
	buffer_gl0_inv
	v_cmpx_eq_u32_e32 20, v0
	s_cbranch_execz .LBB117_104
; %bb.102:
	ds_write_b64 v1, v[198:199]
	ds_write2_b64 v58, v[158:159], v[196:197] offset0:21 offset1:22
	ds_write2_b64 v58, v[156:157], v[194:195] offset0:23 offset1:24
	ds_write2_b64 v58, v[154:155], v[192:193] offset0:25 offset1:26
	ds_write2_b64 v58, v[152:153], v[190:191] offset0:27 offset1:28
	ds_write2_b64 v58, v[150:151], v[188:189] offset0:29 offset1:30
	ds_write2_b64 v58, v[148:149], v[186:187] offset0:31 offset1:32
	ds_write2_b64 v58, v[146:147], v[184:185] offset0:33 offset1:34
	ds_write2_b64 v58, v[144:145], v[182:183] offset0:35 offset1:36
	ds_write2_b64 v58, v[142:143], v[180:181] offset0:37 offset1:38
	ds_write2_b64 v58, v[140:141], v[178:179] offset0:39 offset1:40
	ds_write2_b64 v58, v[138:139], v[176:177] offset0:41 offset1:42
	ds_write2_b64 v58, v[136:137], v[174:175] offset0:43 offset1:44
	ds_write2_b64 v58, v[134:135], v[172:173] offset0:45 offset1:46
	ds_write2_b64 v58, v[132:133], v[170:171] offset0:47 offset1:48
	ds_write2_b64 v58, v[130:131], v[168:169] offset0:49 offset1:50
	ds_write2_b64 v58, v[128:129], v[166:167] offset0:51 offset1:52
	ds_write2_b64 v58, v[126:127], v[164:165] offset0:53 offset1:54
	ds_write2_b64 v58, v[124:125], v[162:163] offset0:55 offset1:56
	ds_write2_b64 v58, v[122:123], v[238:239] offset0:57 offset1:58
	ds_read_b64 v[4:5], v1
	s_waitcnt lgkmcnt(0)
	v_cmp_neq_f64_e32 vcc_lo, 0, v[4:5]
	s_and_b32 exec_lo, exec_lo, vcc_lo
	s_cbranch_execz .LBB117_104
; %bb.103:
	v_div_scale_f64 v[6:7], null, v[4:5], v[4:5], 1.0
	v_rcp_f64_e32 v[8:9], v[6:7]
	v_fma_f64 v[10:11], -v[6:7], v[8:9], 1.0
	v_fma_f64 v[8:9], v[8:9], v[10:11], v[8:9]
	v_fma_f64 v[10:11], -v[6:7], v[8:9], 1.0
	v_fma_f64 v[8:9], v[8:9], v[10:11], v[8:9]
	v_div_scale_f64 v[10:11], vcc_lo, 1.0, v[4:5], 1.0
	v_mul_f64 v[12:13], v[10:11], v[8:9]
	v_fma_f64 v[6:7], -v[6:7], v[12:13], v[10:11]
	v_div_fmas_f64 v[6:7], v[6:7], v[8:9], v[12:13]
	v_div_fixup_f64 v[4:5], v[6:7], v[4:5], 1.0
	ds_write_b64 v1, v[4:5]
.LBB117_104:
	s_or_b32 exec_lo, exec_lo, s1
	s_waitcnt lgkmcnt(0)
	s_barrier
	buffer_gl0_inv
	ds_read_b64 v[4:5], v1
	s_mov_b32 s1, exec_lo
	s_waitcnt lgkmcnt(0)
	buffer_store_dword v4, off, s[12:15], 0 offset:376 ; 4-byte Folded Spill
	buffer_store_dword v5, off, s[12:15], 0 offset:380 ; 4-byte Folded Spill
	v_cmpx_lt_u32_e32 20, v0
	s_cbranch_execz .LBB117_106
; %bb.105:
	s_clause 0x1
	buffer_load_dword v4, off, s[12:15], 0 offset:376
	buffer_load_dword v5, off, s[12:15], 0 offset:380
	s_waitcnt vmcnt(0)
	v_mul_f64 v[198:199], v[4:5], v[198:199]
	ds_read2_b64 v[4:7], v58 offset0:21 offset1:22
	s_waitcnt lgkmcnt(0)
	v_fma_f64 v[158:159], -v[198:199], v[4:5], v[158:159]
	v_fma_f64 v[196:197], -v[198:199], v[6:7], v[196:197]
	ds_read2_b64 v[4:7], v58 offset0:23 offset1:24
	s_waitcnt lgkmcnt(0)
	v_fma_f64 v[156:157], -v[198:199], v[4:5], v[156:157]
	v_fma_f64 v[194:195], -v[198:199], v[6:7], v[194:195]
	;; [unrolled: 4-line block ×19, first 2 shown]
.LBB117_106:
	s_or_b32 exec_lo, exec_lo, s1
	s_mov_b32 s1, exec_lo
	s_waitcnt_vscnt null, 0x0
	s_barrier
	buffer_gl0_inv
	v_cmpx_eq_u32_e32 21, v0
	s_cbranch_execz .LBB117_109
; %bb.107:
	v_mov_b32_e32 v4, v196
	v_mov_b32_e32 v5, v197
	v_mov_b32_e32 v6, v156
	v_mov_b32_e32 v7, v157
	ds_write_b64 v1, v[158:159]
	ds_write2_b64 v58, v[4:5], v[6:7] offset0:22 offset1:23
	v_mov_b32_e32 v4, v194
	v_mov_b32_e32 v5, v195
	v_mov_b32_e32 v6, v154
	v_mov_b32_e32 v7, v155
	ds_write2_b64 v58, v[4:5], v[6:7] offset0:24 offset1:25
	v_mov_b32_e32 v4, v192
	v_mov_b32_e32 v5, v193
	v_mov_b32_e32 v6, v152
	v_mov_b32_e32 v7, v153
	;; [unrolled: 5-line block ×17, first 2 shown]
	ds_write2_b64 v58, v[4:5], v[6:7] offset0:56 offset1:57
	ds_write_b64 v58, v[238:239] offset:464
	ds_read_b64 v[4:5], v1
	s_waitcnt lgkmcnt(0)
	v_cmp_neq_f64_e32 vcc_lo, 0, v[4:5]
	s_and_b32 exec_lo, exec_lo, vcc_lo
	s_cbranch_execz .LBB117_109
; %bb.108:
	v_div_scale_f64 v[6:7], null, v[4:5], v[4:5], 1.0
	v_rcp_f64_e32 v[8:9], v[6:7]
	v_fma_f64 v[10:11], -v[6:7], v[8:9], 1.0
	v_fma_f64 v[8:9], v[8:9], v[10:11], v[8:9]
	v_fma_f64 v[10:11], -v[6:7], v[8:9], 1.0
	v_fma_f64 v[8:9], v[8:9], v[10:11], v[8:9]
	v_div_scale_f64 v[10:11], vcc_lo, 1.0, v[4:5], 1.0
	v_mul_f64 v[12:13], v[10:11], v[8:9]
	v_fma_f64 v[6:7], -v[6:7], v[12:13], v[10:11]
	v_div_fmas_f64 v[6:7], v[6:7], v[8:9], v[12:13]
	v_div_fixup_f64 v[4:5], v[6:7], v[4:5], 1.0
	ds_write_b64 v1, v[4:5]
.LBB117_109:
	s_or_b32 exec_lo, exec_lo, s1
	s_waitcnt lgkmcnt(0)
	s_barrier
	buffer_gl0_inv
	ds_read_b64 v[113:114], v1
	s_mov_b32 s1, exec_lo
	v_cmpx_lt_u32_e32 21, v0
	s_cbranch_execz .LBB117_111
; %bb.110:
	s_waitcnt lgkmcnt(0)
	v_mul_f64 v[158:159], v[113:114], v[158:159]
	ds_read2_b64 v[4:7], v58 offset0:22 offset1:23
	s_waitcnt lgkmcnt(0)
	v_fma_f64 v[196:197], -v[158:159], v[4:5], v[196:197]
	v_fma_f64 v[156:157], -v[158:159], v[6:7], v[156:157]
	ds_read2_b64 v[4:7], v58 offset0:24 offset1:25
	s_waitcnt lgkmcnt(0)
	v_fma_f64 v[194:195], -v[158:159], v[4:5], v[194:195]
	v_fma_f64 v[154:155], -v[158:159], v[6:7], v[154:155]
	;; [unrolled: 4-line block ×17, first 2 shown]
	ds_read2_b64 v[4:7], v58 offset0:56 offset1:57
	s_waitcnt lgkmcnt(0)
	v_fma_f64 v[162:163], -v[158:159], v[4:5], v[162:163]
	ds_read_b64 v[4:5], v58 offset:464
	v_fma_f64 v[122:123], -v[158:159], v[6:7], v[122:123]
	s_waitcnt lgkmcnt(0)
	v_fma_f64 v[238:239], -v[158:159], v[4:5], v[238:239]
.LBB117_111:
	s_or_b32 exec_lo, exec_lo, s1
	s_mov_b32 s1, exec_lo
	s_waitcnt lgkmcnt(0)
	s_barrier
	buffer_gl0_inv
	v_cmpx_eq_u32_e32 22, v0
	s_cbranch_execz .LBB117_114
; %bb.112:
	ds_write_b64 v1, v[196:197]
	ds_write2_b64 v58, v[156:157], v[194:195] offset0:23 offset1:24
	ds_write2_b64 v58, v[154:155], v[192:193] offset0:25 offset1:26
	;; [unrolled: 1-line block ×18, first 2 shown]
	ds_read_b64 v[4:5], v1
	s_waitcnt lgkmcnt(0)
	v_cmp_neq_f64_e32 vcc_lo, 0, v[4:5]
	s_and_b32 exec_lo, exec_lo, vcc_lo
	s_cbranch_execz .LBB117_114
; %bb.113:
	v_div_scale_f64 v[6:7], null, v[4:5], v[4:5], 1.0
	v_rcp_f64_e32 v[8:9], v[6:7]
	v_fma_f64 v[10:11], -v[6:7], v[8:9], 1.0
	v_fma_f64 v[8:9], v[8:9], v[10:11], v[8:9]
	v_fma_f64 v[10:11], -v[6:7], v[8:9], 1.0
	v_fma_f64 v[8:9], v[8:9], v[10:11], v[8:9]
	v_div_scale_f64 v[10:11], vcc_lo, 1.0, v[4:5], 1.0
	v_mul_f64 v[12:13], v[10:11], v[8:9]
	v_fma_f64 v[6:7], -v[6:7], v[12:13], v[10:11]
	v_div_fmas_f64 v[6:7], v[6:7], v[8:9], v[12:13]
	v_div_fixup_f64 v[4:5], v[6:7], v[4:5], 1.0
	ds_write_b64 v1, v[4:5]
.LBB117_114:
	s_or_b32 exec_lo, exec_lo, s1
	s_waitcnt lgkmcnt(0)
	s_barrier
	buffer_gl0_inv
	ds_read_b64 v[109:110], v1
	s_mov_b32 s1, exec_lo
	v_cmpx_lt_u32_e32 22, v0
	s_cbranch_execz .LBB117_116
; %bb.115:
	s_waitcnt lgkmcnt(0)
	v_mul_f64 v[196:197], v[109:110], v[196:197]
	ds_read2_b64 v[4:7], v58 offset0:23 offset1:24
	s_waitcnt lgkmcnt(0)
	v_fma_f64 v[156:157], -v[196:197], v[4:5], v[156:157]
	v_fma_f64 v[194:195], -v[196:197], v[6:7], v[194:195]
	ds_read2_b64 v[4:7], v58 offset0:25 offset1:26
	s_waitcnt lgkmcnt(0)
	v_fma_f64 v[154:155], -v[196:197], v[4:5], v[154:155]
	v_fma_f64 v[192:193], -v[196:197], v[6:7], v[192:193]
	ds_read2_b64 v[4:7], v58 offset0:27 offset1:28
	s_waitcnt lgkmcnt(0)
	v_fma_f64 v[152:153], -v[196:197], v[4:5], v[152:153]
	v_fma_f64 v[190:191], -v[196:197], v[6:7], v[190:191]
	ds_read2_b64 v[4:7], v58 offset0:29 offset1:30
	s_waitcnt lgkmcnt(0)
	v_fma_f64 v[150:151], -v[196:197], v[4:5], v[150:151]
	v_fma_f64 v[188:189], -v[196:197], v[6:7], v[188:189]
	ds_read2_b64 v[4:7], v58 offset0:31 offset1:32
	s_waitcnt lgkmcnt(0)
	v_fma_f64 v[148:149], -v[196:197], v[4:5], v[148:149]
	v_fma_f64 v[186:187], -v[196:197], v[6:7], v[186:187]
	ds_read2_b64 v[4:7], v58 offset0:33 offset1:34
	s_waitcnt lgkmcnt(0)
	v_fma_f64 v[146:147], -v[196:197], v[4:5], v[146:147]
	v_fma_f64 v[184:185], -v[196:197], v[6:7], v[184:185]
	ds_read2_b64 v[4:7], v58 offset0:35 offset1:36
	s_waitcnt lgkmcnt(0)
	v_fma_f64 v[144:145], -v[196:197], v[4:5], v[144:145]
	v_fma_f64 v[182:183], -v[196:197], v[6:7], v[182:183]
	ds_read2_b64 v[4:7], v58 offset0:37 offset1:38
	s_waitcnt lgkmcnt(0)
	v_fma_f64 v[142:143], -v[196:197], v[4:5], v[142:143]
	v_fma_f64 v[180:181], -v[196:197], v[6:7], v[180:181]
	ds_read2_b64 v[4:7], v58 offset0:39 offset1:40
	s_waitcnt lgkmcnt(0)
	v_fma_f64 v[140:141], -v[196:197], v[4:5], v[140:141]
	v_fma_f64 v[178:179], -v[196:197], v[6:7], v[178:179]
	ds_read2_b64 v[4:7], v58 offset0:41 offset1:42
	s_waitcnt lgkmcnt(0)
	v_fma_f64 v[138:139], -v[196:197], v[4:5], v[138:139]
	v_fma_f64 v[176:177], -v[196:197], v[6:7], v[176:177]
	ds_read2_b64 v[4:7], v58 offset0:43 offset1:44
	s_waitcnt lgkmcnt(0)
	v_fma_f64 v[136:137], -v[196:197], v[4:5], v[136:137]
	v_fma_f64 v[174:175], -v[196:197], v[6:7], v[174:175]
	ds_read2_b64 v[4:7], v58 offset0:45 offset1:46
	s_waitcnt lgkmcnt(0)
	v_fma_f64 v[134:135], -v[196:197], v[4:5], v[134:135]
	v_fma_f64 v[172:173], -v[196:197], v[6:7], v[172:173]
	ds_read2_b64 v[4:7], v58 offset0:47 offset1:48
	s_waitcnt lgkmcnt(0)
	v_fma_f64 v[132:133], -v[196:197], v[4:5], v[132:133]
	v_fma_f64 v[170:171], -v[196:197], v[6:7], v[170:171]
	ds_read2_b64 v[4:7], v58 offset0:49 offset1:50
	s_waitcnt lgkmcnt(0)
	v_fma_f64 v[130:131], -v[196:197], v[4:5], v[130:131]
	v_fma_f64 v[168:169], -v[196:197], v[6:7], v[168:169]
	ds_read2_b64 v[4:7], v58 offset0:51 offset1:52
	s_waitcnt lgkmcnt(0)
	v_fma_f64 v[128:129], -v[196:197], v[4:5], v[128:129]
	v_fma_f64 v[166:167], -v[196:197], v[6:7], v[166:167]
	ds_read2_b64 v[4:7], v58 offset0:53 offset1:54
	s_waitcnt lgkmcnt(0)
	v_fma_f64 v[126:127], -v[196:197], v[4:5], v[126:127]
	v_fma_f64 v[164:165], -v[196:197], v[6:7], v[164:165]
	ds_read2_b64 v[4:7], v58 offset0:55 offset1:56
	s_waitcnt lgkmcnt(0)
	v_fma_f64 v[124:125], -v[196:197], v[4:5], v[124:125]
	v_fma_f64 v[162:163], -v[196:197], v[6:7], v[162:163]
	ds_read2_b64 v[4:7], v58 offset0:57 offset1:58
	s_waitcnt lgkmcnt(0)
	v_fma_f64 v[122:123], -v[196:197], v[4:5], v[122:123]
	v_fma_f64 v[238:239], -v[196:197], v[6:7], v[238:239]
.LBB117_116:
	s_or_b32 exec_lo, exec_lo, s1
	s_mov_b32 s1, exec_lo
	s_waitcnt lgkmcnt(0)
	s_barrier
	buffer_gl0_inv
	v_cmpx_eq_u32_e32 23, v0
	s_cbranch_execz .LBB117_119
; %bb.117:
	v_mov_b32_e32 v4, v194
	v_mov_b32_e32 v5, v195
	v_mov_b32_e32 v6, v154
	v_mov_b32_e32 v7, v155
	ds_write_b64 v1, v[156:157]
	ds_write2_b64 v58, v[4:5], v[6:7] offset0:24 offset1:25
	v_mov_b32_e32 v4, v192
	v_mov_b32_e32 v5, v193
	v_mov_b32_e32 v6, v152
	v_mov_b32_e32 v7, v153
	ds_write2_b64 v58, v[4:5], v[6:7] offset0:26 offset1:27
	v_mov_b32_e32 v4, v190
	v_mov_b32_e32 v5, v191
	v_mov_b32_e32 v6, v150
	v_mov_b32_e32 v7, v151
	;; [unrolled: 5-line block ×16, first 2 shown]
	ds_write2_b64 v58, v[4:5], v[6:7] offset0:56 offset1:57
	ds_write_b64 v58, v[238:239] offset:464
	ds_read_b64 v[4:5], v1
	s_waitcnt lgkmcnt(0)
	v_cmp_neq_f64_e32 vcc_lo, 0, v[4:5]
	s_and_b32 exec_lo, exec_lo, vcc_lo
	s_cbranch_execz .LBB117_119
; %bb.118:
	v_div_scale_f64 v[6:7], null, v[4:5], v[4:5], 1.0
	v_rcp_f64_e32 v[8:9], v[6:7]
	v_fma_f64 v[10:11], -v[6:7], v[8:9], 1.0
	v_fma_f64 v[8:9], v[8:9], v[10:11], v[8:9]
	v_fma_f64 v[10:11], -v[6:7], v[8:9], 1.0
	v_fma_f64 v[8:9], v[8:9], v[10:11], v[8:9]
	v_div_scale_f64 v[10:11], vcc_lo, 1.0, v[4:5], 1.0
	v_mul_f64 v[12:13], v[10:11], v[8:9]
	v_fma_f64 v[6:7], -v[6:7], v[12:13], v[10:11]
	v_div_fmas_f64 v[6:7], v[6:7], v[8:9], v[12:13]
	v_div_fixup_f64 v[4:5], v[6:7], v[4:5], 1.0
	ds_write_b64 v1, v[4:5]
.LBB117_119:
	s_or_b32 exec_lo, exec_lo, s1
	s_waitcnt lgkmcnt(0)
	s_barrier
	buffer_gl0_inv
	ds_read_b64 v[115:116], v1
	s_mov_b32 s1, exec_lo
	v_cmpx_lt_u32_e32 23, v0
	s_cbranch_execz .LBB117_121
; %bb.120:
	s_waitcnt lgkmcnt(0)
	v_mul_f64 v[156:157], v[115:116], v[156:157]
	ds_read2_b64 v[4:7], v58 offset0:24 offset1:25
	s_waitcnt lgkmcnt(0)
	v_fma_f64 v[194:195], -v[156:157], v[4:5], v[194:195]
	v_fma_f64 v[154:155], -v[156:157], v[6:7], v[154:155]
	ds_read2_b64 v[4:7], v58 offset0:26 offset1:27
	s_waitcnt lgkmcnt(0)
	v_fma_f64 v[192:193], -v[156:157], v[4:5], v[192:193]
	v_fma_f64 v[152:153], -v[156:157], v[6:7], v[152:153]
	;; [unrolled: 4-line block ×16, first 2 shown]
	ds_read2_b64 v[4:7], v58 offset0:56 offset1:57
	s_waitcnt lgkmcnt(0)
	v_fma_f64 v[162:163], -v[156:157], v[4:5], v[162:163]
	ds_read_b64 v[4:5], v58 offset:464
	v_fma_f64 v[122:123], -v[156:157], v[6:7], v[122:123]
	s_waitcnt lgkmcnt(0)
	v_fma_f64 v[238:239], -v[156:157], v[4:5], v[238:239]
.LBB117_121:
	s_or_b32 exec_lo, exec_lo, s1
	s_mov_b32 s1, exec_lo
	s_waitcnt lgkmcnt(0)
	s_barrier
	buffer_gl0_inv
	v_cmpx_eq_u32_e32 24, v0
	s_cbranch_execz .LBB117_124
; %bb.122:
	ds_write_b64 v1, v[194:195]
	ds_write2_b64 v58, v[154:155], v[192:193] offset0:25 offset1:26
	ds_write2_b64 v58, v[152:153], v[190:191] offset0:27 offset1:28
	ds_write2_b64 v58, v[150:151], v[188:189] offset0:29 offset1:30
	ds_write2_b64 v58, v[148:149], v[186:187] offset0:31 offset1:32
	ds_write2_b64 v58, v[146:147], v[184:185] offset0:33 offset1:34
	ds_write2_b64 v58, v[144:145], v[182:183] offset0:35 offset1:36
	ds_write2_b64 v58, v[142:143], v[180:181] offset0:37 offset1:38
	ds_write2_b64 v58, v[140:141], v[178:179] offset0:39 offset1:40
	ds_write2_b64 v58, v[138:139], v[176:177] offset0:41 offset1:42
	ds_write2_b64 v58, v[136:137], v[174:175] offset0:43 offset1:44
	ds_write2_b64 v58, v[134:135], v[172:173] offset0:45 offset1:46
	ds_write2_b64 v58, v[132:133], v[170:171] offset0:47 offset1:48
	ds_write2_b64 v58, v[130:131], v[168:169] offset0:49 offset1:50
	ds_write2_b64 v58, v[128:129], v[166:167] offset0:51 offset1:52
	ds_write2_b64 v58, v[126:127], v[164:165] offset0:53 offset1:54
	ds_write2_b64 v58, v[124:125], v[162:163] offset0:55 offset1:56
	ds_write2_b64 v58, v[122:123], v[238:239] offset0:57 offset1:58
	ds_read_b64 v[4:5], v1
	s_waitcnt lgkmcnt(0)
	v_cmp_neq_f64_e32 vcc_lo, 0, v[4:5]
	s_and_b32 exec_lo, exec_lo, vcc_lo
	s_cbranch_execz .LBB117_124
; %bb.123:
	v_div_scale_f64 v[6:7], null, v[4:5], v[4:5], 1.0
	v_rcp_f64_e32 v[8:9], v[6:7]
	v_fma_f64 v[10:11], -v[6:7], v[8:9], 1.0
	v_fma_f64 v[8:9], v[8:9], v[10:11], v[8:9]
	v_fma_f64 v[10:11], -v[6:7], v[8:9], 1.0
	v_fma_f64 v[8:9], v[8:9], v[10:11], v[8:9]
	v_div_scale_f64 v[10:11], vcc_lo, 1.0, v[4:5], 1.0
	v_mul_f64 v[12:13], v[10:11], v[8:9]
	v_fma_f64 v[6:7], -v[6:7], v[12:13], v[10:11]
	v_div_fmas_f64 v[6:7], v[6:7], v[8:9], v[12:13]
	v_div_fixup_f64 v[4:5], v[6:7], v[4:5], 1.0
	ds_write_b64 v1, v[4:5]
.LBB117_124:
	s_or_b32 exec_lo, exec_lo, s1
	s_waitcnt lgkmcnt(0)
	s_barrier
	buffer_gl0_inv
	ds_read_b64 v[120:121], v1
	s_mov_b32 s1, exec_lo
	v_cmpx_lt_u32_e32 24, v0
	s_cbranch_execz .LBB117_126
; %bb.125:
	s_waitcnt lgkmcnt(0)
	v_mul_f64 v[194:195], v[120:121], v[194:195]
	ds_read2_b64 v[4:7], v58 offset0:25 offset1:26
	s_waitcnt lgkmcnt(0)
	v_fma_f64 v[154:155], -v[194:195], v[4:5], v[154:155]
	v_fma_f64 v[192:193], -v[194:195], v[6:7], v[192:193]
	ds_read2_b64 v[4:7], v58 offset0:27 offset1:28
	s_waitcnt lgkmcnt(0)
	v_fma_f64 v[152:153], -v[194:195], v[4:5], v[152:153]
	v_fma_f64 v[190:191], -v[194:195], v[6:7], v[190:191]
	;; [unrolled: 4-line block ×17, first 2 shown]
.LBB117_126:
	s_or_b32 exec_lo, exec_lo, s1
	s_mov_b32 s1, exec_lo
	s_waitcnt lgkmcnt(0)
	s_barrier
	buffer_gl0_inv
	v_cmpx_eq_u32_e32 25, v0
	s_cbranch_execz .LBB117_129
; %bb.127:
	v_mov_b32_e32 v4, v192
	v_mov_b32_e32 v5, v193
	;; [unrolled: 1-line block ×4, first 2 shown]
	ds_write_b64 v1, v[154:155]
	ds_write2_b64 v58, v[4:5], v[6:7] offset0:26 offset1:27
	v_mov_b32_e32 v4, v190
	v_mov_b32_e32 v5, v191
	v_mov_b32_e32 v6, v150
	v_mov_b32_e32 v7, v151
	ds_write2_b64 v58, v[4:5], v[6:7] offset0:28 offset1:29
	v_mov_b32_e32 v4, v188
	v_mov_b32_e32 v5, v189
	v_mov_b32_e32 v6, v148
	v_mov_b32_e32 v7, v149
	;; [unrolled: 5-line block ×15, first 2 shown]
	ds_write2_b64 v58, v[4:5], v[6:7] offset0:56 offset1:57
	ds_write_b64 v58, v[238:239] offset:464
	ds_read_b64 v[4:5], v1
	s_waitcnt lgkmcnt(0)
	v_cmp_neq_f64_e32 vcc_lo, 0, v[4:5]
	s_and_b32 exec_lo, exec_lo, vcc_lo
	s_cbranch_execz .LBB117_129
; %bb.128:
	v_div_scale_f64 v[6:7], null, v[4:5], v[4:5], 1.0
	v_rcp_f64_e32 v[8:9], v[6:7]
	v_fma_f64 v[10:11], -v[6:7], v[8:9], 1.0
	v_fma_f64 v[8:9], v[8:9], v[10:11], v[8:9]
	v_fma_f64 v[10:11], -v[6:7], v[8:9], 1.0
	v_fma_f64 v[8:9], v[8:9], v[10:11], v[8:9]
	v_div_scale_f64 v[10:11], vcc_lo, 1.0, v[4:5], 1.0
	v_mul_f64 v[12:13], v[10:11], v[8:9]
	v_fma_f64 v[6:7], -v[6:7], v[12:13], v[10:11]
	v_div_fmas_f64 v[6:7], v[6:7], v[8:9], v[12:13]
	v_div_fixup_f64 v[4:5], v[6:7], v[4:5], 1.0
	ds_write_b64 v1, v[4:5]
.LBB117_129:
	s_or_b32 exec_lo, exec_lo, s1
	s_waitcnt lgkmcnt(0)
	s_barrier
	buffer_gl0_inv
	ds_read_b64 v[240:241], v1
	s_mov_b32 s1, exec_lo
	v_cmpx_lt_u32_e32 25, v0
	s_cbranch_execz .LBB117_131
; %bb.130:
	s_waitcnt lgkmcnt(0)
	v_mul_f64 v[154:155], v[240:241], v[154:155]
	ds_read2_b64 v[4:7], v58 offset0:26 offset1:27
	s_waitcnt lgkmcnt(0)
	v_fma_f64 v[192:193], -v[154:155], v[4:5], v[192:193]
	v_fma_f64 v[152:153], -v[154:155], v[6:7], v[152:153]
	ds_read2_b64 v[4:7], v58 offset0:28 offset1:29
	s_waitcnt lgkmcnt(0)
	v_fma_f64 v[190:191], -v[154:155], v[4:5], v[190:191]
	v_fma_f64 v[150:151], -v[154:155], v[6:7], v[150:151]
	;; [unrolled: 4-line block ×15, first 2 shown]
	ds_read2_b64 v[4:7], v58 offset0:56 offset1:57
	s_waitcnt lgkmcnt(0)
	v_fma_f64 v[162:163], -v[154:155], v[4:5], v[162:163]
	ds_read_b64 v[4:5], v58 offset:464
	v_fma_f64 v[122:123], -v[154:155], v[6:7], v[122:123]
	s_waitcnt lgkmcnt(0)
	v_fma_f64 v[238:239], -v[154:155], v[4:5], v[238:239]
.LBB117_131:
	s_or_b32 exec_lo, exec_lo, s1
	s_mov_b32 s1, exec_lo
	s_waitcnt lgkmcnt(0)
	s_barrier
	buffer_gl0_inv
	v_cmpx_eq_u32_e32 26, v0
	s_cbranch_execz .LBB117_134
; %bb.132:
	ds_write_b64 v1, v[192:193]
	ds_write2_b64 v58, v[152:153], v[190:191] offset0:27 offset1:28
	ds_write2_b64 v58, v[150:151], v[188:189] offset0:29 offset1:30
	;; [unrolled: 1-line block ×16, first 2 shown]
	ds_read_b64 v[4:5], v1
	s_waitcnt lgkmcnt(0)
	v_cmp_neq_f64_e32 vcc_lo, 0, v[4:5]
	s_and_b32 exec_lo, exec_lo, vcc_lo
	s_cbranch_execz .LBB117_134
; %bb.133:
	v_div_scale_f64 v[6:7], null, v[4:5], v[4:5], 1.0
	v_rcp_f64_e32 v[8:9], v[6:7]
	v_fma_f64 v[10:11], -v[6:7], v[8:9], 1.0
	v_fma_f64 v[8:9], v[8:9], v[10:11], v[8:9]
	v_fma_f64 v[10:11], -v[6:7], v[8:9], 1.0
	v_fma_f64 v[8:9], v[8:9], v[10:11], v[8:9]
	v_div_scale_f64 v[10:11], vcc_lo, 1.0, v[4:5], 1.0
	v_mul_f64 v[12:13], v[10:11], v[8:9]
	v_fma_f64 v[6:7], -v[6:7], v[12:13], v[10:11]
	v_div_fmas_f64 v[6:7], v[6:7], v[8:9], v[12:13]
	v_div_fixup_f64 v[4:5], v[6:7], v[4:5], 1.0
	ds_write_b64 v1, v[4:5]
.LBB117_134:
	s_or_b32 exec_lo, exec_lo, s1
	s_waitcnt lgkmcnt(0)
	s_barrier
	buffer_gl0_inv
	ds_read_b64 v[242:243], v1
	s_mov_b32 s1, exec_lo
	v_cmpx_lt_u32_e32 26, v0
	s_cbranch_execz .LBB117_136
; %bb.135:
	s_waitcnt lgkmcnt(0)
	v_mul_f64 v[192:193], v[242:243], v[192:193]
	ds_read2_b64 v[4:7], v58 offset0:27 offset1:28
	s_waitcnt lgkmcnt(0)
	v_fma_f64 v[152:153], -v[192:193], v[4:5], v[152:153]
	v_fma_f64 v[190:191], -v[192:193], v[6:7], v[190:191]
	ds_read2_b64 v[4:7], v58 offset0:29 offset1:30
	s_waitcnt lgkmcnt(0)
	v_fma_f64 v[150:151], -v[192:193], v[4:5], v[150:151]
	v_fma_f64 v[188:189], -v[192:193], v[6:7], v[188:189]
	;; [unrolled: 4-line block ×16, first 2 shown]
.LBB117_136:
	s_or_b32 exec_lo, exec_lo, s1
	s_mov_b32 s1, exec_lo
	s_waitcnt lgkmcnt(0)
	s_barrier
	buffer_gl0_inv
	v_cmpx_eq_u32_e32 27, v0
	s_cbranch_execz .LBB117_139
; %bb.137:
	v_mov_b32_e32 v4, v190
	v_mov_b32_e32 v5, v191
	;; [unrolled: 1-line block ×4, first 2 shown]
	ds_write_b64 v1, v[152:153]
	ds_write2_b64 v58, v[4:5], v[6:7] offset0:28 offset1:29
	v_mov_b32_e32 v4, v188
	v_mov_b32_e32 v5, v189
	v_mov_b32_e32 v6, v148
	v_mov_b32_e32 v7, v149
	ds_write2_b64 v58, v[4:5], v[6:7] offset0:30 offset1:31
	v_mov_b32_e32 v4, v186
	v_mov_b32_e32 v5, v187
	v_mov_b32_e32 v6, v146
	v_mov_b32_e32 v7, v147
	;; [unrolled: 5-line block ×14, first 2 shown]
	ds_write2_b64 v58, v[4:5], v[6:7] offset0:56 offset1:57
	ds_write_b64 v58, v[238:239] offset:464
	ds_read_b64 v[4:5], v1
	s_waitcnt lgkmcnt(0)
	v_cmp_neq_f64_e32 vcc_lo, 0, v[4:5]
	s_and_b32 exec_lo, exec_lo, vcc_lo
	s_cbranch_execz .LBB117_139
; %bb.138:
	v_div_scale_f64 v[6:7], null, v[4:5], v[4:5], 1.0
	v_rcp_f64_e32 v[8:9], v[6:7]
	v_fma_f64 v[10:11], -v[6:7], v[8:9], 1.0
	v_fma_f64 v[8:9], v[8:9], v[10:11], v[8:9]
	v_fma_f64 v[10:11], -v[6:7], v[8:9], 1.0
	v_fma_f64 v[8:9], v[8:9], v[10:11], v[8:9]
	v_div_scale_f64 v[10:11], vcc_lo, 1.0, v[4:5], 1.0
	v_mul_f64 v[12:13], v[10:11], v[8:9]
	v_fma_f64 v[6:7], -v[6:7], v[12:13], v[10:11]
	v_div_fmas_f64 v[6:7], v[6:7], v[8:9], v[12:13]
	v_div_fixup_f64 v[4:5], v[6:7], v[4:5], 1.0
	ds_write_b64 v1, v[4:5]
.LBB117_139:
	s_or_b32 exec_lo, exec_lo, s1
	s_waitcnt lgkmcnt(0)
	s_barrier
	buffer_gl0_inv
	ds_read_b64 v[244:245], v1
	s_mov_b32 s1, exec_lo
	v_cmpx_lt_u32_e32 27, v0
	s_cbranch_execz .LBB117_141
; %bb.140:
	s_waitcnt lgkmcnt(0)
	v_mul_f64 v[152:153], v[244:245], v[152:153]
	ds_read2_b64 v[4:7], v58 offset0:28 offset1:29
	s_waitcnt lgkmcnt(0)
	v_fma_f64 v[190:191], -v[152:153], v[4:5], v[190:191]
	v_fma_f64 v[150:151], -v[152:153], v[6:7], v[150:151]
	ds_read2_b64 v[4:7], v58 offset0:30 offset1:31
	s_waitcnt lgkmcnt(0)
	v_fma_f64 v[188:189], -v[152:153], v[4:5], v[188:189]
	v_fma_f64 v[148:149], -v[152:153], v[6:7], v[148:149]
	;; [unrolled: 4-line block ×14, first 2 shown]
	ds_read2_b64 v[4:7], v58 offset0:56 offset1:57
	s_waitcnt lgkmcnt(0)
	v_fma_f64 v[162:163], -v[152:153], v[4:5], v[162:163]
	ds_read_b64 v[4:5], v58 offset:464
	v_fma_f64 v[122:123], -v[152:153], v[6:7], v[122:123]
	s_waitcnt lgkmcnt(0)
	v_fma_f64 v[238:239], -v[152:153], v[4:5], v[238:239]
.LBB117_141:
	s_or_b32 exec_lo, exec_lo, s1
	s_mov_b32 s1, exec_lo
	s_waitcnt lgkmcnt(0)
	s_barrier
	buffer_gl0_inv
	v_cmpx_eq_u32_e32 28, v0
	s_cbranch_execz .LBB117_144
; %bb.142:
	ds_write_b64 v1, v[190:191]
	ds_write2_b64 v58, v[150:151], v[188:189] offset0:29 offset1:30
	ds_write2_b64 v58, v[148:149], v[186:187] offset0:31 offset1:32
	;; [unrolled: 1-line block ×15, first 2 shown]
	ds_read_b64 v[4:5], v1
	s_waitcnt lgkmcnt(0)
	v_cmp_neq_f64_e32 vcc_lo, 0, v[4:5]
	s_and_b32 exec_lo, exec_lo, vcc_lo
	s_cbranch_execz .LBB117_144
; %bb.143:
	v_div_scale_f64 v[6:7], null, v[4:5], v[4:5], 1.0
	v_rcp_f64_e32 v[8:9], v[6:7]
	v_fma_f64 v[10:11], -v[6:7], v[8:9], 1.0
	v_fma_f64 v[8:9], v[8:9], v[10:11], v[8:9]
	v_fma_f64 v[10:11], -v[6:7], v[8:9], 1.0
	v_fma_f64 v[8:9], v[8:9], v[10:11], v[8:9]
	v_div_scale_f64 v[10:11], vcc_lo, 1.0, v[4:5], 1.0
	v_mul_f64 v[12:13], v[10:11], v[8:9]
	v_fma_f64 v[6:7], -v[6:7], v[12:13], v[10:11]
	v_div_fmas_f64 v[6:7], v[6:7], v[8:9], v[12:13]
	v_div_fixup_f64 v[4:5], v[6:7], v[4:5], 1.0
	ds_write_b64 v1, v[4:5]
.LBB117_144:
	s_or_b32 exec_lo, exec_lo, s1
	s_waitcnt lgkmcnt(0)
	s_barrier
	buffer_gl0_inv
	ds_read_b64 v[246:247], v1
	s_mov_b32 s1, exec_lo
	v_cmpx_lt_u32_e32 28, v0
	s_cbranch_execz .LBB117_146
; %bb.145:
	s_waitcnt lgkmcnt(0)
	v_mul_f64 v[190:191], v[246:247], v[190:191]
	ds_read2_b64 v[4:7], v58 offset0:29 offset1:30
	s_waitcnt lgkmcnt(0)
	v_fma_f64 v[150:151], -v[190:191], v[4:5], v[150:151]
	v_fma_f64 v[188:189], -v[190:191], v[6:7], v[188:189]
	ds_read2_b64 v[4:7], v58 offset0:31 offset1:32
	s_waitcnt lgkmcnt(0)
	v_fma_f64 v[148:149], -v[190:191], v[4:5], v[148:149]
	v_fma_f64 v[186:187], -v[190:191], v[6:7], v[186:187]
	;; [unrolled: 4-line block ×15, first 2 shown]
.LBB117_146:
	s_or_b32 exec_lo, exec_lo, s1
	s_mov_b32 s1, exec_lo
	s_waitcnt lgkmcnt(0)
	s_barrier
	buffer_gl0_inv
	v_cmpx_eq_u32_e32 29, v0
	s_cbranch_execz .LBB117_149
; %bb.147:
	v_mov_b32_e32 v4, v188
	v_mov_b32_e32 v5, v189
	;; [unrolled: 1-line block ×4, first 2 shown]
	ds_write_b64 v1, v[150:151]
	ds_write2_b64 v58, v[4:5], v[6:7] offset0:30 offset1:31
	v_mov_b32_e32 v4, v186
	v_mov_b32_e32 v5, v187
	v_mov_b32_e32 v6, v146
	v_mov_b32_e32 v7, v147
	ds_write2_b64 v58, v[4:5], v[6:7] offset0:32 offset1:33
	v_mov_b32_e32 v4, v184
	v_mov_b32_e32 v5, v185
	v_mov_b32_e32 v6, v144
	v_mov_b32_e32 v7, v145
	;; [unrolled: 5-line block ×13, first 2 shown]
	ds_write2_b64 v58, v[4:5], v[6:7] offset0:56 offset1:57
	ds_write_b64 v58, v[238:239] offset:464
	ds_read_b64 v[4:5], v1
	s_waitcnt lgkmcnt(0)
	v_cmp_neq_f64_e32 vcc_lo, 0, v[4:5]
	s_and_b32 exec_lo, exec_lo, vcc_lo
	s_cbranch_execz .LBB117_149
; %bb.148:
	v_div_scale_f64 v[6:7], null, v[4:5], v[4:5], 1.0
	v_rcp_f64_e32 v[8:9], v[6:7]
	v_fma_f64 v[10:11], -v[6:7], v[8:9], 1.0
	v_fma_f64 v[8:9], v[8:9], v[10:11], v[8:9]
	v_fma_f64 v[10:11], -v[6:7], v[8:9], 1.0
	v_fma_f64 v[8:9], v[8:9], v[10:11], v[8:9]
	v_div_scale_f64 v[10:11], vcc_lo, 1.0, v[4:5], 1.0
	v_mul_f64 v[12:13], v[10:11], v[8:9]
	v_fma_f64 v[6:7], -v[6:7], v[12:13], v[10:11]
	v_div_fmas_f64 v[6:7], v[6:7], v[8:9], v[12:13]
	v_div_fixup_f64 v[4:5], v[6:7], v[4:5], 1.0
	ds_write_b64 v1, v[4:5]
.LBB117_149:
	s_or_b32 exec_lo, exec_lo, s1
	s_waitcnt lgkmcnt(0)
	s_barrier
	buffer_gl0_inv
	ds_read_b64 v[252:253], v1
	s_mov_b32 s1, exec_lo
	v_cmpx_lt_u32_e32 29, v0
	s_cbranch_execz .LBB117_151
; %bb.150:
	s_waitcnt lgkmcnt(0)
	v_mul_f64 v[150:151], v[252:253], v[150:151]
	ds_read2_b64 v[4:7], v58 offset0:30 offset1:31
	s_waitcnt lgkmcnt(0)
	v_fma_f64 v[188:189], -v[150:151], v[4:5], v[188:189]
	v_fma_f64 v[148:149], -v[150:151], v[6:7], v[148:149]
	ds_read2_b64 v[4:7], v58 offset0:32 offset1:33
	s_waitcnt lgkmcnt(0)
	v_fma_f64 v[186:187], -v[150:151], v[4:5], v[186:187]
	v_fma_f64 v[146:147], -v[150:151], v[6:7], v[146:147]
	;; [unrolled: 4-line block ×13, first 2 shown]
	ds_read2_b64 v[4:7], v58 offset0:56 offset1:57
	s_waitcnt lgkmcnt(0)
	v_fma_f64 v[162:163], -v[150:151], v[4:5], v[162:163]
	ds_read_b64 v[4:5], v58 offset:464
	v_fma_f64 v[122:123], -v[150:151], v[6:7], v[122:123]
	s_waitcnt lgkmcnt(0)
	v_fma_f64 v[238:239], -v[150:151], v[4:5], v[238:239]
.LBB117_151:
	s_or_b32 exec_lo, exec_lo, s1
	s_mov_b32 s1, exec_lo
	s_waitcnt lgkmcnt(0)
	s_barrier
	buffer_gl0_inv
	v_cmpx_eq_u32_e32 30, v0
	s_cbranch_execz .LBB117_154
; %bb.152:
	ds_write_b64 v1, v[188:189]
	ds_write2_b64 v58, v[148:149], v[186:187] offset0:31 offset1:32
	ds_write2_b64 v58, v[146:147], v[184:185] offset0:33 offset1:34
	;; [unrolled: 1-line block ×14, first 2 shown]
	ds_read_b64 v[4:5], v1
	s_waitcnt lgkmcnt(0)
	v_cmp_neq_f64_e32 vcc_lo, 0, v[4:5]
	s_and_b32 exec_lo, exec_lo, vcc_lo
	s_cbranch_execz .LBB117_154
; %bb.153:
	v_div_scale_f64 v[6:7], null, v[4:5], v[4:5], 1.0
	v_rcp_f64_e32 v[8:9], v[6:7]
	v_fma_f64 v[10:11], -v[6:7], v[8:9], 1.0
	v_fma_f64 v[8:9], v[8:9], v[10:11], v[8:9]
	v_fma_f64 v[10:11], -v[6:7], v[8:9], 1.0
	v_fma_f64 v[8:9], v[8:9], v[10:11], v[8:9]
	v_div_scale_f64 v[10:11], vcc_lo, 1.0, v[4:5], 1.0
	v_mul_f64 v[12:13], v[10:11], v[8:9]
	v_fma_f64 v[6:7], -v[6:7], v[12:13], v[10:11]
	v_div_fmas_f64 v[6:7], v[6:7], v[8:9], v[12:13]
	v_div_fixup_f64 v[4:5], v[6:7], v[4:5], 1.0
	ds_write_b64 v1, v[4:5]
.LBB117_154:
	s_or_b32 exec_lo, exec_lo, s1
	s_waitcnt lgkmcnt(0)
	s_barrier
	buffer_gl0_inv
	ds_read_b64 v[250:251], v1
	s_mov_b32 s1, exec_lo
	v_cmpx_lt_u32_e32 30, v0
	s_cbranch_execz .LBB117_156
; %bb.155:
	s_waitcnt lgkmcnt(0)
	v_mul_f64 v[188:189], v[250:251], v[188:189]
	ds_read2_b64 v[4:7], v58 offset0:31 offset1:32
	s_waitcnt lgkmcnt(0)
	v_fma_f64 v[148:149], -v[188:189], v[4:5], v[148:149]
	v_fma_f64 v[186:187], -v[188:189], v[6:7], v[186:187]
	ds_read2_b64 v[4:7], v58 offset0:33 offset1:34
	s_waitcnt lgkmcnt(0)
	v_fma_f64 v[146:147], -v[188:189], v[4:5], v[146:147]
	v_fma_f64 v[184:185], -v[188:189], v[6:7], v[184:185]
	;; [unrolled: 4-line block ×14, first 2 shown]
.LBB117_156:
	s_or_b32 exec_lo, exec_lo, s1
	s_mov_b32 s1, exec_lo
	s_waitcnt lgkmcnt(0)
	s_barrier
	buffer_gl0_inv
	v_cmpx_eq_u32_e32 31, v0
	s_cbranch_execz .LBB117_159
; %bb.157:
	v_mov_b32_e32 v4, v186
	v_mov_b32_e32 v5, v187
	;; [unrolled: 1-line block ×4, first 2 shown]
	ds_write_b64 v1, v[148:149]
	ds_write2_b64 v58, v[4:5], v[6:7] offset0:32 offset1:33
	v_mov_b32_e32 v4, v184
	v_mov_b32_e32 v5, v185
	v_mov_b32_e32 v6, v144
	v_mov_b32_e32 v7, v145
	ds_write2_b64 v58, v[4:5], v[6:7] offset0:34 offset1:35
	v_mov_b32_e32 v4, v182
	v_mov_b32_e32 v5, v183
	v_mov_b32_e32 v6, v142
	v_mov_b32_e32 v7, v143
	;; [unrolled: 5-line block ×12, first 2 shown]
	ds_write2_b64 v58, v[4:5], v[6:7] offset0:56 offset1:57
	ds_write_b64 v58, v[238:239] offset:464
	ds_read_b64 v[4:5], v1
	s_waitcnt lgkmcnt(0)
	v_cmp_neq_f64_e32 vcc_lo, 0, v[4:5]
	s_and_b32 exec_lo, exec_lo, vcc_lo
	s_cbranch_execz .LBB117_159
; %bb.158:
	v_div_scale_f64 v[6:7], null, v[4:5], v[4:5], 1.0
	v_rcp_f64_e32 v[8:9], v[6:7]
	v_fma_f64 v[10:11], -v[6:7], v[8:9], 1.0
	v_fma_f64 v[8:9], v[8:9], v[10:11], v[8:9]
	v_fma_f64 v[10:11], -v[6:7], v[8:9], 1.0
	v_fma_f64 v[8:9], v[8:9], v[10:11], v[8:9]
	v_div_scale_f64 v[10:11], vcc_lo, 1.0, v[4:5], 1.0
	v_mul_f64 v[12:13], v[10:11], v[8:9]
	v_fma_f64 v[6:7], -v[6:7], v[12:13], v[10:11]
	v_div_fmas_f64 v[6:7], v[6:7], v[8:9], v[12:13]
	v_div_fixup_f64 v[4:5], v[6:7], v[4:5], 1.0
	ds_write_b64 v1, v[4:5]
.LBB117_159:
	s_or_b32 exec_lo, exec_lo, s1
	s_waitcnt lgkmcnt(0)
	s_barrier
	buffer_gl0_inv
	ds_read_b64 v[254:255], v1
	s_mov_b32 s1, exec_lo
	v_cmpx_lt_u32_e32 31, v0
	s_cbranch_execz .LBB117_161
; %bb.160:
	s_waitcnt lgkmcnt(0)
	v_mul_f64 v[148:149], v[254:255], v[148:149]
	ds_read2_b64 v[4:7], v58 offset0:32 offset1:33
	s_waitcnt lgkmcnt(0)
	v_fma_f64 v[186:187], -v[148:149], v[4:5], v[186:187]
	v_fma_f64 v[146:147], -v[148:149], v[6:7], v[146:147]
	ds_read2_b64 v[4:7], v58 offset0:34 offset1:35
	s_waitcnt lgkmcnt(0)
	v_fma_f64 v[184:185], -v[148:149], v[4:5], v[184:185]
	v_fma_f64 v[144:145], -v[148:149], v[6:7], v[144:145]
	;; [unrolled: 4-line block ×12, first 2 shown]
	ds_read2_b64 v[4:7], v58 offset0:56 offset1:57
	s_waitcnt lgkmcnt(0)
	v_fma_f64 v[162:163], -v[148:149], v[4:5], v[162:163]
	ds_read_b64 v[4:5], v58 offset:464
	v_fma_f64 v[122:123], -v[148:149], v[6:7], v[122:123]
	s_waitcnt lgkmcnt(0)
	v_fma_f64 v[238:239], -v[148:149], v[4:5], v[238:239]
.LBB117_161:
	s_or_b32 exec_lo, exec_lo, s1
	s_mov_b32 s1, exec_lo
	s_waitcnt lgkmcnt(0)
	s_barrier
	buffer_gl0_inv
	v_cmpx_eq_u32_e32 32, v0
	s_cbranch_execz .LBB117_164
; %bb.162:
	ds_write_b64 v1, v[186:187]
	ds_write2_b64 v58, v[146:147], v[184:185] offset0:33 offset1:34
	ds_write2_b64 v58, v[144:145], v[182:183] offset0:35 offset1:36
	;; [unrolled: 1-line block ×13, first 2 shown]
	ds_read_b64 v[4:5], v1
	s_waitcnt lgkmcnt(0)
	v_cmp_neq_f64_e32 vcc_lo, 0, v[4:5]
	s_and_b32 exec_lo, exec_lo, vcc_lo
	s_cbranch_execz .LBB117_164
; %bb.163:
	v_div_scale_f64 v[6:7], null, v[4:5], v[4:5], 1.0
	v_rcp_f64_e32 v[8:9], v[6:7]
	v_fma_f64 v[10:11], -v[6:7], v[8:9], 1.0
	v_fma_f64 v[8:9], v[8:9], v[10:11], v[8:9]
	v_fma_f64 v[10:11], -v[6:7], v[8:9], 1.0
	v_fma_f64 v[8:9], v[8:9], v[10:11], v[8:9]
	v_div_scale_f64 v[10:11], vcc_lo, 1.0, v[4:5], 1.0
	v_mul_f64 v[12:13], v[10:11], v[8:9]
	v_fma_f64 v[6:7], -v[6:7], v[12:13], v[10:11]
	v_div_fmas_f64 v[6:7], v[6:7], v[8:9], v[12:13]
	v_div_fixup_f64 v[4:5], v[6:7], v[4:5], 1.0
	ds_write_b64 v1, v[4:5]
.LBB117_164:
	s_or_b32 exec_lo, exec_lo, s1
	s_waitcnt lgkmcnt(0)
	s_barrier
	buffer_gl0_inv
	ds_read_b64 v[4:5], v1
	s_mov_b32 s1, exec_lo
	v_cmpx_lt_u32_e32 32, v0
	s_cbranch_execz .LBB117_166
; %bb.165:
	s_waitcnt lgkmcnt(0)
	v_mul_f64 v[186:187], v[4:5], v[186:187]
	ds_read2_b64 v[6:9], v58 offset0:33 offset1:34
	s_waitcnt lgkmcnt(0)
	v_fma_f64 v[146:147], -v[186:187], v[6:7], v[146:147]
	v_fma_f64 v[184:185], -v[186:187], v[8:9], v[184:185]
	ds_read2_b64 v[6:9], v58 offset0:35 offset1:36
	s_waitcnt lgkmcnt(0)
	v_fma_f64 v[144:145], -v[186:187], v[6:7], v[144:145]
	v_fma_f64 v[182:183], -v[186:187], v[8:9], v[182:183]
	ds_read2_b64 v[6:9], v58 offset0:37 offset1:38
	s_waitcnt lgkmcnt(0)
	v_fma_f64 v[142:143], -v[186:187], v[6:7], v[142:143]
	v_fma_f64 v[180:181], -v[186:187], v[8:9], v[180:181]
	ds_read2_b64 v[6:9], v58 offset0:39 offset1:40
	s_waitcnt lgkmcnt(0)
	v_fma_f64 v[140:141], -v[186:187], v[6:7], v[140:141]
	v_fma_f64 v[178:179], -v[186:187], v[8:9], v[178:179]
	ds_read2_b64 v[6:9], v58 offset0:41 offset1:42
	s_waitcnt lgkmcnt(0)
	v_fma_f64 v[138:139], -v[186:187], v[6:7], v[138:139]
	v_fma_f64 v[176:177], -v[186:187], v[8:9], v[176:177]
	ds_read2_b64 v[6:9], v58 offset0:43 offset1:44
	s_waitcnt lgkmcnt(0)
	v_fma_f64 v[136:137], -v[186:187], v[6:7], v[136:137]
	v_fma_f64 v[174:175], -v[186:187], v[8:9], v[174:175]
	ds_read2_b64 v[6:9], v58 offset0:45 offset1:46
	s_waitcnt lgkmcnt(0)
	v_fma_f64 v[134:135], -v[186:187], v[6:7], v[134:135]
	v_fma_f64 v[172:173], -v[186:187], v[8:9], v[172:173]
	ds_read2_b64 v[6:9], v58 offset0:47 offset1:48
	s_waitcnt lgkmcnt(0)
	v_fma_f64 v[132:133], -v[186:187], v[6:7], v[132:133]
	v_fma_f64 v[170:171], -v[186:187], v[8:9], v[170:171]
	ds_read2_b64 v[6:9], v58 offset0:49 offset1:50
	s_waitcnt lgkmcnt(0)
	v_fma_f64 v[130:131], -v[186:187], v[6:7], v[130:131]
	v_fma_f64 v[168:169], -v[186:187], v[8:9], v[168:169]
	ds_read2_b64 v[6:9], v58 offset0:51 offset1:52
	s_waitcnt lgkmcnt(0)
	v_fma_f64 v[128:129], -v[186:187], v[6:7], v[128:129]
	v_fma_f64 v[166:167], -v[186:187], v[8:9], v[166:167]
	ds_read2_b64 v[6:9], v58 offset0:53 offset1:54
	s_waitcnt lgkmcnt(0)
	v_fma_f64 v[126:127], -v[186:187], v[6:7], v[126:127]
	v_fma_f64 v[164:165], -v[186:187], v[8:9], v[164:165]
	ds_read2_b64 v[6:9], v58 offset0:55 offset1:56
	s_waitcnt lgkmcnt(0)
	v_fma_f64 v[124:125], -v[186:187], v[6:7], v[124:125]
	v_fma_f64 v[162:163], -v[186:187], v[8:9], v[162:163]
	ds_read2_b64 v[6:9], v58 offset0:57 offset1:58
	s_waitcnt lgkmcnt(0)
	v_fma_f64 v[122:123], -v[186:187], v[6:7], v[122:123]
	v_fma_f64 v[238:239], -v[186:187], v[8:9], v[238:239]
.LBB117_166:
	s_or_b32 exec_lo, exec_lo, s1
	s_mov_b32 s1, exec_lo
	s_waitcnt lgkmcnt(0)
	s_barrier
	buffer_gl0_inv
	v_cmpx_eq_u32_e32 33, v0
	s_cbranch_execz .LBB117_169
; %bb.167:
	v_mov_b32_e32 v6, v184
	v_mov_b32_e32 v7, v185
	;; [unrolled: 1-line block ×4, first 2 shown]
	ds_write_b64 v1, v[146:147]
	ds_write2_b64 v58, v[6:7], v[8:9] offset0:34 offset1:35
	v_mov_b32_e32 v6, v182
	v_mov_b32_e32 v7, v183
	v_mov_b32_e32 v8, v142
	v_mov_b32_e32 v9, v143
	ds_write2_b64 v58, v[6:7], v[8:9] offset0:36 offset1:37
	v_mov_b32_e32 v6, v180
	v_mov_b32_e32 v7, v181
	v_mov_b32_e32 v8, v140
	v_mov_b32_e32 v9, v141
	;; [unrolled: 5-line block ×11, first 2 shown]
	ds_write2_b64 v58, v[6:7], v[8:9] offset0:56 offset1:57
	ds_write_b64 v58, v[238:239] offset:464
	ds_read_b64 v[6:7], v1
	s_waitcnt lgkmcnt(0)
	v_cmp_neq_f64_e32 vcc_lo, 0, v[6:7]
	s_and_b32 exec_lo, exec_lo, vcc_lo
	s_cbranch_execz .LBB117_169
; %bb.168:
	v_div_scale_f64 v[8:9], null, v[6:7], v[6:7], 1.0
	v_rcp_f64_e32 v[10:11], v[8:9]
	v_fma_f64 v[12:13], -v[8:9], v[10:11], 1.0
	v_fma_f64 v[10:11], v[10:11], v[12:13], v[10:11]
	v_fma_f64 v[12:13], -v[8:9], v[10:11], 1.0
	v_fma_f64 v[10:11], v[10:11], v[12:13], v[10:11]
	v_div_scale_f64 v[12:13], vcc_lo, 1.0, v[6:7], 1.0
	v_mul_f64 v[14:15], v[12:13], v[10:11]
	v_fma_f64 v[8:9], -v[8:9], v[14:15], v[12:13]
	v_div_fmas_f64 v[8:9], v[8:9], v[10:11], v[14:15]
	v_div_fixup_f64 v[6:7], v[8:9], v[6:7], 1.0
	ds_write_b64 v1, v[6:7]
.LBB117_169:
	s_or_b32 exec_lo, exec_lo, s1
	s_waitcnt lgkmcnt(0)
	s_barrier
	buffer_gl0_inv
	ds_read_b64 v[6:7], v1
	s_mov_b32 s1, exec_lo
	v_cmpx_lt_u32_e32 33, v0
	s_cbranch_execz .LBB117_171
; %bb.170:
	s_waitcnt lgkmcnt(0)
	v_mul_f64 v[146:147], v[6:7], v[146:147]
	ds_read2_b64 v[8:11], v58 offset0:34 offset1:35
	s_waitcnt lgkmcnt(0)
	v_fma_f64 v[184:185], -v[146:147], v[8:9], v[184:185]
	v_fma_f64 v[144:145], -v[146:147], v[10:11], v[144:145]
	ds_read2_b64 v[8:11], v58 offset0:36 offset1:37
	s_waitcnt lgkmcnt(0)
	v_fma_f64 v[182:183], -v[146:147], v[8:9], v[182:183]
	v_fma_f64 v[142:143], -v[146:147], v[10:11], v[142:143]
	;; [unrolled: 4-line block ×11, first 2 shown]
	ds_read2_b64 v[8:11], v58 offset0:56 offset1:57
	s_waitcnt lgkmcnt(0)
	v_fma_f64 v[162:163], -v[146:147], v[8:9], v[162:163]
	ds_read_b64 v[8:9], v58 offset:464
	v_fma_f64 v[122:123], -v[146:147], v[10:11], v[122:123]
	s_waitcnt lgkmcnt(0)
	v_fma_f64 v[238:239], -v[146:147], v[8:9], v[238:239]
.LBB117_171:
	s_or_b32 exec_lo, exec_lo, s1
	s_mov_b32 s1, exec_lo
	s_waitcnt lgkmcnt(0)
	s_barrier
	buffer_gl0_inv
	v_cmpx_eq_u32_e32 34, v0
	s_cbranch_execz .LBB117_174
; %bb.172:
	ds_write_b64 v1, v[184:185]
	ds_write2_b64 v58, v[144:145], v[182:183] offset0:35 offset1:36
	ds_write2_b64 v58, v[142:143], v[180:181] offset0:37 offset1:38
	;; [unrolled: 1-line block ×12, first 2 shown]
	ds_read_b64 v[8:9], v1
	s_waitcnt lgkmcnt(0)
	v_cmp_neq_f64_e32 vcc_lo, 0, v[8:9]
	s_and_b32 exec_lo, exec_lo, vcc_lo
	s_cbranch_execz .LBB117_174
; %bb.173:
	v_div_scale_f64 v[10:11], null, v[8:9], v[8:9], 1.0
	v_rcp_f64_e32 v[12:13], v[10:11]
	v_fma_f64 v[14:15], -v[10:11], v[12:13], 1.0
	v_fma_f64 v[12:13], v[12:13], v[14:15], v[12:13]
	v_fma_f64 v[14:15], -v[10:11], v[12:13], 1.0
	v_fma_f64 v[12:13], v[12:13], v[14:15], v[12:13]
	v_div_scale_f64 v[14:15], vcc_lo, 1.0, v[8:9], 1.0
	v_mul_f64 v[16:17], v[14:15], v[12:13]
	v_fma_f64 v[10:11], -v[10:11], v[16:17], v[14:15]
	v_div_fmas_f64 v[10:11], v[10:11], v[12:13], v[16:17]
	v_div_fixup_f64 v[8:9], v[10:11], v[8:9], 1.0
	ds_write_b64 v1, v[8:9]
.LBB117_174:
	s_or_b32 exec_lo, exec_lo, s1
	s_waitcnt lgkmcnt(0)
	s_barrier
	buffer_gl0_inv
	ds_read_b64 v[8:9], v1
	s_mov_b32 s1, exec_lo
	v_cmpx_lt_u32_e32 34, v0
	s_cbranch_execz .LBB117_176
; %bb.175:
	s_waitcnt lgkmcnt(0)
	v_mul_f64 v[184:185], v[8:9], v[184:185]
	ds_read2_b64 v[10:13], v58 offset0:35 offset1:36
	s_waitcnt lgkmcnt(0)
	v_fma_f64 v[144:145], -v[184:185], v[10:11], v[144:145]
	v_fma_f64 v[182:183], -v[184:185], v[12:13], v[182:183]
	ds_read2_b64 v[10:13], v58 offset0:37 offset1:38
	s_waitcnt lgkmcnt(0)
	v_fma_f64 v[142:143], -v[184:185], v[10:11], v[142:143]
	v_fma_f64 v[180:181], -v[184:185], v[12:13], v[180:181]
	ds_read2_b64 v[10:13], v58 offset0:39 offset1:40
	s_waitcnt lgkmcnt(0)
	v_fma_f64 v[140:141], -v[184:185], v[10:11], v[140:141]
	v_fma_f64 v[178:179], -v[184:185], v[12:13], v[178:179]
	ds_read2_b64 v[10:13], v58 offset0:41 offset1:42
	s_waitcnt lgkmcnt(0)
	v_fma_f64 v[138:139], -v[184:185], v[10:11], v[138:139]
	v_fma_f64 v[176:177], -v[184:185], v[12:13], v[176:177]
	ds_read2_b64 v[10:13], v58 offset0:43 offset1:44
	s_waitcnt lgkmcnt(0)
	v_fma_f64 v[136:137], -v[184:185], v[10:11], v[136:137]
	v_fma_f64 v[174:175], -v[184:185], v[12:13], v[174:175]
	ds_read2_b64 v[10:13], v58 offset0:45 offset1:46
	s_waitcnt lgkmcnt(0)
	v_fma_f64 v[134:135], -v[184:185], v[10:11], v[134:135]
	v_fma_f64 v[172:173], -v[184:185], v[12:13], v[172:173]
	ds_read2_b64 v[10:13], v58 offset0:47 offset1:48
	s_waitcnt lgkmcnt(0)
	v_fma_f64 v[132:133], -v[184:185], v[10:11], v[132:133]
	v_fma_f64 v[170:171], -v[184:185], v[12:13], v[170:171]
	ds_read2_b64 v[10:13], v58 offset0:49 offset1:50
	s_waitcnt lgkmcnt(0)
	v_fma_f64 v[130:131], -v[184:185], v[10:11], v[130:131]
	v_fma_f64 v[168:169], -v[184:185], v[12:13], v[168:169]
	ds_read2_b64 v[10:13], v58 offset0:51 offset1:52
	s_waitcnt lgkmcnt(0)
	v_fma_f64 v[128:129], -v[184:185], v[10:11], v[128:129]
	v_fma_f64 v[166:167], -v[184:185], v[12:13], v[166:167]
	ds_read2_b64 v[10:13], v58 offset0:53 offset1:54
	s_waitcnt lgkmcnt(0)
	v_fma_f64 v[126:127], -v[184:185], v[10:11], v[126:127]
	v_fma_f64 v[164:165], -v[184:185], v[12:13], v[164:165]
	ds_read2_b64 v[10:13], v58 offset0:55 offset1:56
	s_waitcnt lgkmcnt(0)
	v_fma_f64 v[124:125], -v[184:185], v[10:11], v[124:125]
	v_fma_f64 v[162:163], -v[184:185], v[12:13], v[162:163]
	ds_read2_b64 v[10:13], v58 offset0:57 offset1:58
	s_waitcnt lgkmcnt(0)
	v_fma_f64 v[122:123], -v[184:185], v[10:11], v[122:123]
	v_fma_f64 v[238:239], -v[184:185], v[12:13], v[238:239]
.LBB117_176:
	s_or_b32 exec_lo, exec_lo, s1
	s_mov_b32 s1, exec_lo
	s_waitcnt lgkmcnt(0)
	s_barrier
	buffer_gl0_inv
	v_cmpx_eq_u32_e32 35, v0
	s_cbranch_execz .LBB117_179
; %bb.177:
	v_mov_b32_e32 v10, v182
	v_mov_b32_e32 v11, v183
	v_mov_b32_e32 v12, v142
	v_mov_b32_e32 v13, v143
	ds_write_b64 v1, v[144:145]
	ds_write2_b64 v58, v[10:11], v[12:13] offset0:36 offset1:37
	v_mov_b32_e32 v10, v180
	v_mov_b32_e32 v11, v181
	v_mov_b32_e32 v12, v140
	v_mov_b32_e32 v13, v141
	ds_write2_b64 v58, v[10:11], v[12:13] offset0:38 offset1:39
	v_mov_b32_e32 v10, v178
	v_mov_b32_e32 v11, v179
	v_mov_b32_e32 v12, v138
	v_mov_b32_e32 v13, v139
	;; [unrolled: 5-line block ×10, first 2 shown]
	ds_write2_b64 v58, v[10:11], v[12:13] offset0:56 offset1:57
	ds_write_b64 v58, v[238:239] offset:464
	ds_read_b64 v[10:11], v1
	s_waitcnt lgkmcnt(0)
	v_cmp_neq_f64_e32 vcc_lo, 0, v[10:11]
	s_and_b32 exec_lo, exec_lo, vcc_lo
	s_cbranch_execz .LBB117_179
; %bb.178:
	v_div_scale_f64 v[12:13], null, v[10:11], v[10:11], 1.0
	v_rcp_f64_e32 v[14:15], v[12:13]
	v_fma_f64 v[16:17], -v[12:13], v[14:15], 1.0
	v_fma_f64 v[14:15], v[14:15], v[16:17], v[14:15]
	v_fma_f64 v[16:17], -v[12:13], v[14:15], 1.0
	v_fma_f64 v[14:15], v[14:15], v[16:17], v[14:15]
	v_div_scale_f64 v[16:17], vcc_lo, 1.0, v[10:11], 1.0
	v_mul_f64 v[18:19], v[16:17], v[14:15]
	v_fma_f64 v[12:13], -v[12:13], v[18:19], v[16:17]
	v_div_fmas_f64 v[12:13], v[12:13], v[14:15], v[18:19]
	v_div_fixup_f64 v[10:11], v[12:13], v[10:11], 1.0
	ds_write_b64 v1, v[10:11]
.LBB117_179:
	s_or_b32 exec_lo, exec_lo, s1
	s_waitcnt lgkmcnt(0)
	s_barrier
	buffer_gl0_inv
	ds_read_b64 v[10:11], v1
	s_mov_b32 s1, exec_lo
	v_cmpx_lt_u32_e32 35, v0
	s_cbranch_execz .LBB117_181
; %bb.180:
	s_waitcnt lgkmcnt(0)
	v_mul_f64 v[144:145], v[10:11], v[144:145]
	ds_read2_b64 v[12:15], v58 offset0:36 offset1:37
	s_waitcnt lgkmcnt(0)
	v_fma_f64 v[182:183], -v[144:145], v[12:13], v[182:183]
	v_fma_f64 v[142:143], -v[144:145], v[14:15], v[142:143]
	ds_read2_b64 v[12:15], v58 offset0:38 offset1:39
	s_waitcnt lgkmcnt(0)
	v_fma_f64 v[180:181], -v[144:145], v[12:13], v[180:181]
	v_fma_f64 v[140:141], -v[144:145], v[14:15], v[140:141]
	;; [unrolled: 4-line block ×10, first 2 shown]
	ds_read2_b64 v[12:15], v58 offset0:56 offset1:57
	s_waitcnt lgkmcnt(0)
	v_fma_f64 v[162:163], -v[144:145], v[12:13], v[162:163]
	ds_read_b64 v[12:13], v58 offset:464
	v_fma_f64 v[122:123], -v[144:145], v[14:15], v[122:123]
	s_waitcnt lgkmcnt(0)
	v_fma_f64 v[238:239], -v[144:145], v[12:13], v[238:239]
.LBB117_181:
	s_or_b32 exec_lo, exec_lo, s1
	s_mov_b32 s1, exec_lo
	s_waitcnt lgkmcnt(0)
	s_barrier
	buffer_gl0_inv
	v_cmpx_eq_u32_e32 36, v0
	s_cbranch_execz .LBB117_184
; %bb.182:
	ds_write_b64 v1, v[182:183]
	ds_write2_b64 v58, v[142:143], v[180:181] offset0:37 offset1:38
	ds_write2_b64 v58, v[140:141], v[178:179] offset0:39 offset1:40
	;; [unrolled: 1-line block ×11, first 2 shown]
	ds_read_b64 v[12:13], v1
	s_waitcnt lgkmcnt(0)
	v_cmp_neq_f64_e32 vcc_lo, 0, v[12:13]
	s_and_b32 exec_lo, exec_lo, vcc_lo
	s_cbranch_execz .LBB117_184
; %bb.183:
	v_div_scale_f64 v[14:15], null, v[12:13], v[12:13], 1.0
	v_rcp_f64_e32 v[16:17], v[14:15]
	v_fma_f64 v[18:19], -v[14:15], v[16:17], 1.0
	v_fma_f64 v[16:17], v[16:17], v[18:19], v[16:17]
	v_fma_f64 v[18:19], -v[14:15], v[16:17], 1.0
	v_fma_f64 v[16:17], v[16:17], v[18:19], v[16:17]
	v_div_scale_f64 v[18:19], vcc_lo, 1.0, v[12:13], 1.0
	v_mul_f64 v[20:21], v[18:19], v[16:17]
	v_fma_f64 v[14:15], -v[14:15], v[20:21], v[18:19]
	v_div_fmas_f64 v[14:15], v[14:15], v[16:17], v[20:21]
	v_div_fixup_f64 v[12:13], v[14:15], v[12:13], 1.0
	ds_write_b64 v1, v[12:13]
.LBB117_184:
	s_or_b32 exec_lo, exec_lo, s1
	s_waitcnt lgkmcnt(0)
	s_barrier
	buffer_gl0_inv
	ds_read_b64 v[12:13], v1
	s_mov_b32 s1, exec_lo
	v_cmpx_lt_u32_e32 36, v0
	s_cbranch_execz .LBB117_186
; %bb.185:
	s_waitcnt lgkmcnt(0)
	v_mul_f64 v[182:183], v[12:13], v[182:183]
	ds_read2_b64 v[14:17], v58 offset0:37 offset1:38
	s_waitcnt lgkmcnt(0)
	v_fma_f64 v[142:143], -v[182:183], v[14:15], v[142:143]
	v_fma_f64 v[180:181], -v[182:183], v[16:17], v[180:181]
	ds_read2_b64 v[14:17], v58 offset0:39 offset1:40
	s_waitcnt lgkmcnt(0)
	v_fma_f64 v[140:141], -v[182:183], v[14:15], v[140:141]
	v_fma_f64 v[178:179], -v[182:183], v[16:17], v[178:179]
	;; [unrolled: 4-line block ×11, first 2 shown]
.LBB117_186:
	s_or_b32 exec_lo, exec_lo, s1
	s_mov_b32 s1, exec_lo
	s_waitcnt lgkmcnt(0)
	s_barrier
	buffer_gl0_inv
	v_cmpx_eq_u32_e32 37, v0
	s_cbranch_execz .LBB117_189
; %bb.187:
	v_mov_b32_e32 v14, v180
	v_mov_b32_e32 v15, v181
	;; [unrolled: 1-line block ×4, first 2 shown]
	ds_write_b64 v1, v[142:143]
	ds_write2_b64 v58, v[14:15], v[16:17] offset0:38 offset1:39
	v_mov_b32_e32 v14, v178
	v_mov_b32_e32 v15, v179
	v_mov_b32_e32 v16, v138
	v_mov_b32_e32 v17, v139
	ds_write2_b64 v58, v[14:15], v[16:17] offset0:40 offset1:41
	v_mov_b32_e32 v14, v176
	v_mov_b32_e32 v15, v177
	v_mov_b32_e32 v16, v136
	v_mov_b32_e32 v17, v137
	;; [unrolled: 5-line block ×9, first 2 shown]
	ds_write2_b64 v58, v[14:15], v[16:17] offset0:56 offset1:57
	ds_write_b64 v58, v[238:239] offset:464
	ds_read_b64 v[14:15], v1
	s_waitcnt lgkmcnt(0)
	v_cmp_neq_f64_e32 vcc_lo, 0, v[14:15]
	s_and_b32 exec_lo, exec_lo, vcc_lo
	s_cbranch_execz .LBB117_189
; %bb.188:
	v_div_scale_f64 v[16:17], null, v[14:15], v[14:15], 1.0
	v_rcp_f64_e32 v[18:19], v[16:17]
	v_fma_f64 v[20:21], -v[16:17], v[18:19], 1.0
	v_fma_f64 v[18:19], v[18:19], v[20:21], v[18:19]
	v_fma_f64 v[20:21], -v[16:17], v[18:19], 1.0
	v_fma_f64 v[18:19], v[18:19], v[20:21], v[18:19]
	v_div_scale_f64 v[20:21], vcc_lo, 1.0, v[14:15], 1.0
	v_mul_f64 v[22:23], v[20:21], v[18:19]
	v_fma_f64 v[16:17], -v[16:17], v[22:23], v[20:21]
	v_div_fmas_f64 v[16:17], v[16:17], v[18:19], v[22:23]
	v_div_fixup_f64 v[14:15], v[16:17], v[14:15], 1.0
	ds_write_b64 v1, v[14:15]
.LBB117_189:
	s_or_b32 exec_lo, exec_lo, s1
	s_waitcnt lgkmcnt(0)
	s_barrier
	buffer_gl0_inv
	ds_read_b64 v[14:15], v1
	s_mov_b32 s1, exec_lo
	v_cmpx_lt_u32_e32 37, v0
	s_cbranch_execz .LBB117_191
; %bb.190:
	s_waitcnt lgkmcnt(0)
	v_mul_f64 v[142:143], v[14:15], v[142:143]
	ds_read2_b64 v[16:19], v58 offset0:38 offset1:39
	s_waitcnt lgkmcnt(0)
	v_fma_f64 v[180:181], -v[142:143], v[16:17], v[180:181]
	v_fma_f64 v[140:141], -v[142:143], v[18:19], v[140:141]
	ds_read2_b64 v[16:19], v58 offset0:40 offset1:41
	s_waitcnt lgkmcnt(0)
	v_fma_f64 v[178:179], -v[142:143], v[16:17], v[178:179]
	v_fma_f64 v[138:139], -v[142:143], v[18:19], v[138:139]
	;; [unrolled: 4-line block ×9, first 2 shown]
	ds_read2_b64 v[16:19], v58 offset0:56 offset1:57
	s_waitcnt lgkmcnt(0)
	v_fma_f64 v[162:163], -v[142:143], v[16:17], v[162:163]
	ds_read_b64 v[16:17], v58 offset:464
	v_fma_f64 v[122:123], -v[142:143], v[18:19], v[122:123]
	s_waitcnt lgkmcnt(0)
	v_fma_f64 v[238:239], -v[142:143], v[16:17], v[238:239]
.LBB117_191:
	s_or_b32 exec_lo, exec_lo, s1
	s_mov_b32 s1, exec_lo
	s_waitcnt lgkmcnt(0)
	s_barrier
	buffer_gl0_inv
	v_cmpx_eq_u32_e32 38, v0
	s_cbranch_execz .LBB117_194
; %bb.192:
	ds_write_b64 v1, v[180:181]
	ds_write2_b64 v58, v[140:141], v[178:179] offset0:39 offset1:40
	ds_write2_b64 v58, v[138:139], v[176:177] offset0:41 offset1:42
	;; [unrolled: 1-line block ×10, first 2 shown]
	ds_read_b64 v[16:17], v1
	s_waitcnt lgkmcnt(0)
	v_cmp_neq_f64_e32 vcc_lo, 0, v[16:17]
	s_and_b32 exec_lo, exec_lo, vcc_lo
	s_cbranch_execz .LBB117_194
; %bb.193:
	v_div_scale_f64 v[18:19], null, v[16:17], v[16:17], 1.0
	v_rcp_f64_e32 v[20:21], v[18:19]
	v_fma_f64 v[22:23], -v[18:19], v[20:21], 1.0
	v_fma_f64 v[20:21], v[20:21], v[22:23], v[20:21]
	v_fma_f64 v[22:23], -v[18:19], v[20:21], 1.0
	v_fma_f64 v[20:21], v[20:21], v[22:23], v[20:21]
	v_div_scale_f64 v[22:23], vcc_lo, 1.0, v[16:17], 1.0
	v_mul_f64 v[24:25], v[22:23], v[20:21]
	v_fma_f64 v[18:19], -v[18:19], v[24:25], v[22:23]
	v_div_fmas_f64 v[18:19], v[18:19], v[20:21], v[24:25]
	v_div_fixup_f64 v[16:17], v[18:19], v[16:17], 1.0
	ds_write_b64 v1, v[16:17]
.LBB117_194:
	s_or_b32 exec_lo, exec_lo, s1
	s_waitcnt lgkmcnt(0)
	s_barrier
	buffer_gl0_inv
	ds_read_b64 v[16:17], v1
	s_mov_b32 s1, exec_lo
	v_cmpx_lt_u32_e32 38, v0
	s_cbranch_execz .LBB117_196
; %bb.195:
	s_waitcnt lgkmcnt(0)
	v_mul_f64 v[180:181], v[16:17], v[180:181]
	ds_read2_b64 v[18:21], v58 offset0:39 offset1:40
	s_waitcnt lgkmcnt(0)
	v_fma_f64 v[140:141], -v[180:181], v[18:19], v[140:141]
	v_fma_f64 v[178:179], -v[180:181], v[20:21], v[178:179]
	ds_read2_b64 v[18:21], v58 offset0:41 offset1:42
	s_waitcnt lgkmcnt(0)
	v_fma_f64 v[138:139], -v[180:181], v[18:19], v[138:139]
	v_fma_f64 v[176:177], -v[180:181], v[20:21], v[176:177]
	ds_read2_b64 v[18:21], v58 offset0:43 offset1:44
	s_waitcnt lgkmcnt(0)
	v_fma_f64 v[136:137], -v[180:181], v[18:19], v[136:137]
	v_fma_f64 v[174:175], -v[180:181], v[20:21], v[174:175]
	ds_read2_b64 v[18:21], v58 offset0:45 offset1:46
	s_waitcnt lgkmcnt(0)
	v_fma_f64 v[134:135], -v[180:181], v[18:19], v[134:135]
	v_fma_f64 v[172:173], -v[180:181], v[20:21], v[172:173]
	ds_read2_b64 v[18:21], v58 offset0:47 offset1:48
	s_waitcnt lgkmcnt(0)
	v_fma_f64 v[132:133], -v[180:181], v[18:19], v[132:133]
	v_fma_f64 v[170:171], -v[180:181], v[20:21], v[170:171]
	ds_read2_b64 v[18:21], v58 offset0:49 offset1:50
	s_waitcnt lgkmcnt(0)
	v_fma_f64 v[130:131], -v[180:181], v[18:19], v[130:131]
	v_fma_f64 v[168:169], -v[180:181], v[20:21], v[168:169]
	ds_read2_b64 v[18:21], v58 offset0:51 offset1:52
	s_waitcnt lgkmcnt(0)
	v_fma_f64 v[128:129], -v[180:181], v[18:19], v[128:129]
	v_fma_f64 v[166:167], -v[180:181], v[20:21], v[166:167]
	ds_read2_b64 v[18:21], v58 offset0:53 offset1:54
	s_waitcnt lgkmcnt(0)
	v_fma_f64 v[126:127], -v[180:181], v[18:19], v[126:127]
	v_fma_f64 v[164:165], -v[180:181], v[20:21], v[164:165]
	ds_read2_b64 v[18:21], v58 offset0:55 offset1:56
	s_waitcnt lgkmcnt(0)
	v_fma_f64 v[124:125], -v[180:181], v[18:19], v[124:125]
	v_fma_f64 v[162:163], -v[180:181], v[20:21], v[162:163]
	ds_read2_b64 v[18:21], v58 offset0:57 offset1:58
	s_waitcnt lgkmcnt(0)
	v_fma_f64 v[122:123], -v[180:181], v[18:19], v[122:123]
	v_fma_f64 v[238:239], -v[180:181], v[20:21], v[238:239]
.LBB117_196:
	s_or_b32 exec_lo, exec_lo, s1
	s_mov_b32 s1, exec_lo
	s_waitcnt lgkmcnt(0)
	s_barrier
	buffer_gl0_inv
	v_cmpx_eq_u32_e32 39, v0
	s_cbranch_execz .LBB117_199
; %bb.197:
	v_mov_b32_e32 v18, v178
	v_mov_b32_e32 v19, v179
	;; [unrolled: 1-line block ×4, first 2 shown]
	ds_write_b64 v1, v[140:141]
	ds_write2_b64 v58, v[18:19], v[20:21] offset0:40 offset1:41
	v_mov_b32_e32 v18, v176
	v_mov_b32_e32 v19, v177
	v_mov_b32_e32 v20, v136
	v_mov_b32_e32 v21, v137
	ds_write2_b64 v58, v[18:19], v[20:21] offset0:42 offset1:43
	v_mov_b32_e32 v18, v174
	v_mov_b32_e32 v19, v175
	v_mov_b32_e32 v20, v134
	v_mov_b32_e32 v21, v135
	;; [unrolled: 5-line block ×8, first 2 shown]
	ds_write2_b64 v58, v[18:19], v[20:21] offset0:56 offset1:57
	ds_write_b64 v58, v[238:239] offset:464
	ds_read_b64 v[18:19], v1
	s_waitcnt lgkmcnt(0)
	v_cmp_neq_f64_e32 vcc_lo, 0, v[18:19]
	s_and_b32 exec_lo, exec_lo, vcc_lo
	s_cbranch_execz .LBB117_199
; %bb.198:
	v_div_scale_f64 v[20:21], null, v[18:19], v[18:19], 1.0
	v_rcp_f64_e32 v[22:23], v[20:21]
	v_fma_f64 v[24:25], -v[20:21], v[22:23], 1.0
	v_fma_f64 v[22:23], v[22:23], v[24:25], v[22:23]
	v_fma_f64 v[24:25], -v[20:21], v[22:23], 1.0
	v_fma_f64 v[22:23], v[22:23], v[24:25], v[22:23]
	v_div_scale_f64 v[24:25], vcc_lo, 1.0, v[18:19], 1.0
	v_mul_f64 v[26:27], v[24:25], v[22:23]
	v_fma_f64 v[20:21], -v[20:21], v[26:27], v[24:25]
	v_div_fmas_f64 v[20:21], v[20:21], v[22:23], v[26:27]
	v_div_fixup_f64 v[18:19], v[20:21], v[18:19], 1.0
	ds_write_b64 v1, v[18:19]
.LBB117_199:
	s_or_b32 exec_lo, exec_lo, s1
	s_waitcnt lgkmcnt(0)
	s_barrier
	buffer_gl0_inv
	ds_read_b64 v[18:19], v1
	s_mov_b32 s1, exec_lo
	v_cmpx_lt_u32_e32 39, v0
	s_cbranch_execz .LBB117_201
; %bb.200:
	s_waitcnt lgkmcnt(0)
	v_mul_f64 v[140:141], v[18:19], v[140:141]
	ds_read2_b64 v[20:23], v58 offset0:40 offset1:41
	s_waitcnt lgkmcnt(0)
	v_fma_f64 v[178:179], -v[140:141], v[20:21], v[178:179]
	v_fma_f64 v[138:139], -v[140:141], v[22:23], v[138:139]
	ds_read2_b64 v[20:23], v58 offset0:42 offset1:43
	s_waitcnt lgkmcnt(0)
	v_fma_f64 v[176:177], -v[140:141], v[20:21], v[176:177]
	v_fma_f64 v[136:137], -v[140:141], v[22:23], v[136:137]
	;; [unrolled: 4-line block ×8, first 2 shown]
	ds_read2_b64 v[20:23], v58 offset0:56 offset1:57
	s_waitcnt lgkmcnt(0)
	v_fma_f64 v[162:163], -v[140:141], v[20:21], v[162:163]
	ds_read_b64 v[20:21], v58 offset:464
	v_fma_f64 v[122:123], -v[140:141], v[22:23], v[122:123]
	s_waitcnt lgkmcnt(0)
	v_fma_f64 v[238:239], -v[140:141], v[20:21], v[238:239]
.LBB117_201:
	s_or_b32 exec_lo, exec_lo, s1
	s_mov_b32 s1, exec_lo
	s_waitcnt lgkmcnt(0)
	s_barrier
	buffer_gl0_inv
	v_cmpx_eq_u32_e32 40, v0
	s_cbranch_execz .LBB117_204
; %bb.202:
	ds_write_b64 v1, v[178:179]
	ds_write2_b64 v58, v[138:139], v[176:177] offset0:41 offset1:42
	ds_write2_b64 v58, v[136:137], v[174:175] offset0:43 offset1:44
	;; [unrolled: 1-line block ×9, first 2 shown]
	ds_read_b64 v[20:21], v1
	s_waitcnt lgkmcnt(0)
	v_cmp_neq_f64_e32 vcc_lo, 0, v[20:21]
	s_and_b32 exec_lo, exec_lo, vcc_lo
	s_cbranch_execz .LBB117_204
; %bb.203:
	v_div_scale_f64 v[22:23], null, v[20:21], v[20:21], 1.0
	v_rcp_f64_e32 v[24:25], v[22:23]
	v_fma_f64 v[26:27], -v[22:23], v[24:25], 1.0
	v_fma_f64 v[24:25], v[24:25], v[26:27], v[24:25]
	v_fma_f64 v[26:27], -v[22:23], v[24:25], 1.0
	v_fma_f64 v[24:25], v[24:25], v[26:27], v[24:25]
	v_div_scale_f64 v[26:27], vcc_lo, 1.0, v[20:21], 1.0
	v_mul_f64 v[28:29], v[26:27], v[24:25]
	v_fma_f64 v[22:23], -v[22:23], v[28:29], v[26:27]
	v_div_fmas_f64 v[22:23], v[22:23], v[24:25], v[28:29]
	v_div_fixup_f64 v[20:21], v[22:23], v[20:21], 1.0
	ds_write_b64 v1, v[20:21]
.LBB117_204:
	s_or_b32 exec_lo, exec_lo, s1
	s_waitcnt lgkmcnt(0)
	s_barrier
	buffer_gl0_inv
	ds_read_b64 v[20:21], v1
	s_mov_b32 s1, exec_lo
	v_cmpx_lt_u32_e32 40, v0
	s_cbranch_execz .LBB117_206
; %bb.205:
	s_waitcnt lgkmcnt(0)
	v_mul_f64 v[178:179], v[20:21], v[178:179]
	ds_read2_b64 v[22:25], v58 offset0:41 offset1:42
	s_waitcnt lgkmcnt(0)
	v_fma_f64 v[138:139], -v[178:179], v[22:23], v[138:139]
	v_fma_f64 v[176:177], -v[178:179], v[24:25], v[176:177]
	ds_read2_b64 v[22:25], v58 offset0:43 offset1:44
	s_waitcnt lgkmcnt(0)
	v_fma_f64 v[136:137], -v[178:179], v[22:23], v[136:137]
	v_fma_f64 v[174:175], -v[178:179], v[24:25], v[174:175]
	;; [unrolled: 4-line block ×9, first 2 shown]
.LBB117_206:
	s_or_b32 exec_lo, exec_lo, s1
	s_mov_b32 s1, exec_lo
	s_waitcnt lgkmcnt(0)
	s_barrier
	buffer_gl0_inv
	v_cmpx_eq_u32_e32 41, v0
	s_cbranch_execz .LBB117_209
; %bb.207:
	v_mov_b32_e32 v22, v176
	v_mov_b32_e32 v23, v177
	;; [unrolled: 1-line block ×4, first 2 shown]
	ds_write_b64 v1, v[138:139]
	ds_write2_b64 v58, v[22:23], v[24:25] offset0:42 offset1:43
	v_mov_b32_e32 v22, v174
	v_mov_b32_e32 v23, v175
	v_mov_b32_e32 v24, v134
	v_mov_b32_e32 v25, v135
	ds_write2_b64 v58, v[22:23], v[24:25] offset0:44 offset1:45
	v_mov_b32_e32 v22, v172
	v_mov_b32_e32 v23, v173
	v_mov_b32_e32 v24, v132
	v_mov_b32_e32 v25, v133
	;; [unrolled: 5-line block ×7, first 2 shown]
	ds_write2_b64 v58, v[22:23], v[24:25] offset0:56 offset1:57
	ds_write_b64 v58, v[238:239] offset:464
	ds_read_b64 v[22:23], v1
	s_waitcnt lgkmcnt(0)
	v_cmp_neq_f64_e32 vcc_lo, 0, v[22:23]
	s_and_b32 exec_lo, exec_lo, vcc_lo
	s_cbranch_execz .LBB117_209
; %bb.208:
	v_div_scale_f64 v[24:25], null, v[22:23], v[22:23], 1.0
	v_rcp_f64_e32 v[26:27], v[24:25]
	v_fma_f64 v[28:29], -v[24:25], v[26:27], 1.0
	v_fma_f64 v[26:27], v[26:27], v[28:29], v[26:27]
	v_fma_f64 v[28:29], -v[24:25], v[26:27], 1.0
	v_fma_f64 v[26:27], v[26:27], v[28:29], v[26:27]
	v_div_scale_f64 v[28:29], vcc_lo, 1.0, v[22:23], 1.0
	v_mul_f64 v[30:31], v[28:29], v[26:27]
	v_fma_f64 v[24:25], -v[24:25], v[30:31], v[28:29]
	v_div_fmas_f64 v[24:25], v[24:25], v[26:27], v[30:31]
	v_div_fixup_f64 v[22:23], v[24:25], v[22:23], 1.0
	ds_write_b64 v1, v[22:23]
.LBB117_209:
	s_or_b32 exec_lo, exec_lo, s1
	s_waitcnt lgkmcnt(0)
	s_barrier
	buffer_gl0_inv
	ds_read_b64 v[22:23], v1
	s_mov_b32 s1, exec_lo
	v_cmpx_lt_u32_e32 41, v0
	s_cbranch_execz .LBB117_211
; %bb.210:
	s_waitcnt lgkmcnt(0)
	v_mul_f64 v[138:139], v[22:23], v[138:139]
	ds_read2_b64 v[24:27], v58 offset0:42 offset1:43
	s_waitcnt lgkmcnt(0)
	v_fma_f64 v[176:177], -v[138:139], v[24:25], v[176:177]
	v_fma_f64 v[136:137], -v[138:139], v[26:27], v[136:137]
	ds_read2_b64 v[24:27], v58 offset0:44 offset1:45
	s_waitcnt lgkmcnt(0)
	v_fma_f64 v[174:175], -v[138:139], v[24:25], v[174:175]
	v_fma_f64 v[134:135], -v[138:139], v[26:27], v[134:135]
	;; [unrolled: 4-line block ×7, first 2 shown]
	ds_read2_b64 v[24:27], v58 offset0:56 offset1:57
	s_waitcnt lgkmcnt(0)
	v_fma_f64 v[162:163], -v[138:139], v[24:25], v[162:163]
	ds_read_b64 v[24:25], v58 offset:464
	v_fma_f64 v[122:123], -v[138:139], v[26:27], v[122:123]
	s_waitcnt lgkmcnt(0)
	v_fma_f64 v[238:239], -v[138:139], v[24:25], v[238:239]
.LBB117_211:
	s_or_b32 exec_lo, exec_lo, s1
	s_mov_b32 s1, exec_lo
	s_waitcnt lgkmcnt(0)
	s_barrier
	buffer_gl0_inv
	v_cmpx_eq_u32_e32 42, v0
	s_cbranch_execz .LBB117_214
; %bb.212:
	ds_write_b64 v1, v[176:177]
	ds_write2_b64 v58, v[136:137], v[174:175] offset0:43 offset1:44
	ds_write2_b64 v58, v[134:135], v[172:173] offset0:45 offset1:46
	;; [unrolled: 1-line block ×8, first 2 shown]
	ds_read_b64 v[24:25], v1
	s_waitcnt lgkmcnt(0)
	v_cmp_neq_f64_e32 vcc_lo, 0, v[24:25]
	s_and_b32 exec_lo, exec_lo, vcc_lo
	s_cbranch_execz .LBB117_214
; %bb.213:
	v_div_scale_f64 v[26:27], null, v[24:25], v[24:25], 1.0
	v_rcp_f64_e32 v[28:29], v[26:27]
	v_fma_f64 v[30:31], -v[26:27], v[28:29], 1.0
	v_fma_f64 v[28:29], v[28:29], v[30:31], v[28:29]
	v_fma_f64 v[30:31], -v[26:27], v[28:29], 1.0
	v_fma_f64 v[28:29], v[28:29], v[30:31], v[28:29]
	v_div_scale_f64 v[30:31], vcc_lo, 1.0, v[24:25], 1.0
	v_mul_f64 v[32:33], v[30:31], v[28:29]
	v_fma_f64 v[26:27], -v[26:27], v[32:33], v[30:31]
	v_div_fmas_f64 v[26:27], v[26:27], v[28:29], v[32:33]
	v_div_fixup_f64 v[24:25], v[26:27], v[24:25], 1.0
	ds_write_b64 v1, v[24:25]
.LBB117_214:
	s_or_b32 exec_lo, exec_lo, s1
	s_waitcnt lgkmcnt(0)
	s_barrier
	buffer_gl0_inv
	ds_read_b64 v[24:25], v1
	s_mov_b32 s1, exec_lo
	v_cmpx_lt_u32_e32 42, v0
	s_cbranch_execz .LBB117_216
; %bb.215:
	s_waitcnt lgkmcnt(0)
	v_mul_f64 v[176:177], v[24:25], v[176:177]
	ds_read2_b64 v[26:29], v58 offset0:43 offset1:44
	s_waitcnt lgkmcnt(0)
	v_fma_f64 v[136:137], -v[176:177], v[26:27], v[136:137]
	v_fma_f64 v[174:175], -v[176:177], v[28:29], v[174:175]
	ds_read2_b64 v[26:29], v58 offset0:45 offset1:46
	s_waitcnt lgkmcnt(0)
	v_fma_f64 v[134:135], -v[176:177], v[26:27], v[134:135]
	v_fma_f64 v[172:173], -v[176:177], v[28:29], v[172:173]
	;; [unrolled: 4-line block ×8, first 2 shown]
.LBB117_216:
	s_or_b32 exec_lo, exec_lo, s1
	s_mov_b32 s1, exec_lo
	s_waitcnt lgkmcnt(0)
	s_barrier
	buffer_gl0_inv
	v_cmpx_eq_u32_e32 43, v0
	s_cbranch_execz .LBB117_219
; %bb.217:
	v_mov_b32_e32 v26, v174
	v_mov_b32_e32 v27, v175
	;; [unrolled: 1-line block ×4, first 2 shown]
	ds_write_b64 v1, v[136:137]
	ds_write2_b64 v58, v[26:27], v[28:29] offset0:44 offset1:45
	v_mov_b32_e32 v26, v172
	v_mov_b32_e32 v27, v173
	v_mov_b32_e32 v28, v132
	v_mov_b32_e32 v29, v133
	ds_write2_b64 v58, v[26:27], v[28:29] offset0:46 offset1:47
	v_mov_b32_e32 v26, v170
	v_mov_b32_e32 v27, v171
	v_mov_b32_e32 v28, v130
	v_mov_b32_e32 v29, v131
	;; [unrolled: 5-line block ×6, first 2 shown]
	ds_write2_b64 v58, v[26:27], v[28:29] offset0:56 offset1:57
	ds_write_b64 v58, v[238:239] offset:464
	ds_read_b64 v[26:27], v1
	s_waitcnt lgkmcnt(0)
	v_cmp_neq_f64_e32 vcc_lo, 0, v[26:27]
	s_and_b32 exec_lo, exec_lo, vcc_lo
	s_cbranch_execz .LBB117_219
; %bb.218:
	v_div_scale_f64 v[28:29], null, v[26:27], v[26:27], 1.0
	v_rcp_f64_e32 v[30:31], v[28:29]
	v_fma_f64 v[32:33], -v[28:29], v[30:31], 1.0
	v_fma_f64 v[30:31], v[30:31], v[32:33], v[30:31]
	v_fma_f64 v[32:33], -v[28:29], v[30:31], 1.0
	v_fma_f64 v[30:31], v[30:31], v[32:33], v[30:31]
	v_div_scale_f64 v[32:33], vcc_lo, 1.0, v[26:27], 1.0
	v_mul_f64 v[34:35], v[32:33], v[30:31]
	v_fma_f64 v[28:29], -v[28:29], v[34:35], v[32:33]
	v_div_fmas_f64 v[28:29], v[28:29], v[30:31], v[34:35]
	v_div_fixup_f64 v[26:27], v[28:29], v[26:27], 1.0
	ds_write_b64 v1, v[26:27]
.LBB117_219:
	s_or_b32 exec_lo, exec_lo, s1
	s_waitcnt lgkmcnt(0)
	s_barrier
	buffer_gl0_inv
	ds_read_b64 v[26:27], v1
	s_mov_b32 s1, exec_lo
	v_cmpx_lt_u32_e32 43, v0
	s_cbranch_execz .LBB117_221
; %bb.220:
	s_waitcnt lgkmcnt(0)
	v_mul_f64 v[136:137], v[26:27], v[136:137]
	ds_read2_b64 v[28:31], v58 offset0:44 offset1:45
	s_waitcnt lgkmcnt(0)
	v_fma_f64 v[174:175], -v[136:137], v[28:29], v[174:175]
	v_fma_f64 v[134:135], -v[136:137], v[30:31], v[134:135]
	ds_read2_b64 v[28:31], v58 offset0:46 offset1:47
	s_waitcnt lgkmcnt(0)
	v_fma_f64 v[172:173], -v[136:137], v[28:29], v[172:173]
	v_fma_f64 v[132:133], -v[136:137], v[30:31], v[132:133]
	;; [unrolled: 4-line block ×6, first 2 shown]
	ds_read2_b64 v[28:31], v58 offset0:56 offset1:57
	s_waitcnt lgkmcnt(0)
	v_fma_f64 v[162:163], -v[136:137], v[28:29], v[162:163]
	ds_read_b64 v[28:29], v58 offset:464
	v_fma_f64 v[122:123], -v[136:137], v[30:31], v[122:123]
	s_waitcnt lgkmcnt(0)
	v_fma_f64 v[238:239], -v[136:137], v[28:29], v[238:239]
.LBB117_221:
	s_or_b32 exec_lo, exec_lo, s1
	s_mov_b32 s1, exec_lo
	s_waitcnt lgkmcnt(0)
	s_barrier
	buffer_gl0_inv
	v_cmpx_eq_u32_e32 44, v0
	s_cbranch_execz .LBB117_224
; %bb.222:
	ds_write_b64 v1, v[174:175]
	ds_write2_b64 v58, v[134:135], v[172:173] offset0:45 offset1:46
	ds_write2_b64 v58, v[132:133], v[170:171] offset0:47 offset1:48
	;; [unrolled: 1-line block ×7, first 2 shown]
	ds_read_b64 v[28:29], v1
	s_waitcnt lgkmcnt(0)
	v_cmp_neq_f64_e32 vcc_lo, 0, v[28:29]
	s_and_b32 exec_lo, exec_lo, vcc_lo
	s_cbranch_execz .LBB117_224
; %bb.223:
	v_div_scale_f64 v[30:31], null, v[28:29], v[28:29], 1.0
	v_rcp_f64_e32 v[32:33], v[30:31]
	v_fma_f64 v[34:35], -v[30:31], v[32:33], 1.0
	v_fma_f64 v[32:33], v[32:33], v[34:35], v[32:33]
	v_fma_f64 v[34:35], -v[30:31], v[32:33], 1.0
	v_fma_f64 v[32:33], v[32:33], v[34:35], v[32:33]
	v_div_scale_f64 v[34:35], vcc_lo, 1.0, v[28:29], 1.0
	v_mul_f64 v[36:37], v[34:35], v[32:33]
	v_fma_f64 v[30:31], -v[30:31], v[36:37], v[34:35]
	v_div_fmas_f64 v[30:31], v[30:31], v[32:33], v[36:37]
	v_div_fixup_f64 v[28:29], v[30:31], v[28:29], 1.0
	ds_write_b64 v1, v[28:29]
.LBB117_224:
	s_or_b32 exec_lo, exec_lo, s1
	s_waitcnt lgkmcnt(0)
	s_barrier
	buffer_gl0_inv
	ds_read_b64 v[28:29], v1
	s_mov_b32 s1, exec_lo
	v_cmpx_lt_u32_e32 44, v0
	s_cbranch_execz .LBB117_226
; %bb.225:
	s_waitcnt lgkmcnt(0)
	v_mul_f64 v[174:175], v[28:29], v[174:175]
	ds_read2_b64 v[30:33], v58 offset0:45 offset1:46
	s_waitcnt lgkmcnt(0)
	v_fma_f64 v[134:135], -v[174:175], v[30:31], v[134:135]
	v_fma_f64 v[172:173], -v[174:175], v[32:33], v[172:173]
	ds_read2_b64 v[30:33], v58 offset0:47 offset1:48
	s_waitcnt lgkmcnt(0)
	v_fma_f64 v[132:133], -v[174:175], v[30:31], v[132:133]
	v_fma_f64 v[170:171], -v[174:175], v[32:33], v[170:171]
	;; [unrolled: 4-line block ×7, first 2 shown]
.LBB117_226:
	s_or_b32 exec_lo, exec_lo, s1
	s_mov_b32 s1, exec_lo
	s_waitcnt lgkmcnt(0)
	s_barrier
	buffer_gl0_inv
	v_cmpx_eq_u32_e32 45, v0
	s_cbranch_execz .LBB117_229
; %bb.227:
	v_mov_b32_e32 v30, v172
	v_mov_b32_e32 v31, v173
	;; [unrolled: 1-line block ×4, first 2 shown]
	ds_write_b64 v1, v[134:135]
	ds_write2_b64 v58, v[30:31], v[32:33] offset0:46 offset1:47
	v_mov_b32_e32 v30, v170
	v_mov_b32_e32 v31, v171
	v_mov_b32_e32 v32, v130
	v_mov_b32_e32 v33, v131
	ds_write2_b64 v58, v[30:31], v[32:33] offset0:48 offset1:49
	v_mov_b32_e32 v30, v168
	v_mov_b32_e32 v31, v169
	v_mov_b32_e32 v32, v128
	v_mov_b32_e32 v33, v129
	;; [unrolled: 5-line block ×5, first 2 shown]
	ds_write2_b64 v58, v[30:31], v[32:33] offset0:56 offset1:57
	ds_write_b64 v58, v[238:239] offset:464
	ds_read_b64 v[30:31], v1
	s_waitcnt lgkmcnt(0)
	v_cmp_neq_f64_e32 vcc_lo, 0, v[30:31]
	s_and_b32 exec_lo, exec_lo, vcc_lo
	s_cbranch_execz .LBB117_229
; %bb.228:
	v_div_scale_f64 v[32:33], null, v[30:31], v[30:31], 1.0
	v_rcp_f64_e32 v[34:35], v[32:33]
	v_fma_f64 v[36:37], -v[32:33], v[34:35], 1.0
	v_fma_f64 v[34:35], v[34:35], v[36:37], v[34:35]
	v_fma_f64 v[36:37], -v[32:33], v[34:35], 1.0
	v_fma_f64 v[34:35], v[34:35], v[36:37], v[34:35]
	v_div_scale_f64 v[36:37], vcc_lo, 1.0, v[30:31], 1.0
	v_mul_f64 v[38:39], v[36:37], v[34:35]
	v_fma_f64 v[32:33], -v[32:33], v[38:39], v[36:37]
	v_div_fmas_f64 v[32:33], v[32:33], v[34:35], v[38:39]
	v_div_fixup_f64 v[30:31], v[32:33], v[30:31], 1.0
	ds_write_b64 v1, v[30:31]
.LBB117_229:
	s_or_b32 exec_lo, exec_lo, s1
	s_waitcnt lgkmcnt(0)
	s_barrier
	buffer_gl0_inv
	ds_read_b64 v[30:31], v1
	s_mov_b32 s1, exec_lo
	v_cmpx_lt_u32_e32 45, v0
	s_cbranch_execz .LBB117_231
; %bb.230:
	s_waitcnt lgkmcnt(0)
	v_mul_f64 v[134:135], v[30:31], v[134:135]
	ds_read2_b64 v[32:35], v58 offset0:46 offset1:47
	s_waitcnt lgkmcnt(0)
	v_fma_f64 v[172:173], -v[134:135], v[32:33], v[172:173]
	v_fma_f64 v[132:133], -v[134:135], v[34:35], v[132:133]
	ds_read2_b64 v[32:35], v58 offset0:48 offset1:49
	s_waitcnt lgkmcnt(0)
	v_fma_f64 v[170:171], -v[134:135], v[32:33], v[170:171]
	v_fma_f64 v[130:131], -v[134:135], v[34:35], v[130:131]
	ds_read2_b64 v[32:35], v58 offset0:50 offset1:51
	s_waitcnt lgkmcnt(0)
	v_fma_f64 v[168:169], -v[134:135], v[32:33], v[168:169]
	v_fma_f64 v[128:129], -v[134:135], v[34:35], v[128:129]
	ds_read2_b64 v[32:35], v58 offset0:52 offset1:53
	s_waitcnt lgkmcnt(0)
	v_fma_f64 v[166:167], -v[134:135], v[32:33], v[166:167]
	v_fma_f64 v[126:127], -v[134:135], v[34:35], v[126:127]
	ds_read2_b64 v[32:35], v58 offset0:54 offset1:55
	s_waitcnt lgkmcnt(0)
	v_fma_f64 v[164:165], -v[134:135], v[32:33], v[164:165]
	v_fma_f64 v[124:125], -v[134:135], v[34:35], v[124:125]
	ds_read2_b64 v[32:35], v58 offset0:56 offset1:57
	s_waitcnt lgkmcnt(0)
	v_fma_f64 v[162:163], -v[134:135], v[32:33], v[162:163]
	ds_read_b64 v[32:33], v58 offset:464
	v_fma_f64 v[122:123], -v[134:135], v[34:35], v[122:123]
	s_waitcnt lgkmcnt(0)
	v_fma_f64 v[238:239], -v[134:135], v[32:33], v[238:239]
.LBB117_231:
	s_or_b32 exec_lo, exec_lo, s1
	s_mov_b32 s1, exec_lo
	s_waitcnt lgkmcnt(0)
	s_barrier
	buffer_gl0_inv
	v_cmpx_eq_u32_e32 46, v0
	s_cbranch_execz .LBB117_234
; %bb.232:
	ds_write_b64 v1, v[172:173]
	ds_write2_b64 v58, v[132:133], v[170:171] offset0:47 offset1:48
	ds_write2_b64 v58, v[130:131], v[168:169] offset0:49 offset1:50
	;; [unrolled: 1-line block ×6, first 2 shown]
	ds_read_b64 v[32:33], v1
	s_waitcnt lgkmcnt(0)
	v_cmp_neq_f64_e32 vcc_lo, 0, v[32:33]
	s_and_b32 exec_lo, exec_lo, vcc_lo
	s_cbranch_execz .LBB117_234
; %bb.233:
	v_div_scale_f64 v[34:35], null, v[32:33], v[32:33], 1.0
	v_rcp_f64_e32 v[36:37], v[34:35]
	v_fma_f64 v[38:39], -v[34:35], v[36:37], 1.0
	v_fma_f64 v[36:37], v[36:37], v[38:39], v[36:37]
	v_fma_f64 v[38:39], -v[34:35], v[36:37], 1.0
	v_fma_f64 v[36:37], v[36:37], v[38:39], v[36:37]
	v_div_scale_f64 v[38:39], vcc_lo, 1.0, v[32:33], 1.0
	v_mul_f64 v[40:41], v[38:39], v[36:37]
	v_fma_f64 v[34:35], -v[34:35], v[40:41], v[38:39]
	v_div_fmas_f64 v[34:35], v[34:35], v[36:37], v[40:41]
	v_div_fixup_f64 v[32:33], v[34:35], v[32:33], 1.0
	ds_write_b64 v1, v[32:33]
.LBB117_234:
	s_or_b32 exec_lo, exec_lo, s1
	s_waitcnt lgkmcnt(0)
	s_barrier
	buffer_gl0_inv
	ds_read_b64 v[32:33], v1
	s_mov_b32 s1, exec_lo
	v_cmpx_lt_u32_e32 46, v0
	s_cbranch_execz .LBB117_236
; %bb.235:
	s_waitcnt lgkmcnt(0)
	v_mul_f64 v[172:173], v[32:33], v[172:173]
	ds_read2_b64 v[34:37], v58 offset0:47 offset1:48
	s_waitcnt lgkmcnt(0)
	v_fma_f64 v[132:133], -v[172:173], v[34:35], v[132:133]
	v_fma_f64 v[170:171], -v[172:173], v[36:37], v[170:171]
	ds_read2_b64 v[34:37], v58 offset0:49 offset1:50
	s_waitcnt lgkmcnt(0)
	v_fma_f64 v[130:131], -v[172:173], v[34:35], v[130:131]
	v_fma_f64 v[168:169], -v[172:173], v[36:37], v[168:169]
	;; [unrolled: 4-line block ×6, first 2 shown]
.LBB117_236:
	s_or_b32 exec_lo, exec_lo, s1
	s_mov_b32 s1, exec_lo
	s_waitcnt lgkmcnt(0)
	s_barrier
	buffer_gl0_inv
	v_cmpx_eq_u32_e32 47, v0
	s_cbranch_execz .LBB117_239
; %bb.237:
	v_mov_b32_e32 v34, v170
	v_mov_b32_e32 v35, v171
	;; [unrolled: 1-line block ×4, first 2 shown]
	ds_write_b64 v1, v[132:133]
	ds_write2_b64 v58, v[34:35], v[36:37] offset0:48 offset1:49
	v_mov_b32_e32 v34, v168
	v_mov_b32_e32 v35, v169
	v_mov_b32_e32 v36, v128
	v_mov_b32_e32 v37, v129
	ds_write2_b64 v58, v[34:35], v[36:37] offset0:50 offset1:51
	v_mov_b32_e32 v34, v166
	v_mov_b32_e32 v35, v167
	v_mov_b32_e32 v36, v126
	v_mov_b32_e32 v37, v127
	;; [unrolled: 5-line block ×4, first 2 shown]
	ds_write2_b64 v58, v[34:35], v[36:37] offset0:56 offset1:57
	ds_write_b64 v58, v[238:239] offset:464
	ds_read_b64 v[34:35], v1
	s_waitcnt lgkmcnt(0)
	v_cmp_neq_f64_e32 vcc_lo, 0, v[34:35]
	s_and_b32 exec_lo, exec_lo, vcc_lo
	s_cbranch_execz .LBB117_239
; %bb.238:
	v_div_scale_f64 v[36:37], null, v[34:35], v[34:35], 1.0
	v_rcp_f64_e32 v[38:39], v[36:37]
	v_fma_f64 v[40:41], -v[36:37], v[38:39], 1.0
	v_fma_f64 v[38:39], v[38:39], v[40:41], v[38:39]
	v_fma_f64 v[40:41], -v[36:37], v[38:39], 1.0
	v_fma_f64 v[38:39], v[38:39], v[40:41], v[38:39]
	v_div_scale_f64 v[40:41], vcc_lo, 1.0, v[34:35], 1.0
	v_mul_f64 v[42:43], v[40:41], v[38:39]
	v_fma_f64 v[36:37], -v[36:37], v[42:43], v[40:41]
	v_div_fmas_f64 v[36:37], v[36:37], v[38:39], v[42:43]
	v_div_fixup_f64 v[34:35], v[36:37], v[34:35], 1.0
	ds_write_b64 v1, v[34:35]
.LBB117_239:
	s_or_b32 exec_lo, exec_lo, s1
	s_waitcnt lgkmcnt(0)
	s_barrier
	buffer_gl0_inv
	ds_read_b64 v[34:35], v1
	s_mov_b32 s1, exec_lo
	v_cmpx_lt_u32_e32 47, v0
	s_cbranch_execz .LBB117_241
; %bb.240:
	s_waitcnt lgkmcnt(0)
	v_mul_f64 v[132:133], v[34:35], v[132:133]
	ds_read2_b64 v[36:39], v58 offset0:48 offset1:49
	s_waitcnt lgkmcnt(0)
	v_fma_f64 v[170:171], -v[132:133], v[36:37], v[170:171]
	v_fma_f64 v[130:131], -v[132:133], v[38:39], v[130:131]
	ds_read2_b64 v[36:39], v58 offset0:50 offset1:51
	s_waitcnt lgkmcnt(0)
	v_fma_f64 v[168:169], -v[132:133], v[36:37], v[168:169]
	v_fma_f64 v[128:129], -v[132:133], v[38:39], v[128:129]
	ds_read2_b64 v[36:39], v58 offset0:52 offset1:53
	s_waitcnt lgkmcnt(0)
	v_fma_f64 v[166:167], -v[132:133], v[36:37], v[166:167]
	v_fma_f64 v[126:127], -v[132:133], v[38:39], v[126:127]
	ds_read2_b64 v[36:39], v58 offset0:54 offset1:55
	s_waitcnt lgkmcnt(0)
	v_fma_f64 v[164:165], -v[132:133], v[36:37], v[164:165]
	v_fma_f64 v[124:125], -v[132:133], v[38:39], v[124:125]
	ds_read2_b64 v[36:39], v58 offset0:56 offset1:57
	s_waitcnt lgkmcnt(0)
	v_fma_f64 v[162:163], -v[132:133], v[36:37], v[162:163]
	ds_read_b64 v[36:37], v58 offset:464
	v_fma_f64 v[122:123], -v[132:133], v[38:39], v[122:123]
	s_waitcnt lgkmcnt(0)
	v_fma_f64 v[238:239], -v[132:133], v[36:37], v[238:239]
.LBB117_241:
	s_or_b32 exec_lo, exec_lo, s1
	s_mov_b32 s1, exec_lo
	s_waitcnt lgkmcnt(0)
	s_barrier
	buffer_gl0_inv
	v_cmpx_eq_u32_e32 48, v0
	s_cbranch_execz .LBB117_244
; %bb.242:
	ds_write_b64 v1, v[170:171]
	ds_write2_b64 v58, v[130:131], v[168:169] offset0:49 offset1:50
	ds_write2_b64 v58, v[128:129], v[166:167] offset0:51 offset1:52
	;; [unrolled: 1-line block ×5, first 2 shown]
	ds_read_b64 v[36:37], v1
	s_waitcnt lgkmcnt(0)
	v_cmp_neq_f64_e32 vcc_lo, 0, v[36:37]
	s_and_b32 exec_lo, exec_lo, vcc_lo
	s_cbranch_execz .LBB117_244
; %bb.243:
	v_div_scale_f64 v[38:39], null, v[36:37], v[36:37], 1.0
	v_rcp_f64_e32 v[40:41], v[38:39]
	v_fma_f64 v[42:43], -v[38:39], v[40:41], 1.0
	v_fma_f64 v[40:41], v[40:41], v[42:43], v[40:41]
	v_fma_f64 v[42:43], -v[38:39], v[40:41], 1.0
	v_fma_f64 v[40:41], v[40:41], v[42:43], v[40:41]
	v_div_scale_f64 v[42:43], vcc_lo, 1.0, v[36:37], 1.0
	v_mul_f64 v[44:45], v[42:43], v[40:41]
	v_fma_f64 v[38:39], -v[38:39], v[44:45], v[42:43]
	v_div_fmas_f64 v[38:39], v[38:39], v[40:41], v[44:45]
	v_div_fixup_f64 v[36:37], v[38:39], v[36:37], 1.0
	ds_write_b64 v1, v[36:37]
.LBB117_244:
	s_or_b32 exec_lo, exec_lo, s1
	s_waitcnt lgkmcnt(0)
	s_barrier
	buffer_gl0_inv
	ds_read_b64 v[36:37], v1
	s_mov_b32 s1, exec_lo
	v_cmpx_lt_u32_e32 48, v0
	s_cbranch_execz .LBB117_246
; %bb.245:
	s_waitcnt lgkmcnt(0)
	v_mul_f64 v[170:171], v[36:37], v[170:171]
	ds_read2_b64 v[38:41], v58 offset0:49 offset1:50
	s_waitcnt lgkmcnt(0)
	v_fma_f64 v[130:131], -v[170:171], v[38:39], v[130:131]
	v_fma_f64 v[168:169], -v[170:171], v[40:41], v[168:169]
	ds_read2_b64 v[38:41], v58 offset0:51 offset1:52
	s_waitcnt lgkmcnt(0)
	v_fma_f64 v[128:129], -v[170:171], v[38:39], v[128:129]
	v_fma_f64 v[166:167], -v[170:171], v[40:41], v[166:167]
	;; [unrolled: 4-line block ×5, first 2 shown]
.LBB117_246:
	s_or_b32 exec_lo, exec_lo, s1
	s_mov_b32 s1, exec_lo
	s_waitcnt lgkmcnt(0)
	s_barrier
	buffer_gl0_inv
	v_cmpx_eq_u32_e32 49, v0
	s_cbranch_execz .LBB117_249
; %bb.247:
	v_mov_b32_e32 v38, v168
	v_mov_b32_e32 v39, v169
	;; [unrolled: 1-line block ×4, first 2 shown]
	ds_write_b64 v1, v[130:131]
	ds_write2_b64 v58, v[38:39], v[40:41] offset0:50 offset1:51
	v_mov_b32_e32 v38, v166
	v_mov_b32_e32 v39, v167
	v_mov_b32_e32 v40, v126
	v_mov_b32_e32 v41, v127
	ds_write2_b64 v58, v[38:39], v[40:41] offset0:52 offset1:53
	v_mov_b32_e32 v38, v164
	v_mov_b32_e32 v39, v165
	v_mov_b32_e32 v40, v124
	v_mov_b32_e32 v41, v125
	;; [unrolled: 5-line block ×3, first 2 shown]
	ds_write2_b64 v58, v[38:39], v[40:41] offset0:56 offset1:57
	ds_write_b64 v58, v[238:239] offset:464
	ds_read_b64 v[38:39], v1
	s_waitcnt lgkmcnt(0)
	v_cmp_neq_f64_e32 vcc_lo, 0, v[38:39]
	s_and_b32 exec_lo, exec_lo, vcc_lo
	s_cbranch_execz .LBB117_249
; %bb.248:
	v_div_scale_f64 v[40:41], null, v[38:39], v[38:39], 1.0
	v_rcp_f64_e32 v[42:43], v[40:41]
	v_fma_f64 v[44:45], -v[40:41], v[42:43], 1.0
	v_fma_f64 v[42:43], v[42:43], v[44:45], v[42:43]
	v_fma_f64 v[44:45], -v[40:41], v[42:43], 1.0
	v_fma_f64 v[42:43], v[42:43], v[44:45], v[42:43]
	v_div_scale_f64 v[44:45], vcc_lo, 1.0, v[38:39], 1.0
	v_mul_f64 v[46:47], v[44:45], v[42:43]
	v_fma_f64 v[40:41], -v[40:41], v[46:47], v[44:45]
	v_div_fmas_f64 v[40:41], v[40:41], v[42:43], v[46:47]
	v_div_fixup_f64 v[38:39], v[40:41], v[38:39], 1.0
	ds_write_b64 v1, v[38:39]
.LBB117_249:
	s_or_b32 exec_lo, exec_lo, s1
	s_waitcnt lgkmcnt(0)
	s_barrier
	buffer_gl0_inv
	ds_read_b64 v[38:39], v1
	s_mov_b32 s1, exec_lo
	v_cmpx_lt_u32_e32 49, v0
	s_cbranch_execz .LBB117_251
; %bb.250:
	s_waitcnt lgkmcnt(0)
	v_mul_f64 v[130:131], v[38:39], v[130:131]
	ds_read2_b64 v[40:43], v58 offset0:50 offset1:51
	s_waitcnt lgkmcnt(0)
	v_fma_f64 v[168:169], -v[130:131], v[40:41], v[168:169]
	v_fma_f64 v[128:129], -v[130:131], v[42:43], v[128:129]
	ds_read2_b64 v[40:43], v58 offset0:52 offset1:53
	s_waitcnt lgkmcnt(0)
	v_fma_f64 v[166:167], -v[130:131], v[40:41], v[166:167]
	v_fma_f64 v[126:127], -v[130:131], v[42:43], v[126:127]
	;; [unrolled: 4-line block ×3, first 2 shown]
	ds_read2_b64 v[40:43], v58 offset0:56 offset1:57
	s_waitcnt lgkmcnt(0)
	v_fma_f64 v[162:163], -v[130:131], v[40:41], v[162:163]
	ds_read_b64 v[40:41], v58 offset:464
	v_fma_f64 v[122:123], -v[130:131], v[42:43], v[122:123]
	s_waitcnt lgkmcnt(0)
	v_fma_f64 v[238:239], -v[130:131], v[40:41], v[238:239]
.LBB117_251:
	s_or_b32 exec_lo, exec_lo, s1
	s_mov_b32 s1, exec_lo
	s_waitcnt lgkmcnt(0)
	s_barrier
	buffer_gl0_inv
	v_cmpx_eq_u32_e32 50, v0
	s_cbranch_execz .LBB117_254
; %bb.252:
	ds_write_b64 v1, v[168:169]
	ds_write2_b64 v58, v[128:129], v[166:167] offset0:51 offset1:52
	ds_write2_b64 v58, v[126:127], v[164:165] offset0:53 offset1:54
	;; [unrolled: 1-line block ×4, first 2 shown]
	ds_read_b64 v[40:41], v1
	s_waitcnt lgkmcnt(0)
	v_cmp_neq_f64_e32 vcc_lo, 0, v[40:41]
	s_and_b32 exec_lo, exec_lo, vcc_lo
	s_cbranch_execz .LBB117_254
; %bb.253:
	v_div_scale_f64 v[42:43], null, v[40:41], v[40:41], 1.0
	v_rcp_f64_e32 v[44:45], v[42:43]
	v_fma_f64 v[46:47], -v[42:43], v[44:45], 1.0
	v_fma_f64 v[44:45], v[44:45], v[46:47], v[44:45]
	v_fma_f64 v[46:47], -v[42:43], v[44:45], 1.0
	v_fma_f64 v[44:45], v[44:45], v[46:47], v[44:45]
	v_div_scale_f64 v[46:47], vcc_lo, 1.0, v[40:41], 1.0
	v_mul_f64 v[48:49], v[46:47], v[44:45]
	v_fma_f64 v[42:43], -v[42:43], v[48:49], v[46:47]
	v_div_fmas_f64 v[42:43], v[42:43], v[44:45], v[48:49]
	v_div_fixup_f64 v[40:41], v[42:43], v[40:41], 1.0
	ds_write_b64 v1, v[40:41]
.LBB117_254:
	s_or_b32 exec_lo, exec_lo, s1
	s_waitcnt lgkmcnt(0)
	s_barrier
	buffer_gl0_inv
	ds_read_b64 v[40:41], v1
	s_mov_b32 s1, exec_lo
	v_cmpx_lt_u32_e32 50, v0
	s_cbranch_execz .LBB117_256
; %bb.255:
	s_waitcnt lgkmcnt(0)
	v_mul_f64 v[168:169], v[40:41], v[168:169]
	ds_read2_b64 v[42:45], v58 offset0:51 offset1:52
	s_waitcnt lgkmcnt(0)
	v_fma_f64 v[128:129], -v[168:169], v[42:43], v[128:129]
	v_fma_f64 v[166:167], -v[168:169], v[44:45], v[166:167]
	ds_read2_b64 v[42:45], v58 offset0:53 offset1:54
	s_waitcnt lgkmcnt(0)
	v_fma_f64 v[126:127], -v[168:169], v[42:43], v[126:127]
	v_fma_f64 v[164:165], -v[168:169], v[44:45], v[164:165]
	;; [unrolled: 4-line block ×4, first 2 shown]
.LBB117_256:
	s_or_b32 exec_lo, exec_lo, s1
	s_mov_b32 s1, exec_lo
	s_waitcnt lgkmcnt(0)
	s_barrier
	buffer_gl0_inv
	v_cmpx_eq_u32_e32 51, v0
	s_cbranch_execz .LBB117_259
; %bb.257:
	v_mov_b32_e32 v42, v166
	v_mov_b32_e32 v43, v167
	;; [unrolled: 1-line block ×4, first 2 shown]
	ds_write_b64 v1, v[128:129]
	ds_write2_b64 v58, v[42:43], v[44:45] offset0:52 offset1:53
	v_mov_b32_e32 v42, v164
	v_mov_b32_e32 v43, v165
	;; [unrolled: 1-line block ×4, first 2 shown]
	ds_write2_b64 v58, v[42:43], v[44:45] offset0:54 offset1:55
	v_mov_b32_e32 v42, v162
	v_mov_b32_e32 v43, v163
	;; [unrolled: 1-line block ×4, first 2 shown]
	ds_write2_b64 v58, v[42:43], v[44:45] offset0:56 offset1:57
	ds_write_b64 v58, v[238:239] offset:464
	ds_read_b64 v[42:43], v1
	s_waitcnt lgkmcnt(0)
	v_cmp_neq_f64_e32 vcc_lo, 0, v[42:43]
	s_and_b32 exec_lo, exec_lo, vcc_lo
	s_cbranch_execz .LBB117_259
; %bb.258:
	v_div_scale_f64 v[44:45], null, v[42:43], v[42:43], 1.0
	v_rcp_f64_e32 v[46:47], v[44:45]
	v_fma_f64 v[48:49], -v[44:45], v[46:47], 1.0
	v_fma_f64 v[46:47], v[46:47], v[48:49], v[46:47]
	v_fma_f64 v[48:49], -v[44:45], v[46:47], 1.0
	v_fma_f64 v[46:47], v[46:47], v[48:49], v[46:47]
	v_div_scale_f64 v[48:49], vcc_lo, 1.0, v[42:43], 1.0
	v_mul_f64 v[50:51], v[48:49], v[46:47]
	v_fma_f64 v[44:45], -v[44:45], v[50:51], v[48:49]
	v_div_fmas_f64 v[44:45], v[44:45], v[46:47], v[50:51]
	v_div_fixup_f64 v[42:43], v[44:45], v[42:43], 1.0
	ds_write_b64 v1, v[42:43]
.LBB117_259:
	s_or_b32 exec_lo, exec_lo, s1
	s_waitcnt lgkmcnt(0)
	s_barrier
	buffer_gl0_inv
	ds_read_b64 v[44:45], v1
	s_mov_b32 s1, exec_lo
	v_cmpx_lt_u32_e32 51, v0
	s_cbranch_execz .LBB117_261
; %bb.260:
	s_waitcnt lgkmcnt(0)
	v_mul_f64 v[128:129], v[44:45], v[128:129]
	ds_read2_b64 v[46:49], v58 offset0:52 offset1:53
	ds_read_b64 v[42:43], v58 offset:464
	s_waitcnt lgkmcnt(1)
	v_fma_f64 v[166:167], -v[128:129], v[46:47], v[166:167]
	v_fma_f64 v[126:127], -v[128:129], v[48:49], v[126:127]
	ds_read2_b64 v[46:49], v58 offset0:54 offset1:55
	s_waitcnt lgkmcnt(1)
	v_fma_f64 v[238:239], -v[128:129], v[42:43], v[238:239]
	s_waitcnt lgkmcnt(0)
	v_fma_f64 v[164:165], -v[128:129], v[46:47], v[164:165]
	v_fma_f64 v[124:125], -v[128:129], v[48:49], v[124:125]
	ds_read2_b64 v[46:49], v58 offset0:56 offset1:57
	s_waitcnt lgkmcnt(0)
	v_fma_f64 v[162:163], -v[128:129], v[46:47], v[162:163]
	v_fma_f64 v[122:123], -v[128:129], v[48:49], v[122:123]
.LBB117_261:
	s_or_b32 exec_lo, exec_lo, s1
	s_mov_b32 s1, exec_lo
	s_waitcnt lgkmcnt(0)
	s_barrier
	buffer_gl0_inv
	v_cmpx_eq_u32_e32 52, v0
	s_cbranch_execz .LBB117_264
; %bb.262:
	ds_write_b64 v1, v[166:167]
	ds_write2_b64 v58, v[126:127], v[164:165] offset0:53 offset1:54
	ds_write2_b64 v58, v[124:125], v[162:163] offset0:55 offset1:56
	;; [unrolled: 1-line block ×3, first 2 shown]
	ds_read_b64 v[42:43], v1
	s_waitcnt lgkmcnt(0)
	v_cmp_neq_f64_e32 vcc_lo, 0, v[42:43]
	s_and_b32 exec_lo, exec_lo, vcc_lo
	s_cbranch_execz .LBB117_264
; %bb.263:
	v_div_scale_f64 v[46:47], null, v[42:43], v[42:43], 1.0
	v_rcp_f64_e32 v[48:49], v[46:47]
	v_fma_f64 v[50:51], -v[46:47], v[48:49], 1.0
	v_fma_f64 v[48:49], v[48:49], v[50:51], v[48:49]
	v_fma_f64 v[50:51], -v[46:47], v[48:49], 1.0
	v_fma_f64 v[48:49], v[48:49], v[50:51], v[48:49]
	v_div_scale_f64 v[50:51], vcc_lo, 1.0, v[42:43], 1.0
	v_mul_f64 v[52:53], v[50:51], v[48:49]
	v_fma_f64 v[46:47], -v[46:47], v[52:53], v[50:51]
	v_div_fmas_f64 v[46:47], v[46:47], v[48:49], v[52:53]
	v_div_fixup_f64 v[42:43], v[46:47], v[42:43], 1.0
	ds_write_b64 v1, v[42:43]
.LBB117_264:
	s_or_b32 exec_lo, exec_lo, s1
	s_waitcnt lgkmcnt(0)
	s_barrier
	buffer_gl0_inv
	ds_read_b64 v[46:47], v1
	s_mov_b32 s1, exec_lo
	v_cmpx_lt_u32_e32 52, v0
	s_cbranch_execz .LBB117_266
; %bb.265:
	s_waitcnt lgkmcnt(0)
	v_mul_f64 v[166:167], v[46:47], v[166:167]
	ds_read2_b64 v[48:51], v58 offset0:53 offset1:54
	s_waitcnt lgkmcnt(0)
	v_fma_f64 v[126:127], -v[166:167], v[48:49], v[126:127]
	v_fma_f64 v[164:165], -v[166:167], v[50:51], v[164:165]
	ds_read2_b64 v[48:51], v58 offset0:55 offset1:56
	s_waitcnt lgkmcnt(0)
	v_fma_f64 v[124:125], -v[166:167], v[48:49], v[124:125]
	v_fma_f64 v[162:163], -v[166:167], v[50:51], v[162:163]
	ds_read2_b64 v[48:51], v58 offset0:57 offset1:58
	s_waitcnt lgkmcnt(0)
	v_fma_f64 v[122:123], -v[166:167], v[48:49], v[122:123]
	v_fma_f64 v[238:239], -v[166:167], v[50:51], v[238:239]
.LBB117_266:
	s_or_b32 exec_lo, exec_lo, s1
	s_mov_b32 s1, exec_lo
	s_waitcnt lgkmcnt(0)
	s_barrier
	buffer_gl0_inv
	v_cmpx_eq_u32_e32 53, v0
	s_cbranch_execz .LBB117_269
; %bb.267:
	v_mov_b32_e32 v42, v164
	v_mov_b32_e32 v43, v165
	;; [unrolled: 1-line block ×4, first 2 shown]
	ds_write_b64 v1, v[126:127]
	ds_write2_b64 v58, v[42:43], v[48:49] offset0:54 offset1:55
	v_mov_b32_e32 v42, v162
	v_mov_b32_e32 v43, v163
	;; [unrolled: 1-line block ×4, first 2 shown]
	ds_write2_b64 v58, v[42:43], v[48:49] offset0:56 offset1:57
	ds_write_b64 v58, v[238:239] offset:464
	ds_read_b64 v[42:43], v1
	s_waitcnt lgkmcnt(0)
	v_cmp_neq_f64_e32 vcc_lo, 0, v[42:43]
	s_and_b32 exec_lo, exec_lo, vcc_lo
	s_cbranch_execz .LBB117_269
; %bb.268:
	v_div_scale_f64 v[48:49], null, v[42:43], v[42:43], 1.0
	v_rcp_f64_e32 v[50:51], v[48:49]
	v_fma_f64 v[52:53], -v[48:49], v[50:51], 1.0
	v_fma_f64 v[50:51], v[50:51], v[52:53], v[50:51]
	v_fma_f64 v[52:53], -v[48:49], v[50:51], 1.0
	v_fma_f64 v[50:51], v[50:51], v[52:53], v[50:51]
	v_div_scale_f64 v[52:53], vcc_lo, 1.0, v[42:43], 1.0
	v_mul_f64 v[54:55], v[52:53], v[50:51]
	v_fma_f64 v[48:49], -v[48:49], v[54:55], v[52:53]
	v_div_fmas_f64 v[48:49], v[48:49], v[50:51], v[54:55]
	v_div_fixup_f64 v[42:43], v[48:49], v[42:43], 1.0
	ds_write_b64 v1, v[42:43]
.LBB117_269:
	s_or_b32 exec_lo, exec_lo, s1
	s_waitcnt lgkmcnt(0)
	s_barrier
	buffer_gl0_inv
	ds_read_b64 v[48:49], v1
	s_mov_b32 s1, exec_lo
	v_cmpx_lt_u32_e32 53, v0
	s_cbranch_execz .LBB117_271
; %bb.270:
	s_waitcnt lgkmcnt(0)
	v_mul_f64 v[126:127], v[48:49], v[126:127]
	ds_read2_b64 v[50:53], v58 offset0:54 offset1:55
	ds_read_b64 v[42:43], v58 offset:464
	s_waitcnt lgkmcnt(1)
	v_fma_f64 v[164:165], -v[126:127], v[50:51], v[164:165]
	v_fma_f64 v[124:125], -v[126:127], v[52:53], v[124:125]
	ds_read2_b64 v[50:53], v58 offset0:56 offset1:57
	s_waitcnt lgkmcnt(1)
	v_fma_f64 v[238:239], -v[126:127], v[42:43], v[238:239]
	s_waitcnt lgkmcnt(0)
	v_fma_f64 v[162:163], -v[126:127], v[50:51], v[162:163]
	v_fma_f64 v[122:123], -v[126:127], v[52:53], v[122:123]
.LBB117_271:
	s_or_b32 exec_lo, exec_lo, s1
	s_mov_b32 s1, exec_lo
	s_waitcnt lgkmcnt(0)
	s_barrier
	buffer_gl0_inv
	v_cmpx_eq_u32_e32 54, v0
	s_cbranch_execz .LBB117_274
; %bb.272:
	ds_write_b64 v1, v[164:165]
	ds_write2_b64 v58, v[124:125], v[162:163] offset0:55 offset1:56
	ds_write2_b64 v58, v[122:123], v[238:239] offset0:57 offset1:58
	ds_read_b64 v[42:43], v1
	s_waitcnt lgkmcnt(0)
	v_cmp_neq_f64_e32 vcc_lo, 0, v[42:43]
	s_and_b32 exec_lo, exec_lo, vcc_lo
	s_cbranch_execz .LBB117_274
; %bb.273:
	v_div_scale_f64 v[50:51], null, v[42:43], v[42:43], 1.0
	v_rcp_f64_e32 v[52:53], v[50:51]
	v_fma_f64 v[54:55], -v[50:51], v[52:53], 1.0
	v_fma_f64 v[52:53], v[52:53], v[54:55], v[52:53]
	v_fma_f64 v[54:55], -v[50:51], v[52:53], 1.0
	v_fma_f64 v[52:53], v[52:53], v[54:55], v[52:53]
	v_div_scale_f64 v[54:55], vcc_lo, 1.0, v[42:43], 1.0
	v_mul_f64 v[56:57], v[54:55], v[52:53]
	v_fma_f64 v[50:51], -v[50:51], v[56:57], v[54:55]
	v_div_fmas_f64 v[50:51], v[50:51], v[52:53], v[56:57]
	v_div_fixup_f64 v[42:43], v[50:51], v[42:43], 1.0
	ds_write_b64 v1, v[42:43]
.LBB117_274:
	s_or_b32 exec_lo, exec_lo, s1
	s_waitcnt lgkmcnt(0)
	s_barrier
	buffer_gl0_inv
	ds_read_b64 v[50:51], v1
	s_mov_b32 s1, exec_lo
	v_cmpx_lt_u32_e32 54, v0
	s_cbranch_execz .LBB117_276
; %bb.275:
	s_waitcnt lgkmcnt(0)
	v_mul_f64 v[164:165], v[50:51], v[164:165]
	ds_read2_b64 v[52:55], v58 offset0:55 offset1:56
	s_waitcnt lgkmcnt(0)
	v_fma_f64 v[124:125], -v[164:165], v[52:53], v[124:125]
	v_fma_f64 v[162:163], -v[164:165], v[54:55], v[162:163]
	ds_read2_b64 v[52:55], v58 offset0:57 offset1:58
	s_waitcnt lgkmcnt(0)
	v_fma_f64 v[122:123], -v[164:165], v[52:53], v[122:123]
	v_fma_f64 v[238:239], -v[164:165], v[54:55], v[238:239]
.LBB117_276:
	s_or_b32 exec_lo, exec_lo, s1
	s_mov_b32 s1, exec_lo
	s_waitcnt lgkmcnt(0)
	s_barrier
	buffer_gl0_inv
	v_cmpx_eq_u32_e32 55, v0
	s_cbranch_execz .LBB117_279
; %bb.277:
	v_mov_b32_e32 v42, v162
	v_mov_b32_e32 v43, v163
	;; [unrolled: 1-line block ×4, first 2 shown]
	ds_write_b64 v1, v[124:125]
	ds_write2_b64 v58, v[42:43], v[52:53] offset0:56 offset1:57
	ds_write_b64 v58, v[238:239] offset:464
	ds_read_b64 v[42:43], v1
	s_waitcnt lgkmcnt(0)
	v_cmp_neq_f64_e32 vcc_lo, 0, v[42:43]
	s_and_b32 exec_lo, exec_lo, vcc_lo
	s_cbranch_execz .LBB117_279
; %bb.278:
	v_div_scale_f64 v[52:53], null, v[42:43], v[42:43], 1.0
	v_rcp_f64_e32 v[54:55], v[52:53]
	v_fma_f64 v[56:57], -v[52:53], v[54:55], 1.0
	v_fma_f64 v[54:55], v[54:55], v[56:57], v[54:55]
	v_fma_f64 v[56:57], -v[52:53], v[54:55], 1.0
	v_fma_f64 v[54:55], v[54:55], v[56:57], v[54:55]
	v_div_scale_f64 v[56:57], vcc_lo, 1.0, v[42:43], 1.0
	v_mul_f64 v[59:60], v[56:57], v[54:55]
	v_fma_f64 v[52:53], -v[52:53], v[59:60], v[56:57]
	v_div_fmas_f64 v[52:53], v[52:53], v[54:55], v[59:60]
	v_div_fixup_f64 v[42:43], v[52:53], v[42:43], 1.0
	ds_write_b64 v1, v[42:43]
.LBB117_279:
	s_or_b32 exec_lo, exec_lo, s1
	s_waitcnt lgkmcnt(0)
	s_barrier
	buffer_gl0_inv
	ds_read_b64 v[52:53], v1
	s_mov_b32 s1, exec_lo
	v_cmpx_lt_u32_e32 55, v0
	s_cbranch_execz .LBB117_281
; %bb.280:
	s_waitcnt lgkmcnt(0)
	v_mul_f64 v[124:125], v[52:53], v[124:125]
	ds_read2_b64 v[54:57], v58 offset0:56 offset1:57
	ds_read_b64 v[42:43], v58 offset:464
	s_waitcnt lgkmcnt(1)
	v_fma_f64 v[162:163], -v[124:125], v[54:55], v[162:163]
	v_fma_f64 v[122:123], -v[124:125], v[56:57], v[122:123]
	s_waitcnt lgkmcnt(0)
	v_fma_f64 v[238:239], -v[124:125], v[42:43], v[238:239]
.LBB117_281:
	s_or_b32 exec_lo, exec_lo, s1
	s_mov_b32 s1, exec_lo
	s_waitcnt lgkmcnt(0)
	s_barrier
	buffer_gl0_inv
	v_cmpx_eq_u32_e32 56, v0
	s_cbranch_execz .LBB117_284
; %bb.282:
	ds_write_b64 v1, v[162:163]
	ds_write2_b64 v58, v[122:123], v[238:239] offset0:57 offset1:58
	ds_read_b64 v[42:43], v1
	s_waitcnt lgkmcnt(0)
	v_cmp_neq_f64_e32 vcc_lo, 0, v[42:43]
	s_and_b32 exec_lo, exec_lo, vcc_lo
	s_cbranch_execz .LBB117_284
; %bb.283:
	v_div_scale_f64 v[54:55], null, v[42:43], v[42:43], 1.0
	v_rcp_f64_e32 v[56:57], v[54:55]
	v_fma_f64 v[59:60], -v[54:55], v[56:57], 1.0
	v_fma_f64 v[56:57], v[56:57], v[59:60], v[56:57]
	v_fma_f64 v[59:60], -v[54:55], v[56:57], 1.0
	v_fma_f64 v[56:57], v[56:57], v[59:60], v[56:57]
	v_div_scale_f64 v[59:60], vcc_lo, 1.0, v[42:43], 1.0
	v_mul_f64 v[61:62], v[59:60], v[56:57]
	v_fma_f64 v[54:55], -v[54:55], v[61:62], v[59:60]
	v_div_fmas_f64 v[54:55], v[54:55], v[56:57], v[61:62]
	v_div_fixup_f64 v[42:43], v[54:55], v[42:43], 1.0
	ds_write_b64 v1, v[42:43]
.LBB117_284:
	s_or_b32 exec_lo, exec_lo, s1
	s_waitcnt lgkmcnt(0)
	s_barrier
	buffer_gl0_inv
	ds_read_b64 v[54:55], v1
	s_mov_b32 s1, exec_lo
	v_cmpx_lt_u32_e32 56, v0
	s_cbranch_execz .LBB117_286
; %bb.285:
	s_waitcnt lgkmcnt(0)
	v_mul_f64 v[162:163], v[54:55], v[162:163]
	ds_read2_b64 v[59:62], v58 offset0:57 offset1:58
	s_waitcnt lgkmcnt(0)
	v_fma_f64 v[122:123], -v[162:163], v[59:60], v[122:123]
	v_fma_f64 v[238:239], -v[162:163], v[61:62], v[238:239]
.LBB117_286:
	s_or_b32 exec_lo, exec_lo, s1
	s_mov_b32 s1, exec_lo
	s_waitcnt lgkmcnt(0)
	s_barrier
	buffer_gl0_inv
	v_cmpx_eq_u32_e32 57, v0
	s_cbranch_execz .LBB117_289
; %bb.287:
	ds_write_b64 v1, v[122:123]
	ds_write_b64 v58, v[238:239] offset:464
	ds_read_b64 v[42:43], v1
	s_waitcnt lgkmcnt(0)
	v_cmp_neq_f64_e32 vcc_lo, 0, v[42:43]
	s_and_b32 exec_lo, exec_lo, vcc_lo
	s_cbranch_execz .LBB117_289
; %bb.288:
	v_div_scale_f64 v[56:57], null, v[42:43], v[42:43], 1.0
	v_mov_b32_e32 v249, v245
	v_mov_b32_e32 v248, v244
	;; [unrolled: 1-line block ×20, first 2 shown]
	v_rcp_f64_e32 v[59:60], v[56:57]
	v_mov_b32_e32 v100, v98
	v_mov_b32_e32 v99, v97
	;; [unrolled: 1-line block ×23, first 2 shown]
	v_fma_f64 v[61:62], -v[56:57], v[59:60], 1.0
	v_mov_b32_e32 v77, v75
	v_mov_b32_e32 v76, v74
	;; [unrolled: 1-line block ×19, first 2 shown]
	v_fma_f64 v[59:60], v[59:60], v[61:62], v[59:60]
	v_mov_b32_e32 v120, v242
	v_mov_b32_e32 v121, v243
	;; [unrolled: 1-line block ×10, first 2 shown]
	v_fma_f64 v[61:62], -v[56:57], v[59:60], 1.0
	v_fma_f64 v[59:60], v[59:60], v[61:62], v[59:60]
	v_div_scale_f64 v[61:62], vcc_lo, 1.0, v[42:43], 1.0
	v_mul_f64 v[63:64], v[61:62], v[59:60]
	v_fma_f64 v[56:57], -v[56:57], v[63:64], v[61:62]
	v_div_fmas_f64 v[56:57], v[56:57], v[59:60], v[63:64]
	v_mov_b32_e32 v64, v69
	v_mov_b32_e32 v65, v70
	;; [unrolled: 1-line block ×21, first 2 shown]
	v_div_fixup_f64 v[42:43], v[56:57], v[42:43], 1.0
	v_mov_b32_e32 v88, v90
	v_mov_b32_e32 v89, v91
	;; [unrolled: 1-line block ×31, first 2 shown]
	ds_write_b64 v1, v[42:43]
.LBB117_289:
	s_or_b32 exec_lo, exec_lo, s1
	s_waitcnt lgkmcnt(0)
	s_barrier
	buffer_gl0_inv
	ds_read_b64 v[56:57], v1
	s_mov_b32 s1, exec_lo
	v_cmpx_lt_u32_e32 57, v0
	s_cbranch_execz .LBB117_291
; %bb.290:
	s_waitcnt lgkmcnt(0)
	v_mul_f64 v[122:123], v[56:57], v[122:123]
	ds_read_b64 v[42:43], v58 offset:464
	s_waitcnt lgkmcnt(0)
	v_fma_f64 v[238:239], -v[122:123], v[42:43], v[238:239]
.LBB117_291:
	s_or_b32 exec_lo, exec_lo, s1
	s_mov_b32 s1, exec_lo
	s_waitcnt lgkmcnt(0)
	s_barrier
	buffer_gl0_inv
	v_cmpx_eq_u32_e32 58, v0
	s_cbranch_execz .LBB117_294
; %bb.292:
	v_cmp_neq_f64_e32 vcc_lo, 0, v[238:239]
	ds_write_b64 v1, v[238:239]
	s_and_b32 exec_lo, exec_lo, vcc_lo
	s_cbranch_execz .LBB117_294
; %bb.293:
	v_div_scale_f64 v[42:43], null, v[238:239], v[238:239], 1.0
	v_rcp_f64_e32 v[58:59], v[42:43]
	v_fma_f64 v[60:61], -v[42:43], v[58:59], 1.0
	v_fma_f64 v[58:59], v[58:59], v[60:61], v[58:59]
	v_fma_f64 v[60:61], -v[42:43], v[58:59], 1.0
	v_fma_f64 v[58:59], v[58:59], v[60:61], v[58:59]
	v_div_scale_f64 v[60:61], vcc_lo, 1.0, v[238:239], 1.0
	v_mul_f64 v[62:63], v[60:61], v[58:59]
	v_fma_f64 v[42:43], -v[42:43], v[62:63], v[60:61]
	v_div_fmas_f64 v[42:43], v[42:43], v[58:59], v[62:63]
	v_div_fixup_f64 v[42:43], v[42:43], v[238:239], 1.0
	ds_write_b64 v1, v[42:43]
.LBB117_294:
	s_or_b32 exec_lo, exec_lo, s1
	s_waitcnt lgkmcnt(0)
	s_barrier
	buffer_gl0_inv
	ds_read_b64 v[42:43], v1
	s_waitcnt lgkmcnt(0)
	s_barrier
	buffer_gl0_inv
	s_and_saveexec_b32 s1, s0
	s_cbranch_execz .LBB117_297
; %bb.295:
	s_clause 0x1
	buffer_load_dword v58, off, s[12:15], 0 offset:232
	buffer_load_dword v59, off, s[12:15], 0 offset:236
	v_cmp_eq_f64_e32 vcc_lo, 0, v[107:108]
	s_load_dwordx2 s[2:3], s[4:5], 0x28
	v_cndmask_b32_e64 v1, 0, 1, vcc_lo
	s_waitcnt vmcnt(0)
	v_cmp_neq_f64_e64 s0, 0, v[58:59]
	s_clause 0x1
	buffer_load_dword v58, off, s[12:15], 0 offset:240
	buffer_load_dword v59, off, s[12:15], 0 offset:244
	s_or_b32 vcc_lo, s0, vcc_lo
	v_cndmask_b32_e32 v1, 2, v1, vcc_lo
	v_cmp_eq_f64_e32 vcc_lo, 0, v[111:112]
	v_cmp_eq_u32_e64 s0, 0, v1
	s_and_b32 s0, vcc_lo, s0
	v_cndmask_b32_e64 v1, v1, 3, s0
	v_cmp_eq_u32_e64 s0, 0, v1
	s_waitcnt vmcnt(0)
	v_cmp_eq_f64_e32 vcc_lo, 0, v[58:59]
	s_clause 0x1
	buffer_load_dword v58, off, s[12:15], 0 offset:248
	buffer_load_dword v59, off, s[12:15], 0 offset:252
	s_and_b32 s0, vcc_lo, s0
	v_cndmask_b32_e64 v1, v1, 4, s0
	v_cmp_eq_u32_e64 s0, 0, v1
	s_waitcnt vmcnt(0)
	v_cmp_eq_f64_e32 vcc_lo, 0, v[58:59]
	s_clause 0x1
	buffer_load_dword v58, off, s[12:15], 0 offset:256
	buffer_load_dword v59, off, s[12:15], 0 offset:260
	;; [unrolled: 8-line block ×17, first 2 shown]
	s_and_b32 s0, vcc_lo, s0
	v_cndmask_b32_e64 v1, v1, 20, s0
	v_cmp_eq_u32_e64 s0, 0, v1
	s_waitcnt vmcnt(0)
	v_cmp_eq_f64_e32 vcc_lo, 0, v[58:59]
	s_and_b32 s0, vcc_lo, s0
	v_cmp_eq_f64_e32 vcc_lo, 0, v[113:114]
	v_cndmask_b32_e64 v1, v1, 21, s0
	v_cmp_eq_u32_e64 s0, 0, v1
	s_and_b32 s0, vcc_lo, s0
	v_cmp_eq_f64_e32 vcc_lo, 0, v[109:110]
	v_cndmask_b32_e64 v1, v1, 22, s0
	v_cmp_eq_u32_e64 s0, 0, v1
	s_and_b32 s0, vcc_lo, s0
	v_cmp_eq_f64_e32 vcc_lo, 0, v[115:116]
	v_cndmask_b32_e64 v1, v1, 23, s0
	v_cmp_eq_u32_e64 s0, 0, v1
	s_and_b32 s0, vcc_lo, s0
	v_cmp_eq_f64_e32 vcc_lo, 0, v[120:121]
	v_cndmask_b32_e64 v1, v1, 24, s0
	v_cmp_eq_u32_e64 s0, 0, v1
	s_and_b32 s0, vcc_lo, s0
	v_cmp_eq_f64_e32 vcc_lo, 0, v[240:241]
	v_cndmask_b32_e64 v1, v1, 25, s0
	v_cmp_eq_u32_e64 s0, 0, v1
	s_and_b32 s0, vcc_lo, s0
	v_cmp_eq_f64_e32 vcc_lo, 0, v[242:243]
	v_cndmask_b32_e64 v1, v1, 26, s0
	v_cmp_eq_u32_e64 s0, 0, v1
	s_and_b32 s0, vcc_lo, s0
	v_cmp_eq_f64_e32 vcc_lo, 0, v[244:245]
	v_cndmask_b32_e64 v1, v1, 27, s0
	v_cmp_eq_u32_e64 s0, 0, v1
	s_and_b32 s0, vcc_lo, s0
	v_cmp_eq_f64_e32 vcc_lo, 0, v[246:247]
	v_cndmask_b32_e64 v1, v1, 28, s0
	v_cmp_eq_u32_e64 s0, 0, v1
	s_and_b32 s0, vcc_lo, s0
	v_cmp_eq_f64_e32 vcc_lo, 0, v[252:253]
	v_cndmask_b32_e64 v1, v1, 29, s0
	v_cmp_eq_u32_e64 s0, 0, v1
	s_and_b32 s0, vcc_lo, s0
	v_cmp_eq_f64_e32 vcc_lo, 0, v[250:251]
	v_cndmask_b32_e64 v1, v1, 30, s0
	v_cmp_eq_u32_e64 s0, 0, v1
	s_and_b32 s0, vcc_lo, s0
	v_cmp_eq_f64_e32 vcc_lo, 0, v[254:255]
	v_cndmask_b32_e64 v1, v1, 31, s0
	v_cmp_eq_u32_e64 s0, 0, v1
	s_and_b32 s0, vcc_lo, s0
	v_cmp_eq_f64_e32 vcc_lo, 0, v[4:5]
	v_cndmask_b32_e64 v1, v1, 32, s0
	v_cmp_eq_u32_e64 s0, 0, v1
	s_and_b32 s0, vcc_lo, s0
	v_cmp_eq_f64_e32 vcc_lo, 0, v[6:7]
	v_cndmask_b32_e64 v1, v1, 33, s0
	v_cmp_eq_u32_e64 s0, 0, v1
	s_and_b32 s0, vcc_lo, s0
	v_cmp_eq_f64_e32 vcc_lo, 0, v[8:9]
	v_cndmask_b32_e64 v1, v1, 34, s0
	v_cmp_eq_u32_e64 s0, 0, v1
	s_and_b32 s0, vcc_lo, s0
	v_cmp_eq_f64_e32 vcc_lo, 0, v[10:11]
	v_cndmask_b32_e64 v1, v1, 35, s0
	v_cmp_eq_u32_e64 s0, 0, v1
	s_and_b32 s0, vcc_lo, s0
	v_cmp_eq_f64_e32 vcc_lo, 0, v[12:13]
	v_cndmask_b32_e64 v1, v1, 36, s0
	v_cmp_eq_u32_e64 s0, 0, v1
	s_and_b32 s0, vcc_lo, s0
	v_cmp_eq_f64_e32 vcc_lo, 0, v[14:15]
	v_cndmask_b32_e64 v1, v1, 37, s0
	v_cmp_eq_u32_e64 s0, 0, v1
	s_and_b32 s0, vcc_lo, s0
	v_cmp_eq_f64_e32 vcc_lo, 0, v[16:17]
	v_cndmask_b32_e64 v1, v1, 38, s0
	v_cmp_eq_u32_e64 s0, 0, v1
	s_and_b32 s0, vcc_lo, s0
	v_cmp_eq_f64_e32 vcc_lo, 0, v[18:19]
	v_cndmask_b32_e64 v1, v1, 39, s0
	v_cmp_eq_u32_e64 s0, 0, v1
	s_and_b32 s0, vcc_lo, s0
	v_cmp_eq_f64_e32 vcc_lo, 0, v[20:21]
	v_cndmask_b32_e64 v1, v1, 40, s0
	v_cmp_eq_u32_e64 s0, 0, v1
	s_and_b32 s0, vcc_lo, s0
	v_cmp_eq_f64_e32 vcc_lo, 0, v[22:23]
	v_cndmask_b32_e64 v1, v1, 41, s0
	v_cmp_eq_u32_e64 s0, 0, v1
	s_and_b32 s0, vcc_lo, s0
	v_cmp_eq_f64_e32 vcc_lo, 0, v[24:25]
	v_cndmask_b32_e64 v1, v1, 42, s0
	v_cmp_eq_u32_e64 s0, 0, v1
	s_and_b32 s0, vcc_lo, s0
	v_cmp_eq_f64_e32 vcc_lo, 0, v[26:27]
	v_cndmask_b32_e64 v1, v1, 43, s0
	v_cmp_eq_u32_e64 s0, 0, v1
	s_and_b32 s0, vcc_lo, s0
	v_cmp_eq_f64_e32 vcc_lo, 0, v[28:29]
	v_cndmask_b32_e64 v1, v1, 44, s0
	v_cmp_eq_u32_e64 s0, 0, v1
	s_and_b32 s0, vcc_lo, s0
	v_cmp_eq_f64_e32 vcc_lo, 0, v[30:31]
	v_cndmask_b32_e64 v1, v1, 45, s0
	v_cmp_eq_u32_e64 s0, 0, v1
	s_and_b32 s0, vcc_lo, s0
	v_cmp_eq_f64_e32 vcc_lo, 0, v[32:33]
	v_cndmask_b32_e64 v1, v1, 46, s0
	v_cmp_eq_u32_e64 s0, 0, v1
	s_and_b32 s0, vcc_lo, s0
	v_cmp_eq_f64_e32 vcc_lo, 0, v[34:35]
	v_cndmask_b32_e64 v1, v1, 47, s0
	v_cmp_eq_u32_e64 s0, 0, v1
	s_and_b32 s0, vcc_lo, s0
	v_cmp_eq_f64_e32 vcc_lo, 0, v[36:37]
	v_cndmask_b32_e64 v1, v1, 48, s0
	v_cmp_eq_u32_e64 s0, 0, v1
	s_and_b32 s0, vcc_lo, s0
	v_cmp_eq_f64_e32 vcc_lo, 0, v[38:39]
	v_cndmask_b32_e64 v1, v1, 49, s0
	v_cmp_eq_u32_e64 s0, 0, v1
	s_and_b32 s0, vcc_lo, s0
	v_cmp_eq_f64_e32 vcc_lo, 0, v[40:41]
	v_cndmask_b32_e64 v1, v1, 50, s0
	v_cmp_eq_u32_e64 s0, 0, v1
	s_and_b32 s0, vcc_lo, s0
	v_cmp_eq_f64_e32 vcc_lo, 0, v[44:45]
	v_cndmask_b32_e64 v1, v1, 51, s0
	v_cmp_eq_u32_e64 s0, 0, v1
	s_and_b32 s0, vcc_lo, s0
	v_cmp_eq_f64_e32 vcc_lo, 0, v[46:47]
	v_cndmask_b32_e64 v1, v1, 52, s0
	v_cmp_eq_u32_e64 s0, 0, v1
	s_and_b32 s0, vcc_lo, s0
	v_cmp_eq_f64_e32 vcc_lo, 0, v[48:49]
	v_cndmask_b32_e64 v1, v1, 53, s0
	v_cmp_eq_u32_e64 s0, 0, v1
	s_and_b32 s0, vcc_lo, s0
	v_cmp_eq_f64_e32 vcc_lo, 0, v[50:51]
	v_cndmask_b32_e64 v1, v1, 54, s0
	v_cmp_eq_u32_e64 s0, 0, v1
	s_and_b32 s0, vcc_lo, s0
	v_cmp_eq_f64_e32 vcc_lo, 0, v[52:53]
	v_cndmask_b32_e64 v1, v1, 55, s0
	v_cmp_eq_u32_e64 s0, 0, v1
	s_and_b32 s0, vcc_lo, s0
	v_cmp_eq_f64_e32 vcc_lo, 0, v[54:55]
	v_cndmask_b32_e64 v1, v1, 56, s0
	v_cmp_eq_u32_e64 s0, 0, v1
	s_and_b32 s0, vcc_lo, s0
	v_cmp_eq_f64_e32 vcc_lo, 0, v[56:57]
	v_cndmask_b32_e64 v1, v1, 57, s0
	v_cmp_eq_u32_e64 s0, 0, v1
	s_and_b32 s0, vcc_lo, s0
	v_cmp_eq_f64_e32 vcc_lo, 0, v[42:43]
	v_cndmask_b32_e64 v1, v1, 58, s0
	v_cmp_eq_u32_e64 s0, 0, v1
	s_and_b32 s0, vcc_lo, s0
	v_cndmask_b32_e64 v4, v1, 59, s0
	v_lshlrev_b64 v[1:2], 2, v[2:3]
	v_cmp_ne_u32_e64 s0, 0, v4
	s_waitcnt lgkmcnt(0)
	v_add_co_u32 v1, vcc_lo, s2, v1
	v_add_co_ci_u32_e64 v2, null, s3, v2, vcc_lo
	global_load_dword v3, v[1:2], off
	s_waitcnt vmcnt(0)
	v_cmp_eq_u32_e32 vcc_lo, 0, v3
	s_and_b32 s0, vcc_lo, s0
	s_and_b32 exec_lo, exec_lo, s0
	s_cbranch_execz .LBB117_297
; %bb.296:
	v_add_nc_u32_e32 v3, s9, v4
	global_store_dword v[1:2], v3, off
.LBB117_297:
	s_or_b32 exec_lo, exec_lo, s1
	s_clause 0x1
	buffer_load_dword v3, off, s[12:15], 0 offset:224
	buffer_load_dword v4, off, s[12:15], 0 offset:228
	v_mul_f64 v[1:2], v[42:43], v[238:239]
	v_cmp_lt_u32_e32 vcc_lo, 58, v0
	v_cndmask_b32_e32 v2, v239, v2, vcc_lo
	v_cndmask_b32_e32 v1, v238, v1, vcc_lo
	s_waitcnt vmcnt(0)
	flat_store_dwordx2 v[3:4], v[200:201]
	s_clause 0x1
	buffer_load_dword v3, off, s[12:15], 0 offset:200
	buffer_load_dword v4, off, s[12:15], 0 offset:204
	s_waitcnt vmcnt(0)
	flat_store_dwordx2 v[3:4], v[218:219]
	s_clause 0x1
	buffer_load_dword v3, off, s[12:15], 0
	buffer_load_dword v4, off, s[12:15], 0 offset:4
	s_waitcnt vmcnt(0)
	flat_store_dwordx2 v[3:4], v[236:237]
	s_clause 0x1
	buffer_load_dword v3, off, s[12:15], 0 offset:8
	buffer_load_dword v4, off, s[12:15], 0 offset:12
	s_waitcnt vmcnt(0)
	flat_store_dwordx2 v[3:4], v[216:217]
	s_clause 0x1
	buffer_load_dword v3, off, s[12:15], 0 offset:16
	buffer_load_dword v4, off, s[12:15], 0 offset:20
	s_waitcnt vmcnt(0)
	flat_store_dwordx2 v[3:4], v[234:235]
	s_clause 0x1
	buffer_load_dword v3, off, s[12:15], 0 offset:24
	buffer_load_dword v4, off, s[12:15], 0 offset:28
	s_waitcnt vmcnt(0)
	flat_store_dwordx2 v[3:4], v[214:215]
	s_clause 0x1
	buffer_load_dword v3, off, s[12:15], 0 offset:32
	buffer_load_dword v4, off, s[12:15], 0 offset:36
	s_waitcnt vmcnt(0)
	flat_store_dwordx2 v[3:4], v[232:233]
	s_clause 0x1
	buffer_load_dword v3, off, s[12:15], 0 offset:40
	buffer_load_dword v4, off, s[12:15], 0 offset:44
	s_waitcnt vmcnt(0)
	flat_store_dwordx2 v[3:4], v[212:213]
	s_clause 0x1
	buffer_load_dword v3, off, s[12:15], 0 offset:48
	buffer_load_dword v4, off, s[12:15], 0 offset:52
	s_waitcnt vmcnt(0)
	flat_store_dwordx2 v[3:4], v[230:231]
	s_clause 0x1
	buffer_load_dword v3, off, s[12:15], 0 offset:56
	buffer_load_dword v4, off, s[12:15], 0 offset:60
	s_waitcnt vmcnt(0)
	flat_store_dwordx2 v[3:4], v[210:211]
	s_clause 0x1
	buffer_load_dword v3, off, s[12:15], 0 offset:64
	buffer_load_dword v4, off, s[12:15], 0 offset:68
	s_waitcnt vmcnt(0)
	flat_store_dwordx2 v[3:4], v[228:229]
	s_clause 0x1
	buffer_load_dword v3, off, s[12:15], 0 offset:72
	buffer_load_dword v4, off, s[12:15], 0 offset:76
	s_waitcnt vmcnt(0)
	flat_store_dwordx2 v[3:4], v[208:209]
	s_clause 0x1
	buffer_load_dword v3, off, s[12:15], 0 offset:80
	buffer_load_dword v4, off, s[12:15], 0 offset:84
	s_waitcnt vmcnt(0)
	flat_store_dwordx2 v[3:4], v[226:227]
	s_clause 0x1
	buffer_load_dword v3, off, s[12:15], 0 offset:88
	buffer_load_dword v4, off, s[12:15], 0 offset:92
	s_waitcnt vmcnt(0)
	flat_store_dwordx2 v[3:4], v[206:207]
	s_clause 0x1
	buffer_load_dword v3, off, s[12:15], 0 offset:96
	buffer_load_dword v4, off, s[12:15], 0 offset:100
	s_waitcnt vmcnt(0)
	flat_store_dwordx2 v[3:4], v[224:225]
	s_clause 0x1
	buffer_load_dword v3, off, s[12:15], 0 offset:104
	buffer_load_dword v4, off, s[12:15], 0 offset:108
	s_waitcnt vmcnt(0)
	flat_store_dwordx2 v[3:4], v[204:205]
	s_clause 0x1
	buffer_load_dword v3, off, s[12:15], 0 offset:112
	buffer_load_dword v4, off, s[12:15], 0 offset:116
	s_waitcnt vmcnt(0)
	flat_store_dwordx2 v[3:4], v[222:223]
	s_clause 0x1
	buffer_load_dword v3, off, s[12:15], 0 offset:120
	buffer_load_dword v4, off, s[12:15], 0 offset:124
	s_waitcnt vmcnt(0)
	flat_store_dwordx2 v[3:4], v[202:203]
	s_clause 0x1
	buffer_load_dword v3, off, s[12:15], 0 offset:136
	buffer_load_dword v4, off, s[12:15], 0 offset:140
	s_waitcnt vmcnt(0)
	flat_store_dwordx2 v[3:4], v[220:221]
	s_clause 0x1
	buffer_load_dword v3, off, s[12:15], 0 offset:128
	buffer_load_dword v4, off, s[12:15], 0 offset:132
	s_waitcnt vmcnt(0)
	flat_store_dwordx2 v[3:4], v[160:161]
	s_clause 0x1
	buffer_load_dword v3, off, s[12:15], 0 offset:144
	buffer_load_dword v4, off, s[12:15], 0 offset:148
	s_waitcnt vmcnt(0)
	flat_store_dwordx2 v[3:4], v[198:199]
	s_clause 0x1
	buffer_load_dword v3, off, s[12:15], 0 offset:160
	buffer_load_dword v4, off, s[12:15], 0 offset:164
	s_waitcnt vmcnt(0)
	flat_store_dwordx2 v[3:4], v[158:159]
	s_clause 0x1
	buffer_load_dword v3, off, s[12:15], 0 offset:152
	buffer_load_dword v4, off, s[12:15], 0 offset:156
	s_waitcnt vmcnt(0)
	flat_store_dwordx2 v[3:4], v[196:197]
	s_clause 0x1
	buffer_load_dword v3, off, s[12:15], 0 offset:176
	buffer_load_dword v4, off, s[12:15], 0 offset:180
	s_waitcnt vmcnt(0)
	flat_store_dwordx2 v[3:4], v[156:157]
	s_clause 0x1
	buffer_load_dword v3, off, s[12:15], 0 offset:184
	buffer_load_dword v4, off, s[12:15], 0 offset:188
	s_waitcnt vmcnt(0)
	flat_store_dwordx2 v[3:4], v[194:195]
	s_clause 0x1
	buffer_load_dword v3, off, s[12:15], 0 offset:192
	buffer_load_dword v4, off, s[12:15], 0 offset:196
	s_waitcnt vmcnt(0)
	flat_store_dwordx2 v[3:4], v[154:155]
	s_clause 0x1
	buffer_load_dword v3, off, s[12:15], 0 offset:208
	buffer_load_dword v4, off, s[12:15], 0 offset:212
	s_waitcnt vmcnt(0)
	flat_store_dwordx2 v[3:4], v[192:193]
	s_clause 0x1
	buffer_load_dword v3, off, s[12:15], 0 offset:216
	buffer_load_dword v4, off, s[12:15], 0 offset:220
	s_waitcnt vmcnt(0)
	flat_store_dwordx2 v[3:4], v[152:153]
	s_clause 0x1
	buffer_load_dword v3, off, s[12:15], 0 offset:168
	buffer_load_dword v4, off, s[12:15], 0 offset:172
	s_waitcnt vmcnt(0)
	flat_store_dwordx2 v[3:4], v[190:191]
	s_clause 0x1
	buffer_load_dword v3, off, s[12:15], 0 offset:384
	buffer_load_dword v4, off, s[12:15], 0 offset:388
	s_waitcnt vmcnt(0)
	flat_store_dwordx2 v[3:4], v[150:151]
	s_clause 0x1
	buffer_load_dword v3, off, s[12:15], 0 offset:392
	buffer_load_dword v4, off, s[12:15], 0 offset:396
	s_waitcnt vmcnt(0)
	flat_store_dwordx2 v[3:4], v[188:189]
	s_clause 0x1
	buffer_load_dword v3, off, s[12:15], 0 offset:400
	buffer_load_dword v4, off, s[12:15], 0 offset:404
	s_waitcnt vmcnt(0)
	flat_store_dwordx2 v[3:4], v[148:149]
	s_clause 0x1
	buffer_load_dword v3, off, s[12:15], 0 offset:408
	buffer_load_dword v4, off, s[12:15], 0 offset:412
	s_waitcnt vmcnt(0)
	flat_store_dwordx2 v[3:4], v[186:187]
	s_clause 0x1
	buffer_load_dword v3, off, s[12:15], 0 offset:416
	buffer_load_dword v4, off, s[12:15], 0 offset:420
	s_waitcnt vmcnt(0)
	flat_store_dwordx2 v[3:4], v[146:147]
	s_clause 0x1
	buffer_load_dword v3, off, s[12:15], 0 offset:424
	buffer_load_dword v4, off, s[12:15], 0 offset:428
	s_waitcnt vmcnt(0)
	flat_store_dwordx2 v[3:4], v[184:185]
	s_clause 0x1
	buffer_load_dword v3, off, s[12:15], 0 offset:432
	buffer_load_dword v4, off, s[12:15], 0 offset:436
	s_waitcnt vmcnt(0)
	flat_store_dwordx2 v[3:4], v[144:145]
	s_clause 0x1
	buffer_load_dword v3, off, s[12:15], 0 offset:440
	buffer_load_dword v4, off, s[12:15], 0 offset:444
	s_waitcnt vmcnt(0)
	flat_store_dwordx2 v[3:4], v[182:183]
	flat_store_dwordx2 v[118:119], v[142:143]
	;; [unrolled: 1-line block ×23, first 2 shown]
.LBB117_298:
	s_endpgm
	.section	.rodata,"a",@progbits
	.p2align	6, 0x0
	.amdhsa_kernel _ZN9rocsolver6v33100L23getf2_npvt_small_kernelILi59EdiiPKPdEEvT1_T3_lS5_lPT2_S5_S5_
		.amdhsa_group_segment_fixed_size 0
		.amdhsa_private_segment_fixed_size 452
		.amdhsa_kernarg_size 312
		.amdhsa_user_sgpr_count 6
		.amdhsa_user_sgpr_private_segment_buffer 1
		.amdhsa_user_sgpr_dispatch_ptr 0
		.amdhsa_user_sgpr_queue_ptr 0
		.amdhsa_user_sgpr_kernarg_segment_ptr 1
		.amdhsa_user_sgpr_dispatch_id 0
		.amdhsa_user_sgpr_flat_scratch_init 0
		.amdhsa_user_sgpr_private_segment_size 0
		.amdhsa_wavefront_size32 1
		.amdhsa_uses_dynamic_stack 0
		.amdhsa_system_sgpr_private_segment_wavefront_offset 1
		.amdhsa_system_sgpr_workgroup_id_x 1
		.amdhsa_system_sgpr_workgroup_id_y 1
		.amdhsa_system_sgpr_workgroup_id_z 0
		.amdhsa_system_sgpr_workgroup_info 0
		.amdhsa_system_vgpr_workitem_id 1
		.amdhsa_next_free_vgpr 256
		.amdhsa_next_free_sgpr 16
		.amdhsa_reserve_vcc 1
		.amdhsa_reserve_flat_scratch 1
		.amdhsa_float_round_mode_32 0
		.amdhsa_float_round_mode_16_64 0
		.amdhsa_float_denorm_mode_32 3
		.amdhsa_float_denorm_mode_16_64 3
		.amdhsa_dx10_clamp 1
		.amdhsa_ieee_mode 1
		.amdhsa_fp16_overflow 0
		.amdhsa_workgroup_processor_mode 1
		.amdhsa_memory_ordered 1
		.amdhsa_forward_progress 1
		.amdhsa_shared_vgpr_count 0
		.amdhsa_exception_fp_ieee_invalid_op 0
		.amdhsa_exception_fp_denorm_src 0
		.amdhsa_exception_fp_ieee_div_zero 0
		.amdhsa_exception_fp_ieee_overflow 0
		.amdhsa_exception_fp_ieee_underflow 0
		.amdhsa_exception_fp_ieee_inexact 0
		.amdhsa_exception_int_div_zero 0
	.end_amdhsa_kernel
	.section	.text._ZN9rocsolver6v33100L23getf2_npvt_small_kernelILi59EdiiPKPdEEvT1_T3_lS5_lPT2_S5_S5_,"axG",@progbits,_ZN9rocsolver6v33100L23getf2_npvt_small_kernelILi59EdiiPKPdEEvT1_T3_lS5_lPT2_S5_S5_,comdat
.Lfunc_end117:
	.size	_ZN9rocsolver6v33100L23getf2_npvt_small_kernelILi59EdiiPKPdEEvT1_T3_lS5_lPT2_S5_S5_, .Lfunc_end117-_ZN9rocsolver6v33100L23getf2_npvt_small_kernelILi59EdiiPKPdEEvT1_T3_lS5_lPT2_S5_S5_
                                        ; -- End function
	.set _ZN9rocsolver6v33100L23getf2_npvt_small_kernelILi59EdiiPKPdEEvT1_T3_lS5_lPT2_S5_S5_.num_vgpr, 256
	.set _ZN9rocsolver6v33100L23getf2_npvt_small_kernelILi59EdiiPKPdEEvT1_T3_lS5_lPT2_S5_S5_.num_agpr, 0
	.set _ZN9rocsolver6v33100L23getf2_npvt_small_kernelILi59EdiiPKPdEEvT1_T3_lS5_lPT2_S5_S5_.numbered_sgpr, 16
	.set _ZN9rocsolver6v33100L23getf2_npvt_small_kernelILi59EdiiPKPdEEvT1_T3_lS5_lPT2_S5_S5_.num_named_barrier, 0
	.set _ZN9rocsolver6v33100L23getf2_npvt_small_kernelILi59EdiiPKPdEEvT1_T3_lS5_lPT2_S5_S5_.private_seg_size, 452
	.set _ZN9rocsolver6v33100L23getf2_npvt_small_kernelILi59EdiiPKPdEEvT1_T3_lS5_lPT2_S5_S5_.uses_vcc, 1
	.set _ZN9rocsolver6v33100L23getf2_npvt_small_kernelILi59EdiiPKPdEEvT1_T3_lS5_lPT2_S5_S5_.uses_flat_scratch, 1
	.set _ZN9rocsolver6v33100L23getf2_npvt_small_kernelILi59EdiiPKPdEEvT1_T3_lS5_lPT2_S5_S5_.has_dyn_sized_stack, 0
	.set _ZN9rocsolver6v33100L23getf2_npvt_small_kernelILi59EdiiPKPdEEvT1_T3_lS5_lPT2_S5_S5_.has_recursion, 0
	.set _ZN9rocsolver6v33100L23getf2_npvt_small_kernelILi59EdiiPKPdEEvT1_T3_lS5_lPT2_S5_S5_.has_indirect_call, 0
	.section	.AMDGPU.csdata,"",@progbits
; Kernel info:
; codeLenInByte = 57696
; TotalNumSgprs: 18
; NumVgprs: 256
; ScratchSize: 452
; MemoryBound: 0
; FloatMode: 240
; IeeeMode: 1
; LDSByteSize: 0 bytes/workgroup (compile time only)
; SGPRBlocks: 0
; VGPRBlocks: 31
; NumSGPRsForWavesPerEU: 18
; NumVGPRsForWavesPerEU: 256
; Occupancy: 4
; WaveLimiterHint : 1
; COMPUTE_PGM_RSRC2:SCRATCH_EN: 1
; COMPUTE_PGM_RSRC2:USER_SGPR: 6
; COMPUTE_PGM_RSRC2:TRAP_HANDLER: 0
; COMPUTE_PGM_RSRC2:TGID_X_EN: 1
; COMPUTE_PGM_RSRC2:TGID_Y_EN: 1
; COMPUTE_PGM_RSRC2:TGID_Z_EN: 0
; COMPUTE_PGM_RSRC2:TIDIG_COMP_CNT: 1
	.section	.text._ZN9rocsolver6v33100L18getf2_small_kernelILi60EdiiPKPdEEvT1_T3_lS5_lPS5_llPT2_S5_S5_S7_l,"axG",@progbits,_ZN9rocsolver6v33100L18getf2_small_kernelILi60EdiiPKPdEEvT1_T3_lS5_lPS5_llPT2_S5_S5_S7_l,comdat
	.globl	_ZN9rocsolver6v33100L18getf2_small_kernelILi60EdiiPKPdEEvT1_T3_lS5_lPS5_llPT2_S5_S5_S7_l ; -- Begin function _ZN9rocsolver6v33100L18getf2_small_kernelILi60EdiiPKPdEEvT1_T3_lS5_lPS5_llPT2_S5_S5_S7_l
	.p2align	8
	.type	_ZN9rocsolver6v33100L18getf2_small_kernelILi60EdiiPKPdEEvT1_T3_lS5_lPS5_llPT2_S5_S5_S7_l,@function
_ZN9rocsolver6v33100L18getf2_small_kernelILi60EdiiPKPdEEvT1_T3_lS5_lPS5_llPT2_S5_S5_S7_l: ; @_ZN9rocsolver6v33100L18getf2_small_kernelILi60EdiiPKPdEEvT1_T3_lS5_lPS5_llPT2_S5_S5_S7_l
; %bb.0:
	s_clause 0x1
	s_load_dword s0, s[4:5], 0x6c
	s_load_dwordx2 s[12:13], s[4:5], 0x48
	s_waitcnt lgkmcnt(0)
	s_lshr_b32 s0, s0, 16
	v_mad_u64_u32 v[2:3], null, s7, s0, v[1:2]
	s_mov_b32 s0, exec_lo
	v_cmpx_gt_i32_e64 s12, v2
	s_cbranch_execz .LBB118_1017
; %bb.1:
	s_clause 0x1
	s_load_dwordx4 s[0:3], s[4:5], 0x8
	s_load_dwordx4 s[8:11], s[4:5], 0x50
	v_ashrrev_i32_e32 v3, 31, v2
	v_lshlrev_b64 v[4:5], 3, v[2:3]
	s_waitcnt lgkmcnt(0)
	v_add_co_u32 v4, vcc_lo, s0, v4
	v_add_co_ci_u32_e64 v5, null, s1, v5, vcc_lo
	s_cmp_eq_u64 s[8:9], 0
	s_cselect_b32 s6, -1, 0
	global_load_dwordx2 v[6:7], v[4:5], off
	v_mov_b32_e32 v4, 0
	v_mov_b32_e32 v5, 0
	s_and_b32 vcc_lo, exec_lo, s6
	s_cbranch_vccnz .LBB118_3
; %bb.2:
	v_mul_lo_u32 v8, s11, v2
	v_mul_lo_u32 v9, s10, v3
	v_mad_u64_u32 v[4:5], null, s10, v2, 0
	v_add3_u32 v5, v5, v9, v8
	v_lshlrev_b64 v[4:5], 2, v[4:5]
	v_add_co_u32 v4, vcc_lo, s8, v4
	v_add_co_ci_u32_e64 v5, null, s9, v5, vcc_lo
.LBB118_3:
	s_clause 0x1
	s_load_dword s8, s[4:5], 0x18
	s_load_dword s7, s[4:5], 0x0
	s_lshl_b64 s[0:1], s[2:3], 3
	v_lshlrev_b32_e32 v184, 3, v0
	s_waitcnt vmcnt(0)
	v_add_co_u32 v130, vcc_lo, v6, s0
	v_add_co_ci_u32_e64 v131, null, s1, v7, vcc_lo
	s_waitcnt lgkmcnt(0)
	v_add3_u32 v8, s8, s8, v0
	s_ashr_i32 s9, s8, 31
	s_max_i32 s0, s7, 60
	s_lshl_b64 s[10:11], s[8:9], 3
	v_mul_lo_u32 v1, s0, v1
	v_add_nc_u32_e32 v10, s8, v8
	v_ashrrev_i32_e32 v9, 31, v8
	s_cmp_lt_i32 s7, 2
	v_ashrrev_i32_e32 v11, 31, v10
	v_add_nc_u32_e32 v12, s8, v10
	v_lshlrev_b64 v[8:9], 3, v[8:9]
	v_lshlrev_b64 v[6:7], 3, v[10:11]
	v_add_nc_u32_e32 v10, s8, v12
	v_ashrrev_i32_e32 v13, 31, v12
	v_add_co_u32 v8, vcc_lo, v130, v8
	v_add_co_ci_u32_e64 v9, null, v131, v9, vcc_lo
	v_add_nc_u32_e32 v14, s8, v10
	v_ashrrev_i32_e32 v11, 31, v10
	v_lshlrev_b64 v[12:13], 3, v[12:13]
	v_add_co_u32 v6, vcc_lo, v130, v6
	v_add_nc_u32_e32 v16, s8, v14
	v_ashrrev_i32_e32 v15, 31, v14
	v_lshlrev_b64 v[10:11], 3, v[10:11]
	v_add_co_ci_u32_e64 v7, null, v131, v7, vcc_lo
	v_add_nc_u32_e32 v18, s8, v16
	v_ashrrev_i32_e32 v17, 31, v16
	v_lshlrev_b64 v[14:15], 3, v[14:15]
	v_add_co_u32 v12, vcc_lo, v130, v12
	v_add_nc_u32_e32 v20, s8, v18
	v_ashrrev_i32_e32 v19, 31, v18
	v_lshlrev_b64 v[16:17], 3, v[16:17]
	v_add_co_ci_u32_e64 v13, null, v131, v13, vcc_lo
	v_add_nc_u32_e32 v22, s8, v20
	v_ashrrev_i32_e32 v21, 31, v20
	v_add_co_u32 v10, vcc_lo, v130, v10
	v_lshlrev_b64 v[18:19], 3, v[18:19]
	v_add_nc_u32_e32 v24, s8, v22
	v_ashrrev_i32_e32 v23, 31, v22
	v_add_co_ci_u32_e64 v11, null, v131, v11, vcc_lo
	v_add_co_u32 v14, vcc_lo, v130, v14
	v_add_nc_u32_e32 v26, s8, v24
	v_ashrrev_i32_e32 v25, 31, v24
	v_lshlrev_b64 v[20:21], 3, v[20:21]
	v_add_co_ci_u32_e64 v15, null, v131, v15, vcc_lo
	v_add_nc_u32_e32 v28, s8, v26
	v_ashrrev_i32_e32 v27, 31, v26
	v_add_co_u32 v16, vcc_lo, v130, v16
	v_lshlrev_b64 v[22:23], 3, v[22:23]
	v_add_nc_u32_e32 v30, s8, v28
	v_ashrrev_i32_e32 v29, 31, v28
	v_add_co_ci_u32_e64 v17, null, v131, v17, vcc_lo
	v_add_co_u32 v18, vcc_lo, v130, v18
	v_add_nc_u32_e32 v32, s8, v30
	v_lshlrev_b64 v[24:25], 3, v[24:25]
	v_ashrrev_i32_e32 v31, 31, v30
	v_add_co_ci_u32_e64 v19, null, v131, v19, vcc_lo
	v_add_nc_u32_e32 v34, s8, v32
	v_add_co_u32 v20, vcc_lo, v130, v20
	v_lshlrev_b64 v[26:27], 3, v[26:27]
	v_ashrrev_i32_e32 v33, 31, v32
	v_add_nc_u32_e32 v36, s8, v34
	v_add_co_ci_u32_e64 v21, null, v131, v21, vcc_lo
	v_add_co_u32 v22, vcc_lo, v130, v22
	v_add_nc_u32_e32 v38, s8, v36
	v_lshlrev_b64 v[28:29], 3, v[28:29]
	v_ashrrev_i32_e32 v35, 31, v34
	v_add_co_ci_u32_e64 v23, null, v131, v23, vcc_lo
	v_add_nc_u32_e32 v40, s8, v38
	v_add_co_u32 v24, vcc_lo, v130, v24
	v_lshlrev_b64 v[30:31], 3, v[30:31]
	v_ashrrev_i32_e32 v37, 31, v36
	v_add_nc_u32_e32 v42, s8, v40
	v_add_co_ci_u32_e64 v25, null, v131, v25, vcc_lo
	v_add_co_u32 v26, vcc_lo, v130, v26
	v_add_nc_u32_e32 v44, s8, v42
	v_lshlrev_b64 v[32:33], 3, v[32:33]
	v_ashrrev_i32_e32 v39, 31, v38
	v_add_co_ci_u32_e64 v27, null, v131, v27, vcc_lo
	v_add_nc_u32_e32 v46, s8, v44
	v_add_co_u32 v28, vcc_lo, v130, v28
	v_lshlrev_b64 v[34:35], 3, v[34:35]
	v_ashrrev_i32_e32 v41, 31, v40
	v_add_nc_u32_e32 v48, s8, v46
	v_add_co_ci_u32_e64 v29, null, v131, v29, vcc_lo
	v_add_co_u32 v30, vcc_lo, v130, v30
	v_add_nc_u32_e32 v50, s8, v48
	v_lshlrev_b64 v[36:37], 3, v[36:37]
	v_ashrrev_i32_e32 v43, 31, v42
	v_add_co_ci_u32_e64 v31, null, v131, v31, vcc_lo
	v_add_nc_u32_e32 v52, s8, v50
	v_add_co_u32 v32, vcc_lo, v130, v32
	v_lshlrev_b64 v[38:39], 3, v[38:39]
	v_ashrrev_i32_e32 v45, 31, v44
	v_add_nc_u32_e32 v54, s8, v52
	v_add_co_ci_u32_e64 v33, null, v131, v33, vcc_lo
	v_add_co_u32 v34, vcc_lo, v130, v34
	v_add_nc_u32_e32 v56, s8, v54
	v_lshlrev_b64 v[40:41], 3, v[40:41]
	v_ashrrev_i32_e32 v47, 31, v46
	v_add_co_ci_u32_e64 v35, null, v131, v35, vcc_lo
	v_add_nc_u32_e32 v58, s8, v56
	v_add_co_u32 v36, vcc_lo, v130, v36
	v_lshlrev_b64 v[42:43], 3, v[42:43]
	v_ashrrev_i32_e32 v49, 31, v48
	v_add_nc_u32_e32 v60, s8, v58
	v_add_co_ci_u32_e64 v37, null, v131, v37, vcc_lo
	v_add_co_u32 v38, vcc_lo, v130, v38
	v_lshlrev_b64 v[44:45], 3, v[44:45]
	v_ashrrev_i32_e32 v51, 31, v50
	v_add_co_ci_u32_e64 v39, null, v131, v39, vcc_lo
	v_add_co_u32 v40, vcc_lo, v130, v40
	v_lshlrev_b64 v[46:47], 3, v[46:47]
	v_ashrrev_i32_e32 v53, 31, v52
	v_add_nc_u32_e32 v62, s8, v60
	v_add_co_ci_u32_e64 v41, null, v131, v41, vcc_lo
	v_add_co_u32 v42, vcc_lo, v130, v42
	v_lshlrev_b64 v[48:49], 3, v[48:49]
	v_ashrrev_i32_e32 v55, 31, v54
	v_add_co_ci_u32_e64 v43, null, v131, v43, vcc_lo
	v_add_co_u32 v44, vcc_lo, v130, v44
	v_lshlrev_b64 v[50:51], 3, v[50:51]
	v_ashrrev_i32_e32 v57, 31, v56
	v_add_co_ci_u32_e64 v45, null, v131, v45, vcc_lo
	v_add_co_u32 v46, vcc_lo, v130, v46
	v_lshlrev_b64 v[52:53], 3, v[52:53]
	v_add_nc_u32_e32 v64, s8, v62
	v_ashrrev_i32_e32 v59, 31, v58
	v_add_co_ci_u32_e64 v47, null, v131, v47, vcc_lo
	v_add_co_u32 v48, vcc_lo, v130, v48
	v_lshlrev_b64 v[54:55], 3, v[54:55]
	v_ashrrev_i32_e32 v61, 31, v60
	v_add_co_ci_u32_e64 v49, null, v131, v49, vcc_lo
	v_add_co_u32 v50, vcc_lo, v130, v50
	v_lshlrev_b64 v[56:57], 3, v[56:57]
	v_ashrrev_i32_e32 v63, 31, v62
	v_add_nc_u32_e32 v66, s8, v64
	v_add_co_ci_u32_e64 v51, null, v131, v51, vcc_lo
	v_add_co_u32 v52, vcc_lo, v130, v52
	v_lshlrev_b64 v[58:59], 3, v[58:59]
	v_ashrrev_i32_e32 v65, 31, v64
	v_add_co_ci_u32_e64 v53, null, v131, v53, vcc_lo
	v_add_co_u32 v54, vcc_lo, v130, v54
	v_lshlrev_b64 v[60:61], 3, v[60:61]
	v_add_co_ci_u32_e64 v55, null, v131, v55, vcc_lo
	v_add_co_u32 v56, vcc_lo, v130, v56
	v_lshlrev_b64 v[62:63], 3, v[62:63]
	v_add_nc_u32_e32 v68, s8, v66
	v_add_co_ci_u32_e64 v57, null, v131, v57, vcc_lo
	v_add_co_u32 v58, vcc_lo, v130, v58
	v_lshlrev_b64 v[64:65], 3, v[64:65]
	v_ashrrev_i32_e32 v67, 31, v66
	v_add_co_ci_u32_e64 v59, null, v131, v59, vcc_lo
	v_add_co_u32 v60, vcc_lo, v130, v60
	v_ashrrev_i32_e32 v69, 31, v68
	v_add_nc_u32_e32 v70, s8, v68
	v_add_co_ci_u32_e64 v61, null, v131, v61, vcc_lo
	v_add_co_u32 v62, vcc_lo, v130, v62
	v_lshlrev_b64 v[66:67], 3, v[66:67]
	v_add_co_ci_u32_e64 v63, null, v131, v63, vcc_lo
	v_add_co_u32 v124, vcc_lo, v130, v64
	v_add_co_ci_u32_e64 v125, null, v131, v65, vcc_lo
	v_lshlrev_b64 v[64:65], 3, v[68:69]
	v_ashrrev_i32_e32 v71, 31, v70
	v_add_nc_u32_e32 v68, s8, v70
	v_add_co_u32 v126, vcc_lo, v130, v66
	v_add_co_ci_u32_e64 v127, null, v131, v67, vcc_lo
	v_lshlrev_b64 v[66:67], 3, v[70:71]
	v_ashrrev_i32_e32 v69, 31, v68
	v_add_nc_u32_e32 v70, s8, v68
	;; [unrolled: 5-line block ×23, first 2 shown]
	v_add_co_u32 v172, vcc_lo, v130, v66
	v_add_co_ci_u32_e64 v173, null, v131, v67, vcc_lo
	v_lshlrev_b64 v[66:67], 3, v[70:71]
	v_add_nc_u32_e32 v70, s8, v68
	v_ashrrev_i32_e32 v69, 31, v68
	v_add_co_u32 v174, vcc_lo, v130, v64
	v_add_co_ci_u32_e64 v175, null, v131, v65, vcc_lo
	v_ashrrev_i32_e32 v71, 31, v70
	v_lshlrev_b64 v[64:65], 3, v[68:69]
	v_add_co_u32 v176, vcc_lo, v130, v66
	v_add_co_ci_u32_e64 v177, null, v131, v67, vcc_lo
	v_lshlrev_b64 v[66:67], 3, v[70:71]
	v_add_nc_u32_e32 v68, s8, v70
	v_add_co_u32 v178, vcc_lo, v130, v64
	v_add_co_ci_u32_e64 v179, null, v131, v65, vcc_lo
	v_ashrrev_i32_e32 v69, 31, v68
	v_add_co_u32 v180, vcc_lo, v130, v66
	v_add_co_ci_u32_e64 v181, null, v131, v67, vcc_lo
	v_add_co_u32 v66, vcc_lo, v130, v184
	v_add_co_ci_u32_e64 v67, null, 0, v131, vcc_lo
	v_lshlrev_b64 v[64:65], 3, v[68:69]
	v_add_co_u32 v68, vcc_lo, v66, s10
	v_add_co_ci_u32_e64 v69, null, s11, v67, vcc_lo
	v_add_co_u32 v182, vcc_lo, v130, v64
	v_add_co_ci_u32_e64 v183, null, v131, v65, vcc_lo
	s_clause 0x3b
	flat_load_dwordx2 v[122:123], v[66:67]
	flat_load_dwordx2 v[118:119], v[68:69]
	;; [unrolled: 1-line block ×60, first 2 shown]
	v_lshl_add_u32 v132, v1, 3, 0
	v_lshlrev_b32_e32 v133, 3, v1
	v_mov_b32_e32 v128, 0
	v_add_nc_u32_e32 v126, v132, v184
	s_waitcnt vmcnt(59) lgkmcnt(59)
	ds_write_b64 v126, v[122:123]
	s_waitcnt vmcnt(0) lgkmcnt(0)
	s_barrier
	buffer_gl0_inv
	ds_read_b64 v[126:127], v132
	s_cbranch_scc1 .LBB118_6
; %bb.4:
	v_add3_u32 v1, v133, 0, 8
	v_mov_b32_e32 v128, 0
	s_mov_b32 s0, 1
.LBB118_5:                              ; =>This Inner Loop Header: Depth=1
	ds_read_b64 v[134:135], v1
	v_add_nc_u32_e32 v1, 8, v1
	s_waitcnt lgkmcnt(0)
	v_cmp_lt_f64_e64 vcc_lo, |v[126:127]|, |v[134:135]|
	v_cndmask_b32_e32 v127, v127, v135, vcc_lo
	v_cndmask_b32_e32 v126, v126, v134, vcc_lo
	v_cndmask_b32_e64 v128, v128, s0, vcc_lo
	s_add_i32 s0, s0, 1
	s_cmp_eq_u32 s7, s0
	s_cbranch_scc0 .LBB118_5
.LBB118_6:
	s_mov_b32 s0, exec_lo
                                        ; implicit-def: $vgpr135
	v_cmpx_ne_u32_e64 v0, v128
	s_xor_b32 s0, exec_lo, s0
	s_cbranch_execz .LBB118_12
; %bb.7:
	s_mov_b32 s1, exec_lo
	v_cmpx_eq_u32_e32 0, v0
	s_cbranch_execz .LBB118_11
; %bb.8:
	v_cmp_ne_u32_e32 vcc_lo, 0, v128
	s_xor_b32 s2, s6, -1
	s_and_b32 s3, s2, vcc_lo
	s_and_saveexec_b32 s2, s3
	s_cbranch_execz .LBB118_10
; %bb.9:
	v_ashrrev_i32_e32 v129, 31, v128
	v_lshlrev_b64 v[0:1], 2, v[128:129]
	v_add_co_u32 v0, vcc_lo, v4, v0
	v_add_co_ci_u32_e64 v1, null, v5, v1, vcc_lo
	s_clause 0x1
	global_load_dword v129, v[0:1], off
	global_load_dword v134, v[4:5], off
	s_waitcnt vmcnt(1)
	global_store_dword v[4:5], v129, off
	s_waitcnt vmcnt(0)
	global_store_dword v[0:1], v134, off
.LBB118_10:
	s_or_b32 exec_lo, exec_lo, s2
	v_mov_b32_e32 v0, v128
.LBB118_11:
	s_or_b32 exec_lo, exec_lo, s1
	v_mov_b32_e32 v135, v0
                                        ; implicit-def: $vgpr0
.LBB118_12:
	s_or_saveexec_b32 s0, s0
	v_mov_b32_e32 v134, v135
	s_xor_b32 exec_lo, exec_lo, s0
	s_cbranch_execz .LBB118_14
; %bb.13:
	v_mov_b32_e32 v135, 0
	v_mov_b32_e32 v134, v0
	ds_write2_b64 v132, v[118:119], v[120:121] offset0:1 offset1:2
	ds_write2_b64 v132, v[114:115], v[116:117] offset0:3 offset1:4
	;; [unrolled: 1-line block ×29, first 2 shown]
	ds_write_b64 v132, v[124:125] offset:472
.LBB118_14:
	s_or_b32 exec_lo, exec_lo, s0
	s_waitcnt lgkmcnt(0)
	v_cmp_eq_f64_e64 s0, 0, v[126:127]
	s_mov_b32 s1, exec_lo
	s_waitcnt_vscnt null, 0x0
	s_barrier
	buffer_gl0_inv
	v_cmpx_lt_i32_e32 0, v135
	s_cbranch_execz .LBB118_16
; %bb.15:
	v_div_scale_f64 v[0:1], null, v[126:127], v[126:127], 1.0
	v_div_scale_f64 v[138:139], vcc_lo, 1.0, v[126:127], 1.0
	v_rcp_f64_e32 v[128:129], v[0:1]
	v_fma_f64 v[136:137], -v[0:1], v[128:129], 1.0
	v_fma_f64 v[128:129], v[128:129], v[136:137], v[128:129]
	v_fma_f64 v[136:137], -v[0:1], v[128:129], 1.0
	v_fma_f64 v[128:129], v[128:129], v[136:137], v[128:129]
	v_mul_f64 v[136:137], v[138:139], v[128:129]
	v_fma_f64 v[0:1], -v[0:1], v[136:137], v[138:139]
	v_div_fmas_f64 v[0:1], v[0:1], v[128:129], v[136:137]
	v_div_fixup_f64 v[0:1], v[0:1], v[126:127], 1.0
	v_cndmask_b32_e64 v1, v1, v127, s0
	v_cndmask_b32_e64 v0, v0, v126, s0
	ds_read2_b64 v[126:129], v132 offset0:1 offset1:2
	ds_read2_b64 v[136:139], v132 offset0:3 offset1:4
	;; [unrolled: 1-line block ×16, first 2 shown]
	v_mul_f64 v[122:123], v[0:1], v[122:123]
	s_waitcnt lgkmcnt(15)
	v_fma_f64 v[118:119], -v[122:123], v[126:127], v[118:119]
	v_fma_f64 v[120:121], -v[122:123], v[128:129], v[120:121]
	s_waitcnt lgkmcnt(14)
	v_fma_f64 v[114:115], -v[122:123], v[136:137], v[114:115]
	v_fma_f64 v[116:117], -v[122:123], v[138:139], v[116:117]
	ds_read2_b64 v[126:129], v132 offset0:33 offset1:34
	ds_read2_b64 v[136:139], v132 offset0:35 offset1:36
	s_waitcnt lgkmcnt(15)
	v_fma_f64 v[112:113], -v[122:123], v[140:141], v[112:113]
	v_fma_f64 v[110:111], -v[122:123], v[142:143], v[110:111]
	s_waitcnt lgkmcnt(14)
	v_fma_f64 v[108:109], -v[122:123], v[144:145], v[108:109]
	v_fma_f64 v[106:107], -v[122:123], v[146:147], v[106:107]
	ds_read2_b64 v[140:143], v132 offset0:37 offset1:38
	ds_read2_b64 v[144:147], v132 offset0:39 offset1:40
	;; [unrolled: 8-line block ×6, first 2 shown]
	s_waitcnt lgkmcnt(15)
	v_fma_f64 v[72:73], -v[122:123], v[180:181], v[72:73]
	v_fma_f64 v[70:71], -v[122:123], v[182:183], v[70:71]
	ds_read2_b64 v[180:183], v132 offset0:57 offset1:58
	ds_read_b64 v[0:1], v132 offset:472
	s_waitcnt lgkmcnt(16)
	v_fma_f64 v[68:69], -v[122:123], v[184:185], v[68:69]
	v_fma_f64 v[66:67], -v[122:123], v[186:187], v[66:67]
	s_waitcnt lgkmcnt(15)
	v_fma_f64 v[64:65], -v[122:123], v[188:189], v[64:65]
	v_fma_f64 v[62:63], -v[122:123], v[190:191], v[62:63]
	s_waitcnt lgkmcnt(14)
	v_fma_f64 v[58:59], -v[122:123], v[192:193], v[58:59]
	v_fma_f64 v[60:61], -v[122:123], v[194:195], v[60:61]
	s_waitcnt lgkmcnt(13)
	v_fma_f64 v[54:55], -v[122:123], v[126:127], v[54:55]
	v_fma_f64 v[56:57], -v[122:123], v[128:129], v[56:57]
	s_waitcnt lgkmcnt(12)
	v_fma_f64 v[52:53], -v[122:123], v[136:137], v[52:53]
	v_fma_f64 v[50:51], -v[122:123], v[138:139], v[50:51]
	s_waitcnt lgkmcnt(11)
	v_fma_f64 v[48:49], -v[122:123], v[140:141], v[48:49]
	v_fma_f64 v[46:47], -v[122:123], v[142:143], v[46:47]
	s_waitcnt lgkmcnt(10)
	v_fma_f64 v[44:45], -v[122:123], v[144:145], v[44:45]
	v_fma_f64 v[42:43], -v[122:123], v[146:147], v[42:43]
	s_waitcnt lgkmcnt(9)
	v_fma_f64 v[38:39], -v[122:123], v[148:149], v[38:39]
	v_fma_f64 v[40:41], -v[122:123], v[150:151], v[40:41]
	s_waitcnt lgkmcnt(8)
	v_fma_f64 v[34:35], -v[122:123], v[152:153], v[34:35]
	v_fma_f64 v[36:37], -v[122:123], v[154:155], v[36:37]
	s_waitcnt lgkmcnt(7)
	v_fma_f64 v[32:33], -v[122:123], v[156:157], v[32:33]
	v_fma_f64 v[30:31], -v[122:123], v[158:159], v[30:31]
	s_waitcnt lgkmcnt(6)
	v_fma_f64 v[28:29], -v[122:123], v[160:161], v[28:29]
	v_fma_f64 v[26:27], -v[122:123], v[162:163], v[26:27]
	s_waitcnt lgkmcnt(5)
	v_fma_f64 v[24:25], -v[122:123], v[164:165], v[24:25]
	v_fma_f64 v[22:23], -v[122:123], v[166:167], v[22:23]
	s_waitcnt lgkmcnt(4)
	v_fma_f64 v[18:19], -v[122:123], v[168:169], v[18:19]
	v_fma_f64 v[20:21], -v[122:123], v[170:171], v[20:21]
	s_waitcnt lgkmcnt(3)
	v_fma_f64 v[16:17], -v[122:123], v[172:173], v[16:17]
	v_fma_f64 v[14:15], -v[122:123], v[174:175], v[14:15]
	s_waitcnt lgkmcnt(2)
	v_fma_f64 v[8:9], -v[122:123], v[176:177], v[8:9]
	v_fma_f64 v[12:13], -v[122:123], v[178:179], v[12:13]
	s_waitcnt lgkmcnt(1)
	v_fma_f64 v[6:7], -v[122:123], v[180:181], v[6:7]
	v_fma_f64 v[10:11], -v[122:123], v[182:183], v[10:11]
	s_waitcnt lgkmcnt(0)
	v_fma_f64 v[124:125], -v[122:123], v[0:1], v[124:125]
.LBB118_16:
	s_or_b32 exec_lo, exec_lo, s1
	v_lshl_add_u32 v0, v135, 3, v132
	s_barrier
	buffer_gl0_inv
	v_mov_b32_e32 v126, 1
	ds_write_b64 v0, v[118:119]
	s_waitcnt lgkmcnt(0)
	s_barrier
	buffer_gl0_inv
	ds_read_b64 v[0:1], v132 offset:8
	s_cmp_lt_i32 s7, 3
	s_cbranch_scc1 .LBB118_19
; %bb.17:
	v_add3_u32 v127, v133, 0, 16
	v_mov_b32_e32 v126, 1
	s_mov_b32 s1, 2
.LBB118_18:                             ; =>This Inner Loop Header: Depth=1
	ds_read_b64 v[128:129], v127
	v_add_nc_u32_e32 v127, 8, v127
	s_waitcnt lgkmcnt(0)
	v_cmp_lt_f64_e64 vcc_lo, |v[0:1]|, |v[128:129]|
	v_cndmask_b32_e32 v1, v1, v129, vcc_lo
	v_cndmask_b32_e32 v0, v0, v128, vcc_lo
	v_cndmask_b32_e64 v126, v126, s1, vcc_lo
	s_add_i32 s1, s1, 1
	s_cmp_lg_u32 s7, s1
	s_cbranch_scc1 .LBB118_18
.LBB118_19:
	s_mov_b32 s1, exec_lo
	v_cmpx_ne_u32_e64 v135, v126
	s_xor_b32 s1, exec_lo, s1
	s_cbranch_execz .LBB118_25
; %bb.20:
	s_mov_b32 s2, exec_lo
	v_cmpx_eq_u32_e32 1, v135
	s_cbranch_execz .LBB118_24
; %bb.21:
	v_cmp_ne_u32_e32 vcc_lo, 1, v126
	s_xor_b32 s3, s6, -1
	s_and_b32 s9, s3, vcc_lo
	s_and_saveexec_b32 s3, s9
	s_cbranch_execz .LBB118_23
; %bb.22:
	v_ashrrev_i32_e32 v127, 31, v126
	v_lshlrev_b64 v[127:128], 2, v[126:127]
	v_add_co_u32 v127, vcc_lo, v4, v127
	v_add_co_ci_u32_e64 v128, null, v5, v128, vcc_lo
	s_clause 0x1
	global_load_dword v129, v[127:128], off
	global_load_dword v134, v[4:5], off offset:4
	s_waitcnt vmcnt(1)
	global_store_dword v[4:5], v129, off offset:4
	s_waitcnt vmcnt(0)
	global_store_dword v[127:128], v134, off
.LBB118_23:
	s_or_b32 exec_lo, exec_lo, s3
	v_mov_b32_e32 v134, v126
	v_mov_b32_e32 v135, v126
.LBB118_24:
	s_or_b32 exec_lo, exec_lo, s2
.LBB118_25:
	s_andn2_saveexec_b32 s1, s1
	s_cbranch_execz .LBB118_27
; %bb.26:
	v_mov_b32_e32 v126, v120
	v_mov_b32_e32 v127, v121
	v_mov_b32_e32 v128, v114
	v_mov_b32_e32 v129, v115
	v_mov_b32_e32 v135, v116
	v_mov_b32_e32 v136, v117
	v_mov_b32_e32 v137, v112
	v_mov_b32_e32 v138, v113
	v_mov_b32_e32 v139, v110
	v_mov_b32_e32 v140, v111
	v_mov_b32_e32 v141, v108
	v_mov_b32_e32 v142, v109
	v_mov_b32_e32 v143, v106
	v_mov_b32_e32 v144, v107
	v_mov_b32_e32 v145, v104
	v_mov_b32_e32 v146, v105
	v_mov_b32_e32 v147, v102
	v_mov_b32_e32 v148, v103
	v_mov_b32_e32 v149, v98
	v_mov_b32_e32 v150, v99
	ds_write2_b64 v132, v[126:127], v[128:129] offset0:2 offset1:3
	ds_write2_b64 v132, v[135:136], v[137:138] offset0:4 offset1:5
	ds_write2_b64 v132, v[139:140], v[141:142] offset0:6 offset1:7
	ds_write2_b64 v132, v[143:144], v[145:146] offset0:8 offset1:9
	ds_write2_b64 v132, v[147:148], v[149:150] offset0:10 offset1:11
	v_mov_b32_e32 v126, v100
	v_mov_b32_e32 v127, v101
	v_mov_b32_e32 v128, v94
	v_mov_b32_e32 v129, v95
	v_mov_b32_e32 v135, v96
	v_mov_b32_e32 v136, v97
	v_mov_b32_e32 v137, v92
	v_mov_b32_e32 v138, v93
	v_mov_b32_e32 v139, v90
	v_mov_b32_e32 v140, v91
	v_mov_b32_e32 v141, v88
	v_mov_b32_e32 v142, v89
	v_mov_b32_e32 v143, v86
	v_mov_b32_e32 v144, v87
	v_mov_b32_e32 v145, v84
	v_mov_b32_e32 v146, v85
	v_mov_b32_e32 v147, v82
	v_mov_b32_e32 v148, v83
	v_mov_b32_e32 v149, v78
	v_mov_b32_e32 v150, v79
	ds_write2_b64 v132, v[126:127], v[128:129] offset0:12 offset1:13
	ds_write2_b64 v132, v[135:136], v[137:138] offset0:14 offset1:15
	ds_write2_b64 v132, v[139:140], v[141:142] offset0:16 offset1:17
	ds_write2_b64 v132, v[143:144], v[145:146] offset0:18 offset1:19
	ds_write2_b64 v132, v[147:148], v[149:150] offset0:20 offset1:21
	;; [unrolled: 25-line block ×5, first 2 shown]
	v_mov_b32_e32 v126, v20
	v_mov_b32_e32 v127, v21
	;; [unrolled: 1-line block ×15, first 2 shown]
	ds_write2_b64 v132, v[126:127], v[128:129] offset0:52 offset1:53
	ds_write2_b64 v132, v[136:137], v[138:139] offset0:54 offset1:55
	;; [unrolled: 1-line block ×4, first 2 shown]
.LBB118_27:
	s_or_b32 exec_lo, exec_lo, s1
	s_waitcnt lgkmcnt(0)
	v_cmp_neq_f64_e64 s1, 0, v[0:1]
	s_mov_b32 s2, exec_lo
	s_waitcnt_vscnt null, 0x0
	s_barrier
	buffer_gl0_inv
	v_cmpx_lt_i32_e32 1, v135
	s_cbranch_execz .LBB118_29
; %bb.28:
	v_div_scale_f64 v[126:127], null, v[0:1], v[0:1], 1.0
	v_div_scale_f64 v[138:139], vcc_lo, 1.0, v[0:1], 1.0
	v_rcp_f64_e32 v[128:129], v[126:127]
	v_fma_f64 v[136:137], -v[126:127], v[128:129], 1.0
	v_fma_f64 v[128:129], v[128:129], v[136:137], v[128:129]
	v_fma_f64 v[136:137], -v[126:127], v[128:129], 1.0
	v_fma_f64 v[128:129], v[128:129], v[136:137], v[128:129]
	v_mul_f64 v[136:137], v[138:139], v[128:129]
	v_fma_f64 v[126:127], -v[126:127], v[136:137], v[138:139]
	v_div_fmas_f64 v[126:127], v[126:127], v[128:129], v[136:137]
	v_div_fixup_f64 v[148:149], v[126:127], v[0:1], 1.0
	ds_read2_b64 v[126:129], v132 offset0:2 offset1:3
	ds_read2_b64 v[136:139], v132 offset0:4 offset1:5
	ds_read2_b64 v[140:143], v132 offset0:6 offset1:7
	ds_read2_b64 v[144:147], v132 offset0:8 offset1:9
	v_cndmask_b32_e64 v1, v1, v149, s1
	v_cndmask_b32_e64 v0, v0, v148, s1
	ds_read2_b64 v[148:151], v132 offset0:10 offset1:11
	ds_read2_b64 v[152:155], v132 offset0:12 offset1:13
	;; [unrolled: 1-line block ×25, first 2 shown]
	v_mul_f64 v[118:119], v[0:1], v[118:119]
	s_waitcnt lgkmcnt(28)
	v_fma_f64 v[120:121], -v[118:119], v[126:127], v[120:121]
	v_fma_f64 v[114:115], -v[118:119], v[128:129], v[114:115]
	s_waitcnt lgkmcnt(27)
	v_fma_f64 v[116:117], -v[118:119], v[136:137], v[116:117]
	v_fma_f64 v[112:113], -v[118:119], v[138:139], v[112:113]
	;; [unrolled: 3-line block ×29, first 2 shown]
.LBB118_29:
	s_or_b32 exec_lo, exec_lo, s2
	v_lshl_add_u32 v0, v135, 3, v132
	s_barrier
	buffer_gl0_inv
	v_mov_b32_e32 v126, 2
	ds_write_b64 v0, v[120:121]
	s_waitcnt lgkmcnt(0)
	s_barrier
	buffer_gl0_inv
	ds_read_b64 v[0:1], v132 offset:16
	s_cmp_lt_i32 s7, 4
	s_mov_b32 s2, 3
	s_cbranch_scc1 .LBB118_32
; %bb.30:
	v_add3_u32 v127, v133, 0, 24
	v_mov_b32_e32 v126, 2
.LBB118_31:                             ; =>This Inner Loop Header: Depth=1
	ds_read_b64 v[128:129], v127
	v_add_nc_u32_e32 v127, 8, v127
	s_waitcnt lgkmcnt(0)
	v_cmp_lt_f64_e64 vcc_lo, |v[0:1]|, |v[128:129]|
	v_cndmask_b32_e32 v1, v1, v129, vcc_lo
	v_cndmask_b32_e32 v0, v0, v128, vcc_lo
	v_cndmask_b32_e64 v126, v126, s2, vcc_lo
	s_add_i32 s2, s2, 1
	s_cmp_lg_u32 s7, s2
	s_cbranch_scc1 .LBB118_31
.LBB118_32:
	v_cndmask_b32_e64 v127, 2, 1, s0
	v_cndmask_b32_e64 v128, 0, 1, s0
	s_mov_b32 s0, exec_lo
	v_cndmask_b32_e64 v129, v127, v128, s1
	s_waitcnt lgkmcnt(0)
	v_cmpx_eq_f64_e32 0, v[0:1]
	s_xor_b32 s0, exec_lo, s0
; %bb.33:
	v_cmp_ne_u32_e32 vcc_lo, 0, v129
	v_cndmask_b32_e32 v129, 3, v129, vcc_lo
; %bb.34:
	s_andn2_saveexec_b32 s0, s0
	s_cbranch_execz .LBB118_36
; %bb.35:
	v_div_scale_f64 v[127:128], null, v[0:1], v[0:1], 1.0
	v_rcp_f64_e32 v[136:137], v[127:128]
	v_fma_f64 v[138:139], -v[127:128], v[136:137], 1.0
	v_fma_f64 v[136:137], v[136:137], v[138:139], v[136:137]
	v_fma_f64 v[138:139], -v[127:128], v[136:137], 1.0
	v_fma_f64 v[136:137], v[136:137], v[138:139], v[136:137]
	v_div_scale_f64 v[138:139], vcc_lo, 1.0, v[0:1], 1.0
	v_mul_f64 v[140:141], v[138:139], v[136:137]
	v_fma_f64 v[127:128], -v[127:128], v[140:141], v[138:139]
	v_div_fmas_f64 v[127:128], v[127:128], v[136:137], v[140:141]
	v_div_fixup_f64 v[0:1], v[127:128], v[0:1], 1.0
.LBB118_36:
	s_or_b32 exec_lo, exec_lo, s0
	s_mov_b32 s0, exec_lo
	v_cmpx_ne_u32_e64 v135, v126
	s_xor_b32 s0, exec_lo, s0
	s_cbranch_execz .LBB118_42
; %bb.37:
	s_mov_b32 s1, exec_lo
	v_cmpx_eq_u32_e32 2, v135
	s_cbranch_execz .LBB118_41
; %bb.38:
	v_cmp_ne_u32_e32 vcc_lo, 2, v126
	s_xor_b32 s2, s6, -1
	s_and_b32 s3, s2, vcc_lo
	s_and_saveexec_b32 s2, s3
	s_cbranch_execz .LBB118_40
; %bb.39:
	v_ashrrev_i32_e32 v127, 31, v126
	v_lshlrev_b64 v[127:128], 2, v[126:127]
	v_add_co_u32 v127, vcc_lo, v4, v127
	v_add_co_ci_u32_e64 v128, null, v5, v128, vcc_lo
	s_clause 0x1
	global_load_dword v134, v[127:128], off
	global_load_dword v135, v[4:5], off offset:8
	s_waitcnt vmcnt(1)
	global_store_dword v[4:5], v134, off offset:8
	s_waitcnt vmcnt(0)
	global_store_dword v[127:128], v135, off
.LBB118_40:
	s_or_b32 exec_lo, exec_lo, s2
	v_mov_b32_e32 v134, v126
	v_mov_b32_e32 v135, v126
.LBB118_41:
	s_or_b32 exec_lo, exec_lo, s1
.LBB118_42:
	s_andn2_saveexec_b32 s0, s0
	s_cbranch_execz .LBB118_44
; %bb.43:
	v_mov_b32_e32 v135, 2
	ds_write2_b64 v132, v[114:115], v[116:117] offset0:3 offset1:4
	ds_write2_b64 v132, v[112:113], v[110:111] offset0:5 offset1:6
	ds_write2_b64 v132, v[108:109], v[106:107] offset0:7 offset1:8
	ds_write2_b64 v132, v[104:105], v[102:103] offset0:9 offset1:10
	ds_write2_b64 v132, v[98:99], v[100:101] offset0:11 offset1:12
	ds_write2_b64 v132, v[94:95], v[96:97] offset0:13 offset1:14
	ds_write2_b64 v132, v[92:93], v[90:91] offset0:15 offset1:16
	ds_write2_b64 v132, v[88:89], v[86:87] offset0:17 offset1:18
	ds_write2_b64 v132, v[84:85], v[82:83] offset0:19 offset1:20
	ds_write2_b64 v132, v[78:79], v[80:81] offset0:21 offset1:22
	ds_write2_b64 v132, v[74:75], v[76:77] offset0:23 offset1:24
	ds_write2_b64 v132, v[72:73], v[70:71] offset0:25 offset1:26
	ds_write2_b64 v132, v[68:69], v[66:67] offset0:27 offset1:28
	ds_write2_b64 v132, v[64:65], v[62:63] offset0:29 offset1:30
	ds_write2_b64 v132, v[58:59], v[60:61] offset0:31 offset1:32
	ds_write2_b64 v132, v[54:55], v[56:57] offset0:33 offset1:34
	ds_write2_b64 v132, v[52:53], v[50:51] offset0:35 offset1:36
	ds_write2_b64 v132, v[48:49], v[46:47] offset0:37 offset1:38
	ds_write2_b64 v132, v[44:45], v[42:43] offset0:39 offset1:40
	ds_write2_b64 v132, v[38:39], v[40:41] offset0:41 offset1:42
	ds_write2_b64 v132, v[34:35], v[36:37] offset0:43 offset1:44
	ds_write2_b64 v132, v[32:33], v[30:31] offset0:45 offset1:46
	ds_write2_b64 v132, v[28:29], v[26:27] offset0:47 offset1:48
	ds_write2_b64 v132, v[24:25], v[22:23] offset0:49 offset1:50
	ds_write2_b64 v132, v[18:19], v[20:21] offset0:51 offset1:52
	ds_write2_b64 v132, v[16:17], v[14:15] offset0:53 offset1:54
	ds_write2_b64 v132, v[8:9], v[12:13] offset0:55 offset1:56
	ds_write2_b64 v132, v[6:7], v[10:11] offset0:57 offset1:58
	ds_write_b64 v132, v[124:125] offset:472
.LBB118_44:
	s_or_b32 exec_lo, exec_lo, s0
	s_mov_b32 s0, exec_lo
	s_waitcnt lgkmcnt(0)
	s_waitcnt_vscnt null, 0x0
	s_barrier
	buffer_gl0_inv
	v_cmpx_lt_i32_e32 2, v135
	s_cbranch_execz .LBB118_46
; %bb.45:
	v_mul_f64 v[120:121], v[0:1], v[120:121]
	ds_read2_b64 v[136:139], v132 offset0:3 offset1:4
	ds_read2_b64 v[140:143], v132 offset0:5 offset1:6
	;; [unrolled: 1-line block ×12, first 2 shown]
	s_waitcnt lgkmcnt(11)
	v_fma_f64 v[114:115], -v[120:121], v[136:137], v[114:115]
	v_fma_f64 v[116:117], -v[120:121], v[138:139], v[116:117]
	s_waitcnt lgkmcnt(10)
	v_fma_f64 v[112:113], -v[120:121], v[140:141], v[112:113]
	v_fma_f64 v[110:111], -v[120:121], v[142:143], v[110:111]
	;; [unrolled: 3-line block ×5, first 2 shown]
	ds_read2_b64 v[136:139], v132 offset0:27 offset1:28
	ds_read2_b64 v[140:143], v132 offset0:29 offset1:30
	s_waitcnt lgkmcnt(8)
	v_fma_f64 v[94:95], -v[120:121], v[156:157], v[94:95]
	v_fma_f64 v[96:97], -v[120:121], v[158:159], v[96:97]
	ds_read2_b64 v[144:147], v132 offset0:31 offset1:32
	ds_read2_b64 v[148:151], v132 offset0:33 offset1:34
	;; [unrolled: 1-line block ×4, first 2 shown]
	s_waitcnt lgkmcnt(11)
	v_fma_f64 v[92:93], -v[120:121], v[160:161], v[92:93]
	v_fma_f64 v[90:91], -v[120:121], v[162:163], v[90:91]
	s_waitcnt lgkmcnt(10)
	v_fma_f64 v[88:89], -v[120:121], v[164:165], v[88:89]
	v_fma_f64 v[86:87], -v[120:121], v[166:167], v[86:87]
	;; [unrolled: 3-line block ×7, first 2 shown]
	ds_read2_b64 v[136:139], v132 offset0:39 offset1:40
	ds_read2_b64 v[160:163], v132 offset0:41 offset1:42
	s_waitcnt lgkmcnt(6)
	v_fma_f64 v[64:65], -v[120:121], v[140:141], v[64:65]
	v_fma_f64 v[62:63], -v[120:121], v[142:143], v[62:63]
	ds_read2_b64 v[140:143], v132 offset0:43 offset1:44
	s_waitcnt lgkmcnt(6)
	v_fma_f64 v[58:59], -v[120:121], v[144:145], v[58:59]
	v_fma_f64 v[60:61], -v[120:121], v[146:147], v[60:61]
	ds_read2_b64 v[144:147], v132 offset0:45 offset1:46
	s_waitcnt lgkmcnt(6)
	v_fma_f64 v[54:55], -v[120:121], v[148:149], v[54:55]
	ds_read2_b64 v[164:167], v132 offset0:47 offset1:48
	v_fma_f64 v[56:57], -v[120:121], v[150:151], v[56:57]
	ds_read2_b64 v[148:151], v132 offset0:49 offset1:50
	s_waitcnt lgkmcnt(7)
	v_fma_f64 v[52:53], -v[120:121], v[152:153], v[52:53]
	ds_read2_b64 v[168:171], v132 offset0:51 offset1:52
	;; [unrolled: 5-line block ×3, first 2 shown]
	v_fma_f64 v[46:47], -v[120:121], v[158:159], v[46:47]
	ds_read2_b64 v[156:159], v132 offset0:57 offset1:58
	ds_read_b64 v[0:1], v132 offset:472
	s_waitcnt lgkmcnt(10)
	v_fma_f64 v[44:45], -v[120:121], v[136:137], v[44:45]
	v_fma_f64 v[42:43], -v[120:121], v[138:139], v[42:43]
	s_waitcnt lgkmcnt(9)
	v_fma_f64 v[38:39], -v[120:121], v[160:161], v[38:39]
	v_fma_f64 v[40:41], -v[120:121], v[162:163], v[40:41]
	;; [unrolled: 3-line block ×10, first 2 shown]
	s_waitcnt lgkmcnt(0)
	v_fma_f64 v[124:125], -v[120:121], v[0:1], v[124:125]
.LBB118_46:
	s_or_b32 exec_lo, exec_lo, s0
	v_lshl_add_u32 v0, v135, 3, v132
	s_barrier
	buffer_gl0_inv
	v_mov_b32_e32 v126, 3
	ds_write_b64 v0, v[114:115]
	s_waitcnt lgkmcnt(0)
	s_barrier
	buffer_gl0_inv
	ds_read_b64 v[0:1], v132 offset:24
	s_cmp_lt_i32 s7, 5
	s_cbranch_scc1 .LBB118_49
; %bb.47:
	v_mov_b32_e32 v126, 3
	v_add3_u32 v127, v133, 0, 32
	s_mov_b32 s0, 4
.LBB118_48:                             ; =>This Inner Loop Header: Depth=1
	ds_read_b64 v[136:137], v127
	v_add_nc_u32_e32 v127, 8, v127
	s_waitcnt lgkmcnt(0)
	v_cmp_lt_f64_e64 vcc_lo, |v[0:1]|, |v[136:137]|
	v_cndmask_b32_e32 v1, v1, v137, vcc_lo
	v_cndmask_b32_e32 v0, v0, v136, vcc_lo
	v_cndmask_b32_e64 v126, v126, s0, vcc_lo
	s_add_i32 s0, s0, 1
	s_cmp_lg_u32 s7, s0
	s_cbranch_scc1 .LBB118_48
.LBB118_49:
	s_mov_b32 s0, exec_lo
	s_waitcnt lgkmcnt(0)
	v_cmpx_eq_f64_e32 0, v[0:1]
	s_xor_b32 s0, exec_lo, s0
; %bb.50:
	v_cmp_ne_u32_e32 vcc_lo, 0, v129
	v_cndmask_b32_e32 v129, 4, v129, vcc_lo
; %bb.51:
	s_andn2_saveexec_b32 s0, s0
	s_cbranch_execz .LBB118_53
; %bb.52:
	v_div_scale_f64 v[127:128], null, v[0:1], v[0:1], 1.0
	v_rcp_f64_e32 v[136:137], v[127:128]
	v_fma_f64 v[138:139], -v[127:128], v[136:137], 1.0
	v_fma_f64 v[136:137], v[136:137], v[138:139], v[136:137]
	v_fma_f64 v[138:139], -v[127:128], v[136:137], 1.0
	v_fma_f64 v[136:137], v[136:137], v[138:139], v[136:137]
	v_div_scale_f64 v[138:139], vcc_lo, 1.0, v[0:1], 1.0
	v_mul_f64 v[140:141], v[138:139], v[136:137]
	v_fma_f64 v[127:128], -v[127:128], v[140:141], v[138:139]
	v_div_fmas_f64 v[127:128], v[127:128], v[136:137], v[140:141]
	v_div_fixup_f64 v[0:1], v[127:128], v[0:1], 1.0
.LBB118_53:
	s_or_b32 exec_lo, exec_lo, s0
	s_mov_b32 s0, exec_lo
	v_cmpx_ne_u32_e64 v135, v126
	s_xor_b32 s0, exec_lo, s0
	s_cbranch_execz .LBB118_59
; %bb.54:
	s_mov_b32 s1, exec_lo
	v_cmpx_eq_u32_e32 3, v135
	s_cbranch_execz .LBB118_58
; %bb.55:
	v_cmp_ne_u32_e32 vcc_lo, 3, v126
	s_xor_b32 s2, s6, -1
	s_and_b32 s3, s2, vcc_lo
	s_and_saveexec_b32 s2, s3
	s_cbranch_execz .LBB118_57
; %bb.56:
	v_ashrrev_i32_e32 v127, 31, v126
	v_lshlrev_b64 v[127:128], 2, v[126:127]
	v_add_co_u32 v127, vcc_lo, v4, v127
	v_add_co_ci_u32_e64 v128, null, v5, v128, vcc_lo
	s_clause 0x1
	global_load_dword v134, v[127:128], off
	global_load_dword v135, v[4:5], off offset:12
	s_waitcnt vmcnt(1)
	global_store_dword v[4:5], v134, off offset:12
	s_waitcnt vmcnt(0)
	global_store_dword v[127:128], v135, off
.LBB118_57:
	s_or_b32 exec_lo, exec_lo, s2
	v_mov_b32_e32 v134, v126
	v_mov_b32_e32 v135, v126
.LBB118_58:
	s_or_b32 exec_lo, exec_lo, s1
.LBB118_59:
	s_andn2_saveexec_b32 s0, s0
	s_cbranch_execz .LBB118_61
; %bb.60:
	v_mov_b32_e32 v126, v116
	v_mov_b32_e32 v127, v117
	;; [unrolled: 1-line block ×16, first 2 shown]
	ds_write2_b64 v132, v[126:127], v[135:136] offset0:4 offset1:5
	ds_write2_b64 v132, v[137:138], v[139:140] offset0:6 offset1:7
	ds_write2_b64 v132, v[141:142], v[143:144] offset0:8 offset1:9
	ds_write2_b64 v132, v[145:146], v[147:148] offset0:10 offset1:11
	v_mov_b32_e32 v126, v100
	v_mov_b32_e32 v127, v101
	v_mov_b32_e32 v135, v94
	v_mov_b32_e32 v136, v95
	v_mov_b32_e32 v137, v96
	v_mov_b32_e32 v138, v97
	v_mov_b32_e32 v139, v92
	v_mov_b32_e32 v140, v93
	v_mov_b32_e32 v141, v90
	v_mov_b32_e32 v142, v91
	v_mov_b32_e32 v143, v88
	v_mov_b32_e32 v144, v89
	v_mov_b32_e32 v145, v86
	v_mov_b32_e32 v146, v87
	v_mov_b32_e32 v147, v84
	v_mov_b32_e32 v148, v85
	v_mov_b32_e32 v149, v82
	v_mov_b32_e32 v150, v83
	v_mov_b32_e32 v151, v78
	v_mov_b32_e32 v152, v79
	ds_write2_b64 v132, v[126:127], v[135:136] offset0:12 offset1:13
	ds_write2_b64 v132, v[137:138], v[139:140] offset0:14 offset1:15
	ds_write2_b64 v132, v[141:142], v[143:144] offset0:16 offset1:17
	ds_write2_b64 v132, v[145:146], v[147:148] offset0:18 offset1:19
	ds_write2_b64 v132, v[149:150], v[151:152] offset0:20 offset1:21
	v_mov_b32_e32 v126, v80
	v_mov_b32_e32 v127, v81
	v_mov_b32_e32 v135, v74
	v_mov_b32_e32 v136, v75
	v_mov_b32_e32 v137, v76
	v_mov_b32_e32 v138, v77
	v_mov_b32_e32 v139, v72
	v_mov_b32_e32 v140, v73
	v_mov_b32_e32 v141, v70
	v_mov_b32_e32 v142, v71
	v_mov_b32_e32 v143, v68
	v_mov_b32_e32 v144, v69
	v_mov_b32_e32 v145, v66
	v_mov_b32_e32 v146, v67
	v_mov_b32_e32 v147, v64
	v_mov_b32_e32 v148, v65
	v_mov_b32_e32 v149, v62
	v_mov_b32_e32 v150, v63
	v_mov_b32_e32 v151, v58
	v_mov_b32_e32 v152, v59
	ds_write2_b64 v132, v[126:127], v[135:136] offset0:22 offset1:23
	;; [unrolled: 25-line block ×4, first 2 shown]
	ds_write2_b64 v132, v[137:138], v[139:140] offset0:44 offset1:45
	ds_write2_b64 v132, v[141:142], v[143:144] offset0:46 offset1:47
	;; [unrolled: 1-line block ×4, first 2 shown]
	v_mov_b32_e32 v126, v20
	v_mov_b32_e32 v127, v21
	;; [unrolled: 1-line block ×15, first 2 shown]
	ds_write2_b64 v132, v[126:127], v[136:137] offset0:52 offset1:53
	ds_write2_b64 v132, v[138:139], v[140:141] offset0:54 offset1:55
	ds_write2_b64 v132, v[142:143], v[144:145] offset0:56 offset1:57
	ds_write2_b64 v132, v[146:147], v[124:125] offset0:58 offset1:59
.LBB118_61:
	s_or_b32 exec_lo, exec_lo, s0
	s_mov_b32 s0, exec_lo
	s_waitcnt lgkmcnt(0)
	s_waitcnt_vscnt null, 0x0
	s_barrier
	buffer_gl0_inv
	v_cmpx_lt_i32_e32 3, v135
	s_cbranch_execz .LBB118_63
; %bb.62:
	v_mul_f64 v[114:115], v[0:1], v[114:115]
	ds_read2_b64 v[136:139], v132 offset0:4 offset1:5
	ds_read2_b64 v[140:143], v132 offset0:6 offset1:7
	;; [unrolled: 1-line block ×12, first 2 shown]
	s_waitcnt lgkmcnt(11)
	v_fma_f64 v[116:117], -v[114:115], v[136:137], v[116:117]
	v_fma_f64 v[112:113], -v[114:115], v[138:139], v[112:113]
	s_waitcnt lgkmcnt(10)
	v_fma_f64 v[110:111], -v[114:115], v[140:141], v[110:111]
	v_fma_f64 v[108:109], -v[114:115], v[142:143], v[108:109]
	s_waitcnt lgkmcnt(9)
	v_fma_f64 v[106:107], -v[114:115], v[144:145], v[106:107]
	v_fma_f64 v[104:105], -v[114:115], v[146:147], v[104:105]
	s_waitcnt lgkmcnt(8)
	v_fma_f64 v[102:103], -v[114:115], v[148:149], v[102:103]
	v_fma_f64 v[98:99], -v[114:115], v[150:151], v[98:99]
	s_waitcnt lgkmcnt(7)
	v_fma_f64 v[100:101], -v[114:115], v[152:153], v[100:101]
	v_fma_f64 v[94:95], -v[114:115], v[154:155], v[94:95]
	ds_read2_b64 v[136:139], v132 offset0:28 offset1:29
	ds_read2_b64 v[140:143], v132 offset0:30 offset1:31
	;; [unrolled: 1-line block ×5, first 2 shown]
	s_waitcnt lgkmcnt(11)
	v_fma_f64 v[96:97], -v[114:115], v[156:157], v[96:97]
	v_fma_f64 v[92:93], -v[114:115], v[158:159], v[92:93]
	s_waitcnt lgkmcnt(10)
	v_fma_f64 v[90:91], -v[114:115], v[160:161], v[90:91]
	v_fma_f64 v[88:89], -v[114:115], v[162:163], v[88:89]
	;; [unrolled: 3-line block ×6, first 2 shown]
	ds_read2_b64 v[156:159], v132 offset0:38 offset1:39
	ds_read2_b64 v[160:163], v132 offset0:42 offset1:43
	;; [unrolled: 1-line block ×3, first 2 shown]
	s_waitcnt lgkmcnt(7)
	v_fma_f64 v[66:67], -v[114:115], v[136:137], v[66:67]
	v_fma_f64 v[64:65], -v[114:115], v[138:139], v[64:65]
	ds_read2_b64 v[136:139], v132 offset0:40 offset1:41
	s_waitcnt lgkmcnt(7)
	v_fma_f64 v[62:63], -v[114:115], v[140:141], v[62:63]
	v_fma_f64 v[58:59], -v[114:115], v[142:143], v[58:59]
	ds_read2_b64 v[140:143], v132 offset0:44 offset1:45
	;; [unrolled: 4-line block ×3, first 2 shown]
	ds_read2_b64 v[168:171], v132 offset0:50 offset1:51
	s_waitcnt lgkmcnt(8)
	v_fma_f64 v[56:57], -v[114:115], v[148:149], v[56:57]
	v_fma_f64 v[52:53], -v[114:115], v[150:151], v[52:53]
	ds_read2_b64 v[148:151], v132 offset0:52 offset1:53
	ds_read2_b64 v[172:175], v132 offset0:54 offset1:55
	s_waitcnt lgkmcnt(9)
	v_fma_f64 v[50:51], -v[114:115], v[152:153], v[50:51]
	v_fma_f64 v[48:49], -v[114:115], v[154:155], v[48:49]
	ds_read2_b64 v[152:155], v132 offset0:56 offset1:57
	ds_read2_b64 v[176:179], v132 offset0:58 offset1:59
	v_fma_f64 v[70:71], -v[114:115], v[180:181], v[70:71]
	v_fma_f64 v[68:69], -v[114:115], v[182:183], v[68:69]
	s_waitcnt lgkmcnt(10)
	v_fma_f64 v[46:47], -v[114:115], v[156:157], v[46:47]
	v_fma_f64 v[44:45], -v[114:115], v[158:159], v[44:45]
	s_waitcnt lgkmcnt(7)
	v_fma_f64 v[42:43], -v[114:115], v[136:137], v[42:43]
	v_fma_f64 v[38:39], -v[114:115], v[138:139], v[38:39]
	v_fma_f64 v[40:41], -v[114:115], v[160:161], v[40:41]
	v_fma_f64 v[34:35], -v[114:115], v[162:163], v[34:35]
	s_waitcnt lgkmcnt(6)
	v_fma_f64 v[36:37], -v[114:115], v[140:141], v[36:37]
	v_fma_f64 v[32:33], -v[114:115], v[142:143], v[32:33]
	;; [unrolled: 5-line block ×3, first 2 shown]
	s_waitcnt lgkmcnt(4)
	v_fma_f64 v[22:23], -v[114:115], v[168:169], v[22:23]
	v_fma_f64 v[18:19], -v[114:115], v[170:171], v[18:19]
	s_waitcnt lgkmcnt(3)
	v_fma_f64 v[20:21], -v[114:115], v[148:149], v[20:21]
	v_fma_f64 v[16:17], -v[114:115], v[150:151], v[16:17]
	;; [unrolled: 3-line block ×5, first 2 shown]
.LBB118_63:
	s_or_b32 exec_lo, exec_lo, s0
	v_lshl_add_u32 v0, v135, 3, v132
	s_barrier
	buffer_gl0_inv
	v_mov_b32_e32 v126, 4
	ds_write_b64 v0, v[116:117]
	s_waitcnt lgkmcnt(0)
	s_barrier
	buffer_gl0_inv
	ds_read_b64 v[0:1], v132 offset:32
	s_cmp_lt_i32 s7, 6
	s_cbranch_scc1 .LBB118_66
; %bb.64:
	v_add3_u32 v127, v133, 0, 40
	v_mov_b32_e32 v126, 4
	s_mov_b32 s0, 5
.LBB118_65:                             ; =>This Inner Loop Header: Depth=1
	ds_read_b64 v[136:137], v127
	v_add_nc_u32_e32 v127, 8, v127
	s_waitcnt lgkmcnt(0)
	v_cmp_lt_f64_e64 vcc_lo, |v[0:1]|, |v[136:137]|
	v_cndmask_b32_e32 v1, v1, v137, vcc_lo
	v_cndmask_b32_e32 v0, v0, v136, vcc_lo
	v_cndmask_b32_e64 v126, v126, s0, vcc_lo
	s_add_i32 s0, s0, 1
	s_cmp_lg_u32 s7, s0
	s_cbranch_scc1 .LBB118_65
.LBB118_66:
	s_mov_b32 s0, exec_lo
	s_waitcnt lgkmcnt(0)
	v_cmpx_eq_f64_e32 0, v[0:1]
	s_xor_b32 s0, exec_lo, s0
; %bb.67:
	v_cmp_ne_u32_e32 vcc_lo, 0, v129
	v_cndmask_b32_e32 v129, 5, v129, vcc_lo
; %bb.68:
	s_andn2_saveexec_b32 s0, s0
	s_cbranch_execz .LBB118_70
; %bb.69:
	v_div_scale_f64 v[127:128], null, v[0:1], v[0:1], 1.0
	v_rcp_f64_e32 v[136:137], v[127:128]
	v_fma_f64 v[138:139], -v[127:128], v[136:137], 1.0
	v_fma_f64 v[136:137], v[136:137], v[138:139], v[136:137]
	v_fma_f64 v[138:139], -v[127:128], v[136:137], 1.0
	v_fma_f64 v[136:137], v[136:137], v[138:139], v[136:137]
	v_div_scale_f64 v[138:139], vcc_lo, 1.0, v[0:1], 1.0
	v_mul_f64 v[140:141], v[138:139], v[136:137]
	v_fma_f64 v[127:128], -v[127:128], v[140:141], v[138:139]
	v_div_fmas_f64 v[127:128], v[127:128], v[136:137], v[140:141]
	v_div_fixup_f64 v[0:1], v[127:128], v[0:1], 1.0
.LBB118_70:
	s_or_b32 exec_lo, exec_lo, s0
	s_mov_b32 s0, exec_lo
	v_cmpx_ne_u32_e64 v135, v126
	s_xor_b32 s0, exec_lo, s0
	s_cbranch_execz .LBB118_76
; %bb.71:
	s_mov_b32 s1, exec_lo
	v_cmpx_eq_u32_e32 4, v135
	s_cbranch_execz .LBB118_75
; %bb.72:
	v_cmp_ne_u32_e32 vcc_lo, 4, v126
	s_xor_b32 s2, s6, -1
	s_and_b32 s3, s2, vcc_lo
	s_and_saveexec_b32 s2, s3
	s_cbranch_execz .LBB118_74
; %bb.73:
	v_ashrrev_i32_e32 v127, 31, v126
	v_lshlrev_b64 v[127:128], 2, v[126:127]
	v_add_co_u32 v127, vcc_lo, v4, v127
	v_add_co_ci_u32_e64 v128, null, v5, v128, vcc_lo
	s_clause 0x1
	global_load_dword v134, v[127:128], off
	global_load_dword v135, v[4:5], off offset:16
	s_waitcnt vmcnt(1)
	global_store_dword v[4:5], v134, off offset:16
	s_waitcnt vmcnt(0)
	global_store_dword v[127:128], v135, off
.LBB118_74:
	s_or_b32 exec_lo, exec_lo, s2
	v_mov_b32_e32 v134, v126
	v_mov_b32_e32 v135, v126
.LBB118_75:
	s_or_b32 exec_lo, exec_lo, s1
.LBB118_76:
	s_andn2_saveexec_b32 s0, s0
	s_cbranch_execz .LBB118_78
; %bb.77:
	v_mov_b32_e32 v135, 4
	ds_write2_b64 v132, v[112:113], v[110:111] offset0:5 offset1:6
	ds_write2_b64 v132, v[108:109], v[106:107] offset0:7 offset1:8
	;; [unrolled: 1-line block ×27, first 2 shown]
	ds_write_b64 v132, v[124:125] offset:472
.LBB118_78:
	s_or_b32 exec_lo, exec_lo, s0
	s_mov_b32 s0, exec_lo
	s_waitcnt lgkmcnt(0)
	s_waitcnt_vscnt null, 0x0
	s_barrier
	buffer_gl0_inv
	v_cmpx_lt_i32_e32 4, v135
	s_cbranch_execz .LBB118_80
; %bb.79:
	v_mul_f64 v[116:117], v[0:1], v[116:117]
	ds_read2_b64 v[136:139], v132 offset0:5 offset1:6
	ds_read2_b64 v[140:143], v132 offset0:7 offset1:8
	;; [unrolled: 1-line block ×12, first 2 shown]
	ds_read_b64 v[0:1], v132 offset:472
	s_waitcnt lgkmcnt(12)
	v_fma_f64 v[112:113], -v[116:117], v[136:137], v[112:113]
	v_fma_f64 v[110:111], -v[116:117], v[138:139], v[110:111]
	s_waitcnt lgkmcnt(11)
	v_fma_f64 v[108:109], -v[116:117], v[140:141], v[108:109]
	v_fma_f64 v[106:107], -v[116:117], v[142:143], v[106:107]
	;; [unrolled: 3-line block ×5, first 2 shown]
	ds_read2_b64 v[136:139], v132 offset0:29 offset1:30
	ds_read2_b64 v[140:143], v132 offset0:31 offset1:32
	;; [unrolled: 1-line block ×5, first 2 shown]
	s_waitcnt lgkmcnt(12)
	v_fma_f64 v[92:93], -v[116:117], v[156:157], v[92:93]
	v_fma_f64 v[90:91], -v[116:117], v[158:159], v[90:91]
	s_waitcnt lgkmcnt(11)
	v_fma_f64 v[88:89], -v[116:117], v[160:161], v[88:89]
	v_fma_f64 v[86:87], -v[116:117], v[162:163], v[86:87]
	;; [unrolled: 3-line block ×5, first 2 shown]
	ds_read2_b64 v[156:159], v132 offset0:39 offset1:40
	ds_read2_b64 v[160:163], v132 offset0:43 offset1:44
	;; [unrolled: 1-line block ×5, first 2 shown]
	s_waitcnt lgkmcnt(9)
	v_fma_f64 v[64:65], -v[116:117], v[136:137], v[64:65]
	v_fma_f64 v[62:63], -v[116:117], v[138:139], v[62:63]
	ds_read2_b64 v[136:139], v132 offset0:41 offset1:42
	s_waitcnt lgkmcnt(9)
	v_fma_f64 v[58:59], -v[116:117], v[140:141], v[58:59]
	v_fma_f64 v[60:61], -v[116:117], v[142:143], v[60:61]
	ds_read2_b64 v[140:143], v132 offset0:45 offset1:46
	;; [unrolled: 4-line block ×5, first 2 shown]
	v_fma_f64 v[72:73], -v[116:117], v[176:177], v[72:73]
	v_fma_f64 v[70:71], -v[116:117], v[178:179], v[70:71]
	v_fma_f64 v[68:69], -v[116:117], v[180:181], v[68:69]
	v_fma_f64 v[66:67], -v[116:117], v[182:183], v[66:67]
	s_waitcnt lgkmcnt(9)
	v_fma_f64 v[44:45], -v[116:117], v[156:157], v[44:45]
	v_fma_f64 v[42:43], -v[116:117], v[158:159], v[42:43]
	s_waitcnt lgkmcnt(8)
	v_fma_f64 v[34:35], -v[116:117], v[160:161], v[34:35]
	s_waitcnt lgkmcnt(4)
	v_fma_f64 v[38:39], -v[116:117], v[136:137], v[38:39]
	v_fma_f64 v[40:41], -v[116:117], v[138:139], v[40:41]
	v_fma_f64 v[36:37], -v[116:117], v[162:163], v[36:37]
	s_waitcnt lgkmcnt(3)
	v_fma_f64 v[32:33], -v[116:117], v[140:141], v[32:33]
	v_fma_f64 v[30:31], -v[116:117], v[142:143], v[30:31]
	v_fma_f64 v[28:29], -v[116:117], v[164:165], v[28:29]
	v_fma_f64 v[26:27], -v[116:117], v[166:167], v[26:27]
	s_waitcnt lgkmcnt(2)
	v_fma_f64 v[24:25], -v[116:117], v[144:145], v[24:25]
	;; [unrolled: 5-line block ×4, first 2 shown]
	v_fma_f64 v[10:11], -v[116:117], v[154:155], v[10:11]
	v_fma_f64 v[124:125], -v[116:117], v[0:1], v[124:125]
.LBB118_80:
	s_or_b32 exec_lo, exec_lo, s0
	v_lshl_add_u32 v0, v135, 3, v132
	s_barrier
	buffer_gl0_inv
	v_mov_b32_e32 v126, 5
	ds_write_b64 v0, v[112:113]
	s_waitcnt lgkmcnt(0)
	s_barrier
	buffer_gl0_inv
	ds_read_b64 v[0:1], v132 offset:40
	s_cmp_lt_i32 s7, 7
	s_cbranch_scc1 .LBB118_83
; %bb.81:
	v_add3_u32 v127, v133, 0, 48
	v_mov_b32_e32 v126, 5
	s_mov_b32 s0, 6
.LBB118_82:                             ; =>This Inner Loop Header: Depth=1
	ds_read_b64 v[136:137], v127
	v_add_nc_u32_e32 v127, 8, v127
	s_waitcnt lgkmcnt(0)
	v_cmp_lt_f64_e64 vcc_lo, |v[0:1]|, |v[136:137]|
	v_cndmask_b32_e32 v1, v1, v137, vcc_lo
	v_cndmask_b32_e32 v0, v0, v136, vcc_lo
	v_cndmask_b32_e64 v126, v126, s0, vcc_lo
	s_add_i32 s0, s0, 1
	s_cmp_lg_u32 s7, s0
	s_cbranch_scc1 .LBB118_82
.LBB118_83:
	s_mov_b32 s0, exec_lo
	s_waitcnt lgkmcnt(0)
	v_cmpx_eq_f64_e32 0, v[0:1]
	s_xor_b32 s0, exec_lo, s0
; %bb.84:
	v_cmp_ne_u32_e32 vcc_lo, 0, v129
	v_cndmask_b32_e32 v129, 6, v129, vcc_lo
; %bb.85:
	s_andn2_saveexec_b32 s0, s0
	s_cbranch_execz .LBB118_87
; %bb.86:
	v_div_scale_f64 v[127:128], null, v[0:1], v[0:1], 1.0
	v_rcp_f64_e32 v[136:137], v[127:128]
	v_fma_f64 v[138:139], -v[127:128], v[136:137], 1.0
	v_fma_f64 v[136:137], v[136:137], v[138:139], v[136:137]
	v_fma_f64 v[138:139], -v[127:128], v[136:137], 1.0
	v_fma_f64 v[136:137], v[136:137], v[138:139], v[136:137]
	v_div_scale_f64 v[138:139], vcc_lo, 1.0, v[0:1], 1.0
	v_mul_f64 v[140:141], v[138:139], v[136:137]
	v_fma_f64 v[127:128], -v[127:128], v[140:141], v[138:139]
	v_div_fmas_f64 v[127:128], v[127:128], v[136:137], v[140:141]
	v_div_fixup_f64 v[0:1], v[127:128], v[0:1], 1.0
.LBB118_87:
	s_or_b32 exec_lo, exec_lo, s0
	s_mov_b32 s0, exec_lo
	v_cmpx_ne_u32_e64 v135, v126
	s_xor_b32 s0, exec_lo, s0
	s_cbranch_execz .LBB118_93
; %bb.88:
	s_mov_b32 s1, exec_lo
	v_cmpx_eq_u32_e32 5, v135
	s_cbranch_execz .LBB118_92
; %bb.89:
	v_cmp_ne_u32_e32 vcc_lo, 5, v126
	s_xor_b32 s2, s6, -1
	s_and_b32 s3, s2, vcc_lo
	s_and_saveexec_b32 s2, s3
	s_cbranch_execz .LBB118_91
; %bb.90:
	v_ashrrev_i32_e32 v127, 31, v126
	v_lshlrev_b64 v[127:128], 2, v[126:127]
	v_add_co_u32 v127, vcc_lo, v4, v127
	v_add_co_ci_u32_e64 v128, null, v5, v128, vcc_lo
	s_clause 0x1
	global_load_dword v134, v[127:128], off
	global_load_dword v135, v[4:5], off offset:20
	s_waitcnt vmcnt(1)
	global_store_dword v[4:5], v134, off offset:20
	s_waitcnt vmcnt(0)
	global_store_dword v[127:128], v135, off
.LBB118_91:
	s_or_b32 exec_lo, exec_lo, s2
	v_mov_b32_e32 v134, v126
	v_mov_b32_e32 v135, v126
.LBB118_92:
	s_or_b32 exec_lo, exec_lo, s1
.LBB118_93:
	s_andn2_saveexec_b32 s0, s0
	s_cbranch_execz .LBB118_95
; %bb.94:
	v_mov_b32_e32 v126, v110
	v_mov_b32_e32 v127, v111
	;; [unrolled: 1-line block ×12, first 2 shown]
	ds_write2_b64 v132, v[126:127], v[135:136] offset0:6 offset1:7
	ds_write2_b64 v132, v[137:138], v[139:140] offset0:8 offset1:9
	ds_write2_b64 v132, v[141:142], v[143:144] offset0:10 offset1:11
	v_mov_b32_e32 v126, v100
	v_mov_b32_e32 v127, v101
	v_mov_b32_e32 v135, v94
	v_mov_b32_e32 v136, v95
	v_mov_b32_e32 v137, v96
	v_mov_b32_e32 v138, v97
	v_mov_b32_e32 v139, v92
	v_mov_b32_e32 v140, v93
	v_mov_b32_e32 v141, v90
	v_mov_b32_e32 v142, v91
	v_mov_b32_e32 v143, v88
	v_mov_b32_e32 v144, v89
	v_mov_b32_e32 v145, v86
	v_mov_b32_e32 v146, v87
	v_mov_b32_e32 v147, v84
	v_mov_b32_e32 v148, v85
	v_mov_b32_e32 v149, v82
	v_mov_b32_e32 v150, v83
	v_mov_b32_e32 v151, v78
	v_mov_b32_e32 v152, v79
	ds_write2_b64 v132, v[126:127], v[135:136] offset0:12 offset1:13
	ds_write2_b64 v132, v[137:138], v[139:140] offset0:14 offset1:15
	ds_write2_b64 v132, v[141:142], v[143:144] offset0:16 offset1:17
	ds_write2_b64 v132, v[145:146], v[147:148] offset0:18 offset1:19
	ds_write2_b64 v132, v[149:150], v[151:152] offset0:20 offset1:21
	v_mov_b32_e32 v126, v80
	v_mov_b32_e32 v127, v81
	v_mov_b32_e32 v135, v74
	v_mov_b32_e32 v136, v75
	v_mov_b32_e32 v137, v76
	v_mov_b32_e32 v138, v77
	v_mov_b32_e32 v139, v72
	v_mov_b32_e32 v140, v73
	v_mov_b32_e32 v141, v70
	v_mov_b32_e32 v142, v71
	v_mov_b32_e32 v143, v68
	v_mov_b32_e32 v144, v69
	v_mov_b32_e32 v145, v66
	v_mov_b32_e32 v146, v67
	v_mov_b32_e32 v147, v64
	v_mov_b32_e32 v148, v65
	v_mov_b32_e32 v149, v62
	v_mov_b32_e32 v150, v63
	v_mov_b32_e32 v151, v58
	v_mov_b32_e32 v152, v59
	ds_write2_b64 v132, v[126:127], v[135:136] offset0:22 offset1:23
	ds_write2_b64 v132, v[137:138], v[139:140] offset0:24 offset1:25
	;; [unrolled: 25-line block ×4, first 2 shown]
	ds_write2_b64 v132, v[141:142], v[143:144] offset0:46 offset1:47
	ds_write2_b64 v132, v[145:146], v[147:148] offset0:48 offset1:49
	ds_write2_b64 v132, v[149:150], v[151:152] offset0:50 offset1:51
	v_mov_b32_e32 v126, v20
	v_mov_b32_e32 v127, v21
	v_mov_b32_e32 v136, v16
	v_mov_b32_e32 v137, v17
	v_mov_b32_e32 v135, 5
	v_mov_b32_e32 v138, v14
	v_mov_b32_e32 v139, v15
	v_mov_b32_e32 v140, v8
	v_mov_b32_e32 v141, v9
	v_mov_b32_e32 v142, v12
	v_mov_b32_e32 v143, v13
	v_mov_b32_e32 v144, v6
	v_mov_b32_e32 v145, v7
	v_mov_b32_e32 v146, v10
	v_mov_b32_e32 v147, v11
	ds_write2_b64 v132, v[126:127], v[136:137] offset0:52 offset1:53
	ds_write2_b64 v132, v[138:139], v[140:141] offset0:54 offset1:55
	;; [unrolled: 1-line block ×4, first 2 shown]
.LBB118_95:
	s_or_b32 exec_lo, exec_lo, s0
	s_mov_b32 s0, exec_lo
	s_waitcnt lgkmcnt(0)
	s_waitcnt_vscnt null, 0x0
	s_barrier
	buffer_gl0_inv
	v_cmpx_lt_i32_e32 5, v135
	s_cbranch_execz .LBB118_97
; %bb.96:
	v_mul_f64 v[112:113], v[0:1], v[112:113]
	ds_read2_b64 v[136:139], v132 offset0:6 offset1:7
	ds_read2_b64 v[140:143], v132 offset0:8 offset1:9
	;; [unrolled: 1-line block ×12, first 2 shown]
	s_waitcnt lgkmcnt(11)
	v_fma_f64 v[110:111], -v[112:113], v[136:137], v[110:111]
	v_fma_f64 v[108:109], -v[112:113], v[138:139], v[108:109]
	s_waitcnt lgkmcnt(10)
	v_fma_f64 v[106:107], -v[112:113], v[140:141], v[106:107]
	v_fma_f64 v[104:105], -v[112:113], v[142:143], v[104:105]
	;; [unrolled: 3-line block ×4, first 2 shown]
	ds_read2_b64 v[136:139], v132 offset0:30 offset1:31
	ds_read2_b64 v[140:143], v132 offset0:32 offset1:33
	;; [unrolled: 1-line block ×4, first 2 shown]
	s_waitcnt lgkmcnt(11)
	v_fma_f64 v[96:97], -v[112:113], v[152:153], v[96:97]
	v_fma_f64 v[92:93], -v[112:113], v[154:155], v[92:93]
	s_waitcnt lgkmcnt(10)
	v_fma_f64 v[90:91], -v[112:113], v[156:157], v[90:91]
	v_fma_f64 v[88:89], -v[112:113], v[158:159], v[88:89]
	;; [unrolled: 3-line block ×7, first 2 shown]
	ds_read2_b64 v[152:155], v132 offset0:38 offset1:39
	ds_read2_b64 v[156:159], v132 offset0:40 offset1:41
	s_waitcnt lgkmcnt(5)
	v_fma_f64 v[62:63], -v[112:113], v[136:137], v[62:63]
	ds_read2_b64 v[160:163], v132 offset0:42 offset1:43
	v_fma_f64 v[58:59], -v[112:113], v[138:139], v[58:59]
	ds_read2_b64 v[136:139], v132 offset0:44 offset1:45
	s_waitcnt lgkmcnt(6)
	v_fma_f64 v[60:61], -v[112:113], v[140:141], v[60:61]
	ds_read2_b64 v[164:167], v132 offset0:46 offset1:47
	v_fma_f64 v[54:55], -v[112:113], v[142:143], v[54:55]
	;; [unrolled: 5-line block ×4, first 2 shown]
	ds_read2_b64 v[148:151], v132 offset0:56 offset1:57
	ds_read2_b64 v[176:179], v132 offset0:58 offset1:59
	v_fma_f64 v[66:67], -v[112:113], v[180:181], v[66:67]
	v_fma_f64 v[64:65], -v[112:113], v[182:183], v[64:65]
	s_waitcnt lgkmcnt(10)
	v_fma_f64 v[46:47], -v[112:113], v[152:153], v[46:47]
	v_fma_f64 v[44:45], -v[112:113], v[154:155], v[44:45]
	s_waitcnt lgkmcnt(9)
	;; [unrolled: 3-line block ×11, first 2 shown]
	v_fma_f64 v[10:11], -v[112:113], v[176:177], v[10:11]
	v_fma_f64 v[124:125], -v[112:113], v[178:179], v[124:125]
.LBB118_97:
	s_or_b32 exec_lo, exec_lo, s0
	v_lshl_add_u32 v0, v135, 3, v132
	s_barrier
	buffer_gl0_inv
	v_mov_b32_e32 v126, 6
	ds_write_b64 v0, v[110:111]
	s_waitcnt lgkmcnt(0)
	s_barrier
	buffer_gl0_inv
	ds_read_b64 v[0:1], v132 offset:48
	s_cmp_lt_i32 s7, 8
	s_cbranch_scc1 .LBB118_100
; %bb.98:
	v_add3_u32 v127, v133, 0, 56
	v_mov_b32_e32 v126, 6
	s_mov_b32 s0, 7
.LBB118_99:                             ; =>This Inner Loop Header: Depth=1
	ds_read_b64 v[136:137], v127
	v_add_nc_u32_e32 v127, 8, v127
	s_waitcnt lgkmcnt(0)
	v_cmp_lt_f64_e64 vcc_lo, |v[0:1]|, |v[136:137]|
	v_cndmask_b32_e32 v1, v1, v137, vcc_lo
	v_cndmask_b32_e32 v0, v0, v136, vcc_lo
	v_cndmask_b32_e64 v126, v126, s0, vcc_lo
	s_add_i32 s0, s0, 1
	s_cmp_lg_u32 s7, s0
	s_cbranch_scc1 .LBB118_99
.LBB118_100:
	s_mov_b32 s0, exec_lo
	s_waitcnt lgkmcnt(0)
	v_cmpx_eq_f64_e32 0, v[0:1]
	s_xor_b32 s0, exec_lo, s0
; %bb.101:
	v_cmp_ne_u32_e32 vcc_lo, 0, v129
	v_cndmask_b32_e32 v129, 7, v129, vcc_lo
; %bb.102:
	s_andn2_saveexec_b32 s0, s0
	s_cbranch_execz .LBB118_104
; %bb.103:
	v_div_scale_f64 v[127:128], null, v[0:1], v[0:1], 1.0
	v_rcp_f64_e32 v[136:137], v[127:128]
	v_fma_f64 v[138:139], -v[127:128], v[136:137], 1.0
	v_fma_f64 v[136:137], v[136:137], v[138:139], v[136:137]
	v_fma_f64 v[138:139], -v[127:128], v[136:137], 1.0
	v_fma_f64 v[136:137], v[136:137], v[138:139], v[136:137]
	v_div_scale_f64 v[138:139], vcc_lo, 1.0, v[0:1], 1.0
	v_mul_f64 v[140:141], v[138:139], v[136:137]
	v_fma_f64 v[127:128], -v[127:128], v[140:141], v[138:139]
	v_div_fmas_f64 v[127:128], v[127:128], v[136:137], v[140:141]
	v_div_fixup_f64 v[0:1], v[127:128], v[0:1], 1.0
.LBB118_104:
	s_or_b32 exec_lo, exec_lo, s0
	s_mov_b32 s0, exec_lo
	v_cmpx_ne_u32_e64 v135, v126
	s_xor_b32 s0, exec_lo, s0
	s_cbranch_execz .LBB118_110
; %bb.105:
	s_mov_b32 s1, exec_lo
	v_cmpx_eq_u32_e32 6, v135
	s_cbranch_execz .LBB118_109
; %bb.106:
	v_cmp_ne_u32_e32 vcc_lo, 6, v126
	s_xor_b32 s2, s6, -1
	s_and_b32 s3, s2, vcc_lo
	s_and_saveexec_b32 s2, s3
	s_cbranch_execz .LBB118_108
; %bb.107:
	v_ashrrev_i32_e32 v127, 31, v126
	v_lshlrev_b64 v[127:128], 2, v[126:127]
	v_add_co_u32 v127, vcc_lo, v4, v127
	v_add_co_ci_u32_e64 v128, null, v5, v128, vcc_lo
	s_clause 0x1
	global_load_dword v134, v[127:128], off
	global_load_dword v135, v[4:5], off offset:24
	s_waitcnt vmcnt(1)
	global_store_dword v[4:5], v134, off offset:24
	s_waitcnt vmcnt(0)
	global_store_dword v[127:128], v135, off
.LBB118_108:
	s_or_b32 exec_lo, exec_lo, s2
	v_mov_b32_e32 v134, v126
	v_mov_b32_e32 v135, v126
.LBB118_109:
	s_or_b32 exec_lo, exec_lo, s1
.LBB118_110:
	s_andn2_saveexec_b32 s0, s0
	s_cbranch_execz .LBB118_112
; %bb.111:
	v_mov_b32_e32 v135, 6
	ds_write2_b64 v132, v[108:109], v[106:107] offset0:7 offset1:8
	ds_write2_b64 v132, v[104:105], v[102:103] offset0:9 offset1:10
	;; [unrolled: 1-line block ×26, first 2 shown]
	ds_write_b64 v132, v[124:125] offset:472
.LBB118_112:
	s_or_b32 exec_lo, exec_lo, s0
	s_mov_b32 s0, exec_lo
	s_waitcnt lgkmcnt(0)
	s_waitcnt_vscnt null, 0x0
	s_barrier
	buffer_gl0_inv
	v_cmpx_lt_i32_e32 6, v135
	s_cbranch_execz .LBB118_114
; %bb.113:
	v_mul_f64 v[110:111], v[0:1], v[110:111]
	ds_read2_b64 v[136:139], v132 offset0:7 offset1:8
	ds_read2_b64 v[140:143], v132 offset0:9 offset1:10
	;; [unrolled: 1-line block ×12, first 2 shown]
	ds_read_b64 v[0:1], v132 offset:472
	s_waitcnt lgkmcnt(12)
	v_fma_f64 v[108:109], -v[110:111], v[136:137], v[108:109]
	v_fma_f64 v[106:107], -v[110:111], v[138:139], v[106:107]
	s_waitcnt lgkmcnt(11)
	v_fma_f64 v[104:105], -v[110:111], v[140:141], v[104:105]
	v_fma_f64 v[102:103], -v[110:111], v[142:143], v[102:103]
	;; [unrolled: 3-line block ×4, first 2 shown]
	ds_read2_b64 v[136:139], v132 offset0:31 offset1:32
	ds_read2_b64 v[140:143], v132 offset0:33 offset1:34
	;; [unrolled: 1-line block ×4, first 2 shown]
	s_waitcnt lgkmcnt(12)
	v_fma_f64 v[92:93], -v[110:111], v[152:153], v[92:93]
	v_fma_f64 v[90:91], -v[110:111], v[154:155], v[90:91]
	s_waitcnt lgkmcnt(11)
	v_fma_f64 v[88:89], -v[110:111], v[156:157], v[88:89]
	v_fma_f64 v[86:87], -v[110:111], v[158:159], v[86:87]
	;; [unrolled: 3-line block ×6, first 2 shown]
	ds_read2_b64 v[152:155], v132 offset0:39 offset1:40
	ds_read2_b64 v[156:159], v132 offset0:41 offset1:42
	ds_read2_b64 v[160:163], v132 offset0:43 offset1:44
	ds_read2_b64 v[164:167], v132 offset0:47 offset1:48
	s_waitcnt lgkmcnt(7)
	v_fma_f64 v[58:59], -v[110:111], v[136:137], v[58:59]
	v_fma_f64 v[60:61], -v[110:111], v[138:139], v[60:61]
	ds_read2_b64 v[136:139], v132 offset0:45 offset1:46
	s_waitcnt lgkmcnt(7)
	v_fma_f64 v[54:55], -v[110:111], v[140:141], v[54:55]
	v_fma_f64 v[56:57], -v[110:111], v[142:143], v[56:57]
	ds_read2_b64 v[140:143], v132 offset0:49 offset1:50
	s_waitcnt lgkmcnt(7)
	v_fma_f64 v[52:53], -v[110:111], v[144:145], v[52:53]
	ds_read2_b64 v[168:171], v132 offset0:51 offset1:52
	v_fma_f64 v[50:51], -v[110:111], v[146:147], v[50:51]
	ds_read2_b64 v[144:147], v132 offset0:53 offset1:54
	s_waitcnt lgkmcnt(8)
	v_fma_f64 v[48:49], -v[110:111], v[148:149], v[48:49]
	ds_read2_b64 v[172:175], v132 offset0:55 offset1:56
	v_fma_f64 v[46:47], -v[110:111], v[150:151], v[46:47]
	ds_read2_b64 v[148:151], v132 offset0:57 offset1:58
	v_fma_f64 v[68:69], -v[110:111], v[176:177], v[68:69]
	v_fma_f64 v[66:67], -v[110:111], v[178:179], v[66:67]
	;; [unrolled: 1-line block ×4, first 2 shown]
	s_waitcnt lgkmcnt(9)
	v_fma_f64 v[44:45], -v[110:111], v[152:153], v[44:45]
	v_fma_f64 v[42:43], -v[110:111], v[154:155], v[42:43]
	s_waitcnt lgkmcnt(8)
	v_fma_f64 v[38:39], -v[110:111], v[156:157], v[38:39]
	v_fma_f64 v[40:41], -v[110:111], v[158:159], v[40:41]
	;; [unrolled: 3-line block ×4, first 2 shown]
	v_fma_f64 v[28:29], -v[110:111], v[164:165], v[28:29]
	v_fma_f64 v[26:27], -v[110:111], v[166:167], v[26:27]
	s_waitcnt lgkmcnt(4)
	v_fma_f64 v[24:25], -v[110:111], v[140:141], v[24:25]
	v_fma_f64 v[22:23], -v[110:111], v[142:143], v[22:23]
	s_waitcnt lgkmcnt(3)
	;; [unrolled: 3-line block ×5, first 2 shown]
	v_fma_f64 v[6:7], -v[110:111], v[148:149], v[6:7]
	v_fma_f64 v[10:11], -v[110:111], v[150:151], v[10:11]
	;; [unrolled: 1-line block ×3, first 2 shown]
.LBB118_114:
	s_or_b32 exec_lo, exec_lo, s0
	v_lshl_add_u32 v0, v135, 3, v132
	s_barrier
	buffer_gl0_inv
	v_mov_b32_e32 v126, 7
	ds_write_b64 v0, v[108:109]
	s_waitcnt lgkmcnt(0)
	s_barrier
	buffer_gl0_inv
	ds_read_b64 v[0:1], v132 offset:56
	s_cmp_lt_i32 s7, 9
	s_cbranch_scc1 .LBB118_117
; %bb.115:
	v_add3_u32 v127, v133, 0, 64
	v_mov_b32_e32 v126, 7
	s_mov_b32 s0, 8
.LBB118_116:                            ; =>This Inner Loop Header: Depth=1
	ds_read_b64 v[136:137], v127
	v_add_nc_u32_e32 v127, 8, v127
	s_waitcnt lgkmcnt(0)
	v_cmp_lt_f64_e64 vcc_lo, |v[0:1]|, |v[136:137]|
	v_cndmask_b32_e32 v1, v1, v137, vcc_lo
	v_cndmask_b32_e32 v0, v0, v136, vcc_lo
	v_cndmask_b32_e64 v126, v126, s0, vcc_lo
	s_add_i32 s0, s0, 1
	s_cmp_lg_u32 s7, s0
	s_cbranch_scc1 .LBB118_116
.LBB118_117:
	s_mov_b32 s0, exec_lo
	s_waitcnt lgkmcnt(0)
	v_cmpx_eq_f64_e32 0, v[0:1]
	s_xor_b32 s0, exec_lo, s0
; %bb.118:
	v_cmp_ne_u32_e32 vcc_lo, 0, v129
	v_cndmask_b32_e32 v129, 8, v129, vcc_lo
; %bb.119:
	s_andn2_saveexec_b32 s0, s0
	s_cbranch_execz .LBB118_121
; %bb.120:
	v_div_scale_f64 v[127:128], null, v[0:1], v[0:1], 1.0
	v_rcp_f64_e32 v[136:137], v[127:128]
	v_fma_f64 v[138:139], -v[127:128], v[136:137], 1.0
	v_fma_f64 v[136:137], v[136:137], v[138:139], v[136:137]
	v_fma_f64 v[138:139], -v[127:128], v[136:137], 1.0
	v_fma_f64 v[136:137], v[136:137], v[138:139], v[136:137]
	v_div_scale_f64 v[138:139], vcc_lo, 1.0, v[0:1], 1.0
	v_mul_f64 v[140:141], v[138:139], v[136:137]
	v_fma_f64 v[127:128], -v[127:128], v[140:141], v[138:139]
	v_div_fmas_f64 v[127:128], v[127:128], v[136:137], v[140:141]
	v_div_fixup_f64 v[0:1], v[127:128], v[0:1], 1.0
.LBB118_121:
	s_or_b32 exec_lo, exec_lo, s0
	s_mov_b32 s0, exec_lo
	v_cmpx_ne_u32_e64 v135, v126
	s_xor_b32 s0, exec_lo, s0
	s_cbranch_execz .LBB118_127
; %bb.122:
	s_mov_b32 s1, exec_lo
	v_cmpx_eq_u32_e32 7, v135
	s_cbranch_execz .LBB118_126
; %bb.123:
	v_cmp_ne_u32_e32 vcc_lo, 7, v126
	s_xor_b32 s2, s6, -1
	s_and_b32 s3, s2, vcc_lo
	s_and_saveexec_b32 s2, s3
	s_cbranch_execz .LBB118_125
; %bb.124:
	v_ashrrev_i32_e32 v127, 31, v126
	v_lshlrev_b64 v[127:128], 2, v[126:127]
	v_add_co_u32 v127, vcc_lo, v4, v127
	v_add_co_ci_u32_e64 v128, null, v5, v128, vcc_lo
	s_clause 0x1
	global_load_dword v134, v[127:128], off
	global_load_dword v135, v[4:5], off offset:28
	s_waitcnt vmcnt(1)
	global_store_dword v[4:5], v134, off offset:28
	s_waitcnt vmcnt(0)
	global_store_dword v[127:128], v135, off
.LBB118_125:
	s_or_b32 exec_lo, exec_lo, s2
	v_mov_b32_e32 v134, v126
	v_mov_b32_e32 v135, v126
.LBB118_126:
	s_or_b32 exec_lo, exec_lo, s1
.LBB118_127:
	s_andn2_saveexec_b32 s0, s0
	s_cbranch_execz .LBB118_129
; %bb.128:
	v_mov_b32_e32 v126, v106
	v_mov_b32_e32 v127, v107
	;; [unrolled: 1-line block ×8, first 2 shown]
	ds_write2_b64 v132, v[126:127], v[135:136] offset0:8 offset1:9
	ds_write2_b64 v132, v[137:138], v[139:140] offset0:10 offset1:11
	v_mov_b32_e32 v126, v100
	v_mov_b32_e32 v127, v101
	v_mov_b32_e32 v135, v94
	v_mov_b32_e32 v136, v95
	v_mov_b32_e32 v137, v96
	v_mov_b32_e32 v138, v97
	v_mov_b32_e32 v139, v92
	v_mov_b32_e32 v140, v93
	v_mov_b32_e32 v141, v90
	v_mov_b32_e32 v142, v91
	v_mov_b32_e32 v143, v88
	v_mov_b32_e32 v144, v89
	v_mov_b32_e32 v145, v86
	v_mov_b32_e32 v146, v87
	v_mov_b32_e32 v147, v84
	v_mov_b32_e32 v148, v85
	v_mov_b32_e32 v149, v82
	v_mov_b32_e32 v150, v83
	v_mov_b32_e32 v151, v78
	v_mov_b32_e32 v152, v79
	ds_write2_b64 v132, v[126:127], v[135:136] offset0:12 offset1:13
	ds_write2_b64 v132, v[137:138], v[139:140] offset0:14 offset1:15
	ds_write2_b64 v132, v[141:142], v[143:144] offset0:16 offset1:17
	ds_write2_b64 v132, v[145:146], v[147:148] offset0:18 offset1:19
	ds_write2_b64 v132, v[149:150], v[151:152] offset0:20 offset1:21
	v_mov_b32_e32 v126, v80
	v_mov_b32_e32 v127, v81
	v_mov_b32_e32 v135, v74
	v_mov_b32_e32 v136, v75
	v_mov_b32_e32 v137, v76
	v_mov_b32_e32 v138, v77
	v_mov_b32_e32 v139, v72
	v_mov_b32_e32 v140, v73
	v_mov_b32_e32 v141, v70
	v_mov_b32_e32 v142, v71
	v_mov_b32_e32 v143, v68
	v_mov_b32_e32 v144, v69
	v_mov_b32_e32 v145, v66
	v_mov_b32_e32 v146, v67
	v_mov_b32_e32 v147, v64
	v_mov_b32_e32 v148, v65
	v_mov_b32_e32 v149, v62
	v_mov_b32_e32 v150, v63
	v_mov_b32_e32 v151, v58
	v_mov_b32_e32 v152, v59
	ds_write2_b64 v132, v[126:127], v[135:136] offset0:22 offset1:23
	ds_write2_b64 v132, v[137:138], v[139:140] offset0:24 offset1:25
	ds_write2_b64 v132, v[141:142], v[143:144] offset0:26 offset1:27
	;; [unrolled: 25-line block ×4, first 2 shown]
	ds_write2_b64 v132, v[145:146], v[147:148] offset0:48 offset1:49
	ds_write2_b64 v132, v[149:150], v[151:152] offset0:50 offset1:51
	v_mov_b32_e32 v126, v20
	v_mov_b32_e32 v127, v21
	;; [unrolled: 1-line block ×15, first 2 shown]
	ds_write2_b64 v132, v[126:127], v[136:137] offset0:52 offset1:53
	ds_write2_b64 v132, v[138:139], v[140:141] offset0:54 offset1:55
	;; [unrolled: 1-line block ×4, first 2 shown]
.LBB118_129:
	s_or_b32 exec_lo, exec_lo, s0
	s_mov_b32 s0, exec_lo
	s_waitcnt lgkmcnt(0)
	s_waitcnt_vscnt null, 0x0
	s_barrier
	buffer_gl0_inv
	v_cmpx_lt_i32_e32 7, v135
	s_cbranch_execz .LBB118_131
; %bb.130:
	v_mul_f64 v[108:109], v[0:1], v[108:109]
	ds_read2_b64 v[136:139], v132 offset0:8 offset1:9
	ds_read2_b64 v[140:143], v132 offset0:10 offset1:11
	;; [unrolled: 1-line block ×12, first 2 shown]
	s_waitcnt lgkmcnt(11)
	v_fma_f64 v[106:107], -v[108:109], v[136:137], v[106:107]
	v_fma_f64 v[104:105], -v[108:109], v[138:139], v[104:105]
	s_waitcnt lgkmcnt(10)
	v_fma_f64 v[102:103], -v[108:109], v[140:141], v[102:103]
	v_fma_f64 v[98:99], -v[108:109], v[142:143], v[98:99]
	;; [unrolled: 3-line block ×3, first 2 shown]
	ds_read2_b64 v[136:139], v132 offset0:32 offset1:33
	ds_read2_b64 v[140:143], v132 offset0:34 offset1:35
	ds_read2_b64 v[144:147], v132 offset0:36 offset1:37
	s_waitcnt lgkmcnt(11)
	v_fma_f64 v[96:97], -v[108:109], v[148:149], v[96:97]
	v_fma_f64 v[92:93], -v[108:109], v[150:151], v[92:93]
	s_waitcnt lgkmcnt(10)
	v_fma_f64 v[90:91], -v[108:109], v[152:153], v[90:91]
	v_fma_f64 v[88:89], -v[108:109], v[154:155], v[88:89]
	;; [unrolled: 3-line block ×7, first 2 shown]
	ds_read2_b64 v[148:151], v132 offset0:38 offset1:39
	s_waitcnt lgkmcnt(5)
	v_fma_f64 v[66:67], -v[108:109], v[176:177], v[66:67]
	v_fma_f64 v[64:65], -v[108:109], v[178:179], v[64:65]
	ds_read2_b64 v[152:155], v132 offset0:40 offset1:41
	ds_read2_b64 v[156:159], v132 offset0:42 offset1:43
	ds_read2_b64 v[160:163], v132 offset0:44 offset1:45
	ds_read2_b64 v[164:167], v132 offset0:46 offset1:47
	s_waitcnt lgkmcnt(7)
	v_fma_f64 v[60:61], -v[108:109], v[136:137], v[60:61]
	v_fma_f64 v[54:55], -v[108:109], v[138:139], v[54:55]
	ds_read2_b64 v[136:139], v132 offset0:48 offset1:49
	ds_read2_b64 v[168:171], v132 offset0:50 offset1:51
	s_waitcnt lgkmcnt(8)
	v_fma_f64 v[56:57], -v[108:109], v[140:141], v[56:57]
	v_fma_f64 v[52:53], -v[108:109], v[142:143], v[52:53]
	ds_read2_b64 v[140:143], v132 offset0:52 offset1:53
	ds_read2_b64 v[172:175], v132 offset0:54 offset1:55
	s_waitcnt lgkmcnt(9)
	v_fma_f64 v[50:51], -v[108:109], v[144:145], v[50:51]
	v_fma_f64 v[48:49], -v[108:109], v[146:147], v[48:49]
	ds_read2_b64 v[144:147], v132 offset0:56 offset1:57
	ds_read2_b64 v[176:179], v132 offset0:58 offset1:59
	v_fma_f64 v[62:63], -v[108:109], v[180:181], v[62:63]
	v_fma_f64 v[58:59], -v[108:109], v[182:183], v[58:59]
	s_waitcnt lgkmcnt(10)
	v_fma_f64 v[46:47], -v[108:109], v[148:149], v[46:47]
	v_fma_f64 v[44:45], -v[108:109], v[150:151], v[44:45]
	s_waitcnt lgkmcnt(9)
	;; [unrolled: 3-line block ×11, first 2 shown]
	v_fma_f64 v[10:11], -v[108:109], v[176:177], v[10:11]
	v_fma_f64 v[124:125], -v[108:109], v[178:179], v[124:125]
.LBB118_131:
	s_or_b32 exec_lo, exec_lo, s0
	v_lshl_add_u32 v0, v135, 3, v132
	s_barrier
	buffer_gl0_inv
	v_mov_b32_e32 v126, 8
	ds_write_b64 v0, v[106:107]
	s_waitcnt lgkmcnt(0)
	s_barrier
	buffer_gl0_inv
	ds_read_b64 v[0:1], v132 offset:64
	s_cmp_lt_i32 s7, 10
	s_cbranch_scc1 .LBB118_134
; %bb.132:
	v_add3_u32 v127, v133, 0, 0x48
	v_mov_b32_e32 v126, 8
	s_mov_b32 s0, 9
.LBB118_133:                            ; =>This Inner Loop Header: Depth=1
	ds_read_b64 v[136:137], v127
	v_add_nc_u32_e32 v127, 8, v127
	s_waitcnt lgkmcnt(0)
	v_cmp_lt_f64_e64 vcc_lo, |v[0:1]|, |v[136:137]|
	v_cndmask_b32_e32 v1, v1, v137, vcc_lo
	v_cndmask_b32_e32 v0, v0, v136, vcc_lo
	v_cndmask_b32_e64 v126, v126, s0, vcc_lo
	s_add_i32 s0, s0, 1
	s_cmp_lg_u32 s7, s0
	s_cbranch_scc1 .LBB118_133
.LBB118_134:
	s_mov_b32 s0, exec_lo
	s_waitcnt lgkmcnt(0)
	v_cmpx_eq_f64_e32 0, v[0:1]
	s_xor_b32 s0, exec_lo, s0
; %bb.135:
	v_cmp_ne_u32_e32 vcc_lo, 0, v129
	v_cndmask_b32_e32 v129, 9, v129, vcc_lo
; %bb.136:
	s_andn2_saveexec_b32 s0, s0
	s_cbranch_execz .LBB118_138
; %bb.137:
	v_div_scale_f64 v[127:128], null, v[0:1], v[0:1], 1.0
	v_rcp_f64_e32 v[136:137], v[127:128]
	v_fma_f64 v[138:139], -v[127:128], v[136:137], 1.0
	v_fma_f64 v[136:137], v[136:137], v[138:139], v[136:137]
	v_fma_f64 v[138:139], -v[127:128], v[136:137], 1.0
	v_fma_f64 v[136:137], v[136:137], v[138:139], v[136:137]
	v_div_scale_f64 v[138:139], vcc_lo, 1.0, v[0:1], 1.0
	v_mul_f64 v[140:141], v[138:139], v[136:137]
	v_fma_f64 v[127:128], -v[127:128], v[140:141], v[138:139]
	v_div_fmas_f64 v[127:128], v[127:128], v[136:137], v[140:141]
	v_div_fixup_f64 v[0:1], v[127:128], v[0:1], 1.0
.LBB118_138:
	s_or_b32 exec_lo, exec_lo, s0
	s_mov_b32 s0, exec_lo
	v_cmpx_ne_u32_e64 v135, v126
	s_xor_b32 s0, exec_lo, s0
	s_cbranch_execz .LBB118_144
; %bb.139:
	s_mov_b32 s1, exec_lo
	v_cmpx_eq_u32_e32 8, v135
	s_cbranch_execz .LBB118_143
; %bb.140:
	v_cmp_ne_u32_e32 vcc_lo, 8, v126
	s_xor_b32 s2, s6, -1
	s_and_b32 s3, s2, vcc_lo
	s_and_saveexec_b32 s2, s3
	s_cbranch_execz .LBB118_142
; %bb.141:
	v_ashrrev_i32_e32 v127, 31, v126
	v_lshlrev_b64 v[127:128], 2, v[126:127]
	v_add_co_u32 v127, vcc_lo, v4, v127
	v_add_co_ci_u32_e64 v128, null, v5, v128, vcc_lo
	s_clause 0x1
	global_load_dword v134, v[127:128], off
	global_load_dword v135, v[4:5], off offset:32
	s_waitcnt vmcnt(1)
	global_store_dword v[4:5], v134, off offset:32
	s_waitcnt vmcnt(0)
	global_store_dword v[127:128], v135, off
.LBB118_142:
	s_or_b32 exec_lo, exec_lo, s2
	v_mov_b32_e32 v134, v126
	v_mov_b32_e32 v135, v126
.LBB118_143:
	s_or_b32 exec_lo, exec_lo, s1
.LBB118_144:
	s_andn2_saveexec_b32 s0, s0
	s_cbranch_execz .LBB118_146
; %bb.145:
	v_mov_b32_e32 v135, 8
	ds_write2_b64 v132, v[104:105], v[102:103] offset0:9 offset1:10
	ds_write2_b64 v132, v[98:99], v[100:101] offset0:11 offset1:12
	;; [unrolled: 1-line block ×25, first 2 shown]
	ds_write_b64 v132, v[124:125] offset:472
.LBB118_146:
	s_or_b32 exec_lo, exec_lo, s0
	s_mov_b32 s0, exec_lo
	s_waitcnt lgkmcnt(0)
	s_waitcnt_vscnt null, 0x0
	s_barrier
	buffer_gl0_inv
	v_cmpx_lt_i32_e32 8, v135
	s_cbranch_execz .LBB118_148
; %bb.147:
	v_mul_f64 v[106:107], v[0:1], v[106:107]
	ds_read2_b64 v[136:139], v132 offset0:9 offset1:10
	ds_read2_b64 v[140:143], v132 offset0:11 offset1:12
	;; [unrolled: 1-line block ×12, first 2 shown]
	ds_read_b64 v[0:1], v132 offset:472
	s_waitcnt lgkmcnt(12)
	v_fma_f64 v[104:105], -v[106:107], v[136:137], v[104:105]
	v_fma_f64 v[102:103], -v[106:107], v[138:139], v[102:103]
	s_waitcnt lgkmcnt(11)
	v_fma_f64 v[98:99], -v[106:107], v[140:141], v[98:99]
	v_fma_f64 v[100:101], -v[106:107], v[142:143], v[100:101]
	;; [unrolled: 3-line block ×3, first 2 shown]
	ds_read2_b64 v[136:139], v132 offset0:33 offset1:34
	ds_read2_b64 v[140:143], v132 offset0:35 offset1:36
	;; [unrolled: 1-line block ×3, first 2 shown]
	s_waitcnt lgkmcnt(12)
	v_fma_f64 v[92:93], -v[106:107], v[148:149], v[92:93]
	v_fma_f64 v[90:91], -v[106:107], v[150:151], v[90:91]
	s_waitcnt lgkmcnt(11)
	v_fma_f64 v[88:89], -v[106:107], v[152:153], v[88:89]
	v_fma_f64 v[86:87], -v[106:107], v[154:155], v[86:87]
	;; [unrolled: 3-line block ×7, first 2 shown]
	ds_read2_b64 v[148:151], v132 offset0:39 offset1:40
	ds_read2_b64 v[152:155], v132 offset0:41 offset1:42
	;; [unrolled: 1-line block ×5, first 2 shown]
	s_waitcnt lgkmcnt(7)
	v_fma_f64 v[54:55], -v[106:107], v[136:137], v[54:55]
	v_fma_f64 v[56:57], -v[106:107], v[138:139], v[56:57]
	ds_read2_b64 v[136:139], v132 offset0:49 offset1:50
	ds_read2_b64 v[168:171], v132 offset0:51 offset1:52
	s_waitcnt lgkmcnt(8)
	v_fma_f64 v[52:53], -v[106:107], v[140:141], v[52:53]
	v_fma_f64 v[50:51], -v[106:107], v[142:143], v[50:51]
	ds_read2_b64 v[140:143], v132 offset0:53 offset1:54
	ds_read2_b64 v[172:175], v132 offset0:55 offset1:56
	s_waitcnt lgkmcnt(9)
	v_fma_f64 v[48:49], -v[106:107], v[144:145], v[48:49]
	v_fma_f64 v[46:47], -v[106:107], v[146:147], v[46:47]
	ds_read2_b64 v[144:147], v132 offset0:57 offset1:58
	v_fma_f64 v[64:65], -v[106:107], v[176:177], v[64:65]
	v_fma_f64 v[62:63], -v[106:107], v[178:179], v[62:63]
	;; [unrolled: 1-line block ×4, first 2 shown]
	s_waitcnt lgkmcnt(9)
	v_fma_f64 v[44:45], -v[106:107], v[148:149], v[44:45]
	v_fma_f64 v[42:43], -v[106:107], v[150:151], v[42:43]
	s_waitcnt lgkmcnt(8)
	v_fma_f64 v[38:39], -v[106:107], v[152:153], v[38:39]
	v_fma_f64 v[40:41], -v[106:107], v[154:155], v[40:41]
	;; [unrolled: 3-line block ×10, first 2 shown]
	v_fma_f64 v[124:125], -v[106:107], v[0:1], v[124:125]
.LBB118_148:
	s_or_b32 exec_lo, exec_lo, s0
	v_lshl_add_u32 v0, v135, 3, v132
	s_barrier
	buffer_gl0_inv
	v_mov_b32_e32 v126, 9
	ds_write_b64 v0, v[104:105]
	s_waitcnt lgkmcnt(0)
	s_barrier
	buffer_gl0_inv
	ds_read_b64 v[0:1], v132 offset:72
	s_cmp_lt_i32 s7, 11
	s_cbranch_scc1 .LBB118_151
; %bb.149:
	v_add3_u32 v127, v133, 0, 0x50
	v_mov_b32_e32 v126, 9
	s_mov_b32 s0, 10
.LBB118_150:                            ; =>This Inner Loop Header: Depth=1
	ds_read_b64 v[136:137], v127
	v_add_nc_u32_e32 v127, 8, v127
	s_waitcnt lgkmcnt(0)
	v_cmp_lt_f64_e64 vcc_lo, |v[0:1]|, |v[136:137]|
	v_cndmask_b32_e32 v1, v1, v137, vcc_lo
	v_cndmask_b32_e32 v0, v0, v136, vcc_lo
	v_cndmask_b32_e64 v126, v126, s0, vcc_lo
	s_add_i32 s0, s0, 1
	s_cmp_lg_u32 s7, s0
	s_cbranch_scc1 .LBB118_150
.LBB118_151:
	s_mov_b32 s0, exec_lo
	s_waitcnt lgkmcnt(0)
	v_cmpx_eq_f64_e32 0, v[0:1]
	s_xor_b32 s0, exec_lo, s0
; %bb.152:
	v_cmp_ne_u32_e32 vcc_lo, 0, v129
	v_cndmask_b32_e32 v129, 10, v129, vcc_lo
; %bb.153:
	s_andn2_saveexec_b32 s0, s0
	s_cbranch_execz .LBB118_155
; %bb.154:
	v_div_scale_f64 v[127:128], null, v[0:1], v[0:1], 1.0
	v_rcp_f64_e32 v[136:137], v[127:128]
	v_fma_f64 v[138:139], -v[127:128], v[136:137], 1.0
	v_fma_f64 v[136:137], v[136:137], v[138:139], v[136:137]
	v_fma_f64 v[138:139], -v[127:128], v[136:137], 1.0
	v_fma_f64 v[136:137], v[136:137], v[138:139], v[136:137]
	v_div_scale_f64 v[138:139], vcc_lo, 1.0, v[0:1], 1.0
	v_mul_f64 v[140:141], v[138:139], v[136:137]
	v_fma_f64 v[127:128], -v[127:128], v[140:141], v[138:139]
	v_div_fmas_f64 v[127:128], v[127:128], v[136:137], v[140:141]
	v_div_fixup_f64 v[0:1], v[127:128], v[0:1], 1.0
.LBB118_155:
	s_or_b32 exec_lo, exec_lo, s0
	s_mov_b32 s0, exec_lo
	v_cmpx_ne_u32_e64 v135, v126
	s_xor_b32 s0, exec_lo, s0
	s_cbranch_execz .LBB118_161
; %bb.156:
	s_mov_b32 s1, exec_lo
	v_cmpx_eq_u32_e32 9, v135
	s_cbranch_execz .LBB118_160
; %bb.157:
	v_cmp_ne_u32_e32 vcc_lo, 9, v126
	s_xor_b32 s2, s6, -1
	s_and_b32 s3, s2, vcc_lo
	s_and_saveexec_b32 s2, s3
	s_cbranch_execz .LBB118_159
; %bb.158:
	v_ashrrev_i32_e32 v127, 31, v126
	v_lshlrev_b64 v[127:128], 2, v[126:127]
	v_add_co_u32 v127, vcc_lo, v4, v127
	v_add_co_ci_u32_e64 v128, null, v5, v128, vcc_lo
	s_clause 0x1
	global_load_dword v134, v[127:128], off
	global_load_dword v135, v[4:5], off offset:36
	s_waitcnt vmcnt(1)
	global_store_dword v[4:5], v134, off offset:36
	s_waitcnt vmcnt(0)
	global_store_dword v[127:128], v135, off
.LBB118_159:
	s_or_b32 exec_lo, exec_lo, s2
	v_mov_b32_e32 v134, v126
	v_mov_b32_e32 v135, v126
.LBB118_160:
	s_or_b32 exec_lo, exec_lo, s1
.LBB118_161:
	s_andn2_saveexec_b32 s0, s0
	s_cbranch_execz .LBB118_163
; %bb.162:
	v_mov_b32_e32 v126, v102
	v_mov_b32_e32 v127, v103
	;; [unrolled: 1-line block ×8, first 2 shown]
	ds_write2_b64 v132, v[126:127], v[135:136] offset0:10 offset1:11
	v_mov_b32_e32 v126, v94
	v_mov_b32_e32 v127, v95
	v_mov_b32_e32 v135, v96
	v_mov_b32_e32 v136, v97
	v_mov_b32_e32 v141, v90
	v_mov_b32_e32 v142, v91
	v_mov_b32_e32 v143, v88
	v_mov_b32_e32 v144, v89
	v_mov_b32_e32 v145, v86
	v_mov_b32_e32 v146, v87
	v_mov_b32_e32 v147, v84
	v_mov_b32_e32 v148, v85
	v_mov_b32_e32 v149, v82
	v_mov_b32_e32 v150, v83
	v_mov_b32_e32 v151, v78
	v_mov_b32_e32 v152, v79
	ds_write2_b64 v132, v[137:138], v[126:127] offset0:12 offset1:13
	ds_write2_b64 v132, v[135:136], v[139:140] offset0:14 offset1:15
	ds_write2_b64 v132, v[141:142], v[143:144] offset0:16 offset1:17
	ds_write2_b64 v132, v[145:146], v[147:148] offset0:18 offset1:19
	ds_write2_b64 v132, v[149:150], v[151:152] offset0:20 offset1:21
	v_mov_b32_e32 v126, v80
	v_mov_b32_e32 v127, v81
	v_mov_b32_e32 v135, v74
	v_mov_b32_e32 v136, v75
	v_mov_b32_e32 v137, v76
	v_mov_b32_e32 v138, v77
	v_mov_b32_e32 v139, v72
	v_mov_b32_e32 v140, v73
	v_mov_b32_e32 v141, v70
	v_mov_b32_e32 v142, v71
	v_mov_b32_e32 v143, v68
	v_mov_b32_e32 v144, v69
	v_mov_b32_e32 v145, v66
	v_mov_b32_e32 v146, v67
	v_mov_b32_e32 v147, v64
	v_mov_b32_e32 v148, v65
	v_mov_b32_e32 v149, v62
	v_mov_b32_e32 v150, v63
	v_mov_b32_e32 v151, v58
	v_mov_b32_e32 v152, v59
	ds_write2_b64 v132, v[126:127], v[135:136] offset0:22 offset1:23
	ds_write2_b64 v132, v[137:138], v[139:140] offset0:24 offset1:25
	ds_write2_b64 v132, v[141:142], v[143:144] offset0:26 offset1:27
	ds_write2_b64 v132, v[145:146], v[147:148] offset0:28 offset1:29
	ds_write2_b64 v132, v[149:150], v[151:152] offset0:30 offset1:31
	v_mov_b32_e32 v126, v60
	v_mov_b32_e32 v127, v61
	v_mov_b32_e32 v135, v54
	v_mov_b32_e32 v136, v55
	;; [unrolled: 25-line block ×4, first 2 shown]
	v_mov_b32_e32 v135, 9
	v_mov_b32_e32 v138, v14
	;; [unrolled: 1-line block ×11, first 2 shown]
	ds_write2_b64 v132, v[126:127], v[136:137] offset0:52 offset1:53
	ds_write2_b64 v132, v[138:139], v[140:141] offset0:54 offset1:55
	;; [unrolled: 1-line block ×4, first 2 shown]
.LBB118_163:
	s_or_b32 exec_lo, exec_lo, s0
	s_mov_b32 s0, exec_lo
	s_waitcnt lgkmcnt(0)
	s_waitcnt_vscnt null, 0x0
	s_barrier
	buffer_gl0_inv
	v_cmpx_lt_i32_e32 9, v135
	s_cbranch_execz .LBB118_165
; %bb.164:
	v_mul_f64 v[104:105], v[0:1], v[104:105]
	ds_read2_b64 v[136:139], v132 offset0:10 offset1:11
	ds_read2_b64 v[140:143], v132 offset0:12 offset1:13
	;; [unrolled: 1-line block ×12, first 2 shown]
	s_waitcnt lgkmcnt(11)
	v_fma_f64 v[102:103], -v[104:105], v[136:137], v[102:103]
	v_fma_f64 v[98:99], -v[104:105], v[138:139], v[98:99]
	s_waitcnt lgkmcnt(10)
	v_fma_f64 v[100:101], -v[104:105], v[140:141], v[100:101]
	v_fma_f64 v[94:95], -v[104:105], v[142:143], v[94:95]
	ds_read2_b64 v[136:139], v132 offset0:34 offset1:35
	ds_read2_b64 v[140:143], v132 offset0:36 offset1:37
	s_waitcnt lgkmcnt(11)
	v_fma_f64 v[96:97], -v[104:105], v[144:145], v[96:97]
	v_fma_f64 v[92:93], -v[104:105], v[146:147], v[92:93]
	s_waitcnt lgkmcnt(10)
	v_fma_f64 v[90:91], -v[104:105], v[148:149], v[90:91]
	v_fma_f64 v[88:89], -v[104:105], v[150:151], v[88:89]
	;; [unrolled: 3-line block ×7, first 2 shown]
	ds_read2_b64 v[144:147], v132 offset0:38 offset1:39
	ds_read2_b64 v[148:151], v132 offset0:40 offset1:41
	s_waitcnt lgkmcnt(6)
	v_fma_f64 v[66:67], -v[104:105], v[172:173], v[66:67]
	v_fma_f64 v[64:65], -v[104:105], v[174:175], v[64:65]
	s_waitcnt lgkmcnt(5)
	v_fma_f64 v[62:63], -v[104:105], v[176:177], v[62:63]
	ds_read2_b64 v[152:155], v132 offset0:42 offset1:43
	ds_read2_b64 v[156:159], v132 offset0:44 offset1:45
	v_fma_f64 v[58:59], -v[104:105], v[178:179], v[58:59]
	ds_read2_b64 v[160:163], v132 offset0:46 offset1:47
	ds_read2_b64 v[164:167], v132 offset0:48 offset1:49
	s_waitcnt lgkmcnt(7)
	v_fma_f64 v[56:57], -v[104:105], v[136:137], v[56:57]
	ds_read2_b64 v[168:171], v132 offset0:50 offset1:51
	v_fma_f64 v[52:53], -v[104:105], v[138:139], v[52:53]
	ds_read2_b64 v[136:139], v132 offset0:52 offset1:53
	s_waitcnt lgkmcnt(8)
	v_fma_f64 v[50:51], -v[104:105], v[140:141], v[50:51]
	ds_read2_b64 v[172:175], v132 offset0:54 offset1:55
	v_fma_f64 v[48:49], -v[104:105], v[142:143], v[48:49]
	ds_read2_b64 v[140:143], v132 offset0:56 offset1:57
	ds_read2_b64 v[176:179], v132 offset0:58 offset1:59
	v_fma_f64 v[60:61], -v[104:105], v[180:181], v[60:61]
	v_fma_f64 v[54:55], -v[104:105], v[182:183], v[54:55]
	s_waitcnt lgkmcnt(10)
	v_fma_f64 v[46:47], -v[104:105], v[144:145], v[46:47]
	v_fma_f64 v[44:45], -v[104:105], v[146:147], v[44:45]
	s_waitcnt lgkmcnt(9)
	;; [unrolled: 3-line block ×11, first 2 shown]
	v_fma_f64 v[10:11], -v[104:105], v[176:177], v[10:11]
	v_fma_f64 v[124:125], -v[104:105], v[178:179], v[124:125]
.LBB118_165:
	s_or_b32 exec_lo, exec_lo, s0
	v_lshl_add_u32 v0, v135, 3, v132
	s_barrier
	buffer_gl0_inv
	v_mov_b32_e32 v126, 10
	ds_write_b64 v0, v[102:103]
	s_waitcnt lgkmcnt(0)
	s_barrier
	buffer_gl0_inv
	ds_read_b64 v[0:1], v132 offset:80
	s_cmp_lt_i32 s7, 12
	s_cbranch_scc1 .LBB118_168
; %bb.166:
	v_add3_u32 v127, v133, 0, 0x58
	v_mov_b32_e32 v126, 10
	s_mov_b32 s0, 11
.LBB118_167:                            ; =>This Inner Loop Header: Depth=1
	ds_read_b64 v[136:137], v127
	v_add_nc_u32_e32 v127, 8, v127
	s_waitcnt lgkmcnt(0)
	v_cmp_lt_f64_e64 vcc_lo, |v[0:1]|, |v[136:137]|
	v_cndmask_b32_e32 v1, v1, v137, vcc_lo
	v_cndmask_b32_e32 v0, v0, v136, vcc_lo
	v_cndmask_b32_e64 v126, v126, s0, vcc_lo
	s_add_i32 s0, s0, 1
	s_cmp_lg_u32 s7, s0
	s_cbranch_scc1 .LBB118_167
.LBB118_168:
	s_mov_b32 s0, exec_lo
	s_waitcnt lgkmcnt(0)
	v_cmpx_eq_f64_e32 0, v[0:1]
	s_xor_b32 s0, exec_lo, s0
; %bb.169:
	v_cmp_ne_u32_e32 vcc_lo, 0, v129
	v_cndmask_b32_e32 v129, 11, v129, vcc_lo
; %bb.170:
	s_andn2_saveexec_b32 s0, s0
	s_cbranch_execz .LBB118_172
; %bb.171:
	v_div_scale_f64 v[127:128], null, v[0:1], v[0:1], 1.0
	v_rcp_f64_e32 v[136:137], v[127:128]
	v_fma_f64 v[138:139], -v[127:128], v[136:137], 1.0
	v_fma_f64 v[136:137], v[136:137], v[138:139], v[136:137]
	v_fma_f64 v[138:139], -v[127:128], v[136:137], 1.0
	v_fma_f64 v[136:137], v[136:137], v[138:139], v[136:137]
	v_div_scale_f64 v[138:139], vcc_lo, 1.0, v[0:1], 1.0
	v_mul_f64 v[140:141], v[138:139], v[136:137]
	v_fma_f64 v[127:128], -v[127:128], v[140:141], v[138:139]
	v_div_fmas_f64 v[127:128], v[127:128], v[136:137], v[140:141]
	v_div_fixup_f64 v[0:1], v[127:128], v[0:1], 1.0
.LBB118_172:
	s_or_b32 exec_lo, exec_lo, s0
	s_mov_b32 s0, exec_lo
	v_cmpx_ne_u32_e64 v135, v126
	s_xor_b32 s0, exec_lo, s0
	s_cbranch_execz .LBB118_178
; %bb.173:
	s_mov_b32 s1, exec_lo
	v_cmpx_eq_u32_e32 10, v135
	s_cbranch_execz .LBB118_177
; %bb.174:
	v_cmp_ne_u32_e32 vcc_lo, 10, v126
	s_xor_b32 s2, s6, -1
	s_and_b32 s3, s2, vcc_lo
	s_and_saveexec_b32 s2, s3
	s_cbranch_execz .LBB118_176
; %bb.175:
	v_ashrrev_i32_e32 v127, 31, v126
	v_lshlrev_b64 v[127:128], 2, v[126:127]
	v_add_co_u32 v127, vcc_lo, v4, v127
	v_add_co_ci_u32_e64 v128, null, v5, v128, vcc_lo
	s_clause 0x1
	global_load_dword v134, v[127:128], off
	global_load_dword v135, v[4:5], off offset:40
	s_waitcnt vmcnt(1)
	global_store_dword v[4:5], v134, off offset:40
	s_waitcnt vmcnt(0)
	global_store_dword v[127:128], v135, off
.LBB118_176:
	s_or_b32 exec_lo, exec_lo, s2
	v_mov_b32_e32 v134, v126
	v_mov_b32_e32 v135, v126
.LBB118_177:
	s_or_b32 exec_lo, exec_lo, s1
.LBB118_178:
	s_andn2_saveexec_b32 s0, s0
	s_cbranch_execz .LBB118_180
; %bb.179:
	v_mov_b32_e32 v135, 10
	ds_write2_b64 v132, v[98:99], v[100:101] offset0:11 offset1:12
	ds_write2_b64 v132, v[94:95], v[96:97] offset0:13 offset1:14
	;; [unrolled: 1-line block ×24, first 2 shown]
	ds_write_b64 v132, v[124:125] offset:472
.LBB118_180:
	s_or_b32 exec_lo, exec_lo, s0
	s_mov_b32 s0, exec_lo
	s_waitcnt lgkmcnt(0)
	s_waitcnt_vscnt null, 0x0
	s_barrier
	buffer_gl0_inv
	v_cmpx_lt_i32_e32 10, v135
	s_cbranch_execz .LBB118_182
; %bb.181:
	v_mul_f64 v[102:103], v[0:1], v[102:103]
	ds_read2_b64 v[136:139], v132 offset0:11 offset1:12
	ds_read2_b64 v[140:143], v132 offset0:13 offset1:14
	;; [unrolled: 1-line block ×12, first 2 shown]
	ds_read_b64 v[0:1], v132 offset:472
	s_waitcnt lgkmcnt(12)
	v_fma_f64 v[98:99], -v[102:103], v[136:137], v[98:99]
	v_fma_f64 v[100:101], -v[102:103], v[138:139], v[100:101]
	s_waitcnt lgkmcnt(11)
	v_fma_f64 v[94:95], -v[102:103], v[140:141], v[94:95]
	v_fma_f64 v[96:97], -v[102:103], v[142:143], v[96:97]
	ds_read2_b64 v[136:139], v132 offset0:35 offset1:36
	ds_read2_b64 v[140:143], v132 offset0:37 offset1:38
	s_waitcnt lgkmcnt(12)
	v_fma_f64 v[92:93], -v[102:103], v[144:145], v[92:93]
	v_fma_f64 v[90:91], -v[102:103], v[146:147], v[90:91]
	s_waitcnt lgkmcnt(11)
	v_fma_f64 v[88:89], -v[102:103], v[148:149], v[88:89]
	v_fma_f64 v[86:87], -v[102:103], v[150:151], v[86:87]
	;; [unrolled: 3-line block ×7, first 2 shown]
	ds_read2_b64 v[144:147], v132 offset0:39 offset1:40
	ds_read2_b64 v[148:151], v132 offset0:41 offset1:42
	s_waitcnt lgkmcnt(7)
	v_fma_f64 v[64:65], -v[102:103], v[172:173], v[64:65]
	v_fma_f64 v[62:63], -v[102:103], v[174:175], v[62:63]
	ds_read2_b64 v[152:155], v132 offset0:43 offset1:44
	ds_read2_b64 v[156:159], v132 offset0:45 offset1:46
	;; [unrolled: 1-line block ×4, first 2 shown]
	s_waitcnt lgkmcnt(7)
	v_fma_f64 v[52:53], -v[102:103], v[136:137], v[52:53]
	ds_read2_b64 v[168:171], v132 offset0:51 offset1:52
	v_fma_f64 v[50:51], -v[102:103], v[138:139], v[50:51]
	ds_read2_b64 v[136:139], v132 offset0:53 offset1:54
	s_waitcnt lgkmcnt(8)
	v_fma_f64 v[48:49], -v[102:103], v[140:141], v[48:49]
	ds_read2_b64 v[172:175], v132 offset0:55 offset1:56
	v_fma_f64 v[46:47], -v[102:103], v[142:143], v[46:47]
	ds_read2_b64 v[140:143], v132 offset0:57 offset1:58
	v_fma_f64 v[58:59], -v[102:103], v[176:177], v[58:59]
	v_fma_f64 v[60:61], -v[102:103], v[178:179], v[60:61]
	;; [unrolled: 1-line block ×4, first 2 shown]
	s_waitcnt lgkmcnt(9)
	v_fma_f64 v[44:45], -v[102:103], v[144:145], v[44:45]
	v_fma_f64 v[42:43], -v[102:103], v[146:147], v[42:43]
	s_waitcnt lgkmcnt(8)
	v_fma_f64 v[38:39], -v[102:103], v[148:149], v[38:39]
	v_fma_f64 v[40:41], -v[102:103], v[150:151], v[40:41]
	;; [unrolled: 3-line block ×10, first 2 shown]
	v_fma_f64 v[124:125], -v[102:103], v[0:1], v[124:125]
.LBB118_182:
	s_or_b32 exec_lo, exec_lo, s0
	v_lshl_add_u32 v0, v135, 3, v132
	s_barrier
	buffer_gl0_inv
	v_mov_b32_e32 v126, 11
	ds_write_b64 v0, v[98:99]
	s_waitcnt lgkmcnt(0)
	s_barrier
	buffer_gl0_inv
	ds_read_b64 v[0:1], v132 offset:88
	s_cmp_lt_i32 s7, 13
	s_cbranch_scc1 .LBB118_185
; %bb.183:
	v_add3_u32 v127, v133, 0, 0x60
	v_mov_b32_e32 v126, 11
	s_mov_b32 s0, 12
.LBB118_184:                            ; =>This Inner Loop Header: Depth=1
	ds_read_b64 v[136:137], v127
	v_add_nc_u32_e32 v127, 8, v127
	s_waitcnt lgkmcnt(0)
	v_cmp_lt_f64_e64 vcc_lo, |v[0:1]|, |v[136:137]|
	v_cndmask_b32_e32 v1, v1, v137, vcc_lo
	v_cndmask_b32_e32 v0, v0, v136, vcc_lo
	v_cndmask_b32_e64 v126, v126, s0, vcc_lo
	s_add_i32 s0, s0, 1
	s_cmp_lg_u32 s7, s0
	s_cbranch_scc1 .LBB118_184
.LBB118_185:
	s_mov_b32 s0, exec_lo
	s_waitcnt lgkmcnt(0)
	v_cmpx_eq_f64_e32 0, v[0:1]
	s_xor_b32 s0, exec_lo, s0
; %bb.186:
	v_cmp_ne_u32_e32 vcc_lo, 0, v129
	v_cndmask_b32_e32 v129, 12, v129, vcc_lo
; %bb.187:
	s_andn2_saveexec_b32 s0, s0
	s_cbranch_execz .LBB118_189
; %bb.188:
	v_div_scale_f64 v[127:128], null, v[0:1], v[0:1], 1.0
	v_rcp_f64_e32 v[136:137], v[127:128]
	v_fma_f64 v[138:139], -v[127:128], v[136:137], 1.0
	v_fma_f64 v[136:137], v[136:137], v[138:139], v[136:137]
	v_fma_f64 v[138:139], -v[127:128], v[136:137], 1.0
	v_fma_f64 v[136:137], v[136:137], v[138:139], v[136:137]
	v_div_scale_f64 v[138:139], vcc_lo, 1.0, v[0:1], 1.0
	v_mul_f64 v[140:141], v[138:139], v[136:137]
	v_fma_f64 v[127:128], -v[127:128], v[140:141], v[138:139]
	v_div_fmas_f64 v[127:128], v[127:128], v[136:137], v[140:141]
	v_div_fixup_f64 v[0:1], v[127:128], v[0:1], 1.0
.LBB118_189:
	s_or_b32 exec_lo, exec_lo, s0
	s_mov_b32 s0, exec_lo
	v_cmpx_ne_u32_e64 v135, v126
	s_xor_b32 s0, exec_lo, s0
	s_cbranch_execz .LBB118_195
; %bb.190:
	s_mov_b32 s1, exec_lo
	v_cmpx_eq_u32_e32 11, v135
	s_cbranch_execz .LBB118_194
; %bb.191:
	v_cmp_ne_u32_e32 vcc_lo, 11, v126
	s_xor_b32 s2, s6, -1
	s_and_b32 s3, s2, vcc_lo
	s_and_saveexec_b32 s2, s3
	s_cbranch_execz .LBB118_193
; %bb.192:
	v_ashrrev_i32_e32 v127, 31, v126
	v_lshlrev_b64 v[127:128], 2, v[126:127]
	v_add_co_u32 v127, vcc_lo, v4, v127
	v_add_co_ci_u32_e64 v128, null, v5, v128, vcc_lo
	s_clause 0x1
	global_load_dword v134, v[127:128], off
	global_load_dword v135, v[4:5], off offset:44
	s_waitcnt vmcnt(1)
	global_store_dword v[4:5], v134, off offset:44
	s_waitcnt vmcnt(0)
	global_store_dword v[127:128], v135, off
.LBB118_193:
	s_or_b32 exec_lo, exec_lo, s2
	v_mov_b32_e32 v134, v126
	v_mov_b32_e32 v135, v126
.LBB118_194:
	s_or_b32 exec_lo, exec_lo, s1
.LBB118_195:
	s_andn2_saveexec_b32 s0, s0
	s_cbranch_execz .LBB118_197
; %bb.196:
	v_mov_b32_e32 v126, v100
	v_mov_b32_e32 v127, v101
	v_mov_b32_e32 v135, v94
	v_mov_b32_e32 v136, v95
	v_mov_b32_e32 v137, v96
	v_mov_b32_e32 v138, v97
	v_mov_b32_e32 v139, v92
	v_mov_b32_e32 v140, v93
	v_mov_b32_e32 v141, v90
	v_mov_b32_e32 v142, v91
	v_mov_b32_e32 v143, v88
	v_mov_b32_e32 v144, v89
	v_mov_b32_e32 v145, v86
	v_mov_b32_e32 v146, v87
	v_mov_b32_e32 v147, v84
	v_mov_b32_e32 v148, v85
	v_mov_b32_e32 v149, v82
	v_mov_b32_e32 v150, v83
	v_mov_b32_e32 v151, v78
	v_mov_b32_e32 v152, v79
	ds_write2_b64 v132, v[126:127], v[135:136] offset0:12 offset1:13
	ds_write2_b64 v132, v[137:138], v[139:140] offset0:14 offset1:15
	ds_write2_b64 v132, v[141:142], v[143:144] offset0:16 offset1:17
	ds_write2_b64 v132, v[145:146], v[147:148] offset0:18 offset1:19
	ds_write2_b64 v132, v[149:150], v[151:152] offset0:20 offset1:21
	v_mov_b32_e32 v126, v80
	v_mov_b32_e32 v127, v81
	v_mov_b32_e32 v135, v74
	v_mov_b32_e32 v136, v75
	v_mov_b32_e32 v137, v76
	v_mov_b32_e32 v138, v77
	v_mov_b32_e32 v139, v72
	v_mov_b32_e32 v140, v73
	v_mov_b32_e32 v141, v70
	v_mov_b32_e32 v142, v71
	v_mov_b32_e32 v143, v68
	v_mov_b32_e32 v144, v69
	v_mov_b32_e32 v145, v66
	v_mov_b32_e32 v146, v67
	v_mov_b32_e32 v147, v64
	v_mov_b32_e32 v148, v65
	v_mov_b32_e32 v149, v62
	v_mov_b32_e32 v150, v63
	v_mov_b32_e32 v151, v58
	v_mov_b32_e32 v152, v59
	ds_write2_b64 v132, v[126:127], v[135:136] offset0:22 offset1:23
	ds_write2_b64 v132, v[137:138], v[139:140] offset0:24 offset1:25
	ds_write2_b64 v132, v[141:142], v[143:144] offset0:26 offset1:27
	ds_write2_b64 v132, v[145:146], v[147:148] offset0:28 offset1:29
	ds_write2_b64 v132, v[149:150], v[151:152] offset0:30 offset1:31
	;; [unrolled: 25-line block ×4, first 2 shown]
	v_mov_b32_e32 v126, v20
	v_mov_b32_e32 v127, v21
	;; [unrolled: 1-line block ×15, first 2 shown]
	ds_write2_b64 v132, v[126:127], v[136:137] offset0:52 offset1:53
	ds_write2_b64 v132, v[138:139], v[140:141] offset0:54 offset1:55
	;; [unrolled: 1-line block ×4, first 2 shown]
.LBB118_197:
	s_or_b32 exec_lo, exec_lo, s0
	s_mov_b32 s0, exec_lo
	s_waitcnt lgkmcnt(0)
	s_waitcnt_vscnt null, 0x0
	s_barrier
	buffer_gl0_inv
	v_cmpx_lt_i32_e32 11, v135
	s_cbranch_execz .LBB118_199
; %bb.198:
	v_mul_f64 v[98:99], v[0:1], v[98:99]
	ds_read2_b64 v[136:139], v132 offset0:12 offset1:13
	ds_read2_b64 v[140:143], v132 offset0:14 offset1:15
	;; [unrolled: 1-line block ×12, first 2 shown]
	s_waitcnt lgkmcnt(11)
	v_fma_f64 v[100:101], -v[98:99], v[136:137], v[100:101]
	v_fma_f64 v[94:95], -v[98:99], v[138:139], v[94:95]
	ds_read2_b64 v[136:139], v132 offset0:36 offset1:37
	s_waitcnt lgkmcnt(11)
	v_fma_f64 v[96:97], -v[98:99], v[140:141], v[96:97]
	v_fma_f64 v[92:93], -v[98:99], v[142:143], v[92:93]
	s_waitcnt lgkmcnt(10)
	v_fma_f64 v[90:91], -v[98:99], v[144:145], v[90:91]
	v_fma_f64 v[88:89], -v[98:99], v[146:147], v[88:89]
	;; [unrolled: 3-line block ×7, first 2 shown]
	ds_read2_b64 v[140:143], v132 offset0:38 offset1:39
	s_waitcnt lgkmcnt(5)
	v_fma_f64 v[66:67], -v[98:99], v[168:169], v[66:67]
	v_fma_f64 v[64:65], -v[98:99], v[170:171], v[64:65]
	ds_read2_b64 v[144:147], v132 offset0:40 offset1:41
	ds_read2_b64 v[148:151], v132 offset0:42 offset1:43
	s_waitcnt lgkmcnt(6)
	v_fma_f64 v[62:63], -v[98:99], v[172:173], v[62:63]
	v_fma_f64 v[58:59], -v[98:99], v[174:175], v[58:59]
	ds_read2_b64 v[152:155], v132 offset0:44 offset1:45
	;; [unrolled: 5-line block ×3, first 2 shown]
	ds_read2_b64 v[164:167], v132 offset0:50 offset1:51
	ds_read2_b64 v[168:171], v132 offset0:52 offset1:53
	;; [unrolled: 1-line block ×3, first 2 shown]
	s_waitcnt lgkmcnt(9)
	v_fma_f64 v[50:51], -v[98:99], v[136:137], v[50:51]
	v_fma_f64 v[48:49], -v[98:99], v[138:139], v[48:49]
	ds_read2_b64 v[136:139], v132 offset0:56 offset1:57
	ds_read2_b64 v[176:179], v132 offset0:58 offset1:59
	v_fma_f64 v[56:57], -v[98:99], v[180:181], v[56:57]
	v_fma_f64 v[52:53], -v[98:99], v[182:183], v[52:53]
	s_waitcnt lgkmcnt(10)
	v_fma_f64 v[46:47], -v[98:99], v[140:141], v[46:47]
	v_fma_f64 v[44:45], -v[98:99], v[142:143], v[44:45]
	s_waitcnt lgkmcnt(9)
	;; [unrolled: 3-line block ×11, first 2 shown]
	v_fma_f64 v[10:11], -v[98:99], v[176:177], v[10:11]
	v_fma_f64 v[124:125], -v[98:99], v[178:179], v[124:125]
.LBB118_199:
	s_or_b32 exec_lo, exec_lo, s0
	v_lshl_add_u32 v0, v135, 3, v132
	s_barrier
	buffer_gl0_inv
	v_mov_b32_e32 v126, 12
	ds_write_b64 v0, v[100:101]
	s_waitcnt lgkmcnt(0)
	s_barrier
	buffer_gl0_inv
	ds_read_b64 v[0:1], v132 offset:96
	s_cmp_lt_i32 s7, 14
	s_cbranch_scc1 .LBB118_202
; %bb.200:
	v_add3_u32 v127, v133, 0, 0x68
	v_mov_b32_e32 v126, 12
	s_mov_b32 s0, 13
.LBB118_201:                            ; =>This Inner Loop Header: Depth=1
	ds_read_b64 v[136:137], v127
	v_add_nc_u32_e32 v127, 8, v127
	s_waitcnt lgkmcnt(0)
	v_cmp_lt_f64_e64 vcc_lo, |v[0:1]|, |v[136:137]|
	v_cndmask_b32_e32 v1, v1, v137, vcc_lo
	v_cndmask_b32_e32 v0, v0, v136, vcc_lo
	v_cndmask_b32_e64 v126, v126, s0, vcc_lo
	s_add_i32 s0, s0, 1
	s_cmp_lg_u32 s7, s0
	s_cbranch_scc1 .LBB118_201
.LBB118_202:
	s_mov_b32 s0, exec_lo
	s_waitcnt lgkmcnt(0)
	v_cmpx_eq_f64_e32 0, v[0:1]
	s_xor_b32 s0, exec_lo, s0
; %bb.203:
	v_cmp_ne_u32_e32 vcc_lo, 0, v129
	v_cndmask_b32_e32 v129, 13, v129, vcc_lo
; %bb.204:
	s_andn2_saveexec_b32 s0, s0
	s_cbranch_execz .LBB118_206
; %bb.205:
	v_div_scale_f64 v[127:128], null, v[0:1], v[0:1], 1.0
	v_rcp_f64_e32 v[136:137], v[127:128]
	v_fma_f64 v[138:139], -v[127:128], v[136:137], 1.0
	v_fma_f64 v[136:137], v[136:137], v[138:139], v[136:137]
	v_fma_f64 v[138:139], -v[127:128], v[136:137], 1.0
	v_fma_f64 v[136:137], v[136:137], v[138:139], v[136:137]
	v_div_scale_f64 v[138:139], vcc_lo, 1.0, v[0:1], 1.0
	v_mul_f64 v[140:141], v[138:139], v[136:137]
	v_fma_f64 v[127:128], -v[127:128], v[140:141], v[138:139]
	v_div_fmas_f64 v[127:128], v[127:128], v[136:137], v[140:141]
	v_div_fixup_f64 v[0:1], v[127:128], v[0:1], 1.0
.LBB118_206:
	s_or_b32 exec_lo, exec_lo, s0
	s_mov_b32 s0, exec_lo
	v_cmpx_ne_u32_e64 v135, v126
	s_xor_b32 s0, exec_lo, s0
	s_cbranch_execz .LBB118_212
; %bb.207:
	s_mov_b32 s1, exec_lo
	v_cmpx_eq_u32_e32 12, v135
	s_cbranch_execz .LBB118_211
; %bb.208:
	v_cmp_ne_u32_e32 vcc_lo, 12, v126
	s_xor_b32 s2, s6, -1
	s_and_b32 s3, s2, vcc_lo
	s_and_saveexec_b32 s2, s3
	s_cbranch_execz .LBB118_210
; %bb.209:
	v_ashrrev_i32_e32 v127, 31, v126
	v_lshlrev_b64 v[127:128], 2, v[126:127]
	v_add_co_u32 v127, vcc_lo, v4, v127
	v_add_co_ci_u32_e64 v128, null, v5, v128, vcc_lo
	s_clause 0x1
	global_load_dword v134, v[127:128], off
	global_load_dword v135, v[4:5], off offset:48
	s_waitcnt vmcnt(1)
	global_store_dword v[4:5], v134, off offset:48
	s_waitcnt vmcnt(0)
	global_store_dword v[127:128], v135, off
.LBB118_210:
	s_or_b32 exec_lo, exec_lo, s2
	v_mov_b32_e32 v134, v126
	v_mov_b32_e32 v135, v126
.LBB118_211:
	s_or_b32 exec_lo, exec_lo, s1
.LBB118_212:
	s_andn2_saveexec_b32 s0, s0
	s_cbranch_execz .LBB118_214
; %bb.213:
	v_mov_b32_e32 v135, 12
	ds_write2_b64 v132, v[94:95], v[96:97] offset0:13 offset1:14
	ds_write2_b64 v132, v[92:93], v[90:91] offset0:15 offset1:16
	;; [unrolled: 1-line block ×23, first 2 shown]
	ds_write_b64 v132, v[124:125] offset:472
.LBB118_214:
	s_or_b32 exec_lo, exec_lo, s0
	s_mov_b32 s0, exec_lo
	s_waitcnt lgkmcnt(0)
	s_waitcnt_vscnt null, 0x0
	s_barrier
	buffer_gl0_inv
	v_cmpx_lt_i32_e32 12, v135
	s_cbranch_execz .LBB118_216
; %bb.215:
	v_mul_f64 v[100:101], v[0:1], v[100:101]
	ds_read2_b64 v[136:139], v132 offset0:13 offset1:14
	ds_read2_b64 v[140:143], v132 offset0:15 offset1:16
	ds_read2_b64 v[144:147], v132 offset0:17 offset1:18
	ds_read2_b64 v[148:151], v132 offset0:19 offset1:20
	ds_read2_b64 v[152:155], v132 offset0:21 offset1:22
	ds_read2_b64 v[156:159], v132 offset0:23 offset1:24
	ds_read2_b64 v[160:163], v132 offset0:25 offset1:26
	ds_read2_b64 v[164:167], v132 offset0:27 offset1:28
	ds_read2_b64 v[168:171], v132 offset0:29 offset1:30
	ds_read2_b64 v[172:175], v132 offset0:31 offset1:32
	ds_read2_b64 v[176:179], v132 offset0:33 offset1:34
	ds_read2_b64 v[180:183], v132 offset0:35 offset1:36
	ds_read_b64 v[0:1], v132 offset:472
	s_waitcnt lgkmcnt(12)
	v_fma_f64 v[94:95], -v[100:101], v[136:137], v[94:95]
	v_fma_f64 v[96:97], -v[100:101], v[138:139], v[96:97]
	ds_read2_b64 v[136:139], v132 offset0:37 offset1:38
	s_waitcnt lgkmcnt(12)
	v_fma_f64 v[92:93], -v[100:101], v[140:141], v[92:93]
	v_fma_f64 v[90:91], -v[100:101], v[142:143], v[90:91]
	s_waitcnt lgkmcnt(11)
	v_fma_f64 v[88:89], -v[100:101], v[144:145], v[88:89]
	v_fma_f64 v[86:87], -v[100:101], v[146:147], v[86:87]
	;; [unrolled: 3-line block ×7, first 2 shown]
	ds_read2_b64 v[140:143], v132 offset0:39 offset1:40
	s_waitcnt lgkmcnt(6)
	v_fma_f64 v[64:65], -v[100:101], v[168:169], v[64:65]
	v_fma_f64 v[62:63], -v[100:101], v[170:171], v[62:63]
	ds_read2_b64 v[144:147], v132 offset0:41 offset1:42
	ds_read2_b64 v[148:151], v132 offset0:43 offset1:44
	s_waitcnt lgkmcnt(7)
	v_fma_f64 v[58:59], -v[100:101], v[172:173], v[58:59]
	v_fma_f64 v[60:61], -v[100:101], v[174:175], v[60:61]
	ds_read2_b64 v[152:155], v132 offset0:45 offset1:46
	ds_read2_b64 v[156:159], v132 offset0:47 offset1:48
	;; [unrolled: 1-line block ×6, first 2 shown]
	s_waitcnt lgkmcnt(9)
	v_fma_f64 v[48:49], -v[100:101], v[136:137], v[48:49]
	v_fma_f64 v[46:47], -v[100:101], v[138:139], v[46:47]
	ds_read2_b64 v[136:139], v132 offset0:57 offset1:58
	v_fma_f64 v[54:55], -v[100:101], v[176:177], v[54:55]
	v_fma_f64 v[56:57], -v[100:101], v[178:179], v[56:57]
	;; [unrolled: 1-line block ×4, first 2 shown]
	s_waitcnt lgkmcnt(9)
	v_fma_f64 v[44:45], -v[100:101], v[140:141], v[44:45]
	v_fma_f64 v[42:43], -v[100:101], v[142:143], v[42:43]
	v_fma_f64 v[124:125], -v[100:101], v[0:1], v[124:125]
	s_waitcnt lgkmcnt(8)
	v_fma_f64 v[38:39], -v[100:101], v[144:145], v[38:39]
	v_fma_f64 v[40:41], -v[100:101], v[146:147], v[40:41]
	s_waitcnt lgkmcnt(7)
	v_fma_f64 v[34:35], -v[100:101], v[148:149], v[34:35]
	v_fma_f64 v[36:37], -v[100:101], v[150:151], v[36:37]
	;; [unrolled: 3-line block ×9, first 2 shown]
.LBB118_216:
	s_or_b32 exec_lo, exec_lo, s0
	v_lshl_add_u32 v0, v135, 3, v132
	s_barrier
	buffer_gl0_inv
	v_mov_b32_e32 v126, 13
	ds_write_b64 v0, v[94:95]
	s_waitcnt lgkmcnt(0)
	s_barrier
	buffer_gl0_inv
	ds_read_b64 v[0:1], v132 offset:104
	s_cmp_lt_i32 s7, 15
	s_cbranch_scc1 .LBB118_219
; %bb.217:
	v_add3_u32 v127, v133, 0, 0x70
	v_mov_b32_e32 v126, 13
	s_mov_b32 s0, 14
.LBB118_218:                            ; =>This Inner Loop Header: Depth=1
	ds_read_b64 v[136:137], v127
	v_add_nc_u32_e32 v127, 8, v127
	s_waitcnt lgkmcnt(0)
	v_cmp_lt_f64_e64 vcc_lo, |v[0:1]|, |v[136:137]|
	v_cndmask_b32_e32 v1, v1, v137, vcc_lo
	v_cndmask_b32_e32 v0, v0, v136, vcc_lo
	v_cndmask_b32_e64 v126, v126, s0, vcc_lo
	s_add_i32 s0, s0, 1
	s_cmp_lg_u32 s7, s0
	s_cbranch_scc1 .LBB118_218
.LBB118_219:
	s_mov_b32 s0, exec_lo
	s_waitcnt lgkmcnt(0)
	v_cmpx_eq_f64_e32 0, v[0:1]
	s_xor_b32 s0, exec_lo, s0
; %bb.220:
	v_cmp_ne_u32_e32 vcc_lo, 0, v129
	v_cndmask_b32_e32 v129, 14, v129, vcc_lo
; %bb.221:
	s_andn2_saveexec_b32 s0, s0
	s_cbranch_execz .LBB118_223
; %bb.222:
	v_div_scale_f64 v[127:128], null, v[0:1], v[0:1], 1.0
	v_rcp_f64_e32 v[136:137], v[127:128]
	v_fma_f64 v[138:139], -v[127:128], v[136:137], 1.0
	v_fma_f64 v[136:137], v[136:137], v[138:139], v[136:137]
	v_fma_f64 v[138:139], -v[127:128], v[136:137], 1.0
	v_fma_f64 v[136:137], v[136:137], v[138:139], v[136:137]
	v_div_scale_f64 v[138:139], vcc_lo, 1.0, v[0:1], 1.0
	v_mul_f64 v[140:141], v[138:139], v[136:137]
	v_fma_f64 v[127:128], -v[127:128], v[140:141], v[138:139]
	v_div_fmas_f64 v[127:128], v[127:128], v[136:137], v[140:141]
	v_div_fixup_f64 v[0:1], v[127:128], v[0:1], 1.0
.LBB118_223:
	s_or_b32 exec_lo, exec_lo, s0
	s_mov_b32 s0, exec_lo
	v_cmpx_ne_u32_e64 v135, v126
	s_xor_b32 s0, exec_lo, s0
	s_cbranch_execz .LBB118_229
; %bb.224:
	s_mov_b32 s1, exec_lo
	v_cmpx_eq_u32_e32 13, v135
	s_cbranch_execz .LBB118_228
; %bb.225:
	v_cmp_ne_u32_e32 vcc_lo, 13, v126
	s_xor_b32 s2, s6, -1
	s_and_b32 s3, s2, vcc_lo
	s_and_saveexec_b32 s2, s3
	s_cbranch_execz .LBB118_227
; %bb.226:
	v_ashrrev_i32_e32 v127, 31, v126
	v_lshlrev_b64 v[127:128], 2, v[126:127]
	v_add_co_u32 v127, vcc_lo, v4, v127
	v_add_co_ci_u32_e64 v128, null, v5, v128, vcc_lo
	s_clause 0x1
	global_load_dword v134, v[127:128], off
	global_load_dword v135, v[4:5], off offset:52
	s_waitcnt vmcnt(1)
	global_store_dword v[4:5], v134, off offset:52
	s_waitcnt vmcnt(0)
	global_store_dword v[127:128], v135, off
.LBB118_227:
	s_or_b32 exec_lo, exec_lo, s2
	v_mov_b32_e32 v134, v126
	v_mov_b32_e32 v135, v126
.LBB118_228:
	s_or_b32 exec_lo, exec_lo, s1
.LBB118_229:
	s_andn2_saveexec_b32 s0, s0
	s_cbranch_execz .LBB118_231
; %bb.230:
	v_mov_b32_e32 v126, v96
	v_mov_b32_e32 v127, v97
	;; [unrolled: 1-line block ×16, first 2 shown]
	ds_write2_b64 v132, v[126:127], v[135:136] offset0:14 offset1:15
	ds_write2_b64 v132, v[137:138], v[139:140] offset0:16 offset1:17
	ds_write2_b64 v132, v[141:142], v[143:144] offset0:18 offset1:19
	ds_write2_b64 v132, v[145:146], v[147:148] offset0:20 offset1:21
	v_mov_b32_e32 v126, v80
	v_mov_b32_e32 v127, v81
	v_mov_b32_e32 v135, v74
	v_mov_b32_e32 v136, v75
	v_mov_b32_e32 v137, v76
	v_mov_b32_e32 v138, v77
	v_mov_b32_e32 v139, v72
	v_mov_b32_e32 v140, v73
	v_mov_b32_e32 v141, v70
	v_mov_b32_e32 v142, v71
	v_mov_b32_e32 v143, v68
	v_mov_b32_e32 v144, v69
	v_mov_b32_e32 v145, v66
	v_mov_b32_e32 v146, v67
	v_mov_b32_e32 v147, v64
	v_mov_b32_e32 v148, v65
	v_mov_b32_e32 v149, v62
	v_mov_b32_e32 v150, v63
	v_mov_b32_e32 v151, v58
	v_mov_b32_e32 v152, v59
	ds_write2_b64 v132, v[126:127], v[135:136] offset0:22 offset1:23
	ds_write2_b64 v132, v[137:138], v[139:140] offset0:24 offset1:25
	ds_write2_b64 v132, v[141:142], v[143:144] offset0:26 offset1:27
	ds_write2_b64 v132, v[145:146], v[147:148] offset0:28 offset1:29
	ds_write2_b64 v132, v[149:150], v[151:152] offset0:30 offset1:31
	v_mov_b32_e32 v126, v60
	v_mov_b32_e32 v127, v61
	v_mov_b32_e32 v135, v54
	v_mov_b32_e32 v136, v55
	v_mov_b32_e32 v137, v56
	v_mov_b32_e32 v138, v57
	v_mov_b32_e32 v139, v52
	v_mov_b32_e32 v140, v53
	v_mov_b32_e32 v141, v50
	v_mov_b32_e32 v142, v51
	v_mov_b32_e32 v143, v48
	v_mov_b32_e32 v144, v49
	v_mov_b32_e32 v145, v46
	v_mov_b32_e32 v146, v47
	v_mov_b32_e32 v147, v44
	v_mov_b32_e32 v148, v45
	v_mov_b32_e32 v149, v42
	v_mov_b32_e32 v150, v43
	v_mov_b32_e32 v151, v38
	v_mov_b32_e32 v152, v39
	ds_write2_b64 v132, v[126:127], v[135:136] offset0:32 offset1:33
	;; [unrolled: 25-line block ×3, first 2 shown]
	ds_write2_b64 v132, v[137:138], v[139:140] offset0:44 offset1:45
	ds_write2_b64 v132, v[141:142], v[143:144] offset0:46 offset1:47
	;; [unrolled: 1-line block ×4, first 2 shown]
	v_mov_b32_e32 v126, v20
	v_mov_b32_e32 v127, v21
	;; [unrolled: 1-line block ×15, first 2 shown]
	ds_write2_b64 v132, v[126:127], v[136:137] offset0:52 offset1:53
	ds_write2_b64 v132, v[138:139], v[140:141] offset0:54 offset1:55
	;; [unrolled: 1-line block ×4, first 2 shown]
.LBB118_231:
	s_or_b32 exec_lo, exec_lo, s0
	s_mov_b32 s0, exec_lo
	s_waitcnt lgkmcnt(0)
	s_waitcnt_vscnt null, 0x0
	s_barrier
	buffer_gl0_inv
	v_cmpx_lt_i32_e32 13, v135
	s_cbranch_execz .LBB118_233
; %bb.232:
	v_mul_f64 v[94:95], v[0:1], v[94:95]
	ds_read2_b64 v[136:139], v132 offset0:14 offset1:15
	ds_read2_b64 v[140:143], v132 offset0:16 offset1:17
	;; [unrolled: 1-line block ×11, first 2 shown]
	s_waitcnt lgkmcnt(10)
	v_fma_f64 v[96:97], -v[94:95], v[136:137], v[96:97]
	v_fma_f64 v[92:93], -v[94:95], v[138:139], v[92:93]
	ds_read2_b64 v[136:139], v132 offset0:36 offset1:37
	s_waitcnt lgkmcnt(10)
	v_fma_f64 v[90:91], -v[94:95], v[140:141], v[90:91]
	v_fma_f64 v[88:89], -v[94:95], v[142:143], v[88:89]
	s_waitcnt lgkmcnt(9)
	v_fma_f64 v[86:87], -v[94:95], v[144:145], v[86:87]
	v_fma_f64 v[84:85], -v[94:95], v[146:147], v[84:85]
	;; [unrolled: 3-line block ×6, first 2 shown]
	ds_read2_b64 v[140:143], v132 offset0:38 offset1:39
	s_waitcnt lgkmcnt(5)
	v_fma_f64 v[66:67], -v[94:95], v[164:165], v[66:67]
	v_fma_f64 v[64:65], -v[94:95], v[166:167], v[64:65]
	ds_read2_b64 v[144:147], v132 offset0:40 offset1:41
	ds_read2_b64 v[148:151], v132 offset0:42 offset1:43
	s_waitcnt lgkmcnt(6)
	v_fma_f64 v[62:63], -v[94:95], v[168:169], v[62:63]
	v_fma_f64 v[58:59], -v[94:95], v[170:171], v[58:59]
	ds_read2_b64 v[152:155], v132 offset0:44 offset1:45
	;; [unrolled: 5-line block ×5, first 2 shown]
	ds_read2_b64 v[176:179], v132 offset0:58 offset1:59
	s_waitcnt lgkmcnt(10)
	v_fma_f64 v[46:47], -v[94:95], v[140:141], v[46:47]
	v_fma_f64 v[44:45], -v[94:95], v[142:143], v[44:45]
	s_waitcnt lgkmcnt(9)
	v_fma_f64 v[42:43], -v[94:95], v[144:145], v[42:43]
	v_fma_f64 v[38:39], -v[94:95], v[146:147], v[38:39]
	;; [unrolled: 3-line block ×11, first 2 shown]
.LBB118_233:
	s_or_b32 exec_lo, exec_lo, s0
	v_lshl_add_u32 v0, v135, 3, v132
	s_barrier
	buffer_gl0_inv
	v_mov_b32_e32 v126, 14
	ds_write_b64 v0, v[96:97]
	s_waitcnt lgkmcnt(0)
	s_barrier
	buffer_gl0_inv
	ds_read_b64 v[0:1], v132 offset:112
	s_cmp_lt_i32 s7, 16
	s_cbranch_scc1 .LBB118_236
; %bb.234:
	v_add3_u32 v127, v133, 0, 0x78
	v_mov_b32_e32 v126, 14
	s_mov_b32 s0, 15
.LBB118_235:                            ; =>This Inner Loop Header: Depth=1
	ds_read_b64 v[136:137], v127
	v_add_nc_u32_e32 v127, 8, v127
	s_waitcnt lgkmcnt(0)
	v_cmp_lt_f64_e64 vcc_lo, |v[0:1]|, |v[136:137]|
	v_cndmask_b32_e32 v1, v1, v137, vcc_lo
	v_cndmask_b32_e32 v0, v0, v136, vcc_lo
	v_cndmask_b32_e64 v126, v126, s0, vcc_lo
	s_add_i32 s0, s0, 1
	s_cmp_lg_u32 s7, s0
	s_cbranch_scc1 .LBB118_235
.LBB118_236:
	s_mov_b32 s0, exec_lo
	s_waitcnt lgkmcnt(0)
	v_cmpx_eq_f64_e32 0, v[0:1]
	s_xor_b32 s0, exec_lo, s0
; %bb.237:
	v_cmp_ne_u32_e32 vcc_lo, 0, v129
	v_cndmask_b32_e32 v129, 15, v129, vcc_lo
; %bb.238:
	s_andn2_saveexec_b32 s0, s0
	s_cbranch_execz .LBB118_240
; %bb.239:
	v_div_scale_f64 v[127:128], null, v[0:1], v[0:1], 1.0
	v_rcp_f64_e32 v[136:137], v[127:128]
	v_fma_f64 v[138:139], -v[127:128], v[136:137], 1.0
	v_fma_f64 v[136:137], v[136:137], v[138:139], v[136:137]
	v_fma_f64 v[138:139], -v[127:128], v[136:137], 1.0
	v_fma_f64 v[136:137], v[136:137], v[138:139], v[136:137]
	v_div_scale_f64 v[138:139], vcc_lo, 1.0, v[0:1], 1.0
	v_mul_f64 v[140:141], v[138:139], v[136:137]
	v_fma_f64 v[127:128], -v[127:128], v[140:141], v[138:139]
	v_div_fmas_f64 v[127:128], v[127:128], v[136:137], v[140:141]
	v_div_fixup_f64 v[0:1], v[127:128], v[0:1], 1.0
.LBB118_240:
	s_or_b32 exec_lo, exec_lo, s0
	s_mov_b32 s0, exec_lo
	v_cmpx_ne_u32_e64 v135, v126
	s_xor_b32 s0, exec_lo, s0
	s_cbranch_execz .LBB118_246
; %bb.241:
	s_mov_b32 s1, exec_lo
	v_cmpx_eq_u32_e32 14, v135
	s_cbranch_execz .LBB118_245
; %bb.242:
	v_cmp_ne_u32_e32 vcc_lo, 14, v126
	s_xor_b32 s2, s6, -1
	s_and_b32 s3, s2, vcc_lo
	s_and_saveexec_b32 s2, s3
	s_cbranch_execz .LBB118_244
; %bb.243:
	v_ashrrev_i32_e32 v127, 31, v126
	v_lshlrev_b64 v[127:128], 2, v[126:127]
	v_add_co_u32 v127, vcc_lo, v4, v127
	v_add_co_ci_u32_e64 v128, null, v5, v128, vcc_lo
	s_clause 0x1
	global_load_dword v134, v[127:128], off
	global_load_dword v135, v[4:5], off offset:56
	s_waitcnt vmcnt(1)
	global_store_dword v[4:5], v134, off offset:56
	s_waitcnt vmcnt(0)
	global_store_dword v[127:128], v135, off
.LBB118_244:
	s_or_b32 exec_lo, exec_lo, s2
	v_mov_b32_e32 v134, v126
	v_mov_b32_e32 v135, v126
.LBB118_245:
	s_or_b32 exec_lo, exec_lo, s1
.LBB118_246:
	s_andn2_saveexec_b32 s0, s0
	s_cbranch_execz .LBB118_248
; %bb.247:
	v_mov_b32_e32 v135, 14
	ds_write2_b64 v132, v[92:93], v[90:91] offset0:15 offset1:16
	ds_write2_b64 v132, v[88:89], v[86:87] offset0:17 offset1:18
	;; [unrolled: 1-line block ×22, first 2 shown]
	ds_write_b64 v132, v[124:125] offset:472
.LBB118_248:
	s_or_b32 exec_lo, exec_lo, s0
	s_mov_b32 s0, exec_lo
	s_waitcnt lgkmcnt(0)
	s_waitcnt_vscnt null, 0x0
	s_barrier
	buffer_gl0_inv
	v_cmpx_lt_i32_e32 14, v135
	s_cbranch_execz .LBB118_250
; %bb.249:
	v_mul_f64 v[96:97], v[0:1], v[96:97]
	ds_read2_b64 v[136:139], v132 offset0:15 offset1:16
	ds_read2_b64 v[140:143], v132 offset0:17 offset1:18
	;; [unrolled: 1-line block ×11, first 2 shown]
	ds_read_b64 v[0:1], v132 offset:472
	s_waitcnt lgkmcnt(11)
	v_fma_f64 v[92:93], -v[96:97], v[136:137], v[92:93]
	v_fma_f64 v[90:91], -v[96:97], v[138:139], v[90:91]
	ds_read2_b64 v[136:139], v132 offset0:37 offset1:38
	s_waitcnt lgkmcnt(11)
	v_fma_f64 v[88:89], -v[96:97], v[140:141], v[88:89]
	v_fma_f64 v[86:87], -v[96:97], v[142:143], v[86:87]
	s_waitcnt lgkmcnt(10)
	v_fma_f64 v[84:85], -v[96:97], v[144:145], v[84:85]
	v_fma_f64 v[82:83], -v[96:97], v[146:147], v[82:83]
	;; [unrolled: 3-line block ×6, first 2 shown]
	ds_read2_b64 v[140:143], v132 offset0:39 offset1:40
	s_waitcnt lgkmcnt(6)
	v_fma_f64 v[64:65], -v[96:97], v[164:165], v[64:65]
	v_fma_f64 v[62:63], -v[96:97], v[166:167], v[62:63]
	ds_read2_b64 v[144:147], v132 offset0:41 offset1:42
	ds_read2_b64 v[148:151], v132 offset0:43 offset1:44
	s_waitcnt lgkmcnt(7)
	v_fma_f64 v[58:59], -v[96:97], v[168:169], v[58:59]
	v_fma_f64 v[60:61], -v[96:97], v[170:171], v[60:61]
	ds_read2_b64 v[152:155], v132 offset0:45 offset1:46
	;; [unrolled: 5-line block ×3, first 2 shown]
	ds_read2_b64 v[164:167], v132 offset0:51 offset1:52
	ds_read2_b64 v[168:171], v132 offset0:53 offset1:54
	;; [unrolled: 1-line block ×3, first 2 shown]
	s_waitcnt lgkmcnt(9)
	v_fma_f64 v[48:49], -v[96:97], v[136:137], v[48:49]
	v_fma_f64 v[46:47], -v[96:97], v[138:139], v[46:47]
	ds_read2_b64 v[136:139], v132 offset0:57 offset1:58
	v_fma_f64 v[52:53], -v[96:97], v[176:177], v[52:53]
	v_fma_f64 v[50:51], -v[96:97], v[178:179], v[50:51]
	s_waitcnt lgkmcnt(9)
	v_fma_f64 v[44:45], -v[96:97], v[140:141], v[44:45]
	v_fma_f64 v[42:43], -v[96:97], v[142:143], v[42:43]
	;; [unrolled: 1-line block ×3, first 2 shown]
	s_waitcnt lgkmcnt(8)
	v_fma_f64 v[38:39], -v[96:97], v[144:145], v[38:39]
	v_fma_f64 v[40:41], -v[96:97], v[146:147], v[40:41]
	s_waitcnt lgkmcnt(7)
	v_fma_f64 v[34:35], -v[96:97], v[148:149], v[34:35]
	v_fma_f64 v[36:37], -v[96:97], v[150:151], v[36:37]
	;; [unrolled: 3-line block ×9, first 2 shown]
.LBB118_250:
	s_or_b32 exec_lo, exec_lo, s0
	v_lshl_add_u32 v0, v135, 3, v132
	s_barrier
	buffer_gl0_inv
	v_mov_b32_e32 v126, 15
	ds_write_b64 v0, v[92:93]
	s_waitcnt lgkmcnt(0)
	s_barrier
	buffer_gl0_inv
	ds_read_b64 v[0:1], v132 offset:120
	s_cmp_lt_i32 s7, 17
	s_cbranch_scc1 .LBB118_253
; %bb.251:
	v_add3_u32 v127, v133, 0, 0x80
	v_mov_b32_e32 v126, 15
	s_mov_b32 s0, 16
.LBB118_252:                            ; =>This Inner Loop Header: Depth=1
	ds_read_b64 v[136:137], v127
	v_add_nc_u32_e32 v127, 8, v127
	s_waitcnt lgkmcnt(0)
	v_cmp_lt_f64_e64 vcc_lo, |v[0:1]|, |v[136:137]|
	v_cndmask_b32_e32 v1, v1, v137, vcc_lo
	v_cndmask_b32_e32 v0, v0, v136, vcc_lo
	v_cndmask_b32_e64 v126, v126, s0, vcc_lo
	s_add_i32 s0, s0, 1
	s_cmp_lg_u32 s7, s0
	s_cbranch_scc1 .LBB118_252
.LBB118_253:
	s_mov_b32 s0, exec_lo
	s_waitcnt lgkmcnt(0)
	v_cmpx_eq_f64_e32 0, v[0:1]
	s_xor_b32 s0, exec_lo, s0
; %bb.254:
	v_cmp_ne_u32_e32 vcc_lo, 0, v129
	v_cndmask_b32_e32 v129, 16, v129, vcc_lo
; %bb.255:
	s_andn2_saveexec_b32 s0, s0
	s_cbranch_execz .LBB118_257
; %bb.256:
	v_div_scale_f64 v[127:128], null, v[0:1], v[0:1], 1.0
	v_rcp_f64_e32 v[136:137], v[127:128]
	v_fma_f64 v[138:139], -v[127:128], v[136:137], 1.0
	v_fma_f64 v[136:137], v[136:137], v[138:139], v[136:137]
	v_fma_f64 v[138:139], -v[127:128], v[136:137], 1.0
	v_fma_f64 v[136:137], v[136:137], v[138:139], v[136:137]
	v_div_scale_f64 v[138:139], vcc_lo, 1.0, v[0:1], 1.0
	v_mul_f64 v[140:141], v[138:139], v[136:137]
	v_fma_f64 v[127:128], -v[127:128], v[140:141], v[138:139]
	v_div_fmas_f64 v[127:128], v[127:128], v[136:137], v[140:141]
	v_div_fixup_f64 v[0:1], v[127:128], v[0:1], 1.0
.LBB118_257:
	s_or_b32 exec_lo, exec_lo, s0
	s_mov_b32 s0, exec_lo
	v_cmpx_ne_u32_e64 v135, v126
	s_xor_b32 s0, exec_lo, s0
	s_cbranch_execz .LBB118_263
; %bb.258:
	s_mov_b32 s1, exec_lo
	v_cmpx_eq_u32_e32 15, v135
	s_cbranch_execz .LBB118_262
; %bb.259:
	v_cmp_ne_u32_e32 vcc_lo, 15, v126
	s_xor_b32 s2, s6, -1
	s_and_b32 s3, s2, vcc_lo
	s_and_saveexec_b32 s2, s3
	s_cbranch_execz .LBB118_261
; %bb.260:
	v_ashrrev_i32_e32 v127, 31, v126
	v_lshlrev_b64 v[127:128], 2, v[126:127]
	v_add_co_u32 v127, vcc_lo, v4, v127
	v_add_co_ci_u32_e64 v128, null, v5, v128, vcc_lo
	s_clause 0x1
	global_load_dword v134, v[127:128], off
	global_load_dword v135, v[4:5], off offset:60
	s_waitcnt vmcnt(1)
	global_store_dword v[4:5], v134, off offset:60
	s_waitcnt vmcnt(0)
	global_store_dword v[127:128], v135, off
.LBB118_261:
	s_or_b32 exec_lo, exec_lo, s2
	v_mov_b32_e32 v134, v126
	v_mov_b32_e32 v135, v126
.LBB118_262:
	s_or_b32 exec_lo, exec_lo, s1
.LBB118_263:
	s_andn2_saveexec_b32 s0, s0
	s_cbranch_execz .LBB118_265
; %bb.264:
	v_mov_b32_e32 v126, v90
	v_mov_b32_e32 v127, v91
	;; [unrolled: 1-line block ×12, first 2 shown]
	ds_write2_b64 v132, v[126:127], v[135:136] offset0:16 offset1:17
	ds_write2_b64 v132, v[137:138], v[139:140] offset0:18 offset1:19
	ds_write2_b64 v132, v[141:142], v[143:144] offset0:20 offset1:21
	v_mov_b32_e32 v126, v80
	v_mov_b32_e32 v127, v81
	v_mov_b32_e32 v135, v74
	v_mov_b32_e32 v136, v75
	v_mov_b32_e32 v137, v76
	v_mov_b32_e32 v138, v77
	v_mov_b32_e32 v139, v72
	v_mov_b32_e32 v140, v73
	v_mov_b32_e32 v141, v70
	v_mov_b32_e32 v142, v71
	v_mov_b32_e32 v143, v68
	v_mov_b32_e32 v144, v69
	v_mov_b32_e32 v145, v66
	v_mov_b32_e32 v146, v67
	v_mov_b32_e32 v147, v64
	v_mov_b32_e32 v148, v65
	v_mov_b32_e32 v149, v62
	v_mov_b32_e32 v150, v63
	v_mov_b32_e32 v151, v58
	v_mov_b32_e32 v152, v59
	ds_write2_b64 v132, v[126:127], v[135:136] offset0:22 offset1:23
	ds_write2_b64 v132, v[137:138], v[139:140] offset0:24 offset1:25
	ds_write2_b64 v132, v[141:142], v[143:144] offset0:26 offset1:27
	ds_write2_b64 v132, v[145:146], v[147:148] offset0:28 offset1:29
	ds_write2_b64 v132, v[149:150], v[151:152] offset0:30 offset1:31
	v_mov_b32_e32 v126, v60
	v_mov_b32_e32 v127, v61
	v_mov_b32_e32 v135, v54
	v_mov_b32_e32 v136, v55
	v_mov_b32_e32 v137, v56
	v_mov_b32_e32 v138, v57
	v_mov_b32_e32 v139, v52
	v_mov_b32_e32 v140, v53
	v_mov_b32_e32 v141, v50
	v_mov_b32_e32 v142, v51
	v_mov_b32_e32 v143, v48
	v_mov_b32_e32 v144, v49
	v_mov_b32_e32 v145, v46
	v_mov_b32_e32 v146, v47
	v_mov_b32_e32 v147, v44
	v_mov_b32_e32 v148, v45
	v_mov_b32_e32 v149, v42
	v_mov_b32_e32 v150, v43
	v_mov_b32_e32 v151, v38
	v_mov_b32_e32 v152, v39
	ds_write2_b64 v132, v[126:127], v[135:136] offset0:32 offset1:33
	ds_write2_b64 v132, v[137:138], v[139:140] offset0:34 offset1:35
	;; [unrolled: 25-line block ×3, first 2 shown]
	ds_write2_b64 v132, v[141:142], v[143:144] offset0:46 offset1:47
	ds_write2_b64 v132, v[145:146], v[147:148] offset0:48 offset1:49
	;; [unrolled: 1-line block ×3, first 2 shown]
	v_mov_b32_e32 v126, v20
	v_mov_b32_e32 v127, v21
	;; [unrolled: 1-line block ×15, first 2 shown]
	ds_write2_b64 v132, v[126:127], v[136:137] offset0:52 offset1:53
	ds_write2_b64 v132, v[138:139], v[140:141] offset0:54 offset1:55
	;; [unrolled: 1-line block ×4, first 2 shown]
.LBB118_265:
	s_or_b32 exec_lo, exec_lo, s0
	s_mov_b32 s0, exec_lo
	s_waitcnt lgkmcnt(0)
	s_waitcnt_vscnt null, 0x0
	s_barrier
	buffer_gl0_inv
	v_cmpx_lt_i32_e32 15, v135
	s_cbranch_execz .LBB118_267
; %bb.266:
	v_mul_f64 v[92:93], v[0:1], v[92:93]
	ds_read2_b64 v[136:139], v132 offset0:16 offset1:17
	ds_read2_b64 v[140:143], v132 offset0:18 offset1:19
	;; [unrolled: 1-line block ×11, first 2 shown]
	s_waitcnt lgkmcnt(10)
	v_fma_f64 v[90:91], -v[92:93], v[136:137], v[90:91]
	v_fma_f64 v[88:89], -v[92:93], v[138:139], v[88:89]
	s_waitcnt lgkmcnt(9)
	v_fma_f64 v[86:87], -v[92:93], v[140:141], v[86:87]
	v_fma_f64 v[84:85], -v[92:93], v[142:143], v[84:85]
	;; [unrolled: 3-line block ×6, first 2 shown]
	ds_read2_b64 v[136:139], v132 offset0:38 offset1:39
	ds_read2_b64 v[140:143], v132 offset0:40 offset1:41
	s_waitcnt lgkmcnt(6)
	v_fma_f64 v[66:67], -v[92:93], v[160:161], v[66:67]
	v_fma_f64 v[64:65], -v[92:93], v[162:163], v[64:65]
	s_waitcnt lgkmcnt(5)
	v_fma_f64 v[62:63], -v[92:93], v[164:165], v[62:63]
	ds_read2_b64 v[144:147], v132 offset0:42 offset1:43
	ds_read2_b64 v[148:151], v132 offset0:44 offset1:45
	v_fma_f64 v[58:59], -v[92:93], v[166:167], v[58:59]
	s_waitcnt lgkmcnt(6)
	v_fma_f64 v[60:61], -v[92:93], v[168:169], v[60:61]
	ds_read2_b64 v[152:155], v132 offset0:46 offset1:47
	ds_read2_b64 v[156:159], v132 offset0:48 offset1:49
	;; [unrolled: 5-line block ×4, first 2 shown]
	v_fma_f64 v[48:49], -v[92:93], v[178:179], v[48:49]
	ds_read2_b64 v[176:179], v132 offset0:58 offset1:59
	s_waitcnt lgkmcnt(10)
	v_fma_f64 v[46:47], -v[92:93], v[136:137], v[46:47]
	v_fma_f64 v[44:45], -v[92:93], v[138:139], v[44:45]
	s_waitcnt lgkmcnt(9)
	v_fma_f64 v[42:43], -v[92:93], v[140:141], v[42:43]
	v_fma_f64 v[38:39], -v[92:93], v[142:143], v[38:39]
	;; [unrolled: 3-line block ×11, first 2 shown]
.LBB118_267:
	s_or_b32 exec_lo, exec_lo, s0
	v_lshl_add_u32 v0, v135, 3, v132
	s_barrier
	buffer_gl0_inv
	v_mov_b32_e32 v126, 16
	ds_write_b64 v0, v[90:91]
	s_waitcnt lgkmcnt(0)
	s_barrier
	buffer_gl0_inv
	ds_read_b64 v[0:1], v132 offset:128
	s_cmp_lt_i32 s7, 18
	s_cbranch_scc1 .LBB118_270
; %bb.268:
	v_add3_u32 v127, v133, 0, 0x88
	v_mov_b32_e32 v126, 16
	s_mov_b32 s0, 17
.LBB118_269:                            ; =>This Inner Loop Header: Depth=1
	ds_read_b64 v[136:137], v127
	v_add_nc_u32_e32 v127, 8, v127
	s_waitcnt lgkmcnt(0)
	v_cmp_lt_f64_e64 vcc_lo, |v[0:1]|, |v[136:137]|
	v_cndmask_b32_e32 v1, v1, v137, vcc_lo
	v_cndmask_b32_e32 v0, v0, v136, vcc_lo
	v_cndmask_b32_e64 v126, v126, s0, vcc_lo
	s_add_i32 s0, s0, 1
	s_cmp_lg_u32 s7, s0
	s_cbranch_scc1 .LBB118_269
.LBB118_270:
	s_mov_b32 s0, exec_lo
	s_waitcnt lgkmcnt(0)
	v_cmpx_eq_f64_e32 0, v[0:1]
	s_xor_b32 s0, exec_lo, s0
; %bb.271:
	v_cmp_ne_u32_e32 vcc_lo, 0, v129
	v_cndmask_b32_e32 v129, 17, v129, vcc_lo
; %bb.272:
	s_andn2_saveexec_b32 s0, s0
	s_cbranch_execz .LBB118_274
; %bb.273:
	v_div_scale_f64 v[127:128], null, v[0:1], v[0:1], 1.0
	v_rcp_f64_e32 v[136:137], v[127:128]
	v_fma_f64 v[138:139], -v[127:128], v[136:137], 1.0
	v_fma_f64 v[136:137], v[136:137], v[138:139], v[136:137]
	v_fma_f64 v[138:139], -v[127:128], v[136:137], 1.0
	v_fma_f64 v[136:137], v[136:137], v[138:139], v[136:137]
	v_div_scale_f64 v[138:139], vcc_lo, 1.0, v[0:1], 1.0
	v_mul_f64 v[140:141], v[138:139], v[136:137]
	v_fma_f64 v[127:128], -v[127:128], v[140:141], v[138:139]
	v_div_fmas_f64 v[127:128], v[127:128], v[136:137], v[140:141]
	v_div_fixup_f64 v[0:1], v[127:128], v[0:1], 1.0
.LBB118_274:
	s_or_b32 exec_lo, exec_lo, s0
	s_mov_b32 s0, exec_lo
	v_cmpx_ne_u32_e64 v135, v126
	s_xor_b32 s0, exec_lo, s0
	s_cbranch_execz .LBB118_280
; %bb.275:
	s_mov_b32 s1, exec_lo
	v_cmpx_eq_u32_e32 16, v135
	s_cbranch_execz .LBB118_279
; %bb.276:
	v_cmp_ne_u32_e32 vcc_lo, 16, v126
	s_xor_b32 s2, s6, -1
	s_and_b32 s3, s2, vcc_lo
	s_and_saveexec_b32 s2, s3
	s_cbranch_execz .LBB118_278
; %bb.277:
	v_ashrrev_i32_e32 v127, 31, v126
	v_lshlrev_b64 v[127:128], 2, v[126:127]
	v_add_co_u32 v127, vcc_lo, v4, v127
	v_add_co_ci_u32_e64 v128, null, v5, v128, vcc_lo
	s_clause 0x1
	global_load_dword v134, v[127:128], off
	global_load_dword v135, v[4:5], off offset:64
	s_waitcnt vmcnt(1)
	global_store_dword v[4:5], v134, off offset:64
	s_waitcnt vmcnt(0)
	global_store_dword v[127:128], v135, off
.LBB118_278:
	s_or_b32 exec_lo, exec_lo, s2
	v_mov_b32_e32 v134, v126
	v_mov_b32_e32 v135, v126
.LBB118_279:
	s_or_b32 exec_lo, exec_lo, s1
.LBB118_280:
	s_andn2_saveexec_b32 s0, s0
	s_cbranch_execz .LBB118_282
; %bb.281:
	v_mov_b32_e32 v135, 16
	ds_write2_b64 v132, v[88:89], v[86:87] offset0:17 offset1:18
	ds_write2_b64 v132, v[84:85], v[82:83] offset0:19 offset1:20
	;; [unrolled: 1-line block ×21, first 2 shown]
	ds_write_b64 v132, v[124:125] offset:472
.LBB118_282:
	s_or_b32 exec_lo, exec_lo, s0
	s_mov_b32 s0, exec_lo
	s_waitcnt lgkmcnt(0)
	s_waitcnt_vscnt null, 0x0
	s_barrier
	buffer_gl0_inv
	v_cmpx_lt_i32_e32 16, v135
	s_cbranch_execz .LBB118_284
; %bb.283:
	v_mul_f64 v[90:91], v[0:1], v[90:91]
	ds_read2_b64 v[136:139], v132 offset0:17 offset1:18
	ds_read2_b64 v[140:143], v132 offset0:19 offset1:20
	;; [unrolled: 1-line block ×11, first 2 shown]
	ds_read_b64 v[0:1], v132 offset:472
	s_waitcnt lgkmcnt(11)
	v_fma_f64 v[88:89], -v[90:91], v[136:137], v[88:89]
	v_fma_f64 v[86:87], -v[90:91], v[138:139], v[86:87]
	s_waitcnt lgkmcnt(10)
	v_fma_f64 v[84:85], -v[90:91], v[140:141], v[84:85]
	v_fma_f64 v[82:83], -v[90:91], v[142:143], v[82:83]
	;; [unrolled: 3-line block ×6, first 2 shown]
	ds_read2_b64 v[136:139], v132 offset0:39 offset1:40
	ds_read2_b64 v[140:143], v132 offset0:41 offset1:42
	s_waitcnt lgkmcnt(7)
	v_fma_f64 v[64:65], -v[90:91], v[160:161], v[64:65]
	v_fma_f64 v[62:63], -v[90:91], v[162:163], v[62:63]
	s_waitcnt lgkmcnt(6)
	v_fma_f64 v[58:59], -v[90:91], v[164:165], v[58:59]
	ds_read2_b64 v[144:147], v132 offset0:43 offset1:44
	ds_read2_b64 v[148:151], v132 offset0:45 offset1:46
	v_fma_f64 v[60:61], -v[90:91], v[166:167], v[60:61]
	s_waitcnt lgkmcnt(7)
	v_fma_f64 v[54:55], -v[90:91], v[168:169], v[54:55]
	ds_read2_b64 v[152:155], v132 offset0:47 offset1:48
	ds_read2_b64 v[156:159], v132 offset0:49 offset1:50
	;; [unrolled: 5-line block ×3, first 2 shown]
	v_fma_f64 v[50:51], -v[90:91], v[174:175], v[50:51]
	ds_read2_b64 v[168:171], v132 offset0:55 offset1:56
	ds_read2_b64 v[172:175], v132 offset0:57 offset1:58
	s_waitcnt lgkmcnt(11)
	v_fma_f64 v[48:49], -v[90:91], v[176:177], v[48:49]
	v_fma_f64 v[46:47], -v[90:91], v[178:179], v[46:47]
	s_waitcnt lgkmcnt(9)
	v_fma_f64 v[44:45], -v[90:91], v[136:137], v[44:45]
	v_fma_f64 v[42:43], -v[90:91], v[138:139], v[42:43]
	;; [unrolled: 3-line block ×3, first 2 shown]
	v_fma_f64 v[124:125], -v[90:91], v[0:1], v[124:125]
	s_waitcnt lgkmcnt(7)
	v_fma_f64 v[34:35], -v[90:91], v[144:145], v[34:35]
	v_fma_f64 v[36:37], -v[90:91], v[146:147], v[36:37]
	s_waitcnt lgkmcnt(6)
	v_fma_f64 v[32:33], -v[90:91], v[148:149], v[32:33]
	;; [unrolled: 3-line block ×8, first 2 shown]
	v_fma_f64 v[10:11], -v[90:91], v[174:175], v[10:11]
.LBB118_284:
	s_or_b32 exec_lo, exec_lo, s0
	v_lshl_add_u32 v0, v135, 3, v132
	s_barrier
	buffer_gl0_inv
	v_mov_b32_e32 v126, 17
	ds_write_b64 v0, v[88:89]
	s_waitcnt lgkmcnt(0)
	s_barrier
	buffer_gl0_inv
	ds_read_b64 v[0:1], v132 offset:136
	s_cmp_lt_i32 s7, 19
	s_cbranch_scc1 .LBB118_287
; %bb.285:
	v_add3_u32 v127, v133, 0, 0x90
	v_mov_b32_e32 v126, 17
	s_mov_b32 s0, 18
.LBB118_286:                            ; =>This Inner Loop Header: Depth=1
	ds_read_b64 v[136:137], v127
	v_add_nc_u32_e32 v127, 8, v127
	s_waitcnt lgkmcnt(0)
	v_cmp_lt_f64_e64 vcc_lo, |v[0:1]|, |v[136:137]|
	v_cndmask_b32_e32 v1, v1, v137, vcc_lo
	v_cndmask_b32_e32 v0, v0, v136, vcc_lo
	v_cndmask_b32_e64 v126, v126, s0, vcc_lo
	s_add_i32 s0, s0, 1
	s_cmp_lg_u32 s7, s0
	s_cbranch_scc1 .LBB118_286
.LBB118_287:
	s_mov_b32 s0, exec_lo
	s_waitcnt lgkmcnt(0)
	v_cmpx_eq_f64_e32 0, v[0:1]
	s_xor_b32 s0, exec_lo, s0
; %bb.288:
	v_cmp_ne_u32_e32 vcc_lo, 0, v129
	v_cndmask_b32_e32 v129, 18, v129, vcc_lo
; %bb.289:
	s_andn2_saveexec_b32 s0, s0
	s_cbranch_execz .LBB118_291
; %bb.290:
	v_div_scale_f64 v[127:128], null, v[0:1], v[0:1], 1.0
	v_rcp_f64_e32 v[136:137], v[127:128]
	v_fma_f64 v[138:139], -v[127:128], v[136:137], 1.0
	v_fma_f64 v[136:137], v[136:137], v[138:139], v[136:137]
	v_fma_f64 v[138:139], -v[127:128], v[136:137], 1.0
	v_fma_f64 v[136:137], v[136:137], v[138:139], v[136:137]
	v_div_scale_f64 v[138:139], vcc_lo, 1.0, v[0:1], 1.0
	v_mul_f64 v[140:141], v[138:139], v[136:137]
	v_fma_f64 v[127:128], -v[127:128], v[140:141], v[138:139]
	v_div_fmas_f64 v[127:128], v[127:128], v[136:137], v[140:141]
	v_div_fixup_f64 v[0:1], v[127:128], v[0:1], 1.0
.LBB118_291:
	s_or_b32 exec_lo, exec_lo, s0
	s_mov_b32 s0, exec_lo
	v_cmpx_ne_u32_e64 v135, v126
	s_xor_b32 s0, exec_lo, s0
	s_cbranch_execz .LBB118_297
; %bb.292:
	s_mov_b32 s1, exec_lo
	v_cmpx_eq_u32_e32 17, v135
	s_cbranch_execz .LBB118_296
; %bb.293:
	v_cmp_ne_u32_e32 vcc_lo, 17, v126
	s_xor_b32 s2, s6, -1
	s_and_b32 s3, s2, vcc_lo
	s_and_saveexec_b32 s2, s3
	s_cbranch_execz .LBB118_295
; %bb.294:
	v_ashrrev_i32_e32 v127, 31, v126
	v_lshlrev_b64 v[127:128], 2, v[126:127]
	v_add_co_u32 v127, vcc_lo, v4, v127
	v_add_co_ci_u32_e64 v128, null, v5, v128, vcc_lo
	s_clause 0x1
	global_load_dword v134, v[127:128], off
	global_load_dword v135, v[4:5], off offset:68
	s_waitcnt vmcnt(1)
	global_store_dword v[4:5], v134, off offset:68
	s_waitcnt vmcnt(0)
	global_store_dword v[127:128], v135, off
.LBB118_295:
	s_or_b32 exec_lo, exec_lo, s2
	v_mov_b32_e32 v134, v126
	v_mov_b32_e32 v135, v126
.LBB118_296:
	s_or_b32 exec_lo, exec_lo, s1
.LBB118_297:
	s_andn2_saveexec_b32 s0, s0
	s_cbranch_execz .LBB118_299
; %bb.298:
	v_mov_b32_e32 v126, v86
	v_mov_b32_e32 v127, v87
	;; [unrolled: 1-line block ×8, first 2 shown]
	ds_write2_b64 v132, v[126:127], v[135:136] offset0:18 offset1:19
	ds_write2_b64 v132, v[137:138], v[139:140] offset0:20 offset1:21
	v_mov_b32_e32 v126, v80
	v_mov_b32_e32 v127, v81
	v_mov_b32_e32 v135, v74
	v_mov_b32_e32 v136, v75
	v_mov_b32_e32 v137, v76
	v_mov_b32_e32 v138, v77
	v_mov_b32_e32 v139, v72
	v_mov_b32_e32 v140, v73
	v_mov_b32_e32 v141, v70
	v_mov_b32_e32 v142, v71
	v_mov_b32_e32 v143, v68
	v_mov_b32_e32 v144, v69
	v_mov_b32_e32 v145, v66
	v_mov_b32_e32 v146, v67
	v_mov_b32_e32 v147, v64
	v_mov_b32_e32 v148, v65
	v_mov_b32_e32 v149, v62
	v_mov_b32_e32 v150, v63
	v_mov_b32_e32 v151, v58
	v_mov_b32_e32 v152, v59
	ds_write2_b64 v132, v[126:127], v[135:136] offset0:22 offset1:23
	ds_write2_b64 v132, v[137:138], v[139:140] offset0:24 offset1:25
	ds_write2_b64 v132, v[141:142], v[143:144] offset0:26 offset1:27
	ds_write2_b64 v132, v[145:146], v[147:148] offset0:28 offset1:29
	ds_write2_b64 v132, v[149:150], v[151:152] offset0:30 offset1:31
	v_mov_b32_e32 v126, v60
	v_mov_b32_e32 v127, v61
	v_mov_b32_e32 v135, v54
	v_mov_b32_e32 v136, v55
	v_mov_b32_e32 v137, v56
	v_mov_b32_e32 v138, v57
	v_mov_b32_e32 v139, v52
	v_mov_b32_e32 v140, v53
	v_mov_b32_e32 v141, v50
	v_mov_b32_e32 v142, v51
	v_mov_b32_e32 v143, v48
	v_mov_b32_e32 v144, v49
	v_mov_b32_e32 v145, v46
	v_mov_b32_e32 v146, v47
	v_mov_b32_e32 v147, v44
	v_mov_b32_e32 v148, v45
	v_mov_b32_e32 v149, v42
	v_mov_b32_e32 v150, v43
	v_mov_b32_e32 v151, v38
	v_mov_b32_e32 v152, v39
	ds_write2_b64 v132, v[126:127], v[135:136] offset0:32 offset1:33
	ds_write2_b64 v132, v[137:138], v[139:140] offset0:34 offset1:35
	ds_write2_b64 v132, v[141:142], v[143:144] offset0:36 offset1:37
	;; [unrolled: 25-line block ×3, first 2 shown]
	ds_write2_b64 v132, v[145:146], v[147:148] offset0:48 offset1:49
	ds_write2_b64 v132, v[149:150], v[151:152] offset0:50 offset1:51
	v_mov_b32_e32 v126, v20
	v_mov_b32_e32 v127, v21
	;; [unrolled: 1-line block ×15, first 2 shown]
	ds_write2_b64 v132, v[126:127], v[136:137] offset0:52 offset1:53
	ds_write2_b64 v132, v[138:139], v[140:141] offset0:54 offset1:55
	;; [unrolled: 1-line block ×4, first 2 shown]
.LBB118_299:
	s_or_b32 exec_lo, exec_lo, s0
	s_mov_b32 s0, exec_lo
	s_waitcnt lgkmcnt(0)
	s_waitcnt_vscnt null, 0x0
	s_barrier
	buffer_gl0_inv
	v_cmpx_lt_i32_e32 17, v135
	s_cbranch_execz .LBB118_301
; %bb.300:
	v_mul_f64 v[88:89], v[0:1], v[88:89]
	ds_read2_b64 v[136:139], v132 offset0:18 offset1:19
	ds_read2_b64 v[140:143], v132 offset0:20 offset1:21
	;; [unrolled: 1-line block ×11, first 2 shown]
	s_waitcnt lgkmcnt(10)
	v_fma_f64 v[86:87], -v[88:89], v[136:137], v[86:87]
	v_fma_f64 v[84:85], -v[88:89], v[138:139], v[84:85]
	s_waitcnt lgkmcnt(9)
	v_fma_f64 v[82:83], -v[88:89], v[140:141], v[82:83]
	v_fma_f64 v[78:79], -v[88:89], v[142:143], v[78:79]
	;; [unrolled: 3-line block ×6, first 2 shown]
	ds_read2_b64 v[136:139], v132 offset0:40 offset1:41
	ds_read2_b64 v[140:143], v132 offset0:42 offset1:43
	s_waitcnt lgkmcnt(6)
	v_fma_f64 v[62:63], -v[88:89], v[160:161], v[62:63]
	v_fma_f64 v[58:59], -v[88:89], v[162:163], v[58:59]
	ds_read2_b64 v[144:147], v132 offset0:44 offset1:45
	ds_read2_b64 v[148:151], v132 offset0:46 offset1:47
	s_waitcnt lgkmcnt(7)
	v_fma_f64 v[60:61], -v[88:89], v[164:165], v[60:61]
	v_fma_f64 v[54:55], -v[88:89], v[166:167], v[54:55]
	;; [unrolled: 5-line block ×5, first 2 shown]
	s_waitcnt lgkmcnt(9)
	v_fma_f64 v[42:43], -v[88:89], v[136:137], v[42:43]
	v_fma_f64 v[38:39], -v[88:89], v[138:139], v[38:39]
	s_waitcnt lgkmcnt(8)
	v_fma_f64 v[40:41], -v[88:89], v[140:141], v[40:41]
	v_fma_f64 v[34:35], -v[88:89], v[142:143], v[34:35]
	;; [unrolled: 3-line block ×10, first 2 shown]
.LBB118_301:
	s_or_b32 exec_lo, exec_lo, s0
	v_lshl_add_u32 v0, v135, 3, v132
	s_barrier
	buffer_gl0_inv
	v_mov_b32_e32 v126, 18
	ds_write_b64 v0, v[86:87]
	s_waitcnt lgkmcnt(0)
	s_barrier
	buffer_gl0_inv
	ds_read_b64 v[0:1], v132 offset:144
	s_cmp_lt_i32 s7, 20
	s_cbranch_scc1 .LBB118_304
; %bb.302:
	v_add3_u32 v127, v133, 0, 0x98
	v_mov_b32_e32 v126, 18
	s_mov_b32 s0, 19
.LBB118_303:                            ; =>This Inner Loop Header: Depth=1
	ds_read_b64 v[136:137], v127
	v_add_nc_u32_e32 v127, 8, v127
	s_waitcnt lgkmcnt(0)
	v_cmp_lt_f64_e64 vcc_lo, |v[0:1]|, |v[136:137]|
	v_cndmask_b32_e32 v1, v1, v137, vcc_lo
	v_cndmask_b32_e32 v0, v0, v136, vcc_lo
	v_cndmask_b32_e64 v126, v126, s0, vcc_lo
	s_add_i32 s0, s0, 1
	s_cmp_lg_u32 s7, s0
	s_cbranch_scc1 .LBB118_303
.LBB118_304:
	s_mov_b32 s0, exec_lo
	s_waitcnt lgkmcnt(0)
	v_cmpx_eq_f64_e32 0, v[0:1]
	s_xor_b32 s0, exec_lo, s0
; %bb.305:
	v_cmp_ne_u32_e32 vcc_lo, 0, v129
	v_cndmask_b32_e32 v129, 19, v129, vcc_lo
; %bb.306:
	s_andn2_saveexec_b32 s0, s0
	s_cbranch_execz .LBB118_308
; %bb.307:
	v_div_scale_f64 v[127:128], null, v[0:1], v[0:1], 1.0
	v_rcp_f64_e32 v[136:137], v[127:128]
	v_fma_f64 v[138:139], -v[127:128], v[136:137], 1.0
	v_fma_f64 v[136:137], v[136:137], v[138:139], v[136:137]
	v_fma_f64 v[138:139], -v[127:128], v[136:137], 1.0
	v_fma_f64 v[136:137], v[136:137], v[138:139], v[136:137]
	v_div_scale_f64 v[138:139], vcc_lo, 1.0, v[0:1], 1.0
	v_mul_f64 v[140:141], v[138:139], v[136:137]
	v_fma_f64 v[127:128], -v[127:128], v[140:141], v[138:139]
	v_div_fmas_f64 v[127:128], v[127:128], v[136:137], v[140:141]
	v_div_fixup_f64 v[0:1], v[127:128], v[0:1], 1.0
.LBB118_308:
	s_or_b32 exec_lo, exec_lo, s0
	s_mov_b32 s0, exec_lo
	v_cmpx_ne_u32_e64 v135, v126
	s_xor_b32 s0, exec_lo, s0
	s_cbranch_execz .LBB118_314
; %bb.309:
	s_mov_b32 s1, exec_lo
	v_cmpx_eq_u32_e32 18, v135
	s_cbranch_execz .LBB118_313
; %bb.310:
	v_cmp_ne_u32_e32 vcc_lo, 18, v126
	s_xor_b32 s2, s6, -1
	s_and_b32 s3, s2, vcc_lo
	s_and_saveexec_b32 s2, s3
	s_cbranch_execz .LBB118_312
; %bb.311:
	v_ashrrev_i32_e32 v127, 31, v126
	v_lshlrev_b64 v[127:128], 2, v[126:127]
	v_add_co_u32 v127, vcc_lo, v4, v127
	v_add_co_ci_u32_e64 v128, null, v5, v128, vcc_lo
	s_clause 0x1
	global_load_dword v134, v[127:128], off
	global_load_dword v135, v[4:5], off offset:72
	s_waitcnt vmcnt(1)
	global_store_dword v[4:5], v134, off offset:72
	s_waitcnt vmcnt(0)
	global_store_dword v[127:128], v135, off
.LBB118_312:
	s_or_b32 exec_lo, exec_lo, s2
	v_mov_b32_e32 v134, v126
	v_mov_b32_e32 v135, v126
.LBB118_313:
	s_or_b32 exec_lo, exec_lo, s1
.LBB118_314:
	s_andn2_saveexec_b32 s0, s0
	s_cbranch_execz .LBB118_316
; %bb.315:
	v_mov_b32_e32 v135, 18
	ds_write2_b64 v132, v[84:85], v[82:83] offset0:19 offset1:20
	ds_write2_b64 v132, v[78:79], v[80:81] offset0:21 offset1:22
	;; [unrolled: 1-line block ×20, first 2 shown]
	ds_write_b64 v132, v[124:125] offset:472
.LBB118_316:
	s_or_b32 exec_lo, exec_lo, s0
	s_mov_b32 s0, exec_lo
	s_waitcnt lgkmcnt(0)
	s_waitcnt_vscnt null, 0x0
	s_barrier
	buffer_gl0_inv
	v_cmpx_lt_i32_e32 18, v135
	s_cbranch_execz .LBB118_318
; %bb.317:
	v_mul_f64 v[86:87], v[0:1], v[86:87]
	ds_read2_b64 v[136:139], v132 offset0:19 offset1:20
	ds_read2_b64 v[140:143], v132 offset0:21 offset1:22
	;; [unrolled: 1-line block ×11, first 2 shown]
	ds_read_b64 v[0:1], v132 offset:472
	s_waitcnt lgkmcnt(11)
	v_fma_f64 v[84:85], -v[86:87], v[136:137], v[84:85]
	v_fma_f64 v[82:83], -v[86:87], v[138:139], v[82:83]
	s_waitcnt lgkmcnt(10)
	v_fma_f64 v[78:79], -v[86:87], v[140:141], v[78:79]
	v_fma_f64 v[80:81], -v[86:87], v[142:143], v[80:81]
	s_waitcnt lgkmcnt(9)
	v_fma_f64 v[74:75], -v[86:87], v[144:145], v[74:75]
	v_fma_f64 v[76:77], -v[86:87], v[146:147], v[76:77]
	s_waitcnt lgkmcnt(8)
	v_fma_f64 v[72:73], -v[86:87], v[148:149], v[72:73]
	v_fma_f64 v[70:71], -v[86:87], v[150:151], v[70:71]
	s_waitcnt lgkmcnt(7)
	v_fma_f64 v[68:69], -v[86:87], v[152:153], v[68:69]
	v_fma_f64 v[66:67], -v[86:87], v[154:155], v[66:67]
	s_waitcnt lgkmcnt(6)
	v_fma_f64 v[64:65], -v[86:87], v[156:157], v[64:65]
	v_fma_f64 v[62:63], -v[86:87], v[158:159], v[62:63]
	ds_read2_b64 v[136:139], v132 offset0:41 offset1:42
	ds_read2_b64 v[140:143], v132 offset0:43 offset1:44
	s_waitcnt lgkmcnt(7)
	v_fma_f64 v[58:59], -v[86:87], v[160:161], v[58:59]
	v_fma_f64 v[60:61], -v[86:87], v[162:163], v[60:61]
	ds_read2_b64 v[144:147], v132 offset0:45 offset1:46
	ds_read2_b64 v[148:151], v132 offset0:47 offset1:48
	s_waitcnt lgkmcnt(8)
	v_fma_f64 v[54:55], -v[86:87], v[164:165], v[54:55]
	v_fma_f64 v[56:57], -v[86:87], v[166:167], v[56:57]
	;; [unrolled: 5-line block ×3, first 2 shown]
	ds_read2_b64 v[160:163], v132 offset0:53 offset1:54
	ds_read2_b64 v[164:167], v132 offset0:55 offset1:56
	ds_read2_b64 v[168:171], v132 offset0:57 offset1:58
	s_waitcnt lgkmcnt(11)
	v_fma_f64 v[48:49], -v[86:87], v[172:173], v[48:49]
	v_fma_f64 v[46:47], -v[86:87], v[174:175], v[46:47]
	s_waitcnt lgkmcnt(10)
	v_fma_f64 v[44:45], -v[86:87], v[176:177], v[44:45]
	v_fma_f64 v[42:43], -v[86:87], v[178:179], v[42:43]
	s_waitcnt lgkmcnt(9)
	v_fma_f64 v[124:125], -v[86:87], v[0:1], v[124:125]
	s_waitcnt lgkmcnt(8)
	v_fma_f64 v[38:39], -v[86:87], v[136:137], v[38:39]
	v_fma_f64 v[40:41], -v[86:87], v[138:139], v[40:41]
	s_waitcnt lgkmcnt(7)
	v_fma_f64 v[34:35], -v[86:87], v[140:141], v[34:35]
	;; [unrolled: 3-line block ×9, first 2 shown]
	v_fma_f64 v[10:11], -v[86:87], v[170:171], v[10:11]
.LBB118_318:
	s_or_b32 exec_lo, exec_lo, s0
	v_lshl_add_u32 v0, v135, 3, v132
	s_barrier
	buffer_gl0_inv
	v_mov_b32_e32 v126, 19
	ds_write_b64 v0, v[84:85]
	s_waitcnt lgkmcnt(0)
	s_barrier
	buffer_gl0_inv
	ds_read_b64 v[0:1], v132 offset:152
	s_cmp_lt_i32 s7, 21
	s_cbranch_scc1 .LBB118_321
; %bb.319:
	v_add3_u32 v127, v133, 0, 0xa0
	v_mov_b32_e32 v126, 19
	s_mov_b32 s0, 20
.LBB118_320:                            ; =>This Inner Loop Header: Depth=1
	ds_read_b64 v[136:137], v127
	v_add_nc_u32_e32 v127, 8, v127
	s_waitcnt lgkmcnt(0)
	v_cmp_lt_f64_e64 vcc_lo, |v[0:1]|, |v[136:137]|
	v_cndmask_b32_e32 v1, v1, v137, vcc_lo
	v_cndmask_b32_e32 v0, v0, v136, vcc_lo
	v_cndmask_b32_e64 v126, v126, s0, vcc_lo
	s_add_i32 s0, s0, 1
	s_cmp_lg_u32 s7, s0
	s_cbranch_scc1 .LBB118_320
.LBB118_321:
	s_mov_b32 s0, exec_lo
	s_waitcnt lgkmcnt(0)
	v_cmpx_eq_f64_e32 0, v[0:1]
	s_xor_b32 s0, exec_lo, s0
; %bb.322:
	v_cmp_ne_u32_e32 vcc_lo, 0, v129
	v_cndmask_b32_e32 v129, 20, v129, vcc_lo
; %bb.323:
	s_andn2_saveexec_b32 s0, s0
	s_cbranch_execz .LBB118_325
; %bb.324:
	v_div_scale_f64 v[127:128], null, v[0:1], v[0:1], 1.0
	v_rcp_f64_e32 v[136:137], v[127:128]
	v_fma_f64 v[138:139], -v[127:128], v[136:137], 1.0
	v_fma_f64 v[136:137], v[136:137], v[138:139], v[136:137]
	v_fma_f64 v[138:139], -v[127:128], v[136:137], 1.0
	v_fma_f64 v[136:137], v[136:137], v[138:139], v[136:137]
	v_div_scale_f64 v[138:139], vcc_lo, 1.0, v[0:1], 1.0
	v_mul_f64 v[140:141], v[138:139], v[136:137]
	v_fma_f64 v[127:128], -v[127:128], v[140:141], v[138:139]
	v_div_fmas_f64 v[127:128], v[127:128], v[136:137], v[140:141]
	v_div_fixup_f64 v[0:1], v[127:128], v[0:1], 1.0
.LBB118_325:
	s_or_b32 exec_lo, exec_lo, s0
	s_mov_b32 s0, exec_lo
	v_cmpx_ne_u32_e64 v135, v126
	s_xor_b32 s0, exec_lo, s0
	s_cbranch_execz .LBB118_331
; %bb.326:
	s_mov_b32 s1, exec_lo
	v_cmpx_eq_u32_e32 19, v135
	s_cbranch_execz .LBB118_330
; %bb.327:
	v_cmp_ne_u32_e32 vcc_lo, 19, v126
	s_xor_b32 s2, s6, -1
	s_and_b32 s3, s2, vcc_lo
	s_and_saveexec_b32 s2, s3
	s_cbranch_execz .LBB118_329
; %bb.328:
	v_ashrrev_i32_e32 v127, 31, v126
	v_lshlrev_b64 v[127:128], 2, v[126:127]
	v_add_co_u32 v127, vcc_lo, v4, v127
	v_add_co_ci_u32_e64 v128, null, v5, v128, vcc_lo
	s_clause 0x1
	global_load_dword v134, v[127:128], off
	global_load_dword v135, v[4:5], off offset:76
	s_waitcnt vmcnt(1)
	global_store_dword v[4:5], v134, off offset:76
	s_waitcnt vmcnt(0)
	global_store_dword v[127:128], v135, off
.LBB118_329:
	s_or_b32 exec_lo, exec_lo, s2
	v_mov_b32_e32 v134, v126
	v_mov_b32_e32 v135, v126
.LBB118_330:
	s_or_b32 exec_lo, exec_lo, s1
.LBB118_331:
	s_andn2_saveexec_b32 s0, s0
	s_cbranch_execz .LBB118_333
; %bb.332:
	v_mov_b32_e32 v126, v82
	v_mov_b32_e32 v127, v83
	v_mov_b32_e32 v135, v78
	v_mov_b32_e32 v136, v79
	v_mov_b32_e32 v137, v80
	v_mov_b32_e32 v138, v81
	v_mov_b32_e32 v139, v72
	v_mov_b32_e32 v140, v73
	ds_write2_b64 v132, v[126:127], v[135:136] offset0:20 offset1:21
	v_mov_b32_e32 v126, v74
	v_mov_b32_e32 v127, v75
	v_mov_b32_e32 v135, v76
	v_mov_b32_e32 v136, v77
	v_mov_b32_e32 v141, v70
	v_mov_b32_e32 v142, v71
	v_mov_b32_e32 v143, v68
	v_mov_b32_e32 v144, v69
	v_mov_b32_e32 v145, v66
	v_mov_b32_e32 v146, v67
	v_mov_b32_e32 v147, v64
	v_mov_b32_e32 v148, v65
	v_mov_b32_e32 v149, v62
	v_mov_b32_e32 v150, v63
	v_mov_b32_e32 v151, v58
	v_mov_b32_e32 v152, v59
	ds_write2_b64 v132, v[137:138], v[126:127] offset0:22 offset1:23
	ds_write2_b64 v132, v[135:136], v[139:140] offset0:24 offset1:25
	ds_write2_b64 v132, v[141:142], v[143:144] offset0:26 offset1:27
	ds_write2_b64 v132, v[145:146], v[147:148] offset0:28 offset1:29
	ds_write2_b64 v132, v[149:150], v[151:152] offset0:30 offset1:31
	v_mov_b32_e32 v126, v60
	v_mov_b32_e32 v127, v61
	v_mov_b32_e32 v135, v54
	v_mov_b32_e32 v136, v55
	v_mov_b32_e32 v137, v56
	v_mov_b32_e32 v138, v57
	v_mov_b32_e32 v139, v52
	v_mov_b32_e32 v140, v53
	v_mov_b32_e32 v141, v50
	v_mov_b32_e32 v142, v51
	v_mov_b32_e32 v143, v48
	v_mov_b32_e32 v144, v49
	v_mov_b32_e32 v145, v46
	v_mov_b32_e32 v146, v47
	v_mov_b32_e32 v147, v44
	v_mov_b32_e32 v148, v45
	v_mov_b32_e32 v149, v42
	v_mov_b32_e32 v150, v43
	v_mov_b32_e32 v151, v38
	v_mov_b32_e32 v152, v39
	ds_write2_b64 v132, v[126:127], v[135:136] offset0:32 offset1:33
	ds_write2_b64 v132, v[137:138], v[139:140] offset0:34 offset1:35
	ds_write2_b64 v132, v[141:142], v[143:144] offset0:36 offset1:37
	ds_write2_b64 v132, v[145:146], v[147:148] offset0:38 offset1:39
	ds_write2_b64 v132, v[149:150], v[151:152] offset0:40 offset1:41
	v_mov_b32_e32 v126, v40
	v_mov_b32_e32 v127, v41
	v_mov_b32_e32 v135, v34
	v_mov_b32_e32 v136, v35
	;; [unrolled: 25-line block ×3, first 2 shown]
	v_mov_b32_e32 v135, 19
	v_mov_b32_e32 v138, v14
	;; [unrolled: 1-line block ×11, first 2 shown]
	ds_write2_b64 v132, v[126:127], v[136:137] offset0:52 offset1:53
	ds_write2_b64 v132, v[138:139], v[140:141] offset0:54 offset1:55
	;; [unrolled: 1-line block ×4, first 2 shown]
.LBB118_333:
	s_or_b32 exec_lo, exec_lo, s0
	s_mov_b32 s0, exec_lo
	s_waitcnt lgkmcnt(0)
	s_waitcnt_vscnt null, 0x0
	s_barrier
	buffer_gl0_inv
	v_cmpx_lt_i32_e32 19, v135
	s_cbranch_execz .LBB118_335
; %bb.334:
	v_mul_f64 v[84:85], v[0:1], v[84:85]
	ds_read2_b64 v[136:139], v132 offset0:20 offset1:21
	ds_read2_b64 v[140:143], v132 offset0:22 offset1:23
	;; [unrolled: 1-line block ×11, first 2 shown]
	s_waitcnt lgkmcnt(10)
	v_fma_f64 v[82:83], -v[84:85], v[136:137], v[82:83]
	v_fma_f64 v[78:79], -v[84:85], v[138:139], v[78:79]
	s_waitcnt lgkmcnt(9)
	v_fma_f64 v[80:81], -v[84:85], v[140:141], v[80:81]
	v_fma_f64 v[74:75], -v[84:85], v[142:143], v[74:75]
	;; [unrolled: 3-line block ×5, first 2 shown]
	s_waitcnt lgkmcnt(5)
	v_fma_f64 v[62:63], -v[84:85], v[156:157], v[62:63]
	ds_read2_b64 v[136:139], v132 offset0:42 offset1:43
	ds_read2_b64 v[140:143], v132 offset0:44 offset1:45
	v_fma_f64 v[58:59], -v[84:85], v[158:159], v[58:59]
	s_waitcnt lgkmcnt(6)
	v_fma_f64 v[60:61], -v[84:85], v[160:161], v[60:61]
	ds_read2_b64 v[144:147], v132 offset0:46 offset1:47
	ds_read2_b64 v[148:151], v132 offset0:48 offset1:49
	v_fma_f64 v[54:55], -v[84:85], v[162:163], v[54:55]
	;; [unrolled: 5-line block ×4, first 2 shown]
	ds_read2_b64 v[168:171], v132 offset0:58 offset1:59
	s_waitcnt lgkmcnt(10)
	v_fma_f64 v[46:47], -v[84:85], v[172:173], v[46:47]
	v_fma_f64 v[44:45], -v[84:85], v[174:175], v[44:45]
	s_waitcnt lgkmcnt(9)
	v_fma_f64 v[42:43], -v[84:85], v[176:177], v[42:43]
	v_fma_f64 v[38:39], -v[84:85], v[178:179], v[38:39]
	;; [unrolled: 3-line block ×11, first 2 shown]
.LBB118_335:
	s_or_b32 exec_lo, exec_lo, s0
	v_lshl_add_u32 v0, v135, 3, v132
	s_barrier
	buffer_gl0_inv
	v_mov_b32_e32 v126, 20
	ds_write_b64 v0, v[82:83]
	s_waitcnt lgkmcnt(0)
	s_barrier
	buffer_gl0_inv
	ds_read_b64 v[0:1], v132 offset:160
	s_cmp_lt_i32 s7, 22
	s_cbranch_scc1 .LBB118_338
; %bb.336:
	v_add3_u32 v127, v133, 0, 0xa8
	v_mov_b32_e32 v126, 20
	s_mov_b32 s0, 21
.LBB118_337:                            ; =>This Inner Loop Header: Depth=1
	ds_read_b64 v[136:137], v127
	v_add_nc_u32_e32 v127, 8, v127
	s_waitcnt lgkmcnt(0)
	v_cmp_lt_f64_e64 vcc_lo, |v[0:1]|, |v[136:137]|
	v_cndmask_b32_e32 v1, v1, v137, vcc_lo
	v_cndmask_b32_e32 v0, v0, v136, vcc_lo
	v_cndmask_b32_e64 v126, v126, s0, vcc_lo
	s_add_i32 s0, s0, 1
	s_cmp_lg_u32 s7, s0
	s_cbranch_scc1 .LBB118_337
.LBB118_338:
	s_mov_b32 s0, exec_lo
	s_waitcnt lgkmcnt(0)
	v_cmpx_eq_f64_e32 0, v[0:1]
	s_xor_b32 s0, exec_lo, s0
; %bb.339:
	v_cmp_ne_u32_e32 vcc_lo, 0, v129
	v_cndmask_b32_e32 v129, 21, v129, vcc_lo
; %bb.340:
	s_andn2_saveexec_b32 s0, s0
	s_cbranch_execz .LBB118_342
; %bb.341:
	v_div_scale_f64 v[127:128], null, v[0:1], v[0:1], 1.0
	v_rcp_f64_e32 v[136:137], v[127:128]
	v_fma_f64 v[138:139], -v[127:128], v[136:137], 1.0
	v_fma_f64 v[136:137], v[136:137], v[138:139], v[136:137]
	v_fma_f64 v[138:139], -v[127:128], v[136:137], 1.0
	v_fma_f64 v[136:137], v[136:137], v[138:139], v[136:137]
	v_div_scale_f64 v[138:139], vcc_lo, 1.0, v[0:1], 1.0
	v_mul_f64 v[140:141], v[138:139], v[136:137]
	v_fma_f64 v[127:128], -v[127:128], v[140:141], v[138:139]
	v_div_fmas_f64 v[127:128], v[127:128], v[136:137], v[140:141]
	v_div_fixup_f64 v[0:1], v[127:128], v[0:1], 1.0
.LBB118_342:
	s_or_b32 exec_lo, exec_lo, s0
	s_mov_b32 s0, exec_lo
	v_cmpx_ne_u32_e64 v135, v126
	s_xor_b32 s0, exec_lo, s0
	s_cbranch_execz .LBB118_348
; %bb.343:
	s_mov_b32 s1, exec_lo
	v_cmpx_eq_u32_e32 20, v135
	s_cbranch_execz .LBB118_347
; %bb.344:
	v_cmp_ne_u32_e32 vcc_lo, 20, v126
	s_xor_b32 s2, s6, -1
	s_and_b32 s3, s2, vcc_lo
	s_and_saveexec_b32 s2, s3
	s_cbranch_execz .LBB118_346
; %bb.345:
	v_ashrrev_i32_e32 v127, 31, v126
	v_lshlrev_b64 v[127:128], 2, v[126:127]
	v_add_co_u32 v127, vcc_lo, v4, v127
	v_add_co_ci_u32_e64 v128, null, v5, v128, vcc_lo
	s_clause 0x1
	global_load_dword v134, v[127:128], off
	global_load_dword v135, v[4:5], off offset:80
	s_waitcnt vmcnt(1)
	global_store_dword v[4:5], v134, off offset:80
	s_waitcnt vmcnt(0)
	global_store_dword v[127:128], v135, off
.LBB118_346:
	s_or_b32 exec_lo, exec_lo, s2
	v_mov_b32_e32 v134, v126
	v_mov_b32_e32 v135, v126
.LBB118_347:
	s_or_b32 exec_lo, exec_lo, s1
.LBB118_348:
	s_andn2_saveexec_b32 s0, s0
	s_cbranch_execz .LBB118_350
; %bb.349:
	v_mov_b32_e32 v135, 20
	ds_write2_b64 v132, v[78:79], v[80:81] offset0:21 offset1:22
	ds_write2_b64 v132, v[74:75], v[76:77] offset0:23 offset1:24
	;; [unrolled: 1-line block ×19, first 2 shown]
	ds_write_b64 v132, v[124:125] offset:472
.LBB118_350:
	s_or_b32 exec_lo, exec_lo, s0
	s_mov_b32 s0, exec_lo
	s_waitcnt lgkmcnt(0)
	s_waitcnt_vscnt null, 0x0
	s_barrier
	buffer_gl0_inv
	v_cmpx_lt_i32_e32 20, v135
	s_cbranch_execz .LBB118_352
; %bb.351:
	v_mul_f64 v[82:83], v[0:1], v[82:83]
	ds_read2_b64 v[136:139], v132 offset0:21 offset1:22
	ds_read2_b64 v[140:143], v132 offset0:23 offset1:24
	;; [unrolled: 1-line block ×11, first 2 shown]
	ds_read_b64 v[0:1], v132 offset:472
	s_waitcnt lgkmcnt(11)
	v_fma_f64 v[78:79], -v[82:83], v[136:137], v[78:79]
	v_fma_f64 v[80:81], -v[82:83], v[138:139], v[80:81]
	s_waitcnt lgkmcnt(10)
	v_fma_f64 v[74:75], -v[82:83], v[140:141], v[74:75]
	v_fma_f64 v[76:77], -v[82:83], v[142:143], v[76:77]
	;; [unrolled: 3-line block ×5, first 2 shown]
	s_waitcnt lgkmcnt(6)
	v_fma_f64 v[58:59], -v[82:83], v[156:157], v[58:59]
	ds_read2_b64 v[136:139], v132 offset0:43 offset1:44
	ds_read2_b64 v[140:143], v132 offset0:45 offset1:46
	v_fma_f64 v[60:61], -v[82:83], v[158:159], v[60:61]
	s_waitcnt lgkmcnt(7)
	v_fma_f64 v[54:55], -v[82:83], v[160:161], v[54:55]
	ds_read2_b64 v[144:147], v132 offset0:47 offset1:48
	ds_read2_b64 v[148:151], v132 offset0:49 offset1:50
	v_fma_f64 v[56:57], -v[82:83], v[162:163], v[56:57]
	;; [unrolled: 5-line block ×3, first 2 shown]
	ds_read2_b64 v[160:163], v132 offset0:55 offset1:56
	ds_read2_b64 v[164:167], v132 offset0:57 offset1:58
	s_waitcnt lgkmcnt(11)
	v_fma_f64 v[48:49], -v[82:83], v[168:169], v[48:49]
	v_fma_f64 v[46:47], -v[82:83], v[170:171], v[46:47]
	s_waitcnt lgkmcnt(10)
	v_fma_f64 v[44:45], -v[82:83], v[172:173], v[44:45]
	v_fma_f64 v[42:43], -v[82:83], v[174:175], v[42:43]
	;; [unrolled: 3-line block ×3, first 2 shown]
	s_waitcnt lgkmcnt(8)
	v_fma_f64 v[124:125], -v[82:83], v[0:1], v[124:125]
	s_waitcnt lgkmcnt(7)
	v_fma_f64 v[34:35], -v[82:83], v[136:137], v[34:35]
	v_fma_f64 v[36:37], -v[82:83], v[138:139], v[36:37]
	s_waitcnt lgkmcnt(6)
	v_fma_f64 v[32:33], -v[82:83], v[140:141], v[32:33]
	v_fma_f64 v[30:31], -v[82:83], v[142:143], v[30:31]
	s_waitcnt lgkmcnt(5)
	v_fma_f64 v[28:29], -v[82:83], v[144:145], v[28:29]
	v_fma_f64 v[26:27], -v[82:83], v[146:147], v[26:27]
	s_waitcnt lgkmcnt(4)
	v_fma_f64 v[24:25], -v[82:83], v[148:149], v[24:25]
	v_fma_f64 v[22:23], -v[82:83], v[150:151], v[22:23]
	s_waitcnt lgkmcnt(3)
	v_fma_f64 v[18:19], -v[82:83], v[152:153], v[18:19]
	v_fma_f64 v[20:21], -v[82:83], v[154:155], v[20:21]
	s_waitcnt lgkmcnt(2)
	v_fma_f64 v[16:17], -v[82:83], v[156:157], v[16:17]
	v_fma_f64 v[14:15], -v[82:83], v[158:159], v[14:15]
	s_waitcnt lgkmcnt(1)
	v_fma_f64 v[8:9], -v[82:83], v[160:161], v[8:9]
	v_fma_f64 v[12:13], -v[82:83], v[162:163], v[12:13]
	s_waitcnt lgkmcnt(0)
	v_fma_f64 v[6:7], -v[82:83], v[164:165], v[6:7]
	v_fma_f64 v[10:11], -v[82:83], v[166:167], v[10:11]
.LBB118_352:
	s_or_b32 exec_lo, exec_lo, s0
	v_lshl_add_u32 v0, v135, 3, v132
	s_barrier
	buffer_gl0_inv
	v_mov_b32_e32 v126, 21
	ds_write_b64 v0, v[78:79]
	s_waitcnt lgkmcnt(0)
	s_barrier
	buffer_gl0_inv
	ds_read_b64 v[0:1], v132 offset:168
	s_cmp_lt_i32 s7, 23
	s_cbranch_scc1 .LBB118_355
; %bb.353:
	v_add3_u32 v127, v133, 0, 0xb0
	v_mov_b32_e32 v126, 21
	s_mov_b32 s0, 22
.LBB118_354:                            ; =>This Inner Loop Header: Depth=1
	ds_read_b64 v[136:137], v127
	v_add_nc_u32_e32 v127, 8, v127
	s_waitcnt lgkmcnt(0)
	v_cmp_lt_f64_e64 vcc_lo, |v[0:1]|, |v[136:137]|
	v_cndmask_b32_e32 v1, v1, v137, vcc_lo
	v_cndmask_b32_e32 v0, v0, v136, vcc_lo
	v_cndmask_b32_e64 v126, v126, s0, vcc_lo
	s_add_i32 s0, s0, 1
	s_cmp_lg_u32 s7, s0
	s_cbranch_scc1 .LBB118_354
.LBB118_355:
	s_mov_b32 s0, exec_lo
	s_waitcnt lgkmcnt(0)
	v_cmpx_eq_f64_e32 0, v[0:1]
	s_xor_b32 s0, exec_lo, s0
; %bb.356:
	v_cmp_ne_u32_e32 vcc_lo, 0, v129
	v_cndmask_b32_e32 v129, 22, v129, vcc_lo
; %bb.357:
	s_andn2_saveexec_b32 s0, s0
	s_cbranch_execz .LBB118_359
; %bb.358:
	v_div_scale_f64 v[127:128], null, v[0:1], v[0:1], 1.0
	v_rcp_f64_e32 v[136:137], v[127:128]
	v_fma_f64 v[138:139], -v[127:128], v[136:137], 1.0
	v_fma_f64 v[136:137], v[136:137], v[138:139], v[136:137]
	v_fma_f64 v[138:139], -v[127:128], v[136:137], 1.0
	v_fma_f64 v[136:137], v[136:137], v[138:139], v[136:137]
	v_div_scale_f64 v[138:139], vcc_lo, 1.0, v[0:1], 1.0
	v_mul_f64 v[140:141], v[138:139], v[136:137]
	v_fma_f64 v[127:128], -v[127:128], v[140:141], v[138:139]
	v_div_fmas_f64 v[127:128], v[127:128], v[136:137], v[140:141]
	v_div_fixup_f64 v[0:1], v[127:128], v[0:1], 1.0
.LBB118_359:
	s_or_b32 exec_lo, exec_lo, s0
	s_mov_b32 s0, exec_lo
	v_cmpx_ne_u32_e64 v135, v126
	s_xor_b32 s0, exec_lo, s0
	s_cbranch_execz .LBB118_365
; %bb.360:
	s_mov_b32 s1, exec_lo
	v_cmpx_eq_u32_e32 21, v135
	s_cbranch_execz .LBB118_364
; %bb.361:
	v_cmp_ne_u32_e32 vcc_lo, 21, v126
	s_xor_b32 s2, s6, -1
	s_and_b32 s3, s2, vcc_lo
	s_and_saveexec_b32 s2, s3
	s_cbranch_execz .LBB118_363
; %bb.362:
	v_ashrrev_i32_e32 v127, 31, v126
	v_lshlrev_b64 v[127:128], 2, v[126:127]
	v_add_co_u32 v127, vcc_lo, v4, v127
	v_add_co_ci_u32_e64 v128, null, v5, v128, vcc_lo
	s_clause 0x1
	global_load_dword v134, v[127:128], off
	global_load_dword v135, v[4:5], off offset:84
	s_waitcnt vmcnt(1)
	global_store_dword v[4:5], v134, off offset:84
	s_waitcnt vmcnt(0)
	global_store_dword v[127:128], v135, off
.LBB118_363:
	s_or_b32 exec_lo, exec_lo, s2
	v_mov_b32_e32 v134, v126
	v_mov_b32_e32 v135, v126
.LBB118_364:
	s_or_b32 exec_lo, exec_lo, s1
.LBB118_365:
	s_andn2_saveexec_b32 s0, s0
	s_cbranch_execz .LBB118_367
; %bb.366:
	v_mov_b32_e32 v126, v80
	v_mov_b32_e32 v127, v81
	v_mov_b32_e32 v135, v74
	v_mov_b32_e32 v136, v75
	v_mov_b32_e32 v137, v76
	v_mov_b32_e32 v138, v77
	v_mov_b32_e32 v139, v72
	v_mov_b32_e32 v140, v73
	v_mov_b32_e32 v141, v70
	v_mov_b32_e32 v142, v71
	v_mov_b32_e32 v143, v68
	v_mov_b32_e32 v144, v69
	v_mov_b32_e32 v145, v66
	v_mov_b32_e32 v146, v67
	v_mov_b32_e32 v147, v64
	v_mov_b32_e32 v148, v65
	v_mov_b32_e32 v149, v62
	v_mov_b32_e32 v150, v63
	v_mov_b32_e32 v151, v58
	v_mov_b32_e32 v152, v59
	ds_write2_b64 v132, v[126:127], v[135:136] offset0:22 offset1:23
	ds_write2_b64 v132, v[137:138], v[139:140] offset0:24 offset1:25
	ds_write2_b64 v132, v[141:142], v[143:144] offset0:26 offset1:27
	ds_write2_b64 v132, v[145:146], v[147:148] offset0:28 offset1:29
	ds_write2_b64 v132, v[149:150], v[151:152] offset0:30 offset1:31
	v_mov_b32_e32 v126, v60
	v_mov_b32_e32 v127, v61
	v_mov_b32_e32 v135, v54
	v_mov_b32_e32 v136, v55
	v_mov_b32_e32 v137, v56
	v_mov_b32_e32 v138, v57
	v_mov_b32_e32 v139, v52
	v_mov_b32_e32 v140, v53
	v_mov_b32_e32 v141, v50
	v_mov_b32_e32 v142, v51
	v_mov_b32_e32 v143, v48
	v_mov_b32_e32 v144, v49
	v_mov_b32_e32 v145, v46
	v_mov_b32_e32 v146, v47
	v_mov_b32_e32 v147, v44
	v_mov_b32_e32 v148, v45
	v_mov_b32_e32 v149, v42
	v_mov_b32_e32 v150, v43
	v_mov_b32_e32 v151, v38
	v_mov_b32_e32 v152, v39
	ds_write2_b64 v132, v[126:127], v[135:136] offset0:32 offset1:33
	ds_write2_b64 v132, v[137:138], v[139:140] offset0:34 offset1:35
	ds_write2_b64 v132, v[141:142], v[143:144] offset0:36 offset1:37
	ds_write2_b64 v132, v[145:146], v[147:148] offset0:38 offset1:39
	ds_write2_b64 v132, v[149:150], v[151:152] offset0:40 offset1:41
	;; [unrolled: 25-line block ×3, first 2 shown]
	v_mov_b32_e32 v126, v20
	v_mov_b32_e32 v127, v21
	;; [unrolled: 1-line block ×15, first 2 shown]
	ds_write2_b64 v132, v[126:127], v[136:137] offset0:52 offset1:53
	ds_write2_b64 v132, v[138:139], v[140:141] offset0:54 offset1:55
	;; [unrolled: 1-line block ×4, first 2 shown]
.LBB118_367:
	s_or_b32 exec_lo, exec_lo, s0
	s_mov_b32 s0, exec_lo
	s_waitcnt lgkmcnt(0)
	s_waitcnt_vscnt null, 0x0
	s_barrier
	buffer_gl0_inv
	v_cmpx_lt_i32_e32 21, v135
	s_cbranch_execz .LBB118_369
; %bb.368:
	v_mul_f64 v[78:79], v[0:1], v[78:79]
	ds_read2_b64 v[136:139], v132 offset0:22 offset1:23
	ds_read2_b64 v[140:143], v132 offset0:24 offset1:25
	;; [unrolled: 1-line block ×12, first 2 shown]
	s_waitcnt lgkmcnt(11)
	v_fma_f64 v[80:81], -v[78:79], v[136:137], v[80:81]
	v_fma_f64 v[74:75], -v[78:79], v[138:139], v[74:75]
	s_waitcnt lgkmcnt(10)
	v_fma_f64 v[76:77], -v[78:79], v[140:141], v[76:77]
	v_fma_f64 v[72:73], -v[78:79], v[142:143], v[72:73]
	;; [unrolled: 3-line block ×5, first 2 shown]
	s_waitcnt lgkmcnt(6)
	v_fma_f64 v[60:61], -v[78:79], v[156:157], v[60:61]
	ds_read2_b64 v[136:139], v132 offset0:46 offset1:47
	ds_read2_b64 v[140:143], v132 offset0:48 offset1:49
	v_fma_f64 v[54:55], -v[78:79], v[158:159], v[54:55]
	s_waitcnt lgkmcnt(7)
	v_fma_f64 v[56:57], -v[78:79], v[160:161], v[56:57]
	ds_read2_b64 v[144:147], v132 offset0:50 offset1:51
	ds_read2_b64 v[148:151], v132 offset0:52 offset1:53
	v_fma_f64 v[52:53], -v[78:79], v[162:163], v[52:53]
	ds_read2_b64 v[152:155], v132 offset0:54 offset1:55
	ds_read2_b64 v[156:159], v132 offset0:56 offset1:57
	;; [unrolled: 1-line block ×3, first 2 shown]
	s_waitcnt lgkmcnt(11)
	v_fma_f64 v[50:51], -v[78:79], v[164:165], v[50:51]
	v_fma_f64 v[48:49], -v[78:79], v[166:167], v[48:49]
	s_waitcnt lgkmcnt(10)
	v_fma_f64 v[46:47], -v[78:79], v[168:169], v[46:47]
	v_fma_f64 v[44:45], -v[78:79], v[170:171], v[44:45]
	;; [unrolled: 3-line block ×12, first 2 shown]
.LBB118_369:
	s_or_b32 exec_lo, exec_lo, s0
	v_lshl_add_u32 v0, v135, 3, v132
	s_barrier
	buffer_gl0_inv
	v_mov_b32_e32 v126, 22
	ds_write_b64 v0, v[80:81]
	s_waitcnt lgkmcnt(0)
	s_barrier
	buffer_gl0_inv
	ds_read_b64 v[0:1], v132 offset:176
	s_cmp_lt_i32 s7, 24
	s_cbranch_scc1 .LBB118_372
; %bb.370:
	v_add3_u32 v127, v133, 0, 0xb8
	v_mov_b32_e32 v126, 22
	s_mov_b32 s0, 23
.LBB118_371:                            ; =>This Inner Loop Header: Depth=1
	ds_read_b64 v[136:137], v127
	v_add_nc_u32_e32 v127, 8, v127
	s_waitcnt lgkmcnt(0)
	v_cmp_lt_f64_e64 vcc_lo, |v[0:1]|, |v[136:137]|
	v_cndmask_b32_e32 v1, v1, v137, vcc_lo
	v_cndmask_b32_e32 v0, v0, v136, vcc_lo
	v_cndmask_b32_e64 v126, v126, s0, vcc_lo
	s_add_i32 s0, s0, 1
	s_cmp_lg_u32 s7, s0
	s_cbranch_scc1 .LBB118_371
.LBB118_372:
	s_mov_b32 s0, exec_lo
	s_waitcnt lgkmcnt(0)
	v_cmpx_eq_f64_e32 0, v[0:1]
	s_xor_b32 s0, exec_lo, s0
; %bb.373:
	v_cmp_ne_u32_e32 vcc_lo, 0, v129
	v_cndmask_b32_e32 v129, 23, v129, vcc_lo
; %bb.374:
	s_andn2_saveexec_b32 s0, s0
	s_cbranch_execz .LBB118_376
; %bb.375:
	v_div_scale_f64 v[127:128], null, v[0:1], v[0:1], 1.0
	v_rcp_f64_e32 v[136:137], v[127:128]
	v_fma_f64 v[138:139], -v[127:128], v[136:137], 1.0
	v_fma_f64 v[136:137], v[136:137], v[138:139], v[136:137]
	v_fma_f64 v[138:139], -v[127:128], v[136:137], 1.0
	v_fma_f64 v[136:137], v[136:137], v[138:139], v[136:137]
	v_div_scale_f64 v[138:139], vcc_lo, 1.0, v[0:1], 1.0
	v_mul_f64 v[140:141], v[138:139], v[136:137]
	v_fma_f64 v[127:128], -v[127:128], v[140:141], v[138:139]
	v_div_fmas_f64 v[127:128], v[127:128], v[136:137], v[140:141]
	v_div_fixup_f64 v[0:1], v[127:128], v[0:1], 1.0
.LBB118_376:
	s_or_b32 exec_lo, exec_lo, s0
	s_mov_b32 s0, exec_lo
	v_cmpx_ne_u32_e64 v135, v126
	s_xor_b32 s0, exec_lo, s0
	s_cbranch_execz .LBB118_382
; %bb.377:
	s_mov_b32 s1, exec_lo
	v_cmpx_eq_u32_e32 22, v135
	s_cbranch_execz .LBB118_381
; %bb.378:
	v_cmp_ne_u32_e32 vcc_lo, 22, v126
	s_xor_b32 s2, s6, -1
	s_and_b32 s3, s2, vcc_lo
	s_and_saveexec_b32 s2, s3
	s_cbranch_execz .LBB118_380
; %bb.379:
	v_ashrrev_i32_e32 v127, 31, v126
	v_lshlrev_b64 v[127:128], 2, v[126:127]
	v_add_co_u32 v127, vcc_lo, v4, v127
	v_add_co_ci_u32_e64 v128, null, v5, v128, vcc_lo
	s_clause 0x1
	global_load_dword v134, v[127:128], off
	global_load_dword v135, v[4:5], off offset:88
	s_waitcnt vmcnt(1)
	global_store_dword v[4:5], v134, off offset:88
	s_waitcnt vmcnt(0)
	global_store_dword v[127:128], v135, off
.LBB118_380:
	s_or_b32 exec_lo, exec_lo, s2
	v_mov_b32_e32 v134, v126
	v_mov_b32_e32 v135, v126
.LBB118_381:
	s_or_b32 exec_lo, exec_lo, s1
.LBB118_382:
	s_andn2_saveexec_b32 s0, s0
	s_cbranch_execz .LBB118_384
; %bb.383:
	v_mov_b32_e32 v135, 22
	ds_write2_b64 v132, v[74:75], v[76:77] offset0:23 offset1:24
	ds_write2_b64 v132, v[72:73], v[70:71] offset0:25 offset1:26
	;; [unrolled: 1-line block ×18, first 2 shown]
	ds_write_b64 v132, v[124:125] offset:472
.LBB118_384:
	s_or_b32 exec_lo, exec_lo, s0
	s_mov_b32 s0, exec_lo
	s_waitcnt lgkmcnt(0)
	s_waitcnt_vscnt null, 0x0
	s_barrier
	buffer_gl0_inv
	v_cmpx_lt_i32_e32 22, v135
	s_cbranch_execz .LBB118_386
; %bb.385:
	v_mul_f64 v[80:81], v[0:1], v[80:81]
	ds_read2_b64 v[136:139], v132 offset0:23 offset1:24
	ds_read2_b64 v[140:143], v132 offset0:25 offset1:26
	;; [unrolled: 1-line block ×12, first 2 shown]
	ds_read_b64 v[0:1], v132 offset:472
	s_waitcnt lgkmcnt(12)
	v_fma_f64 v[74:75], -v[80:81], v[136:137], v[74:75]
	v_fma_f64 v[76:77], -v[80:81], v[138:139], v[76:77]
	s_waitcnt lgkmcnt(11)
	v_fma_f64 v[72:73], -v[80:81], v[140:141], v[72:73]
	v_fma_f64 v[70:71], -v[80:81], v[142:143], v[70:71]
	;; [unrolled: 3-line block ×5, first 2 shown]
	s_waitcnt lgkmcnt(7)
	v_fma_f64 v[54:55], -v[80:81], v[156:157], v[54:55]
	ds_read2_b64 v[136:139], v132 offset0:47 offset1:48
	ds_read2_b64 v[140:143], v132 offset0:49 offset1:50
	v_fma_f64 v[56:57], -v[80:81], v[158:159], v[56:57]
	ds_read2_b64 v[144:147], v132 offset0:51 offset1:52
	ds_read2_b64 v[148:151], v132 offset0:53 offset1:54
	;; [unrolled: 1-line block ×4, first 2 shown]
	s_waitcnt lgkmcnt(12)
	v_fma_f64 v[52:53], -v[80:81], v[160:161], v[52:53]
	v_fma_f64 v[50:51], -v[80:81], v[162:163], v[50:51]
	s_waitcnt lgkmcnt(11)
	v_fma_f64 v[48:49], -v[80:81], v[164:165], v[48:49]
	v_fma_f64 v[46:47], -v[80:81], v[166:167], v[46:47]
	;; [unrolled: 3-line block ×6, first 2 shown]
	s_waitcnt lgkmcnt(6)
	v_fma_f64 v[124:125], -v[80:81], v[0:1], v[124:125]
	s_waitcnt lgkmcnt(5)
	v_fma_f64 v[28:29], -v[80:81], v[136:137], v[28:29]
	v_fma_f64 v[26:27], -v[80:81], v[138:139], v[26:27]
	s_waitcnt lgkmcnt(4)
	v_fma_f64 v[24:25], -v[80:81], v[140:141], v[24:25]
	v_fma_f64 v[22:23], -v[80:81], v[142:143], v[22:23]
	s_waitcnt lgkmcnt(3)
	v_fma_f64 v[18:19], -v[80:81], v[144:145], v[18:19]
	v_fma_f64 v[20:21], -v[80:81], v[146:147], v[20:21]
	s_waitcnt lgkmcnt(2)
	v_fma_f64 v[16:17], -v[80:81], v[148:149], v[16:17]
	v_fma_f64 v[14:15], -v[80:81], v[150:151], v[14:15]
	s_waitcnt lgkmcnt(1)
	v_fma_f64 v[8:9], -v[80:81], v[152:153], v[8:9]
	v_fma_f64 v[12:13], -v[80:81], v[154:155], v[12:13]
	s_waitcnt lgkmcnt(0)
	v_fma_f64 v[6:7], -v[80:81], v[156:157], v[6:7]
	v_fma_f64 v[10:11], -v[80:81], v[158:159], v[10:11]
.LBB118_386:
	s_or_b32 exec_lo, exec_lo, s0
	v_lshl_add_u32 v0, v135, 3, v132
	s_barrier
	buffer_gl0_inv
	v_mov_b32_e32 v126, 23
	ds_write_b64 v0, v[74:75]
	s_waitcnt lgkmcnt(0)
	s_barrier
	buffer_gl0_inv
	ds_read_b64 v[0:1], v132 offset:184
	s_cmp_lt_i32 s7, 25
	s_cbranch_scc1 .LBB118_389
; %bb.387:
	v_add3_u32 v127, v133, 0, 0xc0
	v_mov_b32_e32 v126, 23
	s_mov_b32 s0, 24
.LBB118_388:                            ; =>This Inner Loop Header: Depth=1
	ds_read_b64 v[136:137], v127
	v_add_nc_u32_e32 v127, 8, v127
	s_waitcnt lgkmcnt(0)
	v_cmp_lt_f64_e64 vcc_lo, |v[0:1]|, |v[136:137]|
	v_cndmask_b32_e32 v1, v1, v137, vcc_lo
	v_cndmask_b32_e32 v0, v0, v136, vcc_lo
	v_cndmask_b32_e64 v126, v126, s0, vcc_lo
	s_add_i32 s0, s0, 1
	s_cmp_lg_u32 s7, s0
	s_cbranch_scc1 .LBB118_388
.LBB118_389:
	s_mov_b32 s0, exec_lo
	s_waitcnt lgkmcnt(0)
	v_cmpx_eq_f64_e32 0, v[0:1]
	s_xor_b32 s0, exec_lo, s0
; %bb.390:
	v_cmp_ne_u32_e32 vcc_lo, 0, v129
	v_cndmask_b32_e32 v129, 24, v129, vcc_lo
; %bb.391:
	s_andn2_saveexec_b32 s0, s0
	s_cbranch_execz .LBB118_393
; %bb.392:
	v_div_scale_f64 v[127:128], null, v[0:1], v[0:1], 1.0
	v_rcp_f64_e32 v[136:137], v[127:128]
	v_fma_f64 v[138:139], -v[127:128], v[136:137], 1.0
	v_fma_f64 v[136:137], v[136:137], v[138:139], v[136:137]
	v_fma_f64 v[138:139], -v[127:128], v[136:137], 1.0
	v_fma_f64 v[136:137], v[136:137], v[138:139], v[136:137]
	v_div_scale_f64 v[138:139], vcc_lo, 1.0, v[0:1], 1.0
	v_mul_f64 v[140:141], v[138:139], v[136:137]
	v_fma_f64 v[127:128], -v[127:128], v[140:141], v[138:139]
	v_div_fmas_f64 v[127:128], v[127:128], v[136:137], v[140:141]
	v_div_fixup_f64 v[0:1], v[127:128], v[0:1], 1.0
.LBB118_393:
	s_or_b32 exec_lo, exec_lo, s0
	s_mov_b32 s0, exec_lo
	v_cmpx_ne_u32_e64 v135, v126
	s_xor_b32 s0, exec_lo, s0
	s_cbranch_execz .LBB118_399
; %bb.394:
	s_mov_b32 s1, exec_lo
	v_cmpx_eq_u32_e32 23, v135
	s_cbranch_execz .LBB118_398
; %bb.395:
	v_cmp_ne_u32_e32 vcc_lo, 23, v126
	s_xor_b32 s2, s6, -1
	s_and_b32 s3, s2, vcc_lo
	s_and_saveexec_b32 s2, s3
	s_cbranch_execz .LBB118_397
; %bb.396:
	v_ashrrev_i32_e32 v127, 31, v126
	v_lshlrev_b64 v[127:128], 2, v[126:127]
	v_add_co_u32 v127, vcc_lo, v4, v127
	v_add_co_ci_u32_e64 v128, null, v5, v128, vcc_lo
	s_clause 0x1
	global_load_dword v134, v[127:128], off
	global_load_dword v135, v[4:5], off offset:92
	s_waitcnt vmcnt(1)
	global_store_dword v[4:5], v134, off offset:92
	s_waitcnt vmcnt(0)
	global_store_dword v[127:128], v135, off
.LBB118_397:
	s_or_b32 exec_lo, exec_lo, s2
	v_mov_b32_e32 v134, v126
	v_mov_b32_e32 v135, v126
.LBB118_398:
	s_or_b32 exec_lo, exec_lo, s1
.LBB118_399:
	s_andn2_saveexec_b32 s0, s0
	s_cbranch_execz .LBB118_401
; %bb.400:
	v_mov_b32_e32 v126, v76
	v_mov_b32_e32 v127, v77
	;; [unrolled: 1-line block ×16, first 2 shown]
	ds_write2_b64 v132, v[126:127], v[135:136] offset0:24 offset1:25
	ds_write2_b64 v132, v[137:138], v[139:140] offset0:26 offset1:27
	;; [unrolled: 1-line block ×4, first 2 shown]
	v_mov_b32_e32 v126, v60
	v_mov_b32_e32 v127, v61
	;; [unrolled: 1-line block ×20, first 2 shown]
	ds_write2_b64 v132, v[126:127], v[135:136] offset0:32 offset1:33
	ds_write2_b64 v132, v[137:138], v[139:140] offset0:34 offset1:35
	;; [unrolled: 1-line block ×5, first 2 shown]
	v_mov_b32_e32 v126, v40
	v_mov_b32_e32 v127, v41
	;; [unrolled: 1-line block ×20, first 2 shown]
	ds_write2_b64 v132, v[126:127], v[135:136] offset0:42 offset1:43
	ds_write2_b64 v132, v[137:138], v[139:140] offset0:44 offset1:45
	;; [unrolled: 1-line block ×5, first 2 shown]
	v_mov_b32_e32 v126, v20
	v_mov_b32_e32 v127, v21
	;; [unrolled: 1-line block ×15, first 2 shown]
	ds_write2_b64 v132, v[126:127], v[136:137] offset0:52 offset1:53
	ds_write2_b64 v132, v[138:139], v[140:141] offset0:54 offset1:55
	;; [unrolled: 1-line block ×4, first 2 shown]
.LBB118_401:
	s_or_b32 exec_lo, exec_lo, s0
	s_mov_b32 s0, exec_lo
	s_waitcnt lgkmcnt(0)
	s_waitcnt_vscnt null, 0x0
	s_barrier
	buffer_gl0_inv
	v_cmpx_lt_i32_e32 23, v135
	s_cbranch_execz .LBB118_403
; %bb.402:
	v_mul_f64 v[74:75], v[0:1], v[74:75]
	ds_read2_b64 v[136:139], v132 offset0:24 offset1:25
	ds_read2_b64 v[140:143], v132 offset0:26 offset1:27
	;; [unrolled: 1-line block ×12, first 2 shown]
	s_waitcnt lgkmcnt(11)
	v_fma_f64 v[76:77], -v[74:75], v[136:137], v[76:77]
	v_fma_f64 v[72:73], -v[74:75], v[138:139], v[72:73]
	s_waitcnt lgkmcnt(10)
	v_fma_f64 v[70:71], -v[74:75], v[140:141], v[70:71]
	v_fma_f64 v[68:69], -v[74:75], v[142:143], v[68:69]
	;; [unrolled: 3-line block ×5, first 2 shown]
	ds_read2_b64 v[136:139], v132 offset0:48 offset1:49
	ds_read2_b64 v[140:143], v132 offset0:50 offset1:51
	s_waitcnt lgkmcnt(8)
	v_fma_f64 v[56:57], -v[74:75], v[156:157], v[56:57]
	v_fma_f64 v[52:53], -v[74:75], v[158:159], v[52:53]
	ds_read2_b64 v[144:147], v132 offset0:52 offset1:53
	ds_read2_b64 v[148:151], v132 offset0:54 offset1:55
	;; [unrolled: 1-line block ×4, first 2 shown]
	s_waitcnt lgkmcnt(11)
	v_fma_f64 v[50:51], -v[74:75], v[160:161], v[50:51]
	v_fma_f64 v[48:49], -v[74:75], v[162:163], v[48:49]
	s_waitcnt lgkmcnt(10)
	v_fma_f64 v[46:47], -v[74:75], v[164:165], v[46:47]
	v_fma_f64 v[44:45], -v[74:75], v[166:167], v[44:45]
	;; [unrolled: 3-line block ×12, first 2 shown]
.LBB118_403:
	s_or_b32 exec_lo, exec_lo, s0
	v_lshl_add_u32 v0, v135, 3, v132
	s_barrier
	buffer_gl0_inv
	v_mov_b32_e32 v126, 24
	ds_write_b64 v0, v[76:77]
	s_waitcnt lgkmcnt(0)
	s_barrier
	buffer_gl0_inv
	ds_read_b64 v[0:1], v132 offset:192
	s_cmp_lt_i32 s7, 26
	s_cbranch_scc1 .LBB118_406
; %bb.404:
	v_add3_u32 v127, v133, 0, 0xc8
	v_mov_b32_e32 v126, 24
	s_mov_b32 s0, 25
.LBB118_405:                            ; =>This Inner Loop Header: Depth=1
	ds_read_b64 v[136:137], v127
	v_add_nc_u32_e32 v127, 8, v127
	s_waitcnt lgkmcnt(0)
	v_cmp_lt_f64_e64 vcc_lo, |v[0:1]|, |v[136:137]|
	v_cndmask_b32_e32 v1, v1, v137, vcc_lo
	v_cndmask_b32_e32 v0, v0, v136, vcc_lo
	v_cndmask_b32_e64 v126, v126, s0, vcc_lo
	s_add_i32 s0, s0, 1
	s_cmp_lg_u32 s7, s0
	s_cbranch_scc1 .LBB118_405
.LBB118_406:
	s_mov_b32 s0, exec_lo
	s_waitcnt lgkmcnt(0)
	v_cmpx_eq_f64_e32 0, v[0:1]
	s_xor_b32 s0, exec_lo, s0
; %bb.407:
	v_cmp_ne_u32_e32 vcc_lo, 0, v129
	v_cndmask_b32_e32 v129, 25, v129, vcc_lo
; %bb.408:
	s_andn2_saveexec_b32 s0, s0
	s_cbranch_execz .LBB118_410
; %bb.409:
	v_div_scale_f64 v[127:128], null, v[0:1], v[0:1], 1.0
	v_rcp_f64_e32 v[136:137], v[127:128]
	v_fma_f64 v[138:139], -v[127:128], v[136:137], 1.0
	v_fma_f64 v[136:137], v[136:137], v[138:139], v[136:137]
	v_fma_f64 v[138:139], -v[127:128], v[136:137], 1.0
	v_fma_f64 v[136:137], v[136:137], v[138:139], v[136:137]
	v_div_scale_f64 v[138:139], vcc_lo, 1.0, v[0:1], 1.0
	v_mul_f64 v[140:141], v[138:139], v[136:137]
	v_fma_f64 v[127:128], -v[127:128], v[140:141], v[138:139]
	v_div_fmas_f64 v[127:128], v[127:128], v[136:137], v[140:141]
	v_div_fixup_f64 v[0:1], v[127:128], v[0:1], 1.0
.LBB118_410:
	s_or_b32 exec_lo, exec_lo, s0
	s_mov_b32 s0, exec_lo
	v_cmpx_ne_u32_e64 v135, v126
	s_xor_b32 s0, exec_lo, s0
	s_cbranch_execz .LBB118_416
; %bb.411:
	s_mov_b32 s1, exec_lo
	v_cmpx_eq_u32_e32 24, v135
	s_cbranch_execz .LBB118_415
; %bb.412:
	v_cmp_ne_u32_e32 vcc_lo, 24, v126
	s_xor_b32 s2, s6, -1
	s_and_b32 s3, s2, vcc_lo
	s_and_saveexec_b32 s2, s3
	s_cbranch_execz .LBB118_414
; %bb.413:
	v_ashrrev_i32_e32 v127, 31, v126
	v_lshlrev_b64 v[127:128], 2, v[126:127]
	v_add_co_u32 v127, vcc_lo, v4, v127
	v_add_co_ci_u32_e64 v128, null, v5, v128, vcc_lo
	s_clause 0x1
	global_load_dword v134, v[127:128], off
	global_load_dword v135, v[4:5], off offset:96
	s_waitcnt vmcnt(1)
	global_store_dword v[4:5], v134, off offset:96
	s_waitcnt vmcnt(0)
	global_store_dword v[127:128], v135, off
.LBB118_414:
	s_or_b32 exec_lo, exec_lo, s2
	v_mov_b32_e32 v134, v126
	v_mov_b32_e32 v135, v126
.LBB118_415:
	s_or_b32 exec_lo, exec_lo, s1
.LBB118_416:
	s_andn2_saveexec_b32 s0, s0
	s_cbranch_execz .LBB118_418
; %bb.417:
	v_mov_b32_e32 v135, 24
	ds_write2_b64 v132, v[72:73], v[70:71] offset0:25 offset1:26
	ds_write2_b64 v132, v[68:69], v[66:67] offset0:27 offset1:28
	;; [unrolled: 1-line block ×17, first 2 shown]
	ds_write_b64 v132, v[124:125] offset:472
.LBB118_418:
	s_or_b32 exec_lo, exec_lo, s0
	s_mov_b32 s0, exec_lo
	s_waitcnt lgkmcnt(0)
	s_waitcnt_vscnt null, 0x0
	s_barrier
	buffer_gl0_inv
	v_cmpx_lt_i32_e32 24, v135
	s_cbranch_execz .LBB118_420
; %bb.419:
	v_mul_f64 v[76:77], v[0:1], v[76:77]
	ds_read2_b64 v[136:139], v132 offset0:25 offset1:26
	ds_read2_b64 v[140:143], v132 offset0:27 offset1:28
	;; [unrolled: 1-line block ×12, first 2 shown]
	ds_read_b64 v[0:1], v132 offset:472
	s_waitcnt lgkmcnt(12)
	v_fma_f64 v[72:73], -v[76:77], v[136:137], v[72:73]
	v_fma_f64 v[70:71], -v[76:77], v[138:139], v[70:71]
	s_waitcnt lgkmcnt(11)
	v_fma_f64 v[68:69], -v[76:77], v[140:141], v[68:69]
	v_fma_f64 v[66:67], -v[76:77], v[142:143], v[66:67]
	;; [unrolled: 3-line block ×5, first 2 shown]
	ds_read2_b64 v[136:139], v132 offset0:49 offset1:50
	ds_read2_b64 v[140:143], v132 offset0:51 offset1:52
	;; [unrolled: 1-line block ×5, first 2 shown]
	s_waitcnt lgkmcnt(12)
	v_fma_f64 v[52:53], -v[76:77], v[156:157], v[52:53]
	v_fma_f64 v[50:51], -v[76:77], v[158:159], v[50:51]
	s_waitcnt lgkmcnt(11)
	v_fma_f64 v[48:49], -v[76:77], v[160:161], v[48:49]
	v_fma_f64 v[46:47], -v[76:77], v[162:163], v[46:47]
	s_waitcnt lgkmcnt(10)
	v_fma_f64 v[44:45], -v[76:77], v[164:165], v[44:45]
	v_fma_f64 v[42:43], -v[76:77], v[166:167], v[42:43]
	s_waitcnt lgkmcnt(9)
	v_fma_f64 v[38:39], -v[76:77], v[168:169], v[38:39]
	v_fma_f64 v[40:41], -v[76:77], v[170:171], v[40:41]
	s_waitcnt lgkmcnt(8)
	v_fma_f64 v[34:35], -v[76:77], v[172:173], v[34:35]
	v_fma_f64 v[36:37], -v[76:77], v[174:175], v[36:37]
	s_waitcnt lgkmcnt(7)
	v_fma_f64 v[32:33], -v[76:77], v[176:177], v[32:33]
	v_fma_f64 v[30:31], -v[76:77], v[178:179], v[30:31]
	s_waitcnt lgkmcnt(6)
	v_fma_f64 v[28:29], -v[76:77], v[180:181], v[28:29]
	v_fma_f64 v[26:27], -v[76:77], v[182:183], v[26:27]
	s_waitcnt lgkmcnt(5)
	v_fma_f64 v[124:125], -v[76:77], v[0:1], v[124:125]
	s_waitcnt lgkmcnt(4)
	v_fma_f64 v[24:25], -v[76:77], v[136:137], v[24:25]
	v_fma_f64 v[22:23], -v[76:77], v[138:139], v[22:23]
	s_waitcnt lgkmcnt(3)
	v_fma_f64 v[18:19], -v[76:77], v[140:141], v[18:19]
	;; [unrolled: 3-line block ×5, first 2 shown]
	v_fma_f64 v[10:11], -v[76:77], v[154:155], v[10:11]
.LBB118_420:
	s_or_b32 exec_lo, exec_lo, s0
	v_lshl_add_u32 v0, v135, 3, v132
	s_barrier
	buffer_gl0_inv
	v_mov_b32_e32 v126, 25
	ds_write_b64 v0, v[72:73]
	s_waitcnt lgkmcnt(0)
	s_barrier
	buffer_gl0_inv
	ds_read_b64 v[0:1], v132 offset:200
	s_cmp_lt_i32 s7, 27
	s_cbranch_scc1 .LBB118_423
; %bb.421:
	v_add3_u32 v127, v133, 0, 0xd0
	v_mov_b32_e32 v126, 25
	s_mov_b32 s0, 26
.LBB118_422:                            ; =>This Inner Loop Header: Depth=1
	ds_read_b64 v[136:137], v127
	v_add_nc_u32_e32 v127, 8, v127
	s_waitcnt lgkmcnt(0)
	v_cmp_lt_f64_e64 vcc_lo, |v[0:1]|, |v[136:137]|
	v_cndmask_b32_e32 v1, v1, v137, vcc_lo
	v_cndmask_b32_e32 v0, v0, v136, vcc_lo
	v_cndmask_b32_e64 v126, v126, s0, vcc_lo
	s_add_i32 s0, s0, 1
	s_cmp_lg_u32 s7, s0
	s_cbranch_scc1 .LBB118_422
.LBB118_423:
	s_mov_b32 s0, exec_lo
	s_waitcnt lgkmcnt(0)
	v_cmpx_eq_f64_e32 0, v[0:1]
	s_xor_b32 s0, exec_lo, s0
; %bb.424:
	v_cmp_ne_u32_e32 vcc_lo, 0, v129
	v_cndmask_b32_e32 v129, 26, v129, vcc_lo
; %bb.425:
	s_andn2_saveexec_b32 s0, s0
	s_cbranch_execz .LBB118_427
; %bb.426:
	v_div_scale_f64 v[127:128], null, v[0:1], v[0:1], 1.0
	v_rcp_f64_e32 v[136:137], v[127:128]
	v_fma_f64 v[138:139], -v[127:128], v[136:137], 1.0
	v_fma_f64 v[136:137], v[136:137], v[138:139], v[136:137]
	v_fma_f64 v[138:139], -v[127:128], v[136:137], 1.0
	v_fma_f64 v[136:137], v[136:137], v[138:139], v[136:137]
	v_div_scale_f64 v[138:139], vcc_lo, 1.0, v[0:1], 1.0
	v_mul_f64 v[140:141], v[138:139], v[136:137]
	v_fma_f64 v[127:128], -v[127:128], v[140:141], v[138:139]
	v_div_fmas_f64 v[127:128], v[127:128], v[136:137], v[140:141]
	v_div_fixup_f64 v[0:1], v[127:128], v[0:1], 1.0
.LBB118_427:
	s_or_b32 exec_lo, exec_lo, s0
	s_mov_b32 s0, exec_lo
	v_cmpx_ne_u32_e64 v135, v126
	s_xor_b32 s0, exec_lo, s0
	s_cbranch_execz .LBB118_433
; %bb.428:
	s_mov_b32 s1, exec_lo
	v_cmpx_eq_u32_e32 25, v135
	s_cbranch_execz .LBB118_432
; %bb.429:
	v_cmp_ne_u32_e32 vcc_lo, 25, v126
	s_xor_b32 s2, s6, -1
	s_and_b32 s3, s2, vcc_lo
	s_and_saveexec_b32 s2, s3
	s_cbranch_execz .LBB118_431
; %bb.430:
	v_ashrrev_i32_e32 v127, 31, v126
	v_lshlrev_b64 v[127:128], 2, v[126:127]
	v_add_co_u32 v127, vcc_lo, v4, v127
	v_add_co_ci_u32_e64 v128, null, v5, v128, vcc_lo
	s_clause 0x1
	global_load_dword v134, v[127:128], off
	global_load_dword v135, v[4:5], off offset:100
	s_waitcnt vmcnt(1)
	global_store_dword v[4:5], v134, off offset:100
	s_waitcnt vmcnt(0)
	global_store_dword v[127:128], v135, off
.LBB118_431:
	s_or_b32 exec_lo, exec_lo, s2
	v_mov_b32_e32 v134, v126
	v_mov_b32_e32 v135, v126
.LBB118_432:
	s_or_b32 exec_lo, exec_lo, s1
.LBB118_433:
	s_andn2_saveexec_b32 s0, s0
	s_cbranch_execz .LBB118_435
; %bb.434:
	v_mov_b32_e32 v126, v70
	v_mov_b32_e32 v127, v71
	v_mov_b32_e32 v135, v68
	v_mov_b32_e32 v136, v69
	v_mov_b32_e32 v137, v66
	v_mov_b32_e32 v138, v67
	v_mov_b32_e32 v139, v64
	v_mov_b32_e32 v140, v65
	v_mov_b32_e32 v141, v62
	v_mov_b32_e32 v142, v63
	v_mov_b32_e32 v143, v58
	v_mov_b32_e32 v144, v59
	ds_write2_b64 v132, v[126:127], v[135:136] offset0:26 offset1:27
	ds_write2_b64 v132, v[137:138], v[139:140] offset0:28 offset1:29
	;; [unrolled: 1-line block ×3, first 2 shown]
	v_mov_b32_e32 v126, v60
	v_mov_b32_e32 v127, v61
	;; [unrolled: 1-line block ×20, first 2 shown]
	ds_write2_b64 v132, v[126:127], v[135:136] offset0:32 offset1:33
	ds_write2_b64 v132, v[137:138], v[139:140] offset0:34 offset1:35
	;; [unrolled: 1-line block ×5, first 2 shown]
	v_mov_b32_e32 v126, v40
	v_mov_b32_e32 v127, v41
	;; [unrolled: 1-line block ×20, first 2 shown]
	ds_write2_b64 v132, v[126:127], v[135:136] offset0:42 offset1:43
	ds_write2_b64 v132, v[137:138], v[139:140] offset0:44 offset1:45
	;; [unrolled: 1-line block ×5, first 2 shown]
	v_mov_b32_e32 v126, v20
	v_mov_b32_e32 v127, v21
	;; [unrolled: 1-line block ×15, first 2 shown]
	ds_write2_b64 v132, v[126:127], v[136:137] offset0:52 offset1:53
	ds_write2_b64 v132, v[138:139], v[140:141] offset0:54 offset1:55
	;; [unrolled: 1-line block ×4, first 2 shown]
.LBB118_435:
	s_or_b32 exec_lo, exec_lo, s0
	s_mov_b32 s0, exec_lo
	s_waitcnt lgkmcnt(0)
	s_waitcnt_vscnt null, 0x0
	s_barrier
	buffer_gl0_inv
	v_cmpx_lt_i32_e32 25, v135
	s_cbranch_execz .LBB118_437
; %bb.436:
	v_mul_f64 v[72:73], v[0:1], v[72:73]
	ds_read2_b64 v[136:139], v132 offset0:26 offset1:27
	ds_read2_b64 v[140:143], v132 offset0:28 offset1:29
	;; [unrolled: 1-line block ×13, first 2 shown]
	s_waitcnt lgkmcnt(12)
	v_fma_f64 v[70:71], -v[72:73], v[136:137], v[70:71]
	v_fma_f64 v[68:69], -v[72:73], v[138:139], v[68:69]
	s_waitcnt lgkmcnt(11)
	v_fma_f64 v[66:67], -v[72:73], v[140:141], v[66:67]
	v_fma_f64 v[64:65], -v[72:73], v[142:143], v[64:65]
	s_waitcnt lgkmcnt(10)
	v_fma_f64 v[62:63], -v[72:73], v[144:145], v[62:63]
	v_fma_f64 v[58:59], -v[72:73], v[146:147], v[58:59]
	s_waitcnt lgkmcnt(9)
	v_fma_f64 v[60:61], -v[72:73], v[148:149], v[60:61]
	v_fma_f64 v[54:55], -v[72:73], v[150:151], v[54:55]
	ds_read2_b64 v[136:139], v132 offset0:52 offset1:53
	ds_read2_b64 v[140:143], v132 offset0:54 offset1:55
	;; [unrolled: 1-line block ×4, first 2 shown]
	s_waitcnt lgkmcnt(12)
	v_fma_f64 v[56:57], -v[72:73], v[152:153], v[56:57]
	v_fma_f64 v[52:53], -v[72:73], v[154:155], v[52:53]
	s_waitcnt lgkmcnt(11)
	v_fma_f64 v[50:51], -v[72:73], v[156:157], v[50:51]
	v_fma_f64 v[48:49], -v[72:73], v[158:159], v[48:49]
	;; [unrolled: 3-line block ×13, first 2 shown]
.LBB118_437:
	s_or_b32 exec_lo, exec_lo, s0
	v_lshl_add_u32 v0, v135, 3, v132
	s_barrier
	buffer_gl0_inv
	v_mov_b32_e32 v126, 26
	ds_write_b64 v0, v[70:71]
	s_waitcnt lgkmcnt(0)
	s_barrier
	buffer_gl0_inv
	ds_read_b64 v[0:1], v132 offset:208
	s_cmp_lt_i32 s7, 28
	s_cbranch_scc1 .LBB118_440
; %bb.438:
	v_add3_u32 v127, v133, 0, 0xd8
	v_mov_b32_e32 v126, 26
	s_mov_b32 s0, 27
.LBB118_439:                            ; =>This Inner Loop Header: Depth=1
	ds_read_b64 v[136:137], v127
	v_add_nc_u32_e32 v127, 8, v127
	s_waitcnt lgkmcnt(0)
	v_cmp_lt_f64_e64 vcc_lo, |v[0:1]|, |v[136:137]|
	v_cndmask_b32_e32 v1, v1, v137, vcc_lo
	v_cndmask_b32_e32 v0, v0, v136, vcc_lo
	v_cndmask_b32_e64 v126, v126, s0, vcc_lo
	s_add_i32 s0, s0, 1
	s_cmp_lg_u32 s7, s0
	s_cbranch_scc1 .LBB118_439
.LBB118_440:
	s_mov_b32 s0, exec_lo
	s_waitcnt lgkmcnt(0)
	v_cmpx_eq_f64_e32 0, v[0:1]
	s_xor_b32 s0, exec_lo, s0
; %bb.441:
	v_cmp_ne_u32_e32 vcc_lo, 0, v129
	v_cndmask_b32_e32 v129, 27, v129, vcc_lo
; %bb.442:
	s_andn2_saveexec_b32 s0, s0
	s_cbranch_execz .LBB118_444
; %bb.443:
	v_div_scale_f64 v[127:128], null, v[0:1], v[0:1], 1.0
	v_rcp_f64_e32 v[136:137], v[127:128]
	v_fma_f64 v[138:139], -v[127:128], v[136:137], 1.0
	v_fma_f64 v[136:137], v[136:137], v[138:139], v[136:137]
	v_fma_f64 v[138:139], -v[127:128], v[136:137], 1.0
	v_fma_f64 v[136:137], v[136:137], v[138:139], v[136:137]
	v_div_scale_f64 v[138:139], vcc_lo, 1.0, v[0:1], 1.0
	v_mul_f64 v[140:141], v[138:139], v[136:137]
	v_fma_f64 v[127:128], -v[127:128], v[140:141], v[138:139]
	v_div_fmas_f64 v[127:128], v[127:128], v[136:137], v[140:141]
	v_div_fixup_f64 v[0:1], v[127:128], v[0:1], 1.0
.LBB118_444:
	s_or_b32 exec_lo, exec_lo, s0
	s_mov_b32 s0, exec_lo
	v_cmpx_ne_u32_e64 v135, v126
	s_xor_b32 s0, exec_lo, s0
	s_cbranch_execz .LBB118_450
; %bb.445:
	s_mov_b32 s1, exec_lo
	v_cmpx_eq_u32_e32 26, v135
	s_cbranch_execz .LBB118_449
; %bb.446:
	v_cmp_ne_u32_e32 vcc_lo, 26, v126
	s_xor_b32 s2, s6, -1
	s_and_b32 s3, s2, vcc_lo
	s_and_saveexec_b32 s2, s3
	s_cbranch_execz .LBB118_448
; %bb.447:
	v_ashrrev_i32_e32 v127, 31, v126
	v_lshlrev_b64 v[127:128], 2, v[126:127]
	v_add_co_u32 v127, vcc_lo, v4, v127
	v_add_co_ci_u32_e64 v128, null, v5, v128, vcc_lo
	s_clause 0x1
	global_load_dword v134, v[127:128], off
	global_load_dword v135, v[4:5], off offset:104
	s_waitcnt vmcnt(1)
	global_store_dword v[4:5], v134, off offset:104
	s_waitcnt vmcnt(0)
	global_store_dword v[127:128], v135, off
.LBB118_448:
	s_or_b32 exec_lo, exec_lo, s2
	v_mov_b32_e32 v134, v126
	v_mov_b32_e32 v135, v126
.LBB118_449:
	s_or_b32 exec_lo, exec_lo, s1
.LBB118_450:
	s_andn2_saveexec_b32 s0, s0
	s_cbranch_execz .LBB118_452
; %bb.451:
	v_mov_b32_e32 v135, 26
	ds_write2_b64 v132, v[68:69], v[66:67] offset0:27 offset1:28
	ds_write2_b64 v132, v[64:65], v[62:63] offset0:29 offset1:30
	;; [unrolled: 1-line block ×16, first 2 shown]
	ds_write_b64 v132, v[124:125] offset:472
.LBB118_452:
	s_or_b32 exec_lo, exec_lo, s0
	s_mov_b32 s0, exec_lo
	s_waitcnt lgkmcnt(0)
	s_waitcnt_vscnt null, 0x0
	s_barrier
	buffer_gl0_inv
	v_cmpx_lt_i32_e32 26, v135
	s_cbranch_execz .LBB118_454
; %bb.453:
	v_mul_f64 v[70:71], v[0:1], v[70:71]
	ds_read2_b64 v[136:139], v132 offset0:27 offset1:28
	ds_read2_b64 v[140:143], v132 offset0:29 offset1:30
	;; [unrolled: 1-line block ×13, first 2 shown]
	ds_read_b64 v[0:1], v132 offset:472
	s_waitcnt lgkmcnt(13)
	v_fma_f64 v[68:69], -v[70:71], v[136:137], v[68:69]
	v_fma_f64 v[66:67], -v[70:71], v[138:139], v[66:67]
	s_waitcnt lgkmcnt(12)
	v_fma_f64 v[64:65], -v[70:71], v[140:141], v[64:65]
	v_fma_f64 v[62:63], -v[70:71], v[142:143], v[62:63]
	;; [unrolled: 3-line block ×3, first 2 shown]
	ds_read2_b64 v[136:139], v132 offset0:53 offset1:54
	ds_read2_b64 v[140:143], v132 offset0:55 offset1:56
	;; [unrolled: 1-line block ×3, first 2 shown]
	s_waitcnt lgkmcnt(13)
	v_fma_f64 v[54:55], -v[70:71], v[148:149], v[54:55]
	v_fma_f64 v[56:57], -v[70:71], v[150:151], v[56:57]
	s_waitcnt lgkmcnt(12)
	v_fma_f64 v[52:53], -v[70:71], v[152:153], v[52:53]
	v_fma_f64 v[50:51], -v[70:71], v[154:155], v[50:51]
	;; [unrolled: 3-line block ×13, first 2 shown]
	v_fma_f64 v[124:125], -v[70:71], v[0:1], v[124:125]
.LBB118_454:
	s_or_b32 exec_lo, exec_lo, s0
	v_lshl_add_u32 v0, v135, 3, v132
	s_barrier
	buffer_gl0_inv
	v_mov_b32_e32 v126, 27
	ds_write_b64 v0, v[68:69]
	s_waitcnt lgkmcnt(0)
	s_barrier
	buffer_gl0_inv
	ds_read_b64 v[0:1], v132 offset:216
	s_cmp_lt_i32 s7, 29
	s_cbranch_scc1 .LBB118_457
; %bb.455:
	v_add3_u32 v127, v133, 0, 0xe0
	v_mov_b32_e32 v126, 27
	s_mov_b32 s0, 28
.LBB118_456:                            ; =>This Inner Loop Header: Depth=1
	ds_read_b64 v[136:137], v127
	v_add_nc_u32_e32 v127, 8, v127
	s_waitcnt lgkmcnt(0)
	v_cmp_lt_f64_e64 vcc_lo, |v[0:1]|, |v[136:137]|
	v_cndmask_b32_e32 v1, v1, v137, vcc_lo
	v_cndmask_b32_e32 v0, v0, v136, vcc_lo
	v_cndmask_b32_e64 v126, v126, s0, vcc_lo
	s_add_i32 s0, s0, 1
	s_cmp_lg_u32 s7, s0
	s_cbranch_scc1 .LBB118_456
.LBB118_457:
	s_mov_b32 s0, exec_lo
	s_waitcnt lgkmcnt(0)
	v_cmpx_eq_f64_e32 0, v[0:1]
	s_xor_b32 s0, exec_lo, s0
; %bb.458:
	v_cmp_ne_u32_e32 vcc_lo, 0, v129
	v_cndmask_b32_e32 v129, 28, v129, vcc_lo
; %bb.459:
	s_andn2_saveexec_b32 s0, s0
	s_cbranch_execz .LBB118_461
; %bb.460:
	v_div_scale_f64 v[127:128], null, v[0:1], v[0:1], 1.0
	v_rcp_f64_e32 v[136:137], v[127:128]
	v_fma_f64 v[138:139], -v[127:128], v[136:137], 1.0
	v_fma_f64 v[136:137], v[136:137], v[138:139], v[136:137]
	v_fma_f64 v[138:139], -v[127:128], v[136:137], 1.0
	v_fma_f64 v[136:137], v[136:137], v[138:139], v[136:137]
	v_div_scale_f64 v[138:139], vcc_lo, 1.0, v[0:1], 1.0
	v_mul_f64 v[140:141], v[138:139], v[136:137]
	v_fma_f64 v[127:128], -v[127:128], v[140:141], v[138:139]
	v_div_fmas_f64 v[127:128], v[127:128], v[136:137], v[140:141]
	v_div_fixup_f64 v[0:1], v[127:128], v[0:1], 1.0
.LBB118_461:
	s_or_b32 exec_lo, exec_lo, s0
	s_mov_b32 s0, exec_lo
	v_cmpx_ne_u32_e64 v135, v126
	s_xor_b32 s0, exec_lo, s0
	s_cbranch_execz .LBB118_467
; %bb.462:
	s_mov_b32 s1, exec_lo
	v_cmpx_eq_u32_e32 27, v135
	s_cbranch_execz .LBB118_466
; %bb.463:
	v_cmp_ne_u32_e32 vcc_lo, 27, v126
	s_xor_b32 s2, s6, -1
	s_and_b32 s3, s2, vcc_lo
	s_and_saveexec_b32 s2, s3
	s_cbranch_execz .LBB118_465
; %bb.464:
	v_ashrrev_i32_e32 v127, 31, v126
	v_lshlrev_b64 v[127:128], 2, v[126:127]
	v_add_co_u32 v127, vcc_lo, v4, v127
	v_add_co_ci_u32_e64 v128, null, v5, v128, vcc_lo
	s_clause 0x1
	global_load_dword v134, v[127:128], off
	global_load_dword v135, v[4:5], off offset:108
	s_waitcnt vmcnt(1)
	global_store_dword v[4:5], v134, off offset:108
	s_waitcnt vmcnt(0)
	global_store_dword v[127:128], v135, off
.LBB118_465:
	s_or_b32 exec_lo, exec_lo, s2
	v_mov_b32_e32 v134, v126
	v_mov_b32_e32 v135, v126
.LBB118_466:
	s_or_b32 exec_lo, exec_lo, s1
.LBB118_467:
	s_andn2_saveexec_b32 s0, s0
	s_cbranch_execz .LBB118_469
; %bb.468:
	v_mov_b32_e32 v126, v66
	v_mov_b32_e32 v127, v67
	;; [unrolled: 1-line block ×8, first 2 shown]
	ds_write2_b64 v132, v[126:127], v[135:136] offset0:28 offset1:29
	ds_write2_b64 v132, v[137:138], v[139:140] offset0:30 offset1:31
	v_mov_b32_e32 v126, v60
	v_mov_b32_e32 v127, v61
	;; [unrolled: 1-line block ×20, first 2 shown]
	ds_write2_b64 v132, v[126:127], v[135:136] offset0:32 offset1:33
	ds_write2_b64 v132, v[137:138], v[139:140] offset0:34 offset1:35
	;; [unrolled: 1-line block ×5, first 2 shown]
	v_mov_b32_e32 v126, v40
	v_mov_b32_e32 v127, v41
	;; [unrolled: 1-line block ×20, first 2 shown]
	ds_write2_b64 v132, v[126:127], v[135:136] offset0:42 offset1:43
	ds_write2_b64 v132, v[137:138], v[139:140] offset0:44 offset1:45
	ds_write2_b64 v132, v[141:142], v[143:144] offset0:46 offset1:47
	ds_write2_b64 v132, v[145:146], v[147:148] offset0:48 offset1:49
	ds_write2_b64 v132, v[149:150], v[151:152] offset0:50 offset1:51
	v_mov_b32_e32 v126, v20
	v_mov_b32_e32 v127, v21
	;; [unrolled: 1-line block ×15, first 2 shown]
	ds_write2_b64 v132, v[126:127], v[136:137] offset0:52 offset1:53
	ds_write2_b64 v132, v[138:139], v[140:141] offset0:54 offset1:55
	;; [unrolled: 1-line block ×4, first 2 shown]
.LBB118_469:
	s_or_b32 exec_lo, exec_lo, s0
	s_mov_b32 s0, exec_lo
	s_waitcnt lgkmcnt(0)
	s_waitcnt_vscnt null, 0x0
	s_barrier
	buffer_gl0_inv
	v_cmpx_lt_i32_e32 27, v135
	s_cbranch_execz .LBB118_471
; %bb.470:
	v_mul_f64 v[68:69], v[0:1], v[68:69]
	ds_read2_b64 v[136:139], v132 offset0:28 offset1:29
	ds_read2_b64 v[140:143], v132 offset0:30 offset1:31
	;; [unrolled: 1-line block ×13, first 2 shown]
	s_waitcnt lgkmcnt(12)
	v_fma_f64 v[66:67], -v[68:69], v[136:137], v[66:67]
	v_fma_f64 v[64:65], -v[68:69], v[138:139], v[64:65]
	s_waitcnt lgkmcnt(11)
	v_fma_f64 v[62:63], -v[68:69], v[140:141], v[62:63]
	v_fma_f64 v[58:59], -v[68:69], v[142:143], v[58:59]
	;; [unrolled: 3-line block ×3, first 2 shown]
	ds_read2_b64 v[136:139], v132 offset0:54 offset1:55
	ds_read2_b64 v[140:143], v132 offset0:56 offset1:57
	;; [unrolled: 1-line block ×3, first 2 shown]
	s_waitcnt lgkmcnt(12)
	v_fma_f64 v[56:57], -v[68:69], v[148:149], v[56:57]
	v_fma_f64 v[52:53], -v[68:69], v[150:151], v[52:53]
	s_waitcnt lgkmcnt(11)
	v_fma_f64 v[50:51], -v[68:69], v[152:153], v[50:51]
	v_fma_f64 v[48:49], -v[68:69], v[154:155], v[48:49]
	;; [unrolled: 3-line block ×13, first 2 shown]
.LBB118_471:
	s_or_b32 exec_lo, exec_lo, s0
	v_lshl_add_u32 v0, v135, 3, v132
	s_barrier
	buffer_gl0_inv
	v_mov_b32_e32 v126, 28
	ds_write_b64 v0, v[66:67]
	s_waitcnt lgkmcnt(0)
	s_barrier
	buffer_gl0_inv
	ds_read_b64 v[0:1], v132 offset:224
	s_cmp_lt_i32 s7, 30
	s_cbranch_scc1 .LBB118_474
; %bb.472:
	v_add3_u32 v127, v133, 0, 0xe8
	v_mov_b32_e32 v126, 28
	s_mov_b32 s0, 29
.LBB118_473:                            ; =>This Inner Loop Header: Depth=1
	ds_read_b64 v[136:137], v127
	v_add_nc_u32_e32 v127, 8, v127
	s_waitcnt lgkmcnt(0)
	v_cmp_lt_f64_e64 vcc_lo, |v[0:1]|, |v[136:137]|
	v_cndmask_b32_e32 v1, v1, v137, vcc_lo
	v_cndmask_b32_e32 v0, v0, v136, vcc_lo
	v_cndmask_b32_e64 v126, v126, s0, vcc_lo
	s_add_i32 s0, s0, 1
	s_cmp_lg_u32 s7, s0
	s_cbranch_scc1 .LBB118_473
.LBB118_474:
	s_mov_b32 s0, exec_lo
	s_waitcnt lgkmcnt(0)
	v_cmpx_eq_f64_e32 0, v[0:1]
	s_xor_b32 s0, exec_lo, s0
; %bb.475:
	v_cmp_ne_u32_e32 vcc_lo, 0, v129
	v_cndmask_b32_e32 v129, 29, v129, vcc_lo
; %bb.476:
	s_andn2_saveexec_b32 s0, s0
	s_cbranch_execz .LBB118_478
; %bb.477:
	v_div_scale_f64 v[127:128], null, v[0:1], v[0:1], 1.0
	v_rcp_f64_e32 v[136:137], v[127:128]
	v_fma_f64 v[138:139], -v[127:128], v[136:137], 1.0
	v_fma_f64 v[136:137], v[136:137], v[138:139], v[136:137]
	v_fma_f64 v[138:139], -v[127:128], v[136:137], 1.0
	v_fma_f64 v[136:137], v[136:137], v[138:139], v[136:137]
	v_div_scale_f64 v[138:139], vcc_lo, 1.0, v[0:1], 1.0
	v_mul_f64 v[140:141], v[138:139], v[136:137]
	v_fma_f64 v[127:128], -v[127:128], v[140:141], v[138:139]
	v_div_fmas_f64 v[127:128], v[127:128], v[136:137], v[140:141]
	v_div_fixup_f64 v[0:1], v[127:128], v[0:1], 1.0
.LBB118_478:
	s_or_b32 exec_lo, exec_lo, s0
	s_mov_b32 s0, exec_lo
	v_cmpx_ne_u32_e64 v135, v126
	s_xor_b32 s0, exec_lo, s0
	s_cbranch_execz .LBB118_484
; %bb.479:
	s_mov_b32 s1, exec_lo
	v_cmpx_eq_u32_e32 28, v135
	s_cbranch_execz .LBB118_483
; %bb.480:
	v_cmp_ne_u32_e32 vcc_lo, 28, v126
	s_xor_b32 s2, s6, -1
	s_and_b32 s3, s2, vcc_lo
	s_and_saveexec_b32 s2, s3
	s_cbranch_execz .LBB118_482
; %bb.481:
	v_ashrrev_i32_e32 v127, 31, v126
	v_lshlrev_b64 v[127:128], 2, v[126:127]
	v_add_co_u32 v127, vcc_lo, v4, v127
	v_add_co_ci_u32_e64 v128, null, v5, v128, vcc_lo
	s_clause 0x1
	global_load_dword v134, v[127:128], off
	global_load_dword v135, v[4:5], off offset:112
	s_waitcnt vmcnt(1)
	global_store_dword v[4:5], v134, off offset:112
	s_waitcnt vmcnt(0)
	global_store_dword v[127:128], v135, off
.LBB118_482:
	s_or_b32 exec_lo, exec_lo, s2
	v_mov_b32_e32 v134, v126
	v_mov_b32_e32 v135, v126
.LBB118_483:
	s_or_b32 exec_lo, exec_lo, s1
.LBB118_484:
	s_andn2_saveexec_b32 s0, s0
	s_cbranch_execz .LBB118_486
; %bb.485:
	v_mov_b32_e32 v135, 28
	ds_write2_b64 v132, v[64:65], v[62:63] offset0:29 offset1:30
	ds_write2_b64 v132, v[58:59], v[60:61] offset0:31 offset1:32
	;; [unrolled: 1-line block ×15, first 2 shown]
	ds_write_b64 v132, v[124:125] offset:472
.LBB118_486:
	s_or_b32 exec_lo, exec_lo, s0
	s_mov_b32 s0, exec_lo
	s_waitcnt lgkmcnt(0)
	s_waitcnt_vscnt null, 0x0
	s_barrier
	buffer_gl0_inv
	v_cmpx_lt_i32_e32 28, v135
	s_cbranch_execz .LBB118_488
; %bb.487:
	v_mul_f64 v[66:67], v[0:1], v[66:67]
	ds_read2_b64 v[136:139], v132 offset0:29 offset1:30
	ds_read2_b64 v[140:143], v132 offset0:31 offset1:32
	ds_read2_b64 v[144:147], v132 offset0:33 offset1:34
	ds_read2_b64 v[148:151], v132 offset0:35 offset1:36
	ds_read2_b64 v[152:155], v132 offset0:37 offset1:38
	ds_read2_b64 v[156:159], v132 offset0:39 offset1:40
	ds_read2_b64 v[160:163], v132 offset0:41 offset1:42
	ds_read2_b64 v[164:167], v132 offset0:43 offset1:44
	ds_read2_b64 v[168:171], v132 offset0:45 offset1:46
	ds_read2_b64 v[172:175], v132 offset0:47 offset1:48
	ds_read2_b64 v[176:179], v132 offset0:49 offset1:50
	ds_read2_b64 v[180:183], v132 offset0:51 offset1:52
	ds_read2_b64 v[184:187], v132 offset0:53 offset1:54
	ds_read_b64 v[0:1], v132 offset:472
	s_waitcnt lgkmcnt(13)
	v_fma_f64 v[64:65], -v[66:67], v[136:137], v[64:65]
	v_fma_f64 v[62:63], -v[66:67], v[138:139], v[62:63]
	s_waitcnt lgkmcnt(12)
	v_fma_f64 v[58:59], -v[66:67], v[140:141], v[58:59]
	v_fma_f64 v[60:61], -v[66:67], v[142:143], v[60:61]
	ds_read2_b64 v[136:139], v132 offset0:55 offset1:56
	ds_read2_b64 v[140:143], v132 offset0:57 offset1:58
	s_waitcnt lgkmcnt(13)
	v_fma_f64 v[54:55], -v[66:67], v[144:145], v[54:55]
	v_fma_f64 v[56:57], -v[66:67], v[146:147], v[56:57]
	s_waitcnt lgkmcnt(12)
	v_fma_f64 v[52:53], -v[66:67], v[148:149], v[52:53]
	v_fma_f64 v[50:51], -v[66:67], v[150:151], v[50:51]
	;; [unrolled: 3-line block ×13, first 2 shown]
	v_fma_f64 v[124:125], -v[66:67], v[0:1], v[124:125]
.LBB118_488:
	s_or_b32 exec_lo, exec_lo, s0
	v_lshl_add_u32 v0, v135, 3, v132
	s_barrier
	buffer_gl0_inv
	v_mov_b32_e32 v126, 29
	ds_write_b64 v0, v[64:65]
	s_waitcnt lgkmcnt(0)
	s_barrier
	buffer_gl0_inv
	ds_read_b64 v[0:1], v132 offset:232
	s_cmp_lt_i32 s7, 31
	s_cbranch_scc1 .LBB118_491
; %bb.489:
	v_add3_u32 v127, v133, 0, 0xf0
	v_mov_b32_e32 v126, 29
	s_mov_b32 s0, 30
.LBB118_490:                            ; =>This Inner Loop Header: Depth=1
	ds_read_b64 v[136:137], v127
	v_add_nc_u32_e32 v127, 8, v127
	s_waitcnt lgkmcnt(0)
	v_cmp_lt_f64_e64 vcc_lo, |v[0:1]|, |v[136:137]|
	v_cndmask_b32_e32 v1, v1, v137, vcc_lo
	v_cndmask_b32_e32 v0, v0, v136, vcc_lo
	v_cndmask_b32_e64 v126, v126, s0, vcc_lo
	s_add_i32 s0, s0, 1
	s_cmp_lg_u32 s7, s0
	s_cbranch_scc1 .LBB118_490
.LBB118_491:
	s_mov_b32 s0, exec_lo
	s_waitcnt lgkmcnt(0)
	v_cmpx_eq_f64_e32 0, v[0:1]
	s_xor_b32 s0, exec_lo, s0
; %bb.492:
	v_cmp_ne_u32_e32 vcc_lo, 0, v129
	v_cndmask_b32_e32 v129, 30, v129, vcc_lo
; %bb.493:
	s_andn2_saveexec_b32 s0, s0
	s_cbranch_execz .LBB118_495
; %bb.494:
	v_div_scale_f64 v[127:128], null, v[0:1], v[0:1], 1.0
	v_rcp_f64_e32 v[136:137], v[127:128]
	v_fma_f64 v[138:139], -v[127:128], v[136:137], 1.0
	v_fma_f64 v[136:137], v[136:137], v[138:139], v[136:137]
	v_fma_f64 v[138:139], -v[127:128], v[136:137], 1.0
	v_fma_f64 v[136:137], v[136:137], v[138:139], v[136:137]
	v_div_scale_f64 v[138:139], vcc_lo, 1.0, v[0:1], 1.0
	v_mul_f64 v[140:141], v[138:139], v[136:137]
	v_fma_f64 v[127:128], -v[127:128], v[140:141], v[138:139]
	v_div_fmas_f64 v[127:128], v[127:128], v[136:137], v[140:141]
	v_div_fixup_f64 v[0:1], v[127:128], v[0:1], 1.0
.LBB118_495:
	s_or_b32 exec_lo, exec_lo, s0
	s_mov_b32 s0, exec_lo
	v_cmpx_ne_u32_e64 v135, v126
	s_xor_b32 s0, exec_lo, s0
	s_cbranch_execz .LBB118_501
; %bb.496:
	s_mov_b32 s1, exec_lo
	v_cmpx_eq_u32_e32 29, v135
	s_cbranch_execz .LBB118_500
; %bb.497:
	v_cmp_ne_u32_e32 vcc_lo, 29, v126
	s_xor_b32 s2, s6, -1
	s_and_b32 s3, s2, vcc_lo
	s_and_saveexec_b32 s2, s3
	s_cbranch_execz .LBB118_499
; %bb.498:
	v_ashrrev_i32_e32 v127, 31, v126
	v_lshlrev_b64 v[127:128], 2, v[126:127]
	v_add_co_u32 v127, vcc_lo, v4, v127
	v_add_co_ci_u32_e64 v128, null, v5, v128, vcc_lo
	s_clause 0x1
	global_load_dword v134, v[127:128], off
	global_load_dword v135, v[4:5], off offset:116
	s_waitcnt vmcnt(1)
	global_store_dword v[4:5], v134, off offset:116
	s_waitcnt vmcnt(0)
	global_store_dword v[127:128], v135, off
.LBB118_499:
	s_or_b32 exec_lo, exec_lo, s2
	v_mov_b32_e32 v134, v126
	v_mov_b32_e32 v135, v126
.LBB118_500:
	s_or_b32 exec_lo, exec_lo, s1
.LBB118_501:
	s_andn2_saveexec_b32 s0, s0
	s_cbranch_execz .LBB118_503
; %bb.502:
	v_mov_b32_e32 v126, v62
	v_mov_b32_e32 v127, v63
	;; [unrolled: 1-line block ×8, first 2 shown]
	ds_write2_b64 v132, v[126:127], v[135:136] offset0:30 offset1:31
	v_mov_b32_e32 v126, v54
	v_mov_b32_e32 v127, v55
	;; [unrolled: 1-line block ×16, first 2 shown]
	ds_write2_b64 v132, v[137:138], v[126:127] offset0:32 offset1:33
	ds_write2_b64 v132, v[135:136], v[139:140] offset0:34 offset1:35
	;; [unrolled: 1-line block ×5, first 2 shown]
	v_mov_b32_e32 v126, v40
	v_mov_b32_e32 v127, v41
	v_mov_b32_e32 v135, v34
	v_mov_b32_e32 v136, v35
	v_mov_b32_e32 v137, v36
	v_mov_b32_e32 v138, v37
	v_mov_b32_e32 v139, v32
	v_mov_b32_e32 v140, v33
	v_mov_b32_e32 v141, v30
	v_mov_b32_e32 v142, v31
	v_mov_b32_e32 v143, v28
	v_mov_b32_e32 v144, v29
	v_mov_b32_e32 v145, v26
	v_mov_b32_e32 v146, v27
	v_mov_b32_e32 v147, v24
	v_mov_b32_e32 v148, v25
	v_mov_b32_e32 v149, v22
	v_mov_b32_e32 v150, v23
	v_mov_b32_e32 v151, v18
	v_mov_b32_e32 v152, v19
	ds_write2_b64 v132, v[126:127], v[135:136] offset0:42 offset1:43
	ds_write2_b64 v132, v[137:138], v[139:140] offset0:44 offset1:45
	;; [unrolled: 1-line block ×5, first 2 shown]
	v_mov_b32_e32 v126, v20
	v_mov_b32_e32 v127, v21
	;; [unrolled: 1-line block ×15, first 2 shown]
	ds_write2_b64 v132, v[126:127], v[136:137] offset0:52 offset1:53
	ds_write2_b64 v132, v[138:139], v[140:141] offset0:54 offset1:55
	;; [unrolled: 1-line block ×4, first 2 shown]
.LBB118_503:
	s_or_b32 exec_lo, exec_lo, s0
	s_mov_b32 s0, exec_lo
	s_waitcnt lgkmcnt(0)
	s_waitcnt_vscnt null, 0x0
	s_barrier
	buffer_gl0_inv
	v_cmpx_lt_i32_e32 29, v135
	s_cbranch_execz .LBB118_505
; %bb.504:
	v_mul_f64 v[64:65], v[0:1], v[64:65]
	ds_read2_b64 v[136:139], v132 offset0:30 offset1:31
	ds_read2_b64 v[140:143], v132 offset0:32 offset1:33
	;; [unrolled: 1-line block ×14, first 2 shown]
	s_waitcnt lgkmcnt(13)
	v_fma_f64 v[62:63], -v[64:65], v[136:137], v[62:63]
	v_fma_f64 v[58:59], -v[64:65], v[138:139], v[58:59]
	ds_read2_b64 v[136:139], v132 offset0:58 offset1:59
	s_waitcnt lgkmcnt(13)
	v_fma_f64 v[60:61], -v[64:65], v[140:141], v[60:61]
	v_fma_f64 v[54:55], -v[64:65], v[142:143], v[54:55]
	s_waitcnt lgkmcnt(12)
	v_fma_f64 v[56:57], -v[64:65], v[144:145], v[56:57]
	v_fma_f64 v[52:53], -v[64:65], v[146:147], v[52:53]
	;; [unrolled: 3-line block ×14, first 2 shown]
.LBB118_505:
	s_or_b32 exec_lo, exec_lo, s0
	v_lshl_add_u32 v0, v135, 3, v132
	s_barrier
	buffer_gl0_inv
	v_mov_b32_e32 v126, 30
	ds_write_b64 v0, v[62:63]
	s_waitcnt lgkmcnt(0)
	s_barrier
	buffer_gl0_inv
	ds_read_b64 v[0:1], v132 offset:240
	s_cmp_lt_i32 s7, 32
	s_cbranch_scc1 .LBB118_508
; %bb.506:
	v_add3_u32 v127, v133, 0, 0xf8
	v_mov_b32_e32 v126, 30
	s_mov_b32 s0, 31
.LBB118_507:                            ; =>This Inner Loop Header: Depth=1
	ds_read_b64 v[136:137], v127
	v_add_nc_u32_e32 v127, 8, v127
	s_waitcnt lgkmcnt(0)
	v_cmp_lt_f64_e64 vcc_lo, |v[0:1]|, |v[136:137]|
	v_cndmask_b32_e32 v1, v1, v137, vcc_lo
	v_cndmask_b32_e32 v0, v0, v136, vcc_lo
	v_cndmask_b32_e64 v126, v126, s0, vcc_lo
	s_add_i32 s0, s0, 1
	s_cmp_lg_u32 s7, s0
	s_cbranch_scc1 .LBB118_507
.LBB118_508:
	s_mov_b32 s0, exec_lo
	s_waitcnt lgkmcnt(0)
	v_cmpx_eq_f64_e32 0, v[0:1]
	s_xor_b32 s0, exec_lo, s0
; %bb.509:
	v_cmp_ne_u32_e32 vcc_lo, 0, v129
	v_cndmask_b32_e32 v129, 31, v129, vcc_lo
; %bb.510:
	s_andn2_saveexec_b32 s0, s0
	s_cbranch_execz .LBB118_512
; %bb.511:
	v_div_scale_f64 v[127:128], null, v[0:1], v[0:1], 1.0
	v_rcp_f64_e32 v[136:137], v[127:128]
	v_fma_f64 v[138:139], -v[127:128], v[136:137], 1.0
	v_fma_f64 v[136:137], v[136:137], v[138:139], v[136:137]
	v_fma_f64 v[138:139], -v[127:128], v[136:137], 1.0
	v_fma_f64 v[136:137], v[136:137], v[138:139], v[136:137]
	v_div_scale_f64 v[138:139], vcc_lo, 1.0, v[0:1], 1.0
	v_mul_f64 v[140:141], v[138:139], v[136:137]
	v_fma_f64 v[127:128], -v[127:128], v[140:141], v[138:139]
	v_div_fmas_f64 v[127:128], v[127:128], v[136:137], v[140:141]
	v_div_fixup_f64 v[0:1], v[127:128], v[0:1], 1.0
.LBB118_512:
	s_or_b32 exec_lo, exec_lo, s0
	s_mov_b32 s0, exec_lo
	v_cmpx_ne_u32_e64 v135, v126
	s_xor_b32 s0, exec_lo, s0
	s_cbranch_execz .LBB118_518
; %bb.513:
	s_mov_b32 s1, exec_lo
	v_cmpx_eq_u32_e32 30, v135
	s_cbranch_execz .LBB118_517
; %bb.514:
	v_cmp_ne_u32_e32 vcc_lo, 30, v126
	s_xor_b32 s2, s6, -1
	s_and_b32 s3, s2, vcc_lo
	s_and_saveexec_b32 s2, s3
	s_cbranch_execz .LBB118_516
; %bb.515:
	v_ashrrev_i32_e32 v127, 31, v126
	v_lshlrev_b64 v[127:128], 2, v[126:127]
	v_add_co_u32 v127, vcc_lo, v4, v127
	v_add_co_ci_u32_e64 v128, null, v5, v128, vcc_lo
	s_clause 0x1
	global_load_dword v134, v[127:128], off
	global_load_dword v135, v[4:5], off offset:120
	s_waitcnt vmcnt(1)
	global_store_dword v[4:5], v134, off offset:120
	s_waitcnt vmcnt(0)
	global_store_dword v[127:128], v135, off
.LBB118_516:
	s_or_b32 exec_lo, exec_lo, s2
	v_mov_b32_e32 v134, v126
	v_mov_b32_e32 v135, v126
.LBB118_517:
	s_or_b32 exec_lo, exec_lo, s1
.LBB118_518:
	s_andn2_saveexec_b32 s0, s0
	s_cbranch_execz .LBB118_520
; %bb.519:
	v_mov_b32_e32 v135, 30
	ds_write2_b64 v132, v[58:59], v[60:61] offset0:31 offset1:32
	ds_write2_b64 v132, v[54:55], v[56:57] offset0:33 offset1:34
	ds_write2_b64 v132, v[52:53], v[50:51] offset0:35 offset1:36
	ds_write2_b64 v132, v[48:49], v[46:47] offset0:37 offset1:38
	ds_write2_b64 v132, v[44:45], v[42:43] offset0:39 offset1:40
	ds_write2_b64 v132, v[38:39], v[40:41] offset0:41 offset1:42
	ds_write2_b64 v132, v[34:35], v[36:37] offset0:43 offset1:44
	ds_write2_b64 v132, v[32:33], v[30:31] offset0:45 offset1:46
	ds_write2_b64 v132, v[28:29], v[26:27] offset0:47 offset1:48
	ds_write2_b64 v132, v[24:25], v[22:23] offset0:49 offset1:50
	ds_write2_b64 v132, v[18:19], v[20:21] offset0:51 offset1:52
	ds_write2_b64 v132, v[16:17], v[14:15] offset0:53 offset1:54
	ds_write2_b64 v132, v[8:9], v[12:13] offset0:55 offset1:56
	ds_write2_b64 v132, v[6:7], v[10:11] offset0:57 offset1:58
	ds_write_b64 v132, v[124:125] offset:472
.LBB118_520:
	s_or_b32 exec_lo, exec_lo, s0
	s_mov_b32 s0, exec_lo
	s_waitcnt lgkmcnt(0)
	s_waitcnt_vscnt null, 0x0
	s_barrier
	buffer_gl0_inv
	v_cmpx_lt_i32_e32 30, v135
	s_cbranch_execz .LBB118_522
; %bb.521:
	v_mul_f64 v[62:63], v[0:1], v[62:63]
	ds_read2_b64 v[136:139], v132 offset0:31 offset1:32
	ds_read2_b64 v[140:143], v132 offset0:33 offset1:34
	;; [unrolled: 1-line block ×14, first 2 shown]
	ds_read_b64 v[0:1], v132 offset:472
	s_waitcnt lgkmcnt(14)
	v_fma_f64 v[58:59], -v[62:63], v[136:137], v[58:59]
	v_fma_f64 v[60:61], -v[62:63], v[138:139], v[60:61]
	s_waitcnt lgkmcnt(13)
	v_fma_f64 v[54:55], -v[62:63], v[140:141], v[54:55]
	v_fma_f64 v[56:57], -v[62:63], v[142:143], v[56:57]
	;; [unrolled: 3-line block ×14, first 2 shown]
	s_waitcnt lgkmcnt(0)
	v_fma_f64 v[124:125], -v[62:63], v[0:1], v[124:125]
.LBB118_522:
	s_or_b32 exec_lo, exec_lo, s0
	v_lshl_add_u32 v0, v135, 3, v132
	s_barrier
	buffer_gl0_inv
	v_mov_b32_e32 v126, 31
	ds_write_b64 v0, v[58:59]
	s_waitcnt lgkmcnt(0)
	s_barrier
	buffer_gl0_inv
	ds_read_b64 v[0:1], v132 offset:248
	s_cmp_lt_i32 s7, 33
	s_cbranch_scc1 .LBB118_525
; %bb.523:
	v_add3_u32 v127, v133, 0, 0x100
	v_mov_b32_e32 v126, 31
	s_mov_b32 s0, 32
.LBB118_524:                            ; =>This Inner Loop Header: Depth=1
	ds_read_b64 v[136:137], v127
	v_add_nc_u32_e32 v127, 8, v127
	s_waitcnt lgkmcnt(0)
	v_cmp_lt_f64_e64 vcc_lo, |v[0:1]|, |v[136:137]|
	v_cndmask_b32_e32 v1, v1, v137, vcc_lo
	v_cndmask_b32_e32 v0, v0, v136, vcc_lo
	v_cndmask_b32_e64 v126, v126, s0, vcc_lo
	s_add_i32 s0, s0, 1
	s_cmp_lg_u32 s7, s0
	s_cbranch_scc1 .LBB118_524
.LBB118_525:
	s_mov_b32 s0, exec_lo
	s_waitcnt lgkmcnt(0)
	v_cmpx_eq_f64_e32 0, v[0:1]
	s_xor_b32 s0, exec_lo, s0
; %bb.526:
	v_cmp_ne_u32_e32 vcc_lo, 0, v129
	v_cndmask_b32_e32 v129, 32, v129, vcc_lo
; %bb.527:
	s_andn2_saveexec_b32 s0, s0
	s_cbranch_execz .LBB118_529
; %bb.528:
	v_div_scale_f64 v[127:128], null, v[0:1], v[0:1], 1.0
	v_rcp_f64_e32 v[136:137], v[127:128]
	v_fma_f64 v[138:139], -v[127:128], v[136:137], 1.0
	v_fma_f64 v[136:137], v[136:137], v[138:139], v[136:137]
	v_fma_f64 v[138:139], -v[127:128], v[136:137], 1.0
	v_fma_f64 v[136:137], v[136:137], v[138:139], v[136:137]
	v_div_scale_f64 v[138:139], vcc_lo, 1.0, v[0:1], 1.0
	v_mul_f64 v[140:141], v[138:139], v[136:137]
	v_fma_f64 v[127:128], -v[127:128], v[140:141], v[138:139]
	v_div_fmas_f64 v[127:128], v[127:128], v[136:137], v[140:141]
	v_div_fixup_f64 v[0:1], v[127:128], v[0:1], 1.0
.LBB118_529:
	s_or_b32 exec_lo, exec_lo, s0
	s_mov_b32 s0, exec_lo
	v_cmpx_ne_u32_e64 v135, v126
	s_xor_b32 s0, exec_lo, s0
	s_cbranch_execz .LBB118_535
; %bb.530:
	s_mov_b32 s1, exec_lo
	v_cmpx_eq_u32_e32 31, v135
	s_cbranch_execz .LBB118_534
; %bb.531:
	v_cmp_ne_u32_e32 vcc_lo, 31, v126
	s_xor_b32 s2, s6, -1
	s_and_b32 s3, s2, vcc_lo
	s_and_saveexec_b32 s2, s3
	s_cbranch_execz .LBB118_533
; %bb.532:
	v_ashrrev_i32_e32 v127, 31, v126
	v_lshlrev_b64 v[127:128], 2, v[126:127]
	v_add_co_u32 v127, vcc_lo, v4, v127
	v_add_co_ci_u32_e64 v128, null, v5, v128, vcc_lo
	s_clause 0x1
	global_load_dword v134, v[127:128], off
	global_load_dword v135, v[4:5], off offset:124
	s_waitcnt vmcnt(1)
	global_store_dword v[4:5], v134, off offset:124
	s_waitcnt vmcnt(0)
	global_store_dword v[127:128], v135, off
.LBB118_533:
	s_or_b32 exec_lo, exec_lo, s2
	v_mov_b32_e32 v134, v126
	v_mov_b32_e32 v135, v126
.LBB118_534:
	s_or_b32 exec_lo, exec_lo, s1
.LBB118_535:
	s_andn2_saveexec_b32 s0, s0
	s_cbranch_execz .LBB118_537
; %bb.536:
	v_mov_b32_e32 v126, v60
	v_mov_b32_e32 v127, v61
	;; [unrolled: 1-line block ×20, first 2 shown]
	ds_write2_b64 v132, v[126:127], v[135:136] offset0:32 offset1:33
	ds_write2_b64 v132, v[137:138], v[139:140] offset0:34 offset1:35
	;; [unrolled: 1-line block ×5, first 2 shown]
	v_mov_b32_e32 v126, v40
	v_mov_b32_e32 v127, v41
	;; [unrolled: 1-line block ×20, first 2 shown]
	ds_write2_b64 v132, v[126:127], v[135:136] offset0:42 offset1:43
	ds_write2_b64 v132, v[137:138], v[139:140] offset0:44 offset1:45
	ds_write2_b64 v132, v[141:142], v[143:144] offset0:46 offset1:47
	ds_write2_b64 v132, v[145:146], v[147:148] offset0:48 offset1:49
	ds_write2_b64 v132, v[149:150], v[151:152] offset0:50 offset1:51
	v_mov_b32_e32 v126, v20
	v_mov_b32_e32 v127, v21
	;; [unrolled: 1-line block ×15, first 2 shown]
	ds_write2_b64 v132, v[126:127], v[136:137] offset0:52 offset1:53
	ds_write2_b64 v132, v[138:139], v[140:141] offset0:54 offset1:55
	;; [unrolled: 1-line block ×4, first 2 shown]
.LBB118_537:
	s_or_b32 exec_lo, exec_lo, s0
	s_mov_b32 s0, exec_lo
	s_waitcnt lgkmcnt(0)
	s_waitcnt_vscnt null, 0x0
	s_barrier
	buffer_gl0_inv
	v_cmpx_lt_i32_e32 31, v135
	s_cbranch_execz .LBB118_539
; %bb.538:
	v_mul_f64 v[58:59], v[0:1], v[58:59]
	ds_read2_b64 v[136:139], v132 offset0:32 offset1:33
	ds_read2_b64 v[140:143], v132 offset0:34 offset1:35
	ds_read2_b64 v[144:147], v132 offset0:36 offset1:37
	ds_read2_b64 v[148:151], v132 offset0:38 offset1:39
	ds_read2_b64 v[152:155], v132 offset0:40 offset1:41
	ds_read2_b64 v[156:159], v132 offset0:42 offset1:43
	ds_read2_b64 v[160:163], v132 offset0:44 offset1:45
	ds_read2_b64 v[164:167], v132 offset0:46 offset1:47
	ds_read2_b64 v[168:171], v132 offset0:48 offset1:49
	ds_read2_b64 v[172:175], v132 offset0:50 offset1:51
	ds_read2_b64 v[176:179], v132 offset0:52 offset1:53
	ds_read2_b64 v[180:183], v132 offset0:54 offset1:55
	ds_read2_b64 v[184:187], v132 offset0:56 offset1:57
	ds_read2_b64 v[188:191], v132 offset0:58 offset1:59
	s_waitcnt lgkmcnt(13)
	v_fma_f64 v[60:61], -v[58:59], v[136:137], v[60:61]
	v_fma_f64 v[54:55], -v[58:59], v[138:139], v[54:55]
	s_waitcnt lgkmcnt(12)
	v_fma_f64 v[56:57], -v[58:59], v[140:141], v[56:57]
	v_fma_f64 v[52:53], -v[58:59], v[142:143], v[52:53]
	;; [unrolled: 3-line block ×14, first 2 shown]
.LBB118_539:
	s_or_b32 exec_lo, exec_lo, s0
	v_lshl_add_u32 v0, v135, 3, v132
	s_barrier
	buffer_gl0_inv
	v_mov_b32_e32 v126, 32
	ds_write_b64 v0, v[60:61]
	s_waitcnt lgkmcnt(0)
	s_barrier
	buffer_gl0_inv
	ds_read_b64 v[0:1], v132 offset:256
	s_cmp_lt_i32 s7, 34
	s_cbranch_scc1 .LBB118_542
; %bb.540:
	v_add3_u32 v127, v133, 0, 0x108
	v_mov_b32_e32 v126, 32
	s_mov_b32 s0, 33
.LBB118_541:                            ; =>This Inner Loop Header: Depth=1
	ds_read_b64 v[136:137], v127
	v_add_nc_u32_e32 v127, 8, v127
	s_waitcnt lgkmcnt(0)
	v_cmp_lt_f64_e64 vcc_lo, |v[0:1]|, |v[136:137]|
	v_cndmask_b32_e32 v1, v1, v137, vcc_lo
	v_cndmask_b32_e32 v0, v0, v136, vcc_lo
	v_cndmask_b32_e64 v126, v126, s0, vcc_lo
	s_add_i32 s0, s0, 1
	s_cmp_lg_u32 s7, s0
	s_cbranch_scc1 .LBB118_541
.LBB118_542:
	s_mov_b32 s0, exec_lo
	s_waitcnt lgkmcnt(0)
	v_cmpx_eq_f64_e32 0, v[0:1]
	s_xor_b32 s0, exec_lo, s0
; %bb.543:
	v_cmp_ne_u32_e32 vcc_lo, 0, v129
	v_cndmask_b32_e32 v129, 33, v129, vcc_lo
; %bb.544:
	s_andn2_saveexec_b32 s0, s0
	s_cbranch_execz .LBB118_546
; %bb.545:
	v_div_scale_f64 v[127:128], null, v[0:1], v[0:1], 1.0
	v_rcp_f64_e32 v[136:137], v[127:128]
	v_fma_f64 v[138:139], -v[127:128], v[136:137], 1.0
	v_fma_f64 v[136:137], v[136:137], v[138:139], v[136:137]
	v_fma_f64 v[138:139], -v[127:128], v[136:137], 1.0
	v_fma_f64 v[136:137], v[136:137], v[138:139], v[136:137]
	v_div_scale_f64 v[138:139], vcc_lo, 1.0, v[0:1], 1.0
	v_mul_f64 v[140:141], v[138:139], v[136:137]
	v_fma_f64 v[127:128], -v[127:128], v[140:141], v[138:139]
	v_div_fmas_f64 v[127:128], v[127:128], v[136:137], v[140:141]
	v_div_fixup_f64 v[0:1], v[127:128], v[0:1], 1.0
.LBB118_546:
	s_or_b32 exec_lo, exec_lo, s0
	s_mov_b32 s0, exec_lo
	v_cmpx_ne_u32_e64 v135, v126
	s_xor_b32 s0, exec_lo, s0
	s_cbranch_execz .LBB118_552
; %bb.547:
	s_mov_b32 s1, exec_lo
	v_cmpx_eq_u32_e32 32, v135
	s_cbranch_execz .LBB118_551
; %bb.548:
	v_cmp_ne_u32_e32 vcc_lo, 32, v126
	s_xor_b32 s2, s6, -1
	s_and_b32 s3, s2, vcc_lo
	s_and_saveexec_b32 s2, s3
	s_cbranch_execz .LBB118_550
; %bb.549:
	v_ashrrev_i32_e32 v127, 31, v126
	v_lshlrev_b64 v[127:128], 2, v[126:127]
	v_add_co_u32 v127, vcc_lo, v4, v127
	v_add_co_ci_u32_e64 v128, null, v5, v128, vcc_lo
	s_clause 0x1
	global_load_dword v134, v[127:128], off
	global_load_dword v135, v[4:5], off offset:128
	s_waitcnt vmcnt(1)
	global_store_dword v[4:5], v134, off offset:128
	s_waitcnt vmcnt(0)
	global_store_dword v[127:128], v135, off
.LBB118_550:
	s_or_b32 exec_lo, exec_lo, s2
	v_mov_b32_e32 v134, v126
	v_mov_b32_e32 v135, v126
.LBB118_551:
	s_or_b32 exec_lo, exec_lo, s1
.LBB118_552:
	s_andn2_saveexec_b32 s0, s0
	s_cbranch_execz .LBB118_554
; %bb.553:
	v_mov_b32_e32 v135, 32
	ds_write2_b64 v132, v[54:55], v[56:57] offset0:33 offset1:34
	ds_write2_b64 v132, v[52:53], v[50:51] offset0:35 offset1:36
	ds_write2_b64 v132, v[48:49], v[46:47] offset0:37 offset1:38
	ds_write2_b64 v132, v[44:45], v[42:43] offset0:39 offset1:40
	ds_write2_b64 v132, v[38:39], v[40:41] offset0:41 offset1:42
	ds_write2_b64 v132, v[34:35], v[36:37] offset0:43 offset1:44
	ds_write2_b64 v132, v[32:33], v[30:31] offset0:45 offset1:46
	ds_write2_b64 v132, v[28:29], v[26:27] offset0:47 offset1:48
	ds_write2_b64 v132, v[24:25], v[22:23] offset0:49 offset1:50
	ds_write2_b64 v132, v[18:19], v[20:21] offset0:51 offset1:52
	ds_write2_b64 v132, v[16:17], v[14:15] offset0:53 offset1:54
	ds_write2_b64 v132, v[8:9], v[12:13] offset0:55 offset1:56
	ds_write2_b64 v132, v[6:7], v[10:11] offset0:57 offset1:58
	ds_write_b64 v132, v[124:125] offset:472
.LBB118_554:
	s_or_b32 exec_lo, exec_lo, s0
	s_mov_b32 s0, exec_lo
	s_waitcnt lgkmcnt(0)
	s_waitcnt_vscnt null, 0x0
	s_barrier
	buffer_gl0_inv
	v_cmpx_lt_i32_e32 32, v135
	s_cbranch_execz .LBB118_556
; %bb.555:
	v_mul_f64 v[60:61], v[0:1], v[60:61]
	ds_read2_b64 v[136:139], v132 offset0:33 offset1:34
	ds_read2_b64 v[140:143], v132 offset0:35 offset1:36
	;; [unrolled: 1-line block ×13, first 2 shown]
	ds_read_b64 v[0:1], v132 offset:472
	s_waitcnt lgkmcnt(13)
	v_fma_f64 v[54:55], -v[60:61], v[136:137], v[54:55]
	v_fma_f64 v[56:57], -v[60:61], v[138:139], v[56:57]
	s_waitcnt lgkmcnt(12)
	v_fma_f64 v[52:53], -v[60:61], v[140:141], v[52:53]
	v_fma_f64 v[50:51], -v[60:61], v[142:143], v[50:51]
	;; [unrolled: 3-line block ×13, first 2 shown]
	s_waitcnt lgkmcnt(0)
	v_fma_f64 v[124:125], -v[60:61], v[0:1], v[124:125]
.LBB118_556:
	s_or_b32 exec_lo, exec_lo, s0
	v_lshl_add_u32 v0, v135, 3, v132
	s_barrier
	buffer_gl0_inv
	v_mov_b32_e32 v126, 33
	ds_write_b64 v0, v[54:55]
	s_waitcnt lgkmcnt(0)
	s_barrier
	buffer_gl0_inv
	ds_read_b64 v[0:1], v132 offset:264
	s_cmp_lt_i32 s7, 35
	s_cbranch_scc1 .LBB118_559
; %bb.557:
	v_add3_u32 v127, v133, 0, 0x110
	v_mov_b32_e32 v126, 33
	s_mov_b32 s0, 34
.LBB118_558:                            ; =>This Inner Loop Header: Depth=1
	ds_read_b64 v[136:137], v127
	v_add_nc_u32_e32 v127, 8, v127
	s_waitcnt lgkmcnt(0)
	v_cmp_lt_f64_e64 vcc_lo, |v[0:1]|, |v[136:137]|
	v_cndmask_b32_e32 v1, v1, v137, vcc_lo
	v_cndmask_b32_e32 v0, v0, v136, vcc_lo
	v_cndmask_b32_e64 v126, v126, s0, vcc_lo
	s_add_i32 s0, s0, 1
	s_cmp_lg_u32 s7, s0
	s_cbranch_scc1 .LBB118_558
.LBB118_559:
	s_mov_b32 s0, exec_lo
	s_waitcnt lgkmcnt(0)
	v_cmpx_eq_f64_e32 0, v[0:1]
	s_xor_b32 s0, exec_lo, s0
; %bb.560:
	v_cmp_ne_u32_e32 vcc_lo, 0, v129
	v_cndmask_b32_e32 v129, 34, v129, vcc_lo
; %bb.561:
	s_andn2_saveexec_b32 s0, s0
	s_cbranch_execz .LBB118_563
; %bb.562:
	v_div_scale_f64 v[127:128], null, v[0:1], v[0:1], 1.0
	v_rcp_f64_e32 v[136:137], v[127:128]
	v_fma_f64 v[138:139], -v[127:128], v[136:137], 1.0
	v_fma_f64 v[136:137], v[136:137], v[138:139], v[136:137]
	v_fma_f64 v[138:139], -v[127:128], v[136:137], 1.0
	v_fma_f64 v[136:137], v[136:137], v[138:139], v[136:137]
	v_div_scale_f64 v[138:139], vcc_lo, 1.0, v[0:1], 1.0
	v_mul_f64 v[140:141], v[138:139], v[136:137]
	v_fma_f64 v[127:128], -v[127:128], v[140:141], v[138:139]
	v_div_fmas_f64 v[127:128], v[127:128], v[136:137], v[140:141]
	v_div_fixup_f64 v[0:1], v[127:128], v[0:1], 1.0
.LBB118_563:
	s_or_b32 exec_lo, exec_lo, s0
	s_mov_b32 s0, exec_lo
	v_cmpx_ne_u32_e64 v135, v126
	s_xor_b32 s0, exec_lo, s0
	s_cbranch_execz .LBB118_569
; %bb.564:
	s_mov_b32 s1, exec_lo
	v_cmpx_eq_u32_e32 33, v135
	s_cbranch_execz .LBB118_568
; %bb.565:
	v_cmp_ne_u32_e32 vcc_lo, 33, v126
	s_xor_b32 s2, s6, -1
	s_and_b32 s3, s2, vcc_lo
	s_and_saveexec_b32 s2, s3
	s_cbranch_execz .LBB118_567
; %bb.566:
	v_ashrrev_i32_e32 v127, 31, v126
	v_lshlrev_b64 v[127:128], 2, v[126:127]
	v_add_co_u32 v127, vcc_lo, v4, v127
	v_add_co_ci_u32_e64 v128, null, v5, v128, vcc_lo
	s_clause 0x1
	global_load_dword v134, v[127:128], off
	global_load_dword v135, v[4:5], off offset:132
	s_waitcnt vmcnt(1)
	global_store_dword v[4:5], v134, off offset:132
	s_waitcnt vmcnt(0)
	global_store_dword v[127:128], v135, off
.LBB118_567:
	s_or_b32 exec_lo, exec_lo, s2
	v_mov_b32_e32 v134, v126
	v_mov_b32_e32 v135, v126
.LBB118_568:
	s_or_b32 exec_lo, exec_lo, s1
.LBB118_569:
	s_andn2_saveexec_b32 s0, s0
	s_cbranch_execz .LBB118_571
; %bb.570:
	v_mov_b32_e32 v126, v56
	v_mov_b32_e32 v127, v57
	;; [unrolled: 1-line block ×16, first 2 shown]
	ds_write2_b64 v132, v[126:127], v[135:136] offset0:34 offset1:35
	ds_write2_b64 v132, v[137:138], v[139:140] offset0:36 offset1:37
	ds_write2_b64 v132, v[141:142], v[143:144] offset0:38 offset1:39
	ds_write2_b64 v132, v[145:146], v[147:148] offset0:40 offset1:41
	v_mov_b32_e32 v126, v40
	v_mov_b32_e32 v127, v41
	;; [unrolled: 1-line block ×20, first 2 shown]
	ds_write2_b64 v132, v[126:127], v[135:136] offset0:42 offset1:43
	ds_write2_b64 v132, v[137:138], v[139:140] offset0:44 offset1:45
	ds_write2_b64 v132, v[141:142], v[143:144] offset0:46 offset1:47
	ds_write2_b64 v132, v[145:146], v[147:148] offset0:48 offset1:49
	ds_write2_b64 v132, v[149:150], v[151:152] offset0:50 offset1:51
	v_mov_b32_e32 v126, v20
	v_mov_b32_e32 v127, v21
	;; [unrolled: 1-line block ×15, first 2 shown]
	ds_write2_b64 v132, v[126:127], v[136:137] offset0:52 offset1:53
	ds_write2_b64 v132, v[138:139], v[140:141] offset0:54 offset1:55
	;; [unrolled: 1-line block ×4, first 2 shown]
.LBB118_571:
	s_or_b32 exec_lo, exec_lo, s0
	s_mov_b32 s0, exec_lo
	s_waitcnt lgkmcnt(0)
	s_waitcnt_vscnt null, 0x0
	s_barrier
	buffer_gl0_inv
	v_cmpx_lt_i32_e32 33, v135
	s_cbranch_execz .LBB118_573
; %bb.572:
	v_mul_f64 v[54:55], v[0:1], v[54:55]
	ds_read2_b64 v[136:139], v132 offset0:34 offset1:35
	ds_read2_b64 v[140:143], v132 offset0:36 offset1:37
	;; [unrolled: 1-line block ×13, first 2 shown]
	s_waitcnt lgkmcnt(12)
	v_fma_f64 v[56:57], -v[54:55], v[136:137], v[56:57]
	v_fma_f64 v[52:53], -v[54:55], v[138:139], v[52:53]
	s_waitcnt lgkmcnt(11)
	v_fma_f64 v[50:51], -v[54:55], v[140:141], v[50:51]
	v_fma_f64 v[48:49], -v[54:55], v[142:143], v[48:49]
	s_waitcnt lgkmcnt(10)
	v_fma_f64 v[46:47], -v[54:55], v[144:145], v[46:47]
	v_fma_f64 v[44:45], -v[54:55], v[146:147], v[44:45]
	s_waitcnt lgkmcnt(9)
	v_fma_f64 v[42:43], -v[54:55], v[148:149], v[42:43]
	v_fma_f64 v[38:39], -v[54:55], v[150:151], v[38:39]
	s_waitcnt lgkmcnt(8)
	v_fma_f64 v[40:41], -v[54:55], v[152:153], v[40:41]
	v_fma_f64 v[34:35], -v[54:55], v[154:155], v[34:35]
	s_waitcnt lgkmcnt(7)
	v_fma_f64 v[36:37], -v[54:55], v[156:157], v[36:37]
	v_fma_f64 v[32:33], -v[54:55], v[158:159], v[32:33]
	s_waitcnt lgkmcnt(6)
	v_fma_f64 v[30:31], -v[54:55], v[160:161], v[30:31]
	v_fma_f64 v[28:29], -v[54:55], v[162:163], v[28:29]
	s_waitcnt lgkmcnt(5)
	v_fma_f64 v[26:27], -v[54:55], v[164:165], v[26:27]
	v_fma_f64 v[24:25], -v[54:55], v[166:167], v[24:25]
	s_waitcnt lgkmcnt(4)
	v_fma_f64 v[22:23], -v[54:55], v[168:169], v[22:23]
	v_fma_f64 v[18:19], -v[54:55], v[170:171], v[18:19]
	s_waitcnt lgkmcnt(3)
	v_fma_f64 v[20:21], -v[54:55], v[172:173], v[20:21]
	v_fma_f64 v[16:17], -v[54:55], v[174:175], v[16:17]
	s_waitcnt lgkmcnt(2)
	v_fma_f64 v[14:15], -v[54:55], v[176:177], v[14:15]
	v_fma_f64 v[8:9], -v[54:55], v[178:179], v[8:9]
	s_waitcnt lgkmcnt(1)
	v_fma_f64 v[12:13], -v[54:55], v[180:181], v[12:13]
	v_fma_f64 v[6:7], -v[54:55], v[182:183], v[6:7]
	s_waitcnt lgkmcnt(0)
	v_fma_f64 v[10:11], -v[54:55], v[184:185], v[10:11]
	v_fma_f64 v[124:125], -v[54:55], v[186:187], v[124:125]
.LBB118_573:
	s_or_b32 exec_lo, exec_lo, s0
	v_lshl_add_u32 v0, v135, 3, v132
	s_barrier
	buffer_gl0_inv
	v_mov_b32_e32 v126, 34
	ds_write_b64 v0, v[56:57]
	s_waitcnt lgkmcnt(0)
	s_barrier
	buffer_gl0_inv
	ds_read_b64 v[0:1], v132 offset:272
	s_cmp_lt_i32 s7, 36
	s_cbranch_scc1 .LBB118_576
; %bb.574:
	v_add3_u32 v127, v133, 0, 0x118
	v_mov_b32_e32 v126, 34
	s_mov_b32 s0, 35
.LBB118_575:                            ; =>This Inner Loop Header: Depth=1
	ds_read_b64 v[136:137], v127
	v_add_nc_u32_e32 v127, 8, v127
	s_waitcnt lgkmcnt(0)
	v_cmp_lt_f64_e64 vcc_lo, |v[0:1]|, |v[136:137]|
	v_cndmask_b32_e32 v1, v1, v137, vcc_lo
	v_cndmask_b32_e32 v0, v0, v136, vcc_lo
	v_cndmask_b32_e64 v126, v126, s0, vcc_lo
	s_add_i32 s0, s0, 1
	s_cmp_lg_u32 s7, s0
	s_cbranch_scc1 .LBB118_575
.LBB118_576:
	s_mov_b32 s0, exec_lo
	s_waitcnt lgkmcnt(0)
	v_cmpx_eq_f64_e32 0, v[0:1]
	s_xor_b32 s0, exec_lo, s0
; %bb.577:
	v_cmp_ne_u32_e32 vcc_lo, 0, v129
	v_cndmask_b32_e32 v129, 35, v129, vcc_lo
; %bb.578:
	s_andn2_saveexec_b32 s0, s0
	s_cbranch_execz .LBB118_580
; %bb.579:
	v_div_scale_f64 v[127:128], null, v[0:1], v[0:1], 1.0
	v_rcp_f64_e32 v[136:137], v[127:128]
	v_fma_f64 v[138:139], -v[127:128], v[136:137], 1.0
	v_fma_f64 v[136:137], v[136:137], v[138:139], v[136:137]
	v_fma_f64 v[138:139], -v[127:128], v[136:137], 1.0
	v_fma_f64 v[136:137], v[136:137], v[138:139], v[136:137]
	v_div_scale_f64 v[138:139], vcc_lo, 1.0, v[0:1], 1.0
	v_mul_f64 v[140:141], v[138:139], v[136:137]
	v_fma_f64 v[127:128], -v[127:128], v[140:141], v[138:139]
	v_div_fmas_f64 v[127:128], v[127:128], v[136:137], v[140:141]
	v_div_fixup_f64 v[0:1], v[127:128], v[0:1], 1.0
.LBB118_580:
	s_or_b32 exec_lo, exec_lo, s0
	s_mov_b32 s0, exec_lo
	v_cmpx_ne_u32_e64 v135, v126
	s_xor_b32 s0, exec_lo, s0
	s_cbranch_execz .LBB118_586
; %bb.581:
	s_mov_b32 s1, exec_lo
	v_cmpx_eq_u32_e32 34, v135
	s_cbranch_execz .LBB118_585
; %bb.582:
	v_cmp_ne_u32_e32 vcc_lo, 34, v126
	s_xor_b32 s2, s6, -1
	s_and_b32 s3, s2, vcc_lo
	s_and_saveexec_b32 s2, s3
	s_cbranch_execz .LBB118_584
; %bb.583:
	v_ashrrev_i32_e32 v127, 31, v126
	v_lshlrev_b64 v[127:128], 2, v[126:127]
	v_add_co_u32 v127, vcc_lo, v4, v127
	v_add_co_ci_u32_e64 v128, null, v5, v128, vcc_lo
	s_clause 0x1
	global_load_dword v134, v[127:128], off
	global_load_dword v135, v[4:5], off offset:136
	s_waitcnt vmcnt(1)
	global_store_dword v[4:5], v134, off offset:136
	s_waitcnt vmcnt(0)
	global_store_dword v[127:128], v135, off
.LBB118_584:
	s_or_b32 exec_lo, exec_lo, s2
	v_mov_b32_e32 v134, v126
	v_mov_b32_e32 v135, v126
.LBB118_585:
	s_or_b32 exec_lo, exec_lo, s1
.LBB118_586:
	s_andn2_saveexec_b32 s0, s0
	s_cbranch_execz .LBB118_588
; %bb.587:
	v_mov_b32_e32 v135, 34
	ds_write2_b64 v132, v[52:53], v[50:51] offset0:35 offset1:36
	ds_write2_b64 v132, v[48:49], v[46:47] offset0:37 offset1:38
	ds_write2_b64 v132, v[44:45], v[42:43] offset0:39 offset1:40
	ds_write2_b64 v132, v[38:39], v[40:41] offset0:41 offset1:42
	ds_write2_b64 v132, v[34:35], v[36:37] offset0:43 offset1:44
	ds_write2_b64 v132, v[32:33], v[30:31] offset0:45 offset1:46
	ds_write2_b64 v132, v[28:29], v[26:27] offset0:47 offset1:48
	ds_write2_b64 v132, v[24:25], v[22:23] offset0:49 offset1:50
	ds_write2_b64 v132, v[18:19], v[20:21] offset0:51 offset1:52
	ds_write2_b64 v132, v[16:17], v[14:15] offset0:53 offset1:54
	ds_write2_b64 v132, v[8:9], v[12:13] offset0:55 offset1:56
	ds_write2_b64 v132, v[6:7], v[10:11] offset0:57 offset1:58
	ds_write_b64 v132, v[124:125] offset:472
.LBB118_588:
	s_or_b32 exec_lo, exec_lo, s0
	s_mov_b32 s0, exec_lo
	s_waitcnt lgkmcnt(0)
	s_waitcnt_vscnt null, 0x0
	s_barrier
	buffer_gl0_inv
	v_cmpx_lt_i32_e32 34, v135
	s_cbranch_execz .LBB118_590
; %bb.589:
	v_mul_f64 v[56:57], v[0:1], v[56:57]
	ds_read2_b64 v[136:139], v132 offset0:35 offset1:36
	ds_read2_b64 v[140:143], v132 offset0:37 offset1:38
	;; [unrolled: 1-line block ×12, first 2 shown]
	ds_read_b64 v[0:1], v132 offset:472
	s_waitcnt lgkmcnt(12)
	v_fma_f64 v[52:53], -v[56:57], v[136:137], v[52:53]
	v_fma_f64 v[50:51], -v[56:57], v[138:139], v[50:51]
	s_waitcnt lgkmcnt(11)
	v_fma_f64 v[48:49], -v[56:57], v[140:141], v[48:49]
	v_fma_f64 v[46:47], -v[56:57], v[142:143], v[46:47]
	;; [unrolled: 3-line block ×12, first 2 shown]
	s_waitcnt lgkmcnt(0)
	v_fma_f64 v[124:125], -v[56:57], v[0:1], v[124:125]
.LBB118_590:
	s_or_b32 exec_lo, exec_lo, s0
	v_lshl_add_u32 v0, v135, 3, v132
	s_barrier
	buffer_gl0_inv
	v_mov_b32_e32 v126, 35
	ds_write_b64 v0, v[52:53]
	s_waitcnt lgkmcnt(0)
	s_barrier
	buffer_gl0_inv
	ds_read_b64 v[0:1], v132 offset:280
	s_cmp_lt_i32 s7, 37
	s_cbranch_scc1 .LBB118_593
; %bb.591:
	v_add3_u32 v127, v133, 0, 0x120
	v_mov_b32_e32 v126, 35
	s_mov_b32 s0, 36
.LBB118_592:                            ; =>This Inner Loop Header: Depth=1
	ds_read_b64 v[136:137], v127
	v_add_nc_u32_e32 v127, 8, v127
	s_waitcnt lgkmcnt(0)
	v_cmp_lt_f64_e64 vcc_lo, |v[0:1]|, |v[136:137]|
	v_cndmask_b32_e32 v1, v1, v137, vcc_lo
	v_cndmask_b32_e32 v0, v0, v136, vcc_lo
	v_cndmask_b32_e64 v126, v126, s0, vcc_lo
	s_add_i32 s0, s0, 1
	s_cmp_lg_u32 s7, s0
	s_cbranch_scc1 .LBB118_592
.LBB118_593:
	s_mov_b32 s0, exec_lo
	s_waitcnt lgkmcnt(0)
	v_cmpx_eq_f64_e32 0, v[0:1]
	s_xor_b32 s0, exec_lo, s0
; %bb.594:
	v_cmp_ne_u32_e32 vcc_lo, 0, v129
	v_cndmask_b32_e32 v129, 36, v129, vcc_lo
; %bb.595:
	s_andn2_saveexec_b32 s0, s0
	s_cbranch_execz .LBB118_597
; %bb.596:
	v_div_scale_f64 v[127:128], null, v[0:1], v[0:1], 1.0
	v_rcp_f64_e32 v[136:137], v[127:128]
	v_fma_f64 v[138:139], -v[127:128], v[136:137], 1.0
	v_fma_f64 v[136:137], v[136:137], v[138:139], v[136:137]
	v_fma_f64 v[138:139], -v[127:128], v[136:137], 1.0
	v_fma_f64 v[136:137], v[136:137], v[138:139], v[136:137]
	v_div_scale_f64 v[138:139], vcc_lo, 1.0, v[0:1], 1.0
	v_mul_f64 v[140:141], v[138:139], v[136:137]
	v_fma_f64 v[127:128], -v[127:128], v[140:141], v[138:139]
	v_div_fmas_f64 v[127:128], v[127:128], v[136:137], v[140:141]
	v_div_fixup_f64 v[0:1], v[127:128], v[0:1], 1.0
.LBB118_597:
	s_or_b32 exec_lo, exec_lo, s0
	s_mov_b32 s0, exec_lo
	v_cmpx_ne_u32_e64 v135, v126
	s_xor_b32 s0, exec_lo, s0
	s_cbranch_execz .LBB118_603
; %bb.598:
	s_mov_b32 s1, exec_lo
	v_cmpx_eq_u32_e32 35, v135
	s_cbranch_execz .LBB118_602
; %bb.599:
	v_cmp_ne_u32_e32 vcc_lo, 35, v126
	s_xor_b32 s2, s6, -1
	s_and_b32 s3, s2, vcc_lo
	s_and_saveexec_b32 s2, s3
	s_cbranch_execz .LBB118_601
; %bb.600:
	v_ashrrev_i32_e32 v127, 31, v126
	v_lshlrev_b64 v[127:128], 2, v[126:127]
	v_add_co_u32 v127, vcc_lo, v4, v127
	v_add_co_ci_u32_e64 v128, null, v5, v128, vcc_lo
	s_clause 0x1
	global_load_dword v134, v[127:128], off
	global_load_dword v135, v[4:5], off offset:140
	s_waitcnt vmcnt(1)
	global_store_dword v[4:5], v134, off offset:140
	s_waitcnt vmcnt(0)
	global_store_dword v[127:128], v135, off
.LBB118_601:
	s_or_b32 exec_lo, exec_lo, s2
	v_mov_b32_e32 v134, v126
	v_mov_b32_e32 v135, v126
.LBB118_602:
	s_or_b32 exec_lo, exec_lo, s1
.LBB118_603:
	s_andn2_saveexec_b32 s0, s0
	s_cbranch_execz .LBB118_605
; %bb.604:
	v_mov_b32_e32 v126, v50
	v_mov_b32_e32 v127, v51
	;; [unrolled: 1-line block ×12, first 2 shown]
	ds_write2_b64 v132, v[126:127], v[135:136] offset0:36 offset1:37
	ds_write2_b64 v132, v[137:138], v[139:140] offset0:38 offset1:39
	;; [unrolled: 1-line block ×3, first 2 shown]
	v_mov_b32_e32 v126, v40
	v_mov_b32_e32 v127, v41
	;; [unrolled: 1-line block ×20, first 2 shown]
	ds_write2_b64 v132, v[126:127], v[135:136] offset0:42 offset1:43
	ds_write2_b64 v132, v[137:138], v[139:140] offset0:44 offset1:45
	;; [unrolled: 1-line block ×5, first 2 shown]
	v_mov_b32_e32 v126, v20
	v_mov_b32_e32 v127, v21
	;; [unrolled: 1-line block ×15, first 2 shown]
	ds_write2_b64 v132, v[126:127], v[136:137] offset0:52 offset1:53
	ds_write2_b64 v132, v[138:139], v[140:141] offset0:54 offset1:55
	;; [unrolled: 1-line block ×4, first 2 shown]
.LBB118_605:
	s_or_b32 exec_lo, exec_lo, s0
	s_mov_b32 s0, exec_lo
	s_waitcnt lgkmcnt(0)
	s_waitcnt_vscnt null, 0x0
	s_barrier
	buffer_gl0_inv
	v_cmpx_lt_i32_e32 35, v135
	s_cbranch_execz .LBB118_607
; %bb.606:
	v_mul_f64 v[52:53], v[0:1], v[52:53]
	ds_read2_b64 v[136:139], v132 offset0:36 offset1:37
	ds_read2_b64 v[140:143], v132 offset0:38 offset1:39
	;; [unrolled: 1-line block ×12, first 2 shown]
	s_waitcnt lgkmcnt(11)
	v_fma_f64 v[50:51], -v[52:53], v[136:137], v[50:51]
	v_fma_f64 v[48:49], -v[52:53], v[138:139], v[48:49]
	s_waitcnt lgkmcnt(10)
	v_fma_f64 v[46:47], -v[52:53], v[140:141], v[46:47]
	v_fma_f64 v[44:45], -v[52:53], v[142:143], v[44:45]
	;; [unrolled: 3-line block ×12, first 2 shown]
.LBB118_607:
	s_or_b32 exec_lo, exec_lo, s0
	v_lshl_add_u32 v0, v135, 3, v132
	s_barrier
	buffer_gl0_inv
	v_mov_b32_e32 v126, 36
	ds_write_b64 v0, v[50:51]
	s_waitcnt lgkmcnt(0)
	s_barrier
	buffer_gl0_inv
	ds_read_b64 v[0:1], v132 offset:288
	s_cmp_lt_i32 s7, 38
	s_cbranch_scc1 .LBB118_610
; %bb.608:
	v_add3_u32 v127, v133, 0, 0x128
	v_mov_b32_e32 v126, 36
	s_mov_b32 s0, 37
.LBB118_609:                            ; =>This Inner Loop Header: Depth=1
	ds_read_b64 v[136:137], v127
	v_add_nc_u32_e32 v127, 8, v127
	s_waitcnt lgkmcnt(0)
	v_cmp_lt_f64_e64 vcc_lo, |v[0:1]|, |v[136:137]|
	v_cndmask_b32_e32 v1, v1, v137, vcc_lo
	v_cndmask_b32_e32 v0, v0, v136, vcc_lo
	v_cndmask_b32_e64 v126, v126, s0, vcc_lo
	s_add_i32 s0, s0, 1
	s_cmp_lg_u32 s7, s0
	s_cbranch_scc1 .LBB118_609
.LBB118_610:
	s_mov_b32 s0, exec_lo
	s_waitcnt lgkmcnt(0)
	v_cmpx_eq_f64_e32 0, v[0:1]
	s_xor_b32 s0, exec_lo, s0
; %bb.611:
	v_cmp_ne_u32_e32 vcc_lo, 0, v129
	v_cndmask_b32_e32 v129, 37, v129, vcc_lo
; %bb.612:
	s_andn2_saveexec_b32 s0, s0
	s_cbranch_execz .LBB118_614
; %bb.613:
	v_div_scale_f64 v[127:128], null, v[0:1], v[0:1], 1.0
	v_rcp_f64_e32 v[136:137], v[127:128]
	v_fma_f64 v[138:139], -v[127:128], v[136:137], 1.0
	v_fma_f64 v[136:137], v[136:137], v[138:139], v[136:137]
	v_fma_f64 v[138:139], -v[127:128], v[136:137], 1.0
	v_fma_f64 v[136:137], v[136:137], v[138:139], v[136:137]
	v_div_scale_f64 v[138:139], vcc_lo, 1.0, v[0:1], 1.0
	v_mul_f64 v[140:141], v[138:139], v[136:137]
	v_fma_f64 v[127:128], -v[127:128], v[140:141], v[138:139]
	v_div_fmas_f64 v[127:128], v[127:128], v[136:137], v[140:141]
	v_div_fixup_f64 v[0:1], v[127:128], v[0:1], 1.0
.LBB118_614:
	s_or_b32 exec_lo, exec_lo, s0
	s_mov_b32 s0, exec_lo
	v_cmpx_ne_u32_e64 v135, v126
	s_xor_b32 s0, exec_lo, s0
	s_cbranch_execz .LBB118_620
; %bb.615:
	s_mov_b32 s1, exec_lo
	v_cmpx_eq_u32_e32 36, v135
	s_cbranch_execz .LBB118_619
; %bb.616:
	v_cmp_ne_u32_e32 vcc_lo, 36, v126
	s_xor_b32 s2, s6, -1
	s_and_b32 s3, s2, vcc_lo
	s_and_saveexec_b32 s2, s3
	s_cbranch_execz .LBB118_618
; %bb.617:
	v_ashrrev_i32_e32 v127, 31, v126
	v_lshlrev_b64 v[127:128], 2, v[126:127]
	v_add_co_u32 v127, vcc_lo, v4, v127
	v_add_co_ci_u32_e64 v128, null, v5, v128, vcc_lo
	s_clause 0x1
	global_load_dword v134, v[127:128], off
	global_load_dword v135, v[4:5], off offset:144
	s_waitcnt vmcnt(1)
	global_store_dword v[4:5], v134, off offset:144
	s_waitcnt vmcnt(0)
	global_store_dword v[127:128], v135, off
.LBB118_618:
	s_or_b32 exec_lo, exec_lo, s2
	v_mov_b32_e32 v134, v126
	v_mov_b32_e32 v135, v126
.LBB118_619:
	s_or_b32 exec_lo, exec_lo, s1
.LBB118_620:
	s_andn2_saveexec_b32 s0, s0
	s_cbranch_execz .LBB118_622
; %bb.621:
	v_mov_b32_e32 v135, 36
	ds_write2_b64 v132, v[48:49], v[46:47] offset0:37 offset1:38
	ds_write2_b64 v132, v[44:45], v[42:43] offset0:39 offset1:40
	;; [unrolled: 1-line block ×11, first 2 shown]
	ds_write_b64 v132, v[124:125] offset:472
.LBB118_622:
	s_or_b32 exec_lo, exec_lo, s0
	s_mov_b32 s0, exec_lo
	s_waitcnt lgkmcnt(0)
	s_waitcnt_vscnt null, 0x0
	s_barrier
	buffer_gl0_inv
	v_cmpx_lt_i32_e32 36, v135
	s_cbranch_execz .LBB118_624
; %bb.623:
	v_mul_f64 v[50:51], v[0:1], v[50:51]
	ds_read2_b64 v[136:139], v132 offset0:37 offset1:38
	ds_read2_b64 v[140:143], v132 offset0:39 offset1:40
	;; [unrolled: 1-line block ×11, first 2 shown]
	ds_read_b64 v[0:1], v132 offset:472
	s_waitcnt lgkmcnt(11)
	v_fma_f64 v[48:49], -v[50:51], v[136:137], v[48:49]
	v_fma_f64 v[46:47], -v[50:51], v[138:139], v[46:47]
	s_waitcnt lgkmcnt(10)
	v_fma_f64 v[44:45], -v[50:51], v[140:141], v[44:45]
	v_fma_f64 v[42:43], -v[50:51], v[142:143], v[42:43]
	;; [unrolled: 3-line block ×11, first 2 shown]
	s_waitcnt lgkmcnt(0)
	v_fma_f64 v[124:125], -v[50:51], v[0:1], v[124:125]
.LBB118_624:
	s_or_b32 exec_lo, exec_lo, s0
	v_lshl_add_u32 v0, v135, 3, v132
	s_barrier
	buffer_gl0_inv
	v_mov_b32_e32 v126, 37
	ds_write_b64 v0, v[48:49]
	s_waitcnt lgkmcnt(0)
	s_barrier
	buffer_gl0_inv
	ds_read_b64 v[0:1], v132 offset:296
	s_cmp_lt_i32 s7, 39
	s_cbranch_scc1 .LBB118_627
; %bb.625:
	v_add3_u32 v127, v133, 0, 0x130
	v_mov_b32_e32 v126, 37
	s_mov_b32 s0, 38
.LBB118_626:                            ; =>This Inner Loop Header: Depth=1
	ds_read_b64 v[136:137], v127
	v_add_nc_u32_e32 v127, 8, v127
	s_waitcnt lgkmcnt(0)
	v_cmp_lt_f64_e64 vcc_lo, |v[0:1]|, |v[136:137]|
	v_cndmask_b32_e32 v1, v1, v137, vcc_lo
	v_cndmask_b32_e32 v0, v0, v136, vcc_lo
	v_cndmask_b32_e64 v126, v126, s0, vcc_lo
	s_add_i32 s0, s0, 1
	s_cmp_lg_u32 s7, s0
	s_cbranch_scc1 .LBB118_626
.LBB118_627:
	s_mov_b32 s0, exec_lo
	s_waitcnt lgkmcnt(0)
	v_cmpx_eq_f64_e32 0, v[0:1]
	s_xor_b32 s0, exec_lo, s0
; %bb.628:
	v_cmp_ne_u32_e32 vcc_lo, 0, v129
	v_cndmask_b32_e32 v129, 38, v129, vcc_lo
; %bb.629:
	s_andn2_saveexec_b32 s0, s0
	s_cbranch_execz .LBB118_631
; %bb.630:
	v_div_scale_f64 v[127:128], null, v[0:1], v[0:1], 1.0
	v_rcp_f64_e32 v[136:137], v[127:128]
	v_fma_f64 v[138:139], -v[127:128], v[136:137], 1.0
	v_fma_f64 v[136:137], v[136:137], v[138:139], v[136:137]
	v_fma_f64 v[138:139], -v[127:128], v[136:137], 1.0
	v_fma_f64 v[136:137], v[136:137], v[138:139], v[136:137]
	v_div_scale_f64 v[138:139], vcc_lo, 1.0, v[0:1], 1.0
	v_mul_f64 v[140:141], v[138:139], v[136:137]
	v_fma_f64 v[127:128], -v[127:128], v[140:141], v[138:139]
	v_div_fmas_f64 v[127:128], v[127:128], v[136:137], v[140:141]
	v_div_fixup_f64 v[0:1], v[127:128], v[0:1], 1.0
.LBB118_631:
	s_or_b32 exec_lo, exec_lo, s0
	s_mov_b32 s0, exec_lo
	v_cmpx_ne_u32_e64 v135, v126
	s_xor_b32 s0, exec_lo, s0
	s_cbranch_execz .LBB118_637
; %bb.632:
	s_mov_b32 s1, exec_lo
	v_cmpx_eq_u32_e32 37, v135
	s_cbranch_execz .LBB118_636
; %bb.633:
	v_cmp_ne_u32_e32 vcc_lo, 37, v126
	s_xor_b32 s2, s6, -1
	s_and_b32 s3, s2, vcc_lo
	s_and_saveexec_b32 s2, s3
	s_cbranch_execz .LBB118_635
; %bb.634:
	v_ashrrev_i32_e32 v127, 31, v126
	v_lshlrev_b64 v[127:128], 2, v[126:127]
	v_add_co_u32 v127, vcc_lo, v4, v127
	v_add_co_ci_u32_e64 v128, null, v5, v128, vcc_lo
	s_clause 0x1
	global_load_dword v134, v[127:128], off
	global_load_dword v135, v[4:5], off offset:148
	s_waitcnt vmcnt(1)
	global_store_dword v[4:5], v134, off offset:148
	s_waitcnt vmcnt(0)
	global_store_dword v[127:128], v135, off
.LBB118_635:
	s_or_b32 exec_lo, exec_lo, s2
	v_mov_b32_e32 v134, v126
	v_mov_b32_e32 v135, v126
.LBB118_636:
	s_or_b32 exec_lo, exec_lo, s1
.LBB118_637:
	s_andn2_saveexec_b32 s0, s0
	s_cbranch_execz .LBB118_639
; %bb.638:
	v_mov_b32_e32 v126, v46
	v_mov_b32_e32 v127, v47
	;; [unrolled: 1-line block ×8, first 2 shown]
	ds_write2_b64 v132, v[126:127], v[135:136] offset0:38 offset1:39
	ds_write2_b64 v132, v[137:138], v[139:140] offset0:40 offset1:41
	v_mov_b32_e32 v126, v40
	v_mov_b32_e32 v127, v41
	;; [unrolled: 1-line block ×20, first 2 shown]
	ds_write2_b64 v132, v[126:127], v[135:136] offset0:42 offset1:43
	ds_write2_b64 v132, v[137:138], v[139:140] offset0:44 offset1:45
	;; [unrolled: 1-line block ×5, first 2 shown]
	v_mov_b32_e32 v126, v20
	v_mov_b32_e32 v127, v21
	;; [unrolled: 1-line block ×15, first 2 shown]
	ds_write2_b64 v132, v[126:127], v[136:137] offset0:52 offset1:53
	ds_write2_b64 v132, v[138:139], v[140:141] offset0:54 offset1:55
	ds_write2_b64 v132, v[142:143], v[144:145] offset0:56 offset1:57
	ds_write2_b64 v132, v[146:147], v[124:125] offset0:58 offset1:59
.LBB118_639:
	s_or_b32 exec_lo, exec_lo, s0
	s_mov_b32 s0, exec_lo
	s_waitcnt lgkmcnt(0)
	s_waitcnt_vscnt null, 0x0
	s_barrier
	buffer_gl0_inv
	v_cmpx_lt_i32_e32 37, v135
	s_cbranch_execz .LBB118_641
; %bb.640:
	v_mul_f64 v[48:49], v[0:1], v[48:49]
	ds_read2_b64 v[136:139], v132 offset0:38 offset1:39
	ds_read2_b64 v[140:143], v132 offset0:40 offset1:41
	;; [unrolled: 1-line block ×11, first 2 shown]
	s_waitcnt lgkmcnt(10)
	v_fma_f64 v[46:47], -v[48:49], v[136:137], v[46:47]
	v_fma_f64 v[44:45], -v[48:49], v[138:139], v[44:45]
	s_waitcnt lgkmcnt(9)
	v_fma_f64 v[42:43], -v[48:49], v[140:141], v[42:43]
	v_fma_f64 v[38:39], -v[48:49], v[142:143], v[38:39]
	;; [unrolled: 3-line block ×11, first 2 shown]
.LBB118_641:
	s_or_b32 exec_lo, exec_lo, s0
	v_lshl_add_u32 v0, v135, 3, v132
	s_barrier
	buffer_gl0_inv
	v_mov_b32_e32 v126, 38
	ds_write_b64 v0, v[46:47]
	s_waitcnt lgkmcnt(0)
	s_barrier
	buffer_gl0_inv
	ds_read_b64 v[0:1], v132 offset:304
	s_cmp_lt_i32 s7, 40
	s_cbranch_scc1 .LBB118_644
; %bb.642:
	v_add3_u32 v127, v133, 0, 0x138
	v_mov_b32_e32 v126, 38
	s_mov_b32 s0, 39
.LBB118_643:                            ; =>This Inner Loop Header: Depth=1
	ds_read_b64 v[136:137], v127
	v_add_nc_u32_e32 v127, 8, v127
	s_waitcnt lgkmcnt(0)
	v_cmp_lt_f64_e64 vcc_lo, |v[0:1]|, |v[136:137]|
	v_cndmask_b32_e32 v1, v1, v137, vcc_lo
	v_cndmask_b32_e32 v0, v0, v136, vcc_lo
	v_cndmask_b32_e64 v126, v126, s0, vcc_lo
	s_add_i32 s0, s0, 1
	s_cmp_lg_u32 s7, s0
	s_cbranch_scc1 .LBB118_643
.LBB118_644:
	s_mov_b32 s0, exec_lo
	s_waitcnt lgkmcnt(0)
	v_cmpx_eq_f64_e32 0, v[0:1]
	s_xor_b32 s0, exec_lo, s0
; %bb.645:
	v_cmp_ne_u32_e32 vcc_lo, 0, v129
	v_cndmask_b32_e32 v129, 39, v129, vcc_lo
; %bb.646:
	s_andn2_saveexec_b32 s0, s0
	s_cbranch_execz .LBB118_648
; %bb.647:
	v_div_scale_f64 v[127:128], null, v[0:1], v[0:1], 1.0
	v_rcp_f64_e32 v[136:137], v[127:128]
	v_fma_f64 v[138:139], -v[127:128], v[136:137], 1.0
	v_fma_f64 v[136:137], v[136:137], v[138:139], v[136:137]
	v_fma_f64 v[138:139], -v[127:128], v[136:137], 1.0
	v_fma_f64 v[136:137], v[136:137], v[138:139], v[136:137]
	v_div_scale_f64 v[138:139], vcc_lo, 1.0, v[0:1], 1.0
	v_mul_f64 v[140:141], v[138:139], v[136:137]
	v_fma_f64 v[127:128], -v[127:128], v[140:141], v[138:139]
	v_div_fmas_f64 v[127:128], v[127:128], v[136:137], v[140:141]
	v_div_fixup_f64 v[0:1], v[127:128], v[0:1], 1.0
.LBB118_648:
	s_or_b32 exec_lo, exec_lo, s0
	s_mov_b32 s0, exec_lo
	v_cmpx_ne_u32_e64 v135, v126
	s_xor_b32 s0, exec_lo, s0
	s_cbranch_execz .LBB118_654
; %bb.649:
	s_mov_b32 s1, exec_lo
	v_cmpx_eq_u32_e32 38, v135
	s_cbranch_execz .LBB118_653
; %bb.650:
	v_cmp_ne_u32_e32 vcc_lo, 38, v126
	s_xor_b32 s2, s6, -1
	s_and_b32 s3, s2, vcc_lo
	s_and_saveexec_b32 s2, s3
	s_cbranch_execz .LBB118_652
; %bb.651:
	v_ashrrev_i32_e32 v127, 31, v126
	v_lshlrev_b64 v[127:128], 2, v[126:127]
	v_add_co_u32 v127, vcc_lo, v4, v127
	v_add_co_ci_u32_e64 v128, null, v5, v128, vcc_lo
	s_clause 0x1
	global_load_dword v134, v[127:128], off
	global_load_dword v135, v[4:5], off offset:152
	s_waitcnt vmcnt(1)
	global_store_dword v[4:5], v134, off offset:152
	s_waitcnt vmcnt(0)
	global_store_dword v[127:128], v135, off
.LBB118_652:
	s_or_b32 exec_lo, exec_lo, s2
	v_mov_b32_e32 v134, v126
	v_mov_b32_e32 v135, v126
.LBB118_653:
	s_or_b32 exec_lo, exec_lo, s1
.LBB118_654:
	s_andn2_saveexec_b32 s0, s0
	s_cbranch_execz .LBB118_656
; %bb.655:
	v_mov_b32_e32 v135, 38
	ds_write2_b64 v132, v[44:45], v[42:43] offset0:39 offset1:40
	ds_write2_b64 v132, v[38:39], v[40:41] offset0:41 offset1:42
	;; [unrolled: 1-line block ×10, first 2 shown]
	ds_write_b64 v132, v[124:125] offset:472
.LBB118_656:
	s_or_b32 exec_lo, exec_lo, s0
	s_mov_b32 s0, exec_lo
	s_waitcnt lgkmcnt(0)
	s_waitcnt_vscnt null, 0x0
	s_barrier
	buffer_gl0_inv
	v_cmpx_lt_i32_e32 38, v135
	s_cbranch_execz .LBB118_658
; %bb.657:
	v_mul_f64 v[46:47], v[0:1], v[46:47]
	ds_read2_b64 v[136:139], v132 offset0:39 offset1:40
	ds_read2_b64 v[140:143], v132 offset0:41 offset1:42
	;; [unrolled: 1-line block ×10, first 2 shown]
	ds_read_b64 v[0:1], v132 offset:472
	s_waitcnt lgkmcnt(10)
	v_fma_f64 v[44:45], -v[46:47], v[136:137], v[44:45]
	v_fma_f64 v[42:43], -v[46:47], v[138:139], v[42:43]
	s_waitcnt lgkmcnt(9)
	v_fma_f64 v[38:39], -v[46:47], v[140:141], v[38:39]
	v_fma_f64 v[40:41], -v[46:47], v[142:143], v[40:41]
	s_waitcnt lgkmcnt(8)
	v_fma_f64 v[34:35], -v[46:47], v[144:145], v[34:35]
	v_fma_f64 v[36:37], -v[46:47], v[146:147], v[36:37]
	s_waitcnt lgkmcnt(7)
	v_fma_f64 v[32:33], -v[46:47], v[148:149], v[32:33]
	v_fma_f64 v[30:31], -v[46:47], v[150:151], v[30:31]
	s_waitcnt lgkmcnt(6)
	v_fma_f64 v[28:29], -v[46:47], v[152:153], v[28:29]
	v_fma_f64 v[26:27], -v[46:47], v[154:155], v[26:27]
	s_waitcnt lgkmcnt(5)
	v_fma_f64 v[24:25], -v[46:47], v[156:157], v[24:25]
	v_fma_f64 v[22:23], -v[46:47], v[158:159], v[22:23]
	s_waitcnt lgkmcnt(4)
	v_fma_f64 v[18:19], -v[46:47], v[160:161], v[18:19]
	v_fma_f64 v[20:21], -v[46:47], v[162:163], v[20:21]
	s_waitcnt lgkmcnt(3)
	v_fma_f64 v[16:17], -v[46:47], v[164:165], v[16:17]
	v_fma_f64 v[14:15], -v[46:47], v[166:167], v[14:15]
	s_waitcnt lgkmcnt(2)
	v_fma_f64 v[8:9], -v[46:47], v[168:169], v[8:9]
	v_fma_f64 v[12:13], -v[46:47], v[170:171], v[12:13]
	s_waitcnt lgkmcnt(1)
	v_fma_f64 v[6:7], -v[46:47], v[172:173], v[6:7]
	v_fma_f64 v[10:11], -v[46:47], v[174:175], v[10:11]
	s_waitcnt lgkmcnt(0)
	v_fma_f64 v[124:125], -v[46:47], v[0:1], v[124:125]
.LBB118_658:
	s_or_b32 exec_lo, exec_lo, s0
	v_lshl_add_u32 v0, v135, 3, v132
	s_barrier
	buffer_gl0_inv
	v_mov_b32_e32 v126, 39
	ds_write_b64 v0, v[44:45]
	s_waitcnt lgkmcnt(0)
	s_barrier
	buffer_gl0_inv
	ds_read_b64 v[0:1], v132 offset:312
	s_cmp_lt_i32 s7, 41
	s_cbranch_scc1 .LBB118_661
; %bb.659:
	v_add3_u32 v127, v133, 0, 0x140
	v_mov_b32_e32 v126, 39
	s_mov_b32 s0, 40
.LBB118_660:                            ; =>This Inner Loop Header: Depth=1
	ds_read_b64 v[136:137], v127
	v_add_nc_u32_e32 v127, 8, v127
	s_waitcnt lgkmcnt(0)
	v_cmp_lt_f64_e64 vcc_lo, |v[0:1]|, |v[136:137]|
	v_cndmask_b32_e32 v1, v1, v137, vcc_lo
	v_cndmask_b32_e32 v0, v0, v136, vcc_lo
	v_cndmask_b32_e64 v126, v126, s0, vcc_lo
	s_add_i32 s0, s0, 1
	s_cmp_lg_u32 s7, s0
	s_cbranch_scc1 .LBB118_660
.LBB118_661:
	s_mov_b32 s0, exec_lo
	s_waitcnt lgkmcnt(0)
	v_cmpx_eq_f64_e32 0, v[0:1]
	s_xor_b32 s0, exec_lo, s0
; %bb.662:
	v_cmp_ne_u32_e32 vcc_lo, 0, v129
	v_cndmask_b32_e32 v129, 40, v129, vcc_lo
; %bb.663:
	s_andn2_saveexec_b32 s0, s0
	s_cbranch_execz .LBB118_665
; %bb.664:
	v_div_scale_f64 v[127:128], null, v[0:1], v[0:1], 1.0
	v_rcp_f64_e32 v[136:137], v[127:128]
	v_fma_f64 v[138:139], -v[127:128], v[136:137], 1.0
	v_fma_f64 v[136:137], v[136:137], v[138:139], v[136:137]
	v_fma_f64 v[138:139], -v[127:128], v[136:137], 1.0
	v_fma_f64 v[136:137], v[136:137], v[138:139], v[136:137]
	v_div_scale_f64 v[138:139], vcc_lo, 1.0, v[0:1], 1.0
	v_mul_f64 v[140:141], v[138:139], v[136:137]
	v_fma_f64 v[127:128], -v[127:128], v[140:141], v[138:139]
	v_div_fmas_f64 v[127:128], v[127:128], v[136:137], v[140:141]
	v_div_fixup_f64 v[0:1], v[127:128], v[0:1], 1.0
.LBB118_665:
	s_or_b32 exec_lo, exec_lo, s0
	s_mov_b32 s0, exec_lo
	v_cmpx_ne_u32_e64 v135, v126
	s_xor_b32 s0, exec_lo, s0
	s_cbranch_execz .LBB118_671
; %bb.666:
	s_mov_b32 s1, exec_lo
	v_cmpx_eq_u32_e32 39, v135
	s_cbranch_execz .LBB118_670
; %bb.667:
	v_cmp_ne_u32_e32 vcc_lo, 39, v126
	s_xor_b32 s2, s6, -1
	s_and_b32 s3, s2, vcc_lo
	s_and_saveexec_b32 s2, s3
	s_cbranch_execz .LBB118_669
; %bb.668:
	v_ashrrev_i32_e32 v127, 31, v126
	v_lshlrev_b64 v[127:128], 2, v[126:127]
	v_add_co_u32 v127, vcc_lo, v4, v127
	v_add_co_ci_u32_e64 v128, null, v5, v128, vcc_lo
	s_clause 0x1
	global_load_dword v134, v[127:128], off
	global_load_dword v135, v[4:5], off offset:156
	s_waitcnt vmcnt(1)
	global_store_dword v[4:5], v134, off offset:156
	s_waitcnt vmcnt(0)
	global_store_dword v[127:128], v135, off
.LBB118_669:
	s_or_b32 exec_lo, exec_lo, s2
	v_mov_b32_e32 v134, v126
	v_mov_b32_e32 v135, v126
.LBB118_670:
	s_or_b32 exec_lo, exec_lo, s1
.LBB118_671:
	s_andn2_saveexec_b32 s0, s0
	s_cbranch_execz .LBB118_673
; %bb.672:
	v_mov_b32_e32 v126, v42
	v_mov_b32_e32 v127, v43
	;; [unrolled: 1-line block ×8, first 2 shown]
	ds_write2_b64 v132, v[126:127], v[135:136] offset0:40 offset1:41
	v_mov_b32_e32 v126, v34
	v_mov_b32_e32 v127, v35
	;; [unrolled: 1-line block ×16, first 2 shown]
	ds_write2_b64 v132, v[137:138], v[126:127] offset0:42 offset1:43
	ds_write2_b64 v132, v[135:136], v[139:140] offset0:44 offset1:45
	;; [unrolled: 1-line block ×5, first 2 shown]
	v_mov_b32_e32 v126, v20
	v_mov_b32_e32 v127, v21
	v_mov_b32_e32 v136, v16
	v_mov_b32_e32 v137, v17
	v_mov_b32_e32 v135, 39
	v_mov_b32_e32 v138, v14
	v_mov_b32_e32 v139, v15
	v_mov_b32_e32 v140, v8
	v_mov_b32_e32 v141, v9
	v_mov_b32_e32 v142, v12
	v_mov_b32_e32 v143, v13
	v_mov_b32_e32 v144, v6
	v_mov_b32_e32 v145, v7
	v_mov_b32_e32 v146, v10
	v_mov_b32_e32 v147, v11
	ds_write2_b64 v132, v[126:127], v[136:137] offset0:52 offset1:53
	ds_write2_b64 v132, v[138:139], v[140:141] offset0:54 offset1:55
	;; [unrolled: 1-line block ×4, first 2 shown]
.LBB118_673:
	s_or_b32 exec_lo, exec_lo, s0
	s_mov_b32 s0, exec_lo
	s_waitcnt lgkmcnt(0)
	s_waitcnt_vscnt null, 0x0
	s_barrier
	buffer_gl0_inv
	v_cmpx_lt_i32_e32 39, v135
	s_cbranch_execz .LBB118_675
; %bb.674:
	v_mul_f64 v[44:45], v[0:1], v[44:45]
	ds_read2_b64 v[136:139], v132 offset0:40 offset1:41
	ds_read2_b64 v[140:143], v132 offset0:42 offset1:43
	;; [unrolled: 1-line block ×10, first 2 shown]
	s_waitcnt lgkmcnt(9)
	v_fma_f64 v[42:43], -v[44:45], v[136:137], v[42:43]
	v_fma_f64 v[38:39], -v[44:45], v[138:139], v[38:39]
	s_waitcnt lgkmcnt(8)
	v_fma_f64 v[40:41], -v[44:45], v[140:141], v[40:41]
	v_fma_f64 v[34:35], -v[44:45], v[142:143], v[34:35]
	;; [unrolled: 3-line block ×10, first 2 shown]
.LBB118_675:
	s_or_b32 exec_lo, exec_lo, s0
	v_lshl_add_u32 v0, v135, 3, v132
	s_barrier
	buffer_gl0_inv
	v_mov_b32_e32 v126, 40
	ds_write_b64 v0, v[42:43]
	s_waitcnt lgkmcnt(0)
	s_barrier
	buffer_gl0_inv
	ds_read_b64 v[0:1], v132 offset:320
	s_cmp_lt_i32 s7, 42
	s_cbranch_scc1 .LBB118_678
; %bb.676:
	v_add3_u32 v127, v133, 0, 0x148
	v_mov_b32_e32 v126, 40
	s_mov_b32 s0, 41
.LBB118_677:                            ; =>This Inner Loop Header: Depth=1
	ds_read_b64 v[136:137], v127
	v_add_nc_u32_e32 v127, 8, v127
	s_waitcnt lgkmcnt(0)
	v_cmp_lt_f64_e64 vcc_lo, |v[0:1]|, |v[136:137]|
	v_cndmask_b32_e32 v1, v1, v137, vcc_lo
	v_cndmask_b32_e32 v0, v0, v136, vcc_lo
	v_cndmask_b32_e64 v126, v126, s0, vcc_lo
	s_add_i32 s0, s0, 1
	s_cmp_lg_u32 s7, s0
	s_cbranch_scc1 .LBB118_677
.LBB118_678:
	s_mov_b32 s0, exec_lo
	s_waitcnt lgkmcnt(0)
	v_cmpx_eq_f64_e32 0, v[0:1]
	s_xor_b32 s0, exec_lo, s0
; %bb.679:
	v_cmp_ne_u32_e32 vcc_lo, 0, v129
	v_cndmask_b32_e32 v129, 41, v129, vcc_lo
; %bb.680:
	s_andn2_saveexec_b32 s0, s0
	s_cbranch_execz .LBB118_682
; %bb.681:
	v_div_scale_f64 v[127:128], null, v[0:1], v[0:1], 1.0
	v_rcp_f64_e32 v[136:137], v[127:128]
	v_fma_f64 v[138:139], -v[127:128], v[136:137], 1.0
	v_fma_f64 v[136:137], v[136:137], v[138:139], v[136:137]
	v_fma_f64 v[138:139], -v[127:128], v[136:137], 1.0
	v_fma_f64 v[136:137], v[136:137], v[138:139], v[136:137]
	v_div_scale_f64 v[138:139], vcc_lo, 1.0, v[0:1], 1.0
	v_mul_f64 v[140:141], v[138:139], v[136:137]
	v_fma_f64 v[127:128], -v[127:128], v[140:141], v[138:139]
	v_div_fmas_f64 v[127:128], v[127:128], v[136:137], v[140:141]
	v_div_fixup_f64 v[0:1], v[127:128], v[0:1], 1.0
.LBB118_682:
	s_or_b32 exec_lo, exec_lo, s0
	s_mov_b32 s0, exec_lo
	v_cmpx_ne_u32_e64 v135, v126
	s_xor_b32 s0, exec_lo, s0
	s_cbranch_execz .LBB118_688
; %bb.683:
	s_mov_b32 s1, exec_lo
	v_cmpx_eq_u32_e32 40, v135
	s_cbranch_execz .LBB118_687
; %bb.684:
	v_cmp_ne_u32_e32 vcc_lo, 40, v126
	s_xor_b32 s2, s6, -1
	s_and_b32 s3, s2, vcc_lo
	s_and_saveexec_b32 s2, s3
	s_cbranch_execz .LBB118_686
; %bb.685:
	v_ashrrev_i32_e32 v127, 31, v126
	v_lshlrev_b64 v[127:128], 2, v[126:127]
	v_add_co_u32 v127, vcc_lo, v4, v127
	v_add_co_ci_u32_e64 v128, null, v5, v128, vcc_lo
	s_clause 0x1
	global_load_dword v134, v[127:128], off
	global_load_dword v135, v[4:5], off offset:160
	s_waitcnt vmcnt(1)
	global_store_dword v[4:5], v134, off offset:160
	s_waitcnt vmcnt(0)
	global_store_dword v[127:128], v135, off
.LBB118_686:
	s_or_b32 exec_lo, exec_lo, s2
	v_mov_b32_e32 v134, v126
	v_mov_b32_e32 v135, v126
.LBB118_687:
	s_or_b32 exec_lo, exec_lo, s1
.LBB118_688:
	s_andn2_saveexec_b32 s0, s0
	s_cbranch_execz .LBB118_690
; %bb.689:
	v_mov_b32_e32 v135, 40
	ds_write2_b64 v132, v[38:39], v[40:41] offset0:41 offset1:42
	ds_write2_b64 v132, v[34:35], v[36:37] offset0:43 offset1:44
	;; [unrolled: 1-line block ×9, first 2 shown]
	ds_write_b64 v132, v[124:125] offset:472
.LBB118_690:
	s_or_b32 exec_lo, exec_lo, s0
	s_mov_b32 s0, exec_lo
	s_waitcnt lgkmcnt(0)
	s_waitcnt_vscnt null, 0x0
	s_barrier
	buffer_gl0_inv
	v_cmpx_lt_i32_e32 40, v135
	s_cbranch_execz .LBB118_692
; %bb.691:
	v_mul_f64 v[42:43], v[0:1], v[42:43]
	ds_read2_b64 v[136:139], v132 offset0:41 offset1:42
	ds_read2_b64 v[140:143], v132 offset0:43 offset1:44
	;; [unrolled: 1-line block ×9, first 2 shown]
	ds_read_b64 v[0:1], v132 offset:472
	s_waitcnt lgkmcnt(9)
	v_fma_f64 v[38:39], -v[42:43], v[136:137], v[38:39]
	v_fma_f64 v[40:41], -v[42:43], v[138:139], v[40:41]
	s_waitcnt lgkmcnt(8)
	v_fma_f64 v[34:35], -v[42:43], v[140:141], v[34:35]
	v_fma_f64 v[36:37], -v[42:43], v[142:143], v[36:37]
	;; [unrolled: 3-line block ×9, first 2 shown]
	s_waitcnt lgkmcnt(0)
	v_fma_f64 v[124:125], -v[42:43], v[0:1], v[124:125]
.LBB118_692:
	s_or_b32 exec_lo, exec_lo, s0
	v_lshl_add_u32 v0, v135, 3, v132
	s_barrier
	buffer_gl0_inv
	v_mov_b32_e32 v126, 41
	ds_write_b64 v0, v[38:39]
	s_waitcnt lgkmcnt(0)
	s_barrier
	buffer_gl0_inv
	ds_read_b64 v[0:1], v132 offset:328
	s_cmp_lt_i32 s7, 43
	s_cbranch_scc1 .LBB118_695
; %bb.693:
	v_add3_u32 v127, v133, 0, 0x150
	v_mov_b32_e32 v126, 41
	s_mov_b32 s0, 42
.LBB118_694:                            ; =>This Inner Loop Header: Depth=1
	ds_read_b64 v[136:137], v127
	v_add_nc_u32_e32 v127, 8, v127
	s_waitcnt lgkmcnt(0)
	v_cmp_lt_f64_e64 vcc_lo, |v[0:1]|, |v[136:137]|
	v_cndmask_b32_e32 v1, v1, v137, vcc_lo
	v_cndmask_b32_e32 v0, v0, v136, vcc_lo
	v_cndmask_b32_e64 v126, v126, s0, vcc_lo
	s_add_i32 s0, s0, 1
	s_cmp_lg_u32 s7, s0
	s_cbranch_scc1 .LBB118_694
.LBB118_695:
	s_mov_b32 s0, exec_lo
	s_waitcnt lgkmcnt(0)
	v_cmpx_eq_f64_e32 0, v[0:1]
	s_xor_b32 s0, exec_lo, s0
; %bb.696:
	v_cmp_ne_u32_e32 vcc_lo, 0, v129
	v_cndmask_b32_e32 v129, 42, v129, vcc_lo
; %bb.697:
	s_andn2_saveexec_b32 s0, s0
	s_cbranch_execz .LBB118_699
; %bb.698:
	v_div_scale_f64 v[127:128], null, v[0:1], v[0:1], 1.0
	v_rcp_f64_e32 v[136:137], v[127:128]
	v_fma_f64 v[138:139], -v[127:128], v[136:137], 1.0
	v_fma_f64 v[136:137], v[136:137], v[138:139], v[136:137]
	v_fma_f64 v[138:139], -v[127:128], v[136:137], 1.0
	v_fma_f64 v[136:137], v[136:137], v[138:139], v[136:137]
	v_div_scale_f64 v[138:139], vcc_lo, 1.0, v[0:1], 1.0
	v_mul_f64 v[140:141], v[138:139], v[136:137]
	v_fma_f64 v[127:128], -v[127:128], v[140:141], v[138:139]
	v_div_fmas_f64 v[127:128], v[127:128], v[136:137], v[140:141]
	v_div_fixup_f64 v[0:1], v[127:128], v[0:1], 1.0
.LBB118_699:
	s_or_b32 exec_lo, exec_lo, s0
	s_mov_b32 s0, exec_lo
	v_cmpx_ne_u32_e64 v135, v126
	s_xor_b32 s0, exec_lo, s0
	s_cbranch_execz .LBB118_705
; %bb.700:
	s_mov_b32 s1, exec_lo
	v_cmpx_eq_u32_e32 41, v135
	s_cbranch_execz .LBB118_704
; %bb.701:
	v_cmp_ne_u32_e32 vcc_lo, 41, v126
	s_xor_b32 s2, s6, -1
	s_and_b32 s3, s2, vcc_lo
	s_and_saveexec_b32 s2, s3
	s_cbranch_execz .LBB118_703
; %bb.702:
	v_ashrrev_i32_e32 v127, 31, v126
	v_lshlrev_b64 v[127:128], 2, v[126:127]
	v_add_co_u32 v127, vcc_lo, v4, v127
	v_add_co_ci_u32_e64 v128, null, v5, v128, vcc_lo
	s_clause 0x1
	global_load_dword v134, v[127:128], off
	global_load_dword v135, v[4:5], off offset:164
	s_waitcnt vmcnt(1)
	global_store_dword v[4:5], v134, off offset:164
	s_waitcnt vmcnt(0)
	global_store_dword v[127:128], v135, off
.LBB118_703:
	s_or_b32 exec_lo, exec_lo, s2
	v_mov_b32_e32 v134, v126
	v_mov_b32_e32 v135, v126
.LBB118_704:
	s_or_b32 exec_lo, exec_lo, s1
.LBB118_705:
	s_andn2_saveexec_b32 s0, s0
	s_cbranch_execz .LBB118_707
; %bb.706:
	v_mov_b32_e32 v126, v40
	v_mov_b32_e32 v127, v41
	;; [unrolled: 1-line block ×20, first 2 shown]
	ds_write2_b64 v132, v[126:127], v[135:136] offset0:42 offset1:43
	ds_write2_b64 v132, v[137:138], v[139:140] offset0:44 offset1:45
	;; [unrolled: 1-line block ×5, first 2 shown]
	v_mov_b32_e32 v126, v20
	v_mov_b32_e32 v127, v21
	;; [unrolled: 1-line block ×15, first 2 shown]
	ds_write2_b64 v132, v[126:127], v[136:137] offset0:52 offset1:53
	ds_write2_b64 v132, v[138:139], v[140:141] offset0:54 offset1:55
	;; [unrolled: 1-line block ×4, first 2 shown]
.LBB118_707:
	s_or_b32 exec_lo, exec_lo, s0
	s_mov_b32 s0, exec_lo
	s_waitcnt lgkmcnt(0)
	s_waitcnt_vscnt null, 0x0
	s_barrier
	buffer_gl0_inv
	v_cmpx_lt_i32_e32 41, v135
	s_cbranch_execz .LBB118_709
; %bb.708:
	v_mul_f64 v[38:39], v[0:1], v[38:39]
	ds_read2_b64 v[136:139], v132 offset0:42 offset1:43
	ds_read2_b64 v[140:143], v132 offset0:44 offset1:45
	;; [unrolled: 1-line block ×9, first 2 shown]
	s_waitcnt lgkmcnt(8)
	v_fma_f64 v[40:41], -v[38:39], v[136:137], v[40:41]
	v_fma_f64 v[34:35], -v[38:39], v[138:139], v[34:35]
	s_waitcnt lgkmcnt(7)
	v_fma_f64 v[36:37], -v[38:39], v[140:141], v[36:37]
	v_fma_f64 v[32:33], -v[38:39], v[142:143], v[32:33]
	;; [unrolled: 3-line block ×9, first 2 shown]
.LBB118_709:
	s_or_b32 exec_lo, exec_lo, s0
	v_lshl_add_u32 v0, v135, 3, v132
	s_barrier
	buffer_gl0_inv
	v_mov_b32_e32 v126, 42
	ds_write_b64 v0, v[40:41]
	s_waitcnt lgkmcnt(0)
	s_barrier
	buffer_gl0_inv
	ds_read_b64 v[0:1], v132 offset:336
	s_cmp_lt_i32 s7, 44
	s_cbranch_scc1 .LBB118_712
; %bb.710:
	v_add3_u32 v127, v133, 0, 0x158
	v_mov_b32_e32 v126, 42
	s_mov_b32 s0, 43
.LBB118_711:                            ; =>This Inner Loop Header: Depth=1
	ds_read_b64 v[136:137], v127
	v_add_nc_u32_e32 v127, 8, v127
	s_waitcnt lgkmcnt(0)
	v_cmp_lt_f64_e64 vcc_lo, |v[0:1]|, |v[136:137]|
	v_cndmask_b32_e32 v1, v1, v137, vcc_lo
	v_cndmask_b32_e32 v0, v0, v136, vcc_lo
	v_cndmask_b32_e64 v126, v126, s0, vcc_lo
	s_add_i32 s0, s0, 1
	s_cmp_lg_u32 s7, s0
	s_cbranch_scc1 .LBB118_711
.LBB118_712:
	s_mov_b32 s0, exec_lo
	s_waitcnt lgkmcnt(0)
	v_cmpx_eq_f64_e32 0, v[0:1]
	s_xor_b32 s0, exec_lo, s0
; %bb.713:
	v_cmp_ne_u32_e32 vcc_lo, 0, v129
	v_cndmask_b32_e32 v129, 43, v129, vcc_lo
; %bb.714:
	s_andn2_saveexec_b32 s0, s0
	s_cbranch_execz .LBB118_716
; %bb.715:
	v_div_scale_f64 v[127:128], null, v[0:1], v[0:1], 1.0
	v_rcp_f64_e32 v[136:137], v[127:128]
	v_fma_f64 v[138:139], -v[127:128], v[136:137], 1.0
	v_fma_f64 v[136:137], v[136:137], v[138:139], v[136:137]
	v_fma_f64 v[138:139], -v[127:128], v[136:137], 1.0
	v_fma_f64 v[136:137], v[136:137], v[138:139], v[136:137]
	v_div_scale_f64 v[138:139], vcc_lo, 1.0, v[0:1], 1.0
	v_mul_f64 v[140:141], v[138:139], v[136:137]
	v_fma_f64 v[127:128], -v[127:128], v[140:141], v[138:139]
	v_div_fmas_f64 v[127:128], v[127:128], v[136:137], v[140:141]
	v_div_fixup_f64 v[0:1], v[127:128], v[0:1], 1.0
.LBB118_716:
	s_or_b32 exec_lo, exec_lo, s0
	s_mov_b32 s0, exec_lo
	v_cmpx_ne_u32_e64 v135, v126
	s_xor_b32 s0, exec_lo, s0
	s_cbranch_execz .LBB118_722
; %bb.717:
	s_mov_b32 s1, exec_lo
	v_cmpx_eq_u32_e32 42, v135
	s_cbranch_execz .LBB118_721
; %bb.718:
	v_cmp_ne_u32_e32 vcc_lo, 42, v126
	s_xor_b32 s2, s6, -1
	s_and_b32 s3, s2, vcc_lo
	s_and_saveexec_b32 s2, s3
	s_cbranch_execz .LBB118_720
; %bb.719:
	v_ashrrev_i32_e32 v127, 31, v126
	v_lshlrev_b64 v[127:128], 2, v[126:127]
	v_add_co_u32 v127, vcc_lo, v4, v127
	v_add_co_ci_u32_e64 v128, null, v5, v128, vcc_lo
	s_clause 0x1
	global_load_dword v134, v[127:128], off
	global_load_dword v135, v[4:5], off offset:168
	s_waitcnt vmcnt(1)
	global_store_dword v[4:5], v134, off offset:168
	s_waitcnt vmcnt(0)
	global_store_dword v[127:128], v135, off
.LBB118_720:
	s_or_b32 exec_lo, exec_lo, s2
	v_mov_b32_e32 v134, v126
	v_mov_b32_e32 v135, v126
.LBB118_721:
	s_or_b32 exec_lo, exec_lo, s1
.LBB118_722:
	s_andn2_saveexec_b32 s0, s0
	s_cbranch_execz .LBB118_724
; %bb.723:
	v_mov_b32_e32 v135, 42
	ds_write2_b64 v132, v[34:35], v[36:37] offset0:43 offset1:44
	ds_write2_b64 v132, v[32:33], v[30:31] offset0:45 offset1:46
	;; [unrolled: 1-line block ×8, first 2 shown]
	ds_write_b64 v132, v[124:125] offset:472
.LBB118_724:
	s_or_b32 exec_lo, exec_lo, s0
	s_mov_b32 s0, exec_lo
	s_waitcnt lgkmcnt(0)
	s_waitcnt_vscnt null, 0x0
	s_barrier
	buffer_gl0_inv
	v_cmpx_lt_i32_e32 42, v135
	s_cbranch_execz .LBB118_726
; %bb.725:
	v_mul_f64 v[40:41], v[0:1], v[40:41]
	ds_read2_b64 v[136:139], v132 offset0:43 offset1:44
	ds_read2_b64 v[140:143], v132 offset0:45 offset1:46
	;; [unrolled: 1-line block ×8, first 2 shown]
	ds_read_b64 v[0:1], v132 offset:472
	s_waitcnt lgkmcnt(8)
	v_fma_f64 v[34:35], -v[40:41], v[136:137], v[34:35]
	v_fma_f64 v[36:37], -v[40:41], v[138:139], v[36:37]
	s_waitcnt lgkmcnt(7)
	v_fma_f64 v[32:33], -v[40:41], v[140:141], v[32:33]
	v_fma_f64 v[30:31], -v[40:41], v[142:143], v[30:31]
	;; [unrolled: 3-line block ×8, first 2 shown]
	s_waitcnt lgkmcnt(0)
	v_fma_f64 v[124:125], -v[40:41], v[0:1], v[124:125]
.LBB118_726:
	s_or_b32 exec_lo, exec_lo, s0
	v_lshl_add_u32 v0, v135, 3, v132
	s_barrier
	buffer_gl0_inv
	v_mov_b32_e32 v126, 43
	ds_write_b64 v0, v[34:35]
	s_waitcnt lgkmcnt(0)
	s_barrier
	buffer_gl0_inv
	ds_read_b64 v[0:1], v132 offset:344
	s_cmp_lt_i32 s7, 45
	s_cbranch_scc1 .LBB118_729
; %bb.727:
	v_add3_u32 v127, v133, 0, 0x160
	v_mov_b32_e32 v126, 43
	s_mov_b32 s0, 44
.LBB118_728:                            ; =>This Inner Loop Header: Depth=1
	ds_read_b64 v[136:137], v127
	v_add_nc_u32_e32 v127, 8, v127
	s_waitcnt lgkmcnt(0)
	v_cmp_lt_f64_e64 vcc_lo, |v[0:1]|, |v[136:137]|
	v_cndmask_b32_e32 v1, v1, v137, vcc_lo
	v_cndmask_b32_e32 v0, v0, v136, vcc_lo
	v_cndmask_b32_e64 v126, v126, s0, vcc_lo
	s_add_i32 s0, s0, 1
	s_cmp_lg_u32 s7, s0
	s_cbranch_scc1 .LBB118_728
.LBB118_729:
	s_mov_b32 s0, exec_lo
	s_waitcnt lgkmcnt(0)
	v_cmpx_eq_f64_e32 0, v[0:1]
	s_xor_b32 s0, exec_lo, s0
; %bb.730:
	v_cmp_ne_u32_e32 vcc_lo, 0, v129
	v_cndmask_b32_e32 v129, 44, v129, vcc_lo
; %bb.731:
	s_andn2_saveexec_b32 s0, s0
	s_cbranch_execz .LBB118_733
; %bb.732:
	v_div_scale_f64 v[127:128], null, v[0:1], v[0:1], 1.0
	v_rcp_f64_e32 v[136:137], v[127:128]
	v_fma_f64 v[138:139], -v[127:128], v[136:137], 1.0
	v_fma_f64 v[136:137], v[136:137], v[138:139], v[136:137]
	v_fma_f64 v[138:139], -v[127:128], v[136:137], 1.0
	v_fma_f64 v[136:137], v[136:137], v[138:139], v[136:137]
	v_div_scale_f64 v[138:139], vcc_lo, 1.0, v[0:1], 1.0
	v_mul_f64 v[140:141], v[138:139], v[136:137]
	v_fma_f64 v[127:128], -v[127:128], v[140:141], v[138:139]
	v_div_fmas_f64 v[127:128], v[127:128], v[136:137], v[140:141]
	v_div_fixup_f64 v[0:1], v[127:128], v[0:1], 1.0
.LBB118_733:
	s_or_b32 exec_lo, exec_lo, s0
	s_mov_b32 s0, exec_lo
	v_cmpx_ne_u32_e64 v135, v126
	s_xor_b32 s0, exec_lo, s0
	s_cbranch_execz .LBB118_739
; %bb.734:
	s_mov_b32 s1, exec_lo
	v_cmpx_eq_u32_e32 43, v135
	s_cbranch_execz .LBB118_738
; %bb.735:
	v_cmp_ne_u32_e32 vcc_lo, 43, v126
	s_xor_b32 s2, s6, -1
	s_and_b32 s3, s2, vcc_lo
	s_and_saveexec_b32 s2, s3
	s_cbranch_execz .LBB118_737
; %bb.736:
	v_ashrrev_i32_e32 v127, 31, v126
	v_lshlrev_b64 v[127:128], 2, v[126:127]
	v_add_co_u32 v127, vcc_lo, v4, v127
	v_add_co_ci_u32_e64 v128, null, v5, v128, vcc_lo
	s_clause 0x1
	global_load_dword v134, v[127:128], off
	global_load_dword v135, v[4:5], off offset:172
	s_waitcnt vmcnt(1)
	global_store_dword v[4:5], v134, off offset:172
	s_waitcnt vmcnt(0)
	global_store_dword v[127:128], v135, off
.LBB118_737:
	s_or_b32 exec_lo, exec_lo, s2
	v_mov_b32_e32 v134, v126
	v_mov_b32_e32 v135, v126
.LBB118_738:
	s_or_b32 exec_lo, exec_lo, s1
.LBB118_739:
	s_andn2_saveexec_b32 s0, s0
	s_cbranch_execz .LBB118_741
; %bb.740:
	v_mov_b32_e32 v126, v36
	v_mov_b32_e32 v127, v37
	;; [unrolled: 1-line block ×16, first 2 shown]
	ds_write2_b64 v132, v[126:127], v[135:136] offset0:44 offset1:45
	ds_write2_b64 v132, v[137:138], v[139:140] offset0:46 offset1:47
	;; [unrolled: 1-line block ×4, first 2 shown]
	v_mov_b32_e32 v126, v20
	v_mov_b32_e32 v127, v21
	;; [unrolled: 1-line block ×15, first 2 shown]
	ds_write2_b64 v132, v[126:127], v[136:137] offset0:52 offset1:53
	ds_write2_b64 v132, v[138:139], v[140:141] offset0:54 offset1:55
	;; [unrolled: 1-line block ×4, first 2 shown]
.LBB118_741:
	s_or_b32 exec_lo, exec_lo, s0
	s_mov_b32 s0, exec_lo
	s_waitcnt lgkmcnt(0)
	s_waitcnt_vscnt null, 0x0
	s_barrier
	buffer_gl0_inv
	v_cmpx_lt_i32_e32 43, v135
	s_cbranch_execz .LBB118_743
; %bb.742:
	v_mul_f64 v[34:35], v[0:1], v[34:35]
	ds_read2_b64 v[136:139], v132 offset0:44 offset1:45
	ds_read2_b64 v[140:143], v132 offset0:46 offset1:47
	;; [unrolled: 1-line block ×8, first 2 shown]
	s_waitcnt lgkmcnt(7)
	v_fma_f64 v[36:37], -v[34:35], v[136:137], v[36:37]
	v_fma_f64 v[32:33], -v[34:35], v[138:139], v[32:33]
	s_waitcnt lgkmcnt(6)
	v_fma_f64 v[30:31], -v[34:35], v[140:141], v[30:31]
	v_fma_f64 v[28:29], -v[34:35], v[142:143], v[28:29]
	;; [unrolled: 3-line block ×8, first 2 shown]
.LBB118_743:
	s_or_b32 exec_lo, exec_lo, s0
	v_lshl_add_u32 v0, v135, 3, v132
	s_barrier
	buffer_gl0_inv
	v_mov_b32_e32 v126, 44
	ds_write_b64 v0, v[36:37]
	s_waitcnt lgkmcnt(0)
	s_barrier
	buffer_gl0_inv
	ds_read_b64 v[0:1], v132 offset:352
	s_cmp_lt_i32 s7, 46
	s_cbranch_scc1 .LBB118_746
; %bb.744:
	v_add3_u32 v127, v133, 0, 0x168
	v_mov_b32_e32 v126, 44
	s_mov_b32 s0, 45
.LBB118_745:                            ; =>This Inner Loop Header: Depth=1
	ds_read_b64 v[136:137], v127
	v_add_nc_u32_e32 v127, 8, v127
	s_waitcnt lgkmcnt(0)
	v_cmp_lt_f64_e64 vcc_lo, |v[0:1]|, |v[136:137]|
	v_cndmask_b32_e32 v1, v1, v137, vcc_lo
	v_cndmask_b32_e32 v0, v0, v136, vcc_lo
	v_cndmask_b32_e64 v126, v126, s0, vcc_lo
	s_add_i32 s0, s0, 1
	s_cmp_lg_u32 s7, s0
	s_cbranch_scc1 .LBB118_745
.LBB118_746:
	s_mov_b32 s0, exec_lo
	s_waitcnt lgkmcnt(0)
	v_cmpx_eq_f64_e32 0, v[0:1]
	s_xor_b32 s0, exec_lo, s0
; %bb.747:
	v_cmp_ne_u32_e32 vcc_lo, 0, v129
	v_cndmask_b32_e32 v129, 45, v129, vcc_lo
; %bb.748:
	s_andn2_saveexec_b32 s0, s0
	s_cbranch_execz .LBB118_750
; %bb.749:
	v_div_scale_f64 v[127:128], null, v[0:1], v[0:1], 1.0
	v_rcp_f64_e32 v[136:137], v[127:128]
	v_fma_f64 v[138:139], -v[127:128], v[136:137], 1.0
	v_fma_f64 v[136:137], v[136:137], v[138:139], v[136:137]
	v_fma_f64 v[138:139], -v[127:128], v[136:137], 1.0
	v_fma_f64 v[136:137], v[136:137], v[138:139], v[136:137]
	v_div_scale_f64 v[138:139], vcc_lo, 1.0, v[0:1], 1.0
	v_mul_f64 v[140:141], v[138:139], v[136:137]
	v_fma_f64 v[127:128], -v[127:128], v[140:141], v[138:139]
	v_div_fmas_f64 v[127:128], v[127:128], v[136:137], v[140:141]
	v_div_fixup_f64 v[0:1], v[127:128], v[0:1], 1.0
.LBB118_750:
	s_or_b32 exec_lo, exec_lo, s0
	s_mov_b32 s0, exec_lo
	v_cmpx_ne_u32_e64 v135, v126
	s_xor_b32 s0, exec_lo, s0
	s_cbranch_execz .LBB118_756
; %bb.751:
	s_mov_b32 s1, exec_lo
	v_cmpx_eq_u32_e32 44, v135
	s_cbranch_execz .LBB118_755
; %bb.752:
	v_cmp_ne_u32_e32 vcc_lo, 44, v126
	s_xor_b32 s2, s6, -1
	s_and_b32 s3, s2, vcc_lo
	s_and_saveexec_b32 s2, s3
	s_cbranch_execz .LBB118_754
; %bb.753:
	v_ashrrev_i32_e32 v127, 31, v126
	v_lshlrev_b64 v[127:128], 2, v[126:127]
	v_add_co_u32 v127, vcc_lo, v4, v127
	v_add_co_ci_u32_e64 v128, null, v5, v128, vcc_lo
	s_clause 0x1
	global_load_dword v134, v[127:128], off
	global_load_dword v135, v[4:5], off offset:176
	s_waitcnt vmcnt(1)
	global_store_dword v[4:5], v134, off offset:176
	s_waitcnt vmcnt(0)
	global_store_dword v[127:128], v135, off
.LBB118_754:
	s_or_b32 exec_lo, exec_lo, s2
	v_mov_b32_e32 v134, v126
	v_mov_b32_e32 v135, v126
.LBB118_755:
	s_or_b32 exec_lo, exec_lo, s1
.LBB118_756:
	s_andn2_saveexec_b32 s0, s0
	s_cbranch_execz .LBB118_758
; %bb.757:
	v_mov_b32_e32 v135, 44
	ds_write2_b64 v132, v[32:33], v[30:31] offset0:45 offset1:46
	ds_write2_b64 v132, v[28:29], v[26:27] offset0:47 offset1:48
	;; [unrolled: 1-line block ×7, first 2 shown]
	ds_write_b64 v132, v[124:125] offset:472
.LBB118_758:
	s_or_b32 exec_lo, exec_lo, s0
	s_mov_b32 s0, exec_lo
	s_waitcnt lgkmcnt(0)
	s_waitcnt_vscnt null, 0x0
	s_barrier
	buffer_gl0_inv
	v_cmpx_lt_i32_e32 44, v135
	s_cbranch_execz .LBB118_760
; %bb.759:
	v_mul_f64 v[36:37], v[0:1], v[36:37]
	ds_read2_b64 v[136:139], v132 offset0:45 offset1:46
	ds_read2_b64 v[140:143], v132 offset0:47 offset1:48
	;; [unrolled: 1-line block ×7, first 2 shown]
	ds_read_b64 v[0:1], v132 offset:472
	s_waitcnt lgkmcnt(7)
	v_fma_f64 v[32:33], -v[36:37], v[136:137], v[32:33]
	v_fma_f64 v[30:31], -v[36:37], v[138:139], v[30:31]
	s_waitcnt lgkmcnt(6)
	v_fma_f64 v[28:29], -v[36:37], v[140:141], v[28:29]
	v_fma_f64 v[26:27], -v[36:37], v[142:143], v[26:27]
	;; [unrolled: 3-line block ×7, first 2 shown]
	s_waitcnt lgkmcnt(0)
	v_fma_f64 v[124:125], -v[36:37], v[0:1], v[124:125]
.LBB118_760:
	s_or_b32 exec_lo, exec_lo, s0
	v_lshl_add_u32 v0, v135, 3, v132
	s_barrier
	buffer_gl0_inv
	v_mov_b32_e32 v126, 45
	ds_write_b64 v0, v[32:33]
	s_waitcnt lgkmcnt(0)
	s_barrier
	buffer_gl0_inv
	ds_read_b64 v[0:1], v132 offset:360
	s_cmp_lt_i32 s7, 47
	s_cbranch_scc1 .LBB118_763
; %bb.761:
	v_add3_u32 v127, v133, 0, 0x170
	v_mov_b32_e32 v126, 45
	s_mov_b32 s0, 46
.LBB118_762:                            ; =>This Inner Loop Header: Depth=1
	ds_read_b64 v[136:137], v127
	v_add_nc_u32_e32 v127, 8, v127
	s_waitcnt lgkmcnt(0)
	v_cmp_lt_f64_e64 vcc_lo, |v[0:1]|, |v[136:137]|
	v_cndmask_b32_e32 v1, v1, v137, vcc_lo
	v_cndmask_b32_e32 v0, v0, v136, vcc_lo
	v_cndmask_b32_e64 v126, v126, s0, vcc_lo
	s_add_i32 s0, s0, 1
	s_cmp_lg_u32 s7, s0
	s_cbranch_scc1 .LBB118_762
.LBB118_763:
	s_mov_b32 s0, exec_lo
	s_waitcnt lgkmcnt(0)
	v_cmpx_eq_f64_e32 0, v[0:1]
	s_xor_b32 s0, exec_lo, s0
; %bb.764:
	v_cmp_ne_u32_e32 vcc_lo, 0, v129
	v_cndmask_b32_e32 v129, 46, v129, vcc_lo
; %bb.765:
	s_andn2_saveexec_b32 s0, s0
	s_cbranch_execz .LBB118_767
; %bb.766:
	v_div_scale_f64 v[127:128], null, v[0:1], v[0:1], 1.0
	v_rcp_f64_e32 v[136:137], v[127:128]
	v_fma_f64 v[138:139], -v[127:128], v[136:137], 1.0
	v_fma_f64 v[136:137], v[136:137], v[138:139], v[136:137]
	v_fma_f64 v[138:139], -v[127:128], v[136:137], 1.0
	v_fma_f64 v[136:137], v[136:137], v[138:139], v[136:137]
	v_div_scale_f64 v[138:139], vcc_lo, 1.0, v[0:1], 1.0
	v_mul_f64 v[140:141], v[138:139], v[136:137]
	v_fma_f64 v[127:128], -v[127:128], v[140:141], v[138:139]
	v_div_fmas_f64 v[127:128], v[127:128], v[136:137], v[140:141]
	v_div_fixup_f64 v[0:1], v[127:128], v[0:1], 1.0
.LBB118_767:
	s_or_b32 exec_lo, exec_lo, s0
	s_mov_b32 s0, exec_lo
	v_cmpx_ne_u32_e64 v135, v126
	s_xor_b32 s0, exec_lo, s0
	s_cbranch_execz .LBB118_773
; %bb.768:
	s_mov_b32 s1, exec_lo
	v_cmpx_eq_u32_e32 45, v135
	s_cbranch_execz .LBB118_772
; %bb.769:
	v_cmp_ne_u32_e32 vcc_lo, 45, v126
	s_xor_b32 s2, s6, -1
	s_and_b32 s3, s2, vcc_lo
	s_and_saveexec_b32 s2, s3
	s_cbranch_execz .LBB118_771
; %bb.770:
	v_ashrrev_i32_e32 v127, 31, v126
	v_lshlrev_b64 v[127:128], 2, v[126:127]
	v_add_co_u32 v127, vcc_lo, v4, v127
	v_add_co_ci_u32_e64 v128, null, v5, v128, vcc_lo
	s_clause 0x1
	global_load_dword v134, v[127:128], off
	global_load_dword v135, v[4:5], off offset:180
	s_waitcnt vmcnt(1)
	global_store_dword v[4:5], v134, off offset:180
	s_waitcnt vmcnt(0)
	global_store_dword v[127:128], v135, off
.LBB118_771:
	s_or_b32 exec_lo, exec_lo, s2
	v_mov_b32_e32 v134, v126
	v_mov_b32_e32 v135, v126
.LBB118_772:
	s_or_b32 exec_lo, exec_lo, s1
.LBB118_773:
	s_andn2_saveexec_b32 s0, s0
	s_cbranch_execz .LBB118_775
; %bb.774:
	v_mov_b32_e32 v126, v30
	v_mov_b32_e32 v127, v31
	;; [unrolled: 1-line block ×12, first 2 shown]
	ds_write2_b64 v132, v[126:127], v[135:136] offset0:46 offset1:47
	ds_write2_b64 v132, v[137:138], v[139:140] offset0:48 offset1:49
	;; [unrolled: 1-line block ×3, first 2 shown]
	v_mov_b32_e32 v126, v20
	v_mov_b32_e32 v127, v21
	;; [unrolled: 1-line block ×15, first 2 shown]
	ds_write2_b64 v132, v[126:127], v[136:137] offset0:52 offset1:53
	ds_write2_b64 v132, v[138:139], v[140:141] offset0:54 offset1:55
	;; [unrolled: 1-line block ×4, first 2 shown]
.LBB118_775:
	s_or_b32 exec_lo, exec_lo, s0
	s_mov_b32 s0, exec_lo
	s_waitcnt lgkmcnt(0)
	s_waitcnt_vscnt null, 0x0
	s_barrier
	buffer_gl0_inv
	v_cmpx_lt_i32_e32 45, v135
	s_cbranch_execz .LBB118_777
; %bb.776:
	v_mul_f64 v[32:33], v[0:1], v[32:33]
	ds_read2_b64 v[136:139], v132 offset0:46 offset1:47
	ds_read2_b64 v[140:143], v132 offset0:48 offset1:49
	;; [unrolled: 1-line block ×7, first 2 shown]
	s_waitcnt lgkmcnt(6)
	v_fma_f64 v[30:31], -v[32:33], v[136:137], v[30:31]
	v_fma_f64 v[28:29], -v[32:33], v[138:139], v[28:29]
	s_waitcnt lgkmcnt(5)
	v_fma_f64 v[26:27], -v[32:33], v[140:141], v[26:27]
	v_fma_f64 v[24:25], -v[32:33], v[142:143], v[24:25]
	;; [unrolled: 3-line block ×7, first 2 shown]
.LBB118_777:
	s_or_b32 exec_lo, exec_lo, s0
	v_lshl_add_u32 v0, v135, 3, v132
	s_barrier
	buffer_gl0_inv
	v_mov_b32_e32 v126, 46
	ds_write_b64 v0, v[30:31]
	s_waitcnt lgkmcnt(0)
	s_barrier
	buffer_gl0_inv
	ds_read_b64 v[0:1], v132 offset:368
	s_cmp_lt_i32 s7, 48
	s_cbranch_scc1 .LBB118_780
; %bb.778:
	v_add3_u32 v127, v133, 0, 0x178
	v_mov_b32_e32 v126, 46
	s_mov_b32 s0, 47
.LBB118_779:                            ; =>This Inner Loop Header: Depth=1
	ds_read_b64 v[136:137], v127
	v_add_nc_u32_e32 v127, 8, v127
	s_waitcnt lgkmcnt(0)
	v_cmp_lt_f64_e64 vcc_lo, |v[0:1]|, |v[136:137]|
	v_cndmask_b32_e32 v1, v1, v137, vcc_lo
	v_cndmask_b32_e32 v0, v0, v136, vcc_lo
	v_cndmask_b32_e64 v126, v126, s0, vcc_lo
	s_add_i32 s0, s0, 1
	s_cmp_lg_u32 s7, s0
	s_cbranch_scc1 .LBB118_779
.LBB118_780:
	s_mov_b32 s0, exec_lo
	s_waitcnt lgkmcnt(0)
	v_cmpx_eq_f64_e32 0, v[0:1]
	s_xor_b32 s0, exec_lo, s0
; %bb.781:
	v_cmp_ne_u32_e32 vcc_lo, 0, v129
	v_cndmask_b32_e32 v129, 47, v129, vcc_lo
; %bb.782:
	s_andn2_saveexec_b32 s0, s0
	s_cbranch_execz .LBB118_784
; %bb.783:
	v_div_scale_f64 v[127:128], null, v[0:1], v[0:1], 1.0
	v_rcp_f64_e32 v[136:137], v[127:128]
	v_fma_f64 v[138:139], -v[127:128], v[136:137], 1.0
	v_fma_f64 v[136:137], v[136:137], v[138:139], v[136:137]
	v_fma_f64 v[138:139], -v[127:128], v[136:137], 1.0
	v_fma_f64 v[136:137], v[136:137], v[138:139], v[136:137]
	v_div_scale_f64 v[138:139], vcc_lo, 1.0, v[0:1], 1.0
	v_mul_f64 v[140:141], v[138:139], v[136:137]
	v_fma_f64 v[127:128], -v[127:128], v[140:141], v[138:139]
	v_div_fmas_f64 v[127:128], v[127:128], v[136:137], v[140:141]
	v_div_fixup_f64 v[0:1], v[127:128], v[0:1], 1.0
.LBB118_784:
	s_or_b32 exec_lo, exec_lo, s0
	s_mov_b32 s0, exec_lo
	v_cmpx_ne_u32_e64 v135, v126
	s_xor_b32 s0, exec_lo, s0
	s_cbranch_execz .LBB118_790
; %bb.785:
	s_mov_b32 s1, exec_lo
	v_cmpx_eq_u32_e32 46, v135
	s_cbranch_execz .LBB118_789
; %bb.786:
	v_cmp_ne_u32_e32 vcc_lo, 46, v126
	s_xor_b32 s2, s6, -1
	s_and_b32 s3, s2, vcc_lo
	s_and_saveexec_b32 s2, s3
	s_cbranch_execz .LBB118_788
; %bb.787:
	v_ashrrev_i32_e32 v127, 31, v126
	v_lshlrev_b64 v[127:128], 2, v[126:127]
	v_add_co_u32 v127, vcc_lo, v4, v127
	v_add_co_ci_u32_e64 v128, null, v5, v128, vcc_lo
	s_clause 0x1
	global_load_dword v134, v[127:128], off
	global_load_dword v135, v[4:5], off offset:184
	s_waitcnt vmcnt(1)
	global_store_dword v[4:5], v134, off offset:184
	s_waitcnt vmcnt(0)
	global_store_dword v[127:128], v135, off
.LBB118_788:
	s_or_b32 exec_lo, exec_lo, s2
	v_mov_b32_e32 v134, v126
	v_mov_b32_e32 v135, v126
.LBB118_789:
	s_or_b32 exec_lo, exec_lo, s1
.LBB118_790:
	s_andn2_saveexec_b32 s0, s0
	s_cbranch_execz .LBB118_792
; %bb.791:
	v_mov_b32_e32 v135, 46
	ds_write2_b64 v132, v[28:29], v[26:27] offset0:47 offset1:48
	ds_write2_b64 v132, v[24:25], v[22:23] offset0:49 offset1:50
	;; [unrolled: 1-line block ×6, first 2 shown]
	ds_write_b64 v132, v[124:125] offset:472
.LBB118_792:
	s_or_b32 exec_lo, exec_lo, s0
	s_mov_b32 s0, exec_lo
	s_waitcnt lgkmcnt(0)
	s_waitcnt_vscnt null, 0x0
	s_barrier
	buffer_gl0_inv
	v_cmpx_lt_i32_e32 46, v135
	s_cbranch_execz .LBB118_794
; %bb.793:
	v_mul_f64 v[30:31], v[0:1], v[30:31]
	ds_read2_b64 v[136:139], v132 offset0:47 offset1:48
	ds_read2_b64 v[140:143], v132 offset0:49 offset1:50
	;; [unrolled: 1-line block ×6, first 2 shown]
	ds_read_b64 v[0:1], v132 offset:472
	s_waitcnt lgkmcnt(6)
	v_fma_f64 v[28:29], -v[30:31], v[136:137], v[28:29]
	v_fma_f64 v[26:27], -v[30:31], v[138:139], v[26:27]
	s_waitcnt lgkmcnt(5)
	v_fma_f64 v[24:25], -v[30:31], v[140:141], v[24:25]
	v_fma_f64 v[22:23], -v[30:31], v[142:143], v[22:23]
	;; [unrolled: 3-line block ×6, first 2 shown]
	s_waitcnt lgkmcnt(0)
	v_fma_f64 v[124:125], -v[30:31], v[0:1], v[124:125]
.LBB118_794:
	s_or_b32 exec_lo, exec_lo, s0
	v_lshl_add_u32 v0, v135, 3, v132
	s_barrier
	buffer_gl0_inv
	v_mov_b32_e32 v126, 47
	ds_write_b64 v0, v[28:29]
	s_waitcnt lgkmcnt(0)
	s_barrier
	buffer_gl0_inv
	ds_read_b64 v[0:1], v132 offset:376
	s_cmp_lt_i32 s7, 49
	s_cbranch_scc1 .LBB118_797
; %bb.795:
	v_add3_u32 v127, v133, 0, 0x180
	v_mov_b32_e32 v126, 47
	s_mov_b32 s0, 48
.LBB118_796:                            ; =>This Inner Loop Header: Depth=1
	ds_read_b64 v[136:137], v127
	v_add_nc_u32_e32 v127, 8, v127
	s_waitcnt lgkmcnt(0)
	v_cmp_lt_f64_e64 vcc_lo, |v[0:1]|, |v[136:137]|
	v_cndmask_b32_e32 v1, v1, v137, vcc_lo
	v_cndmask_b32_e32 v0, v0, v136, vcc_lo
	v_cndmask_b32_e64 v126, v126, s0, vcc_lo
	s_add_i32 s0, s0, 1
	s_cmp_lg_u32 s7, s0
	s_cbranch_scc1 .LBB118_796
.LBB118_797:
	s_mov_b32 s0, exec_lo
	s_waitcnt lgkmcnt(0)
	v_cmpx_eq_f64_e32 0, v[0:1]
	s_xor_b32 s0, exec_lo, s0
; %bb.798:
	v_cmp_ne_u32_e32 vcc_lo, 0, v129
	v_cndmask_b32_e32 v129, 48, v129, vcc_lo
; %bb.799:
	s_andn2_saveexec_b32 s0, s0
	s_cbranch_execz .LBB118_801
; %bb.800:
	v_div_scale_f64 v[127:128], null, v[0:1], v[0:1], 1.0
	v_rcp_f64_e32 v[136:137], v[127:128]
	v_fma_f64 v[138:139], -v[127:128], v[136:137], 1.0
	v_fma_f64 v[136:137], v[136:137], v[138:139], v[136:137]
	v_fma_f64 v[138:139], -v[127:128], v[136:137], 1.0
	v_fma_f64 v[136:137], v[136:137], v[138:139], v[136:137]
	v_div_scale_f64 v[138:139], vcc_lo, 1.0, v[0:1], 1.0
	v_mul_f64 v[140:141], v[138:139], v[136:137]
	v_fma_f64 v[127:128], -v[127:128], v[140:141], v[138:139]
	v_div_fmas_f64 v[127:128], v[127:128], v[136:137], v[140:141]
	v_div_fixup_f64 v[0:1], v[127:128], v[0:1], 1.0
.LBB118_801:
	s_or_b32 exec_lo, exec_lo, s0
	s_mov_b32 s0, exec_lo
	v_cmpx_ne_u32_e64 v135, v126
	s_xor_b32 s0, exec_lo, s0
	s_cbranch_execz .LBB118_807
; %bb.802:
	s_mov_b32 s1, exec_lo
	v_cmpx_eq_u32_e32 47, v135
	s_cbranch_execz .LBB118_806
; %bb.803:
	v_cmp_ne_u32_e32 vcc_lo, 47, v126
	s_xor_b32 s2, s6, -1
	s_and_b32 s3, s2, vcc_lo
	s_and_saveexec_b32 s2, s3
	s_cbranch_execz .LBB118_805
; %bb.804:
	v_ashrrev_i32_e32 v127, 31, v126
	v_lshlrev_b64 v[127:128], 2, v[126:127]
	v_add_co_u32 v127, vcc_lo, v4, v127
	v_add_co_ci_u32_e64 v128, null, v5, v128, vcc_lo
	s_clause 0x1
	global_load_dword v134, v[127:128], off
	global_load_dword v135, v[4:5], off offset:188
	s_waitcnt vmcnt(1)
	global_store_dword v[4:5], v134, off offset:188
	s_waitcnt vmcnt(0)
	global_store_dword v[127:128], v135, off
.LBB118_805:
	s_or_b32 exec_lo, exec_lo, s2
	v_mov_b32_e32 v134, v126
	v_mov_b32_e32 v135, v126
.LBB118_806:
	s_or_b32 exec_lo, exec_lo, s1
.LBB118_807:
	s_andn2_saveexec_b32 s0, s0
	s_cbranch_execz .LBB118_809
; %bb.808:
	v_mov_b32_e32 v126, v26
	v_mov_b32_e32 v127, v27
	v_mov_b32_e32 v135, v24
	v_mov_b32_e32 v136, v25
	v_mov_b32_e32 v137, v22
	v_mov_b32_e32 v138, v23
	v_mov_b32_e32 v139, v18
	v_mov_b32_e32 v140, v19
	ds_write2_b64 v132, v[126:127], v[135:136] offset0:48 offset1:49
	ds_write2_b64 v132, v[137:138], v[139:140] offset0:50 offset1:51
	v_mov_b32_e32 v126, v20
	v_mov_b32_e32 v127, v21
	;; [unrolled: 1-line block ×15, first 2 shown]
	ds_write2_b64 v132, v[126:127], v[136:137] offset0:52 offset1:53
	ds_write2_b64 v132, v[138:139], v[140:141] offset0:54 offset1:55
	;; [unrolled: 1-line block ×4, first 2 shown]
.LBB118_809:
	s_or_b32 exec_lo, exec_lo, s0
	s_mov_b32 s0, exec_lo
	s_waitcnt lgkmcnt(0)
	s_waitcnt_vscnt null, 0x0
	s_barrier
	buffer_gl0_inv
	v_cmpx_lt_i32_e32 47, v135
	s_cbranch_execz .LBB118_811
; %bb.810:
	v_mul_f64 v[28:29], v[0:1], v[28:29]
	ds_read2_b64 v[136:139], v132 offset0:48 offset1:49
	ds_read2_b64 v[140:143], v132 offset0:50 offset1:51
	;; [unrolled: 1-line block ×6, first 2 shown]
	s_waitcnt lgkmcnt(5)
	v_fma_f64 v[26:27], -v[28:29], v[136:137], v[26:27]
	v_fma_f64 v[24:25], -v[28:29], v[138:139], v[24:25]
	s_waitcnt lgkmcnt(4)
	v_fma_f64 v[22:23], -v[28:29], v[140:141], v[22:23]
	v_fma_f64 v[18:19], -v[28:29], v[142:143], v[18:19]
	;; [unrolled: 3-line block ×6, first 2 shown]
.LBB118_811:
	s_or_b32 exec_lo, exec_lo, s0
	v_lshl_add_u32 v0, v135, 3, v132
	s_barrier
	buffer_gl0_inv
	v_mov_b32_e32 v126, 48
	ds_write_b64 v0, v[26:27]
	s_waitcnt lgkmcnt(0)
	s_barrier
	buffer_gl0_inv
	ds_read_b64 v[0:1], v132 offset:384
	s_cmp_lt_i32 s7, 50
	s_cbranch_scc1 .LBB118_814
; %bb.812:
	v_add3_u32 v127, v133, 0, 0x188
	v_mov_b32_e32 v126, 48
	s_mov_b32 s0, 49
.LBB118_813:                            ; =>This Inner Loop Header: Depth=1
	ds_read_b64 v[136:137], v127
	v_add_nc_u32_e32 v127, 8, v127
	s_waitcnt lgkmcnt(0)
	v_cmp_lt_f64_e64 vcc_lo, |v[0:1]|, |v[136:137]|
	v_cndmask_b32_e32 v1, v1, v137, vcc_lo
	v_cndmask_b32_e32 v0, v0, v136, vcc_lo
	v_cndmask_b32_e64 v126, v126, s0, vcc_lo
	s_add_i32 s0, s0, 1
	s_cmp_lg_u32 s7, s0
	s_cbranch_scc1 .LBB118_813
.LBB118_814:
	s_mov_b32 s0, exec_lo
	s_waitcnt lgkmcnt(0)
	v_cmpx_eq_f64_e32 0, v[0:1]
	s_xor_b32 s0, exec_lo, s0
; %bb.815:
	v_cmp_ne_u32_e32 vcc_lo, 0, v129
	v_cndmask_b32_e32 v129, 49, v129, vcc_lo
; %bb.816:
	s_andn2_saveexec_b32 s0, s0
	s_cbranch_execz .LBB118_818
; %bb.817:
	v_div_scale_f64 v[127:128], null, v[0:1], v[0:1], 1.0
	v_rcp_f64_e32 v[136:137], v[127:128]
	v_fma_f64 v[138:139], -v[127:128], v[136:137], 1.0
	v_fma_f64 v[136:137], v[136:137], v[138:139], v[136:137]
	v_fma_f64 v[138:139], -v[127:128], v[136:137], 1.0
	v_fma_f64 v[136:137], v[136:137], v[138:139], v[136:137]
	v_div_scale_f64 v[138:139], vcc_lo, 1.0, v[0:1], 1.0
	v_mul_f64 v[140:141], v[138:139], v[136:137]
	v_fma_f64 v[127:128], -v[127:128], v[140:141], v[138:139]
	v_div_fmas_f64 v[127:128], v[127:128], v[136:137], v[140:141]
	v_div_fixup_f64 v[0:1], v[127:128], v[0:1], 1.0
.LBB118_818:
	s_or_b32 exec_lo, exec_lo, s0
	s_mov_b32 s0, exec_lo
	v_cmpx_ne_u32_e64 v135, v126
	s_xor_b32 s0, exec_lo, s0
	s_cbranch_execz .LBB118_824
; %bb.819:
	s_mov_b32 s1, exec_lo
	v_cmpx_eq_u32_e32 48, v135
	s_cbranch_execz .LBB118_823
; %bb.820:
	v_cmp_ne_u32_e32 vcc_lo, 48, v126
	s_xor_b32 s2, s6, -1
	s_and_b32 s3, s2, vcc_lo
	s_and_saveexec_b32 s2, s3
	s_cbranch_execz .LBB118_822
; %bb.821:
	v_ashrrev_i32_e32 v127, 31, v126
	v_lshlrev_b64 v[127:128], 2, v[126:127]
	v_add_co_u32 v127, vcc_lo, v4, v127
	v_add_co_ci_u32_e64 v128, null, v5, v128, vcc_lo
	s_clause 0x1
	global_load_dword v134, v[127:128], off
	global_load_dword v135, v[4:5], off offset:192
	s_waitcnt vmcnt(1)
	global_store_dword v[4:5], v134, off offset:192
	s_waitcnt vmcnt(0)
	global_store_dword v[127:128], v135, off
.LBB118_822:
	s_or_b32 exec_lo, exec_lo, s2
	v_mov_b32_e32 v134, v126
	v_mov_b32_e32 v135, v126
.LBB118_823:
	s_or_b32 exec_lo, exec_lo, s1
.LBB118_824:
	s_andn2_saveexec_b32 s0, s0
	s_cbranch_execz .LBB118_826
; %bb.825:
	v_mov_b32_e32 v135, 48
	ds_write2_b64 v132, v[24:25], v[22:23] offset0:49 offset1:50
	ds_write2_b64 v132, v[18:19], v[20:21] offset0:51 offset1:52
	;; [unrolled: 1-line block ×5, first 2 shown]
	ds_write_b64 v132, v[124:125] offset:472
.LBB118_826:
	s_or_b32 exec_lo, exec_lo, s0
	s_mov_b32 s0, exec_lo
	s_waitcnt lgkmcnt(0)
	s_waitcnt_vscnt null, 0x0
	s_barrier
	buffer_gl0_inv
	v_cmpx_lt_i32_e32 48, v135
	s_cbranch_execz .LBB118_828
; %bb.827:
	v_mul_f64 v[26:27], v[0:1], v[26:27]
	ds_read2_b64 v[136:139], v132 offset0:49 offset1:50
	ds_read2_b64 v[140:143], v132 offset0:51 offset1:52
	;; [unrolled: 1-line block ×5, first 2 shown]
	ds_read_b64 v[0:1], v132 offset:472
	s_waitcnt lgkmcnt(5)
	v_fma_f64 v[24:25], -v[26:27], v[136:137], v[24:25]
	v_fma_f64 v[22:23], -v[26:27], v[138:139], v[22:23]
	s_waitcnt lgkmcnt(4)
	v_fma_f64 v[18:19], -v[26:27], v[140:141], v[18:19]
	v_fma_f64 v[20:21], -v[26:27], v[142:143], v[20:21]
	;; [unrolled: 3-line block ×5, first 2 shown]
	s_waitcnt lgkmcnt(0)
	v_fma_f64 v[124:125], -v[26:27], v[0:1], v[124:125]
.LBB118_828:
	s_or_b32 exec_lo, exec_lo, s0
	v_lshl_add_u32 v0, v135, 3, v132
	s_barrier
	buffer_gl0_inv
	v_mov_b32_e32 v126, 49
	ds_write_b64 v0, v[24:25]
	s_waitcnt lgkmcnt(0)
	s_barrier
	buffer_gl0_inv
	ds_read_b64 v[0:1], v132 offset:392
	s_cmp_lt_i32 s7, 51
	s_cbranch_scc1 .LBB118_831
; %bb.829:
	v_add3_u32 v127, v133, 0, 0x190
	v_mov_b32_e32 v126, 49
	s_mov_b32 s0, 50
.LBB118_830:                            ; =>This Inner Loop Header: Depth=1
	ds_read_b64 v[136:137], v127
	v_add_nc_u32_e32 v127, 8, v127
	s_waitcnt lgkmcnt(0)
	v_cmp_lt_f64_e64 vcc_lo, |v[0:1]|, |v[136:137]|
	v_cndmask_b32_e32 v1, v1, v137, vcc_lo
	v_cndmask_b32_e32 v0, v0, v136, vcc_lo
	v_cndmask_b32_e64 v126, v126, s0, vcc_lo
	s_add_i32 s0, s0, 1
	s_cmp_lg_u32 s7, s0
	s_cbranch_scc1 .LBB118_830
.LBB118_831:
	s_mov_b32 s0, exec_lo
	s_waitcnt lgkmcnt(0)
	v_cmpx_eq_f64_e32 0, v[0:1]
	s_xor_b32 s0, exec_lo, s0
; %bb.832:
	v_cmp_ne_u32_e32 vcc_lo, 0, v129
	v_cndmask_b32_e32 v129, 50, v129, vcc_lo
; %bb.833:
	s_andn2_saveexec_b32 s0, s0
	s_cbranch_execz .LBB118_835
; %bb.834:
	v_div_scale_f64 v[127:128], null, v[0:1], v[0:1], 1.0
	v_rcp_f64_e32 v[136:137], v[127:128]
	v_fma_f64 v[138:139], -v[127:128], v[136:137], 1.0
	v_fma_f64 v[136:137], v[136:137], v[138:139], v[136:137]
	v_fma_f64 v[138:139], -v[127:128], v[136:137], 1.0
	v_fma_f64 v[136:137], v[136:137], v[138:139], v[136:137]
	v_div_scale_f64 v[138:139], vcc_lo, 1.0, v[0:1], 1.0
	v_mul_f64 v[140:141], v[138:139], v[136:137]
	v_fma_f64 v[127:128], -v[127:128], v[140:141], v[138:139]
	v_div_fmas_f64 v[127:128], v[127:128], v[136:137], v[140:141]
	v_div_fixup_f64 v[0:1], v[127:128], v[0:1], 1.0
.LBB118_835:
	s_or_b32 exec_lo, exec_lo, s0
	s_mov_b32 s0, exec_lo
	v_cmpx_ne_u32_e64 v135, v126
	s_xor_b32 s0, exec_lo, s0
	s_cbranch_execz .LBB118_841
; %bb.836:
	s_mov_b32 s1, exec_lo
	v_cmpx_eq_u32_e32 49, v135
	s_cbranch_execz .LBB118_840
; %bb.837:
	v_cmp_ne_u32_e32 vcc_lo, 49, v126
	s_xor_b32 s2, s6, -1
	s_and_b32 s3, s2, vcc_lo
	s_and_saveexec_b32 s2, s3
	s_cbranch_execz .LBB118_839
; %bb.838:
	v_ashrrev_i32_e32 v127, 31, v126
	v_lshlrev_b64 v[127:128], 2, v[126:127]
	v_add_co_u32 v127, vcc_lo, v4, v127
	v_add_co_ci_u32_e64 v128, null, v5, v128, vcc_lo
	s_clause 0x1
	global_load_dword v134, v[127:128], off
	global_load_dword v135, v[4:5], off offset:196
	s_waitcnt vmcnt(1)
	global_store_dword v[4:5], v134, off offset:196
	s_waitcnt vmcnt(0)
	global_store_dword v[127:128], v135, off
.LBB118_839:
	s_or_b32 exec_lo, exec_lo, s2
	v_mov_b32_e32 v134, v126
	v_mov_b32_e32 v135, v126
.LBB118_840:
	s_or_b32 exec_lo, exec_lo, s1
.LBB118_841:
	s_andn2_saveexec_b32 s0, s0
	s_cbranch_execz .LBB118_843
; %bb.842:
	v_mov_b32_e32 v126, v22
	v_mov_b32_e32 v127, v23
	;; [unrolled: 1-line block ×8, first 2 shown]
	ds_write2_b64 v132, v[126:127], v[135:136] offset0:50 offset1:51
	v_mov_b32_e32 v126, v16
	v_mov_b32_e32 v127, v17
	;; [unrolled: 1-line block ×11, first 2 shown]
	ds_write2_b64 v132, v[137:138], v[126:127] offset0:52 offset1:53
	ds_write2_b64 v132, v[139:140], v[141:142] offset0:54 offset1:55
	;; [unrolled: 1-line block ×4, first 2 shown]
.LBB118_843:
	s_or_b32 exec_lo, exec_lo, s0
	s_mov_b32 s0, exec_lo
	s_waitcnt lgkmcnt(0)
	s_waitcnt_vscnt null, 0x0
	s_barrier
	buffer_gl0_inv
	v_cmpx_lt_i32_e32 49, v135
	s_cbranch_execz .LBB118_845
; %bb.844:
	v_mul_f64 v[24:25], v[0:1], v[24:25]
	ds_read2_b64 v[136:139], v132 offset0:50 offset1:51
	ds_read2_b64 v[140:143], v132 offset0:52 offset1:53
	;; [unrolled: 1-line block ×5, first 2 shown]
	s_waitcnt lgkmcnt(4)
	v_fma_f64 v[22:23], -v[24:25], v[136:137], v[22:23]
	v_fma_f64 v[18:19], -v[24:25], v[138:139], v[18:19]
	s_waitcnt lgkmcnt(3)
	v_fma_f64 v[20:21], -v[24:25], v[140:141], v[20:21]
	v_fma_f64 v[16:17], -v[24:25], v[142:143], v[16:17]
	s_waitcnt lgkmcnt(2)
	v_fma_f64 v[14:15], -v[24:25], v[144:145], v[14:15]
	v_fma_f64 v[8:9], -v[24:25], v[146:147], v[8:9]
	s_waitcnt lgkmcnt(1)
	v_fma_f64 v[12:13], -v[24:25], v[148:149], v[12:13]
	v_fma_f64 v[6:7], -v[24:25], v[150:151], v[6:7]
	s_waitcnt lgkmcnt(0)
	v_fma_f64 v[10:11], -v[24:25], v[152:153], v[10:11]
	v_fma_f64 v[124:125], -v[24:25], v[154:155], v[124:125]
.LBB118_845:
	s_or_b32 exec_lo, exec_lo, s0
	v_lshl_add_u32 v0, v135, 3, v132
	s_barrier
	buffer_gl0_inv
	v_mov_b32_e32 v126, 50
	ds_write_b64 v0, v[22:23]
	s_waitcnt lgkmcnt(0)
	s_barrier
	buffer_gl0_inv
	ds_read_b64 v[0:1], v132 offset:400
	s_cmp_lt_i32 s7, 52
	s_cbranch_scc1 .LBB118_848
; %bb.846:
	v_add3_u32 v127, v133, 0, 0x198
	v_mov_b32_e32 v126, 50
	s_mov_b32 s0, 51
.LBB118_847:                            ; =>This Inner Loop Header: Depth=1
	ds_read_b64 v[136:137], v127
	v_add_nc_u32_e32 v127, 8, v127
	s_waitcnt lgkmcnt(0)
	v_cmp_lt_f64_e64 vcc_lo, |v[0:1]|, |v[136:137]|
	v_cndmask_b32_e32 v1, v1, v137, vcc_lo
	v_cndmask_b32_e32 v0, v0, v136, vcc_lo
	v_cndmask_b32_e64 v126, v126, s0, vcc_lo
	s_add_i32 s0, s0, 1
	s_cmp_lg_u32 s7, s0
	s_cbranch_scc1 .LBB118_847
.LBB118_848:
	s_mov_b32 s0, exec_lo
	s_waitcnt lgkmcnt(0)
	v_cmpx_eq_f64_e32 0, v[0:1]
	s_xor_b32 s0, exec_lo, s0
; %bb.849:
	v_cmp_ne_u32_e32 vcc_lo, 0, v129
	v_cndmask_b32_e32 v129, 51, v129, vcc_lo
; %bb.850:
	s_andn2_saveexec_b32 s0, s0
	s_cbranch_execz .LBB118_852
; %bb.851:
	v_div_scale_f64 v[127:128], null, v[0:1], v[0:1], 1.0
	v_rcp_f64_e32 v[136:137], v[127:128]
	v_fma_f64 v[138:139], -v[127:128], v[136:137], 1.0
	v_fma_f64 v[136:137], v[136:137], v[138:139], v[136:137]
	v_fma_f64 v[138:139], -v[127:128], v[136:137], 1.0
	v_fma_f64 v[136:137], v[136:137], v[138:139], v[136:137]
	v_div_scale_f64 v[138:139], vcc_lo, 1.0, v[0:1], 1.0
	v_mul_f64 v[140:141], v[138:139], v[136:137]
	v_fma_f64 v[127:128], -v[127:128], v[140:141], v[138:139]
	v_div_fmas_f64 v[127:128], v[127:128], v[136:137], v[140:141]
	v_div_fixup_f64 v[0:1], v[127:128], v[0:1], 1.0
.LBB118_852:
	s_or_b32 exec_lo, exec_lo, s0
	s_mov_b32 s0, exec_lo
	v_cmpx_ne_u32_e64 v135, v126
	s_xor_b32 s0, exec_lo, s0
	s_cbranch_execz .LBB118_858
; %bb.853:
	s_mov_b32 s1, exec_lo
	v_cmpx_eq_u32_e32 50, v135
	s_cbranch_execz .LBB118_857
; %bb.854:
	v_cmp_ne_u32_e32 vcc_lo, 50, v126
	s_xor_b32 s2, s6, -1
	s_and_b32 s3, s2, vcc_lo
	s_and_saveexec_b32 s2, s3
	s_cbranch_execz .LBB118_856
; %bb.855:
	v_ashrrev_i32_e32 v127, 31, v126
	v_lshlrev_b64 v[127:128], 2, v[126:127]
	v_add_co_u32 v127, vcc_lo, v4, v127
	v_add_co_ci_u32_e64 v128, null, v5, v128, vcc_lo
	s_clause 0x1
	global_load_dword v134, v[127:128], off
	global_load_dword v135, v[4:5], off offset:200
	s_waitcnt vmcnt(1)
	global_store_dword v[4:5], v134, off offset:200
	s_waitcnt vmcnt(0)
	global_store_dword v[127:128], v135, off
.LBB118_856:
	s_or_b32 exec_lo, exec_lo, s2
	v_mov_b32_e32 v134, v126
	v_mov_b32_e32 v135, v126
.LBB118_857:
	s_or_b32 exec_lo, exec_lo, s1
.LBB118_858:
	s_andn2_saveexec_b32 s0, s0
	s_cbranch_execz .LBB118_860
; %bb.859:
	v_mov_b32_e32 v135, 50
	ds_write2_b64 v132, v[18:19], v[20:21] offset0:51 offset1:52
	ds_write2_b64 v132, v[16:17], v[14:15] offset0:53 offset1:54
	;; [unrolled: 1-line block ×4, first 2 shown]
	ds_write_b64 v132, v[124:125] offset:472
.LBB118_860:
	s_or_b32 exec_lo, exec_lo, s0
	s_mov_b32 s0, exec_lo
	s_waitcnt lgkmcnt(0)
	s_waitcnt_vscnt null, 0x0
	s_barrier
	buffer_gl0_inv
	v_cmpx_lt_i32_e32 50, v135
	s_cbranch_execz .LBB118_862
; %bb.861:
	v_mul_f64 v[22:23], v[0:1], v[22:23]
	ds_read2_b64 v[136:139], v132 offset0:51 offset1:52
	ds_read2_b64 v[140:143], v132 offset0:53 offset1:54
	;; [unrolled: 1-line block ×4, first 2 shown]
	ds_read_b64 v[0:1], v132 offset:472
	s_waitcnt lgkmcnt(4)
	v_fma_f64 v[18:19], -v[22:23], v[136:137], v[18:19]
	v_fma_f64 v[20:21], -v[22:23], v[138:139], v[20:21]
	s_waitcnt lgkmcnt(3)
	v_fma_f64 v[16:17], -v[22:23], v[140:141], v[16:17]
	v_fma_f64 v[14:15], -v[22:23], v[142:143], v[14:15]
	;; [unrolled: 3-line block ×4, first 2 shown]
	s_waitcnt lgkmcnt(0)
	v_fma_f64 v[124:125], -v[22:23], v[0:1], v[124:125]
.LBB118_862:
	s_or_b32 exec_lo, exec_lo, s0
	v_lshl_add_u32 v0, v135, 3, v132
	s_barrier
	buffer_gl0_inv
	v_mov_b32_e32 v126, 51
	ds_write_b64 v0, v[18:19]
	s_waitcnt lgkmcnt(0)
	s_barrier
	buffer_gl0_inv
	ds_read_b64 v[0:1], v132 offset:408
	s_cmp_lt_i32 s7, 53
	s_cbranch_scc1 .LBB118_865
; %bb.863:
	v_add3_u32 v127, v133, 0, 0x1a0
	v_mov_b32_e32 v126, 51
	s_mov_b32 s0, 52
.LBB118_864:                            ; =>This Inner Loop Header: Depth=1
	ds_read_b64 v[136:137], v127
	v_add_nc_u32_e32 v127, 8, v127
	s_waitcnt lgkmcnt(0)
	v_cmp_lt_f64_e64 vcc_lo, |v[0:1]|, |v[136:137]|
	v_cndmask_b32_e32 v1, v1, v137, vcc_lo
	v_cndmask_b32_e32 v0, v0, v136, vcc_lo
	v_cndmask_b32_e64 v126, v126, s0, vcc_lo
	s_add_i32 s0, s0, 1
	s_cmp_lg_u32 s7, s0
	s_cbranch_scc1 .LBB118_864
.LBB118_865:
	s_mov_b32 s0, exec_lo
	s_waitcnt lgkmcnt(0)
	v_cmpx_eq_f64_e32 0, v[0:1]
	s_xor_b32 s0, exec_lo, s0
; %bb.866:
	v_cmp_ne_u32_e32 vcc_lo, 0, v129
	v_cndmask_b32_e32 v129, 52, v129, vcc_lo
; %bb.867:
	s_andn2_saveexec_b32 s0, s0
	s_cbranch_execz .LBB118_869
; %bb.868:
	v_div_scale_f64 v[127:128], null, v[0:1], v[0:1], 1.0
	v_rcp_f64_e32 v[136:137], v[127:128]
	v_fma_f64 v[138:139], -v[127:128], v[136:137], 1.0
	v_fma_f64 v[136:137], v[136:137], v[138:139], v[136:137]
	v_fma_f64 v[138:139], -v[127:128], v[136:137], 1.0
	v_fma_f64 v[136:137], v[136:137], v[138:139], v[136:137]
	v_div_scale_f64 v[138:139], vcc_lo, 1.0, v[0:1], 1.0
	v_mul_f64 v[140:141], v[138:139], v[136:137]
	v_fma_f64 v[127:128], -v[127:128], v[140:141], v[138:139]
	v_div_fmas_f64 v[127:128], v[127:128], v[136:137], v[140:141]
	v_div_fixup_f64 v[0:1], v[127:128], v[0:1], 1.0
.LBB118_869:
	s_or_b32 exec_lo, exec_lo, s0
	s_mov_b32 s0, exec_lo
	v_cmpx_ne_u32_e64 v135, v126
	s_xor_b32 s0, exec_lo, s0
	s_cbranch_execz .LBB118_875
; %bb.870:
	s_mov_b32 s1, exec_lo
	v_cmpx_eq_u32_e32 51, v135
	s_cbranch_execz .LBB118_874
; %bb.871:
	v_cmp_ne_u32_e32 vcc_lo, 51, v126
	s_xor_b32 s2, s6, -1
	s_and_b32 s3, s2, vcc_lo
	s_and_saveexec_b32 s2, s3
	s_cbranch_execz .LBB118_873
; %bb.872:
	v_ashrrev_i32_e32 v127, 31, v126
	v_lshlrev_b64 v[127:128], 2, v[126:127]
	v_add_co_u32 v127, vcc_lo, v4, v127
	v_add_co_ci_u32_e64 v128, null, v5, v128, vcc_lo
	s_clause 0x1
	global_load_dword v134, v[127:128], off
	global_load_dword v135, v[4:5], off offset:204
	s_waitcnt vmcnt(1)
	global_store_dword v[4:5], v134, off offset:204
	s_waitcnt vmcnt(0)
	global_store_dword v[127:128], v135, off
.LBB118_873:
	s_or_b32 exec_lo, exec_lo, s2
	v_mov_b32_e32 v134, v126
	v_mov_b32_e32 v135, v126
.LBB118_874:
	s_or_b32 exec_lo, exec_lo, s1
.LBB118_875:
	s_andn2_saveexec_b32 s0, s0
	s_cbranch_execz .LBB118_877
; %bb.876:
	v_mov_b32_e32 v126, v20
	v_mov_b32_e32 v127, v21
	v_mov_b32_e32 v136, v16
	v_mov_b32_e32 v137, v17
	v_mov_b32_e32 v135, 51
	v_mov_b32_e32 v138, v14
	v_mov_b32_e32 v139, v15
	v_mov_b32_e32 v140, v8
	v_mov_b32_e32 v141, v9
	v_mov_b32_e32 v142, v12
	v_mov_b32_e32 v143, v13
	v_mov_b32_e32 v144, v6
	v_mov_b32_e32 v145, v7
	v_mov_b32_e32 v146, v10
	v_mov_b32_e32 v147, v11
	ds_write2_b64 v132, v[126:127], v[136:137] offset0:52 offset1:53
	ds_write2_b64 v132, v[138:139], v[140:141] offset0:54 offset1:55
	;; [unrolled: 1-line block ×4, first 2 shown]
.LBB118_877:
	s_or_b32 exec_lo, exec_lo, s0
	s_mov_b32 s0, exec_lo
	s_waitcnt lgkmcnt(0)
	s_waitcnt_vscnt null, 0x0
	s_barrier
	buffer_gl0_inv
	v_cmpx_lt_i32_e32 51, v135
	s_cbranch_execz .LBB118_879
; %bb.878:
	v_mul_f64 v[18:19], v[0:1], v[18:19]
	ds_read2_b64 v[136:139], v132 offset0:52 offset1:53
	ds_read2_b64 v[140:143], v132 offset0:54 offset1:55
	;; [unrolled: 1-line block ×4, first 2 shown]
	s_waitcnt lgkmcnt(3)
	v_fma_f64 v[20:21], -v[18:19], v[136:137], v[20:21]
	v_fma_f64 v[16:17], -v[18:19], v[138:139], v[16:17]
	s_waitcnt lgkmcnt(2)
	v_fma_f64 v[14:15], -v[18:19], v[140:141], v[14:15]
	v_fma_f64 v[8:9], -v[18:19], v[142:143], v[8:9]
	;; [unrolled: 3-line block ×4, first 2 shown]
.LBB118_879:
	s_or_b32 exec_lo, exec_lo, s0
	v_lshl_add_u32 v0, v135, 3, v132
	s_barrier
	buffer_gl0_inv
	v_mov_b32_e32 v126, 52
	ds_write_b64 v0, v[20:21]
	s_waitcnt lgkmcnt(0)
	s_barrier
	buffer_gl0_inv
	ds_read_b64 v[0:1], v132 offset:416
	s_cmp_lt_i32 s7, 54
	s_cbranch_scc1 .LBB118_882
; %bb.880:
	v_add3_u32 v127, v133, 0, 0x1a8
	v_mov_b32_e32 v126, 52
	s_mov_b32 s0, 53
.LBB118_881:                            ; =>This Inner Loop Header: Depth=1
	ds_read_b64 v[136:137], v127
	v_add_nc_u32_e32 v127, 8, v127
	s_waitcnt lgkmcnt(0)
	v_cmp_lt_f64_e64 vcc_lo, |v[0:1]|, |v[136:137]|
	v_cndmask_b32_e32 v1, v1, v137, vcc_lo
	v_cndmask_b32_e32 v0, v0, v136, vcc_lo
	v_cndmask_b32_e64 v126, v126, s0, vcc_lo
	s_add_i32 s0, s0, 1
	s_cmp_lg_u32 s7, s0
	s_cbranch_scc1 .LBB118_881
.LBB118_882:
	s_mov_b32 s0, exec_lo
	s_waitcnt lgkmcnt(0)
	v_cmpx_eq_f64_e32 0, v[0:1]
	s_xor_b32 s0, exec_lo, s0
; %bb.883:
	v_cmp_ne_u32_e32 vcc_lo, 0, v129
	v_cndmask_b32_e32 v129, 53, v129, vcc_lo
; %bb.884:
	s_andn2_saveexec_b32 s0, s0
	s_cbranch_execz .LBB118_886
; %bb.885:
	v_div_scale_f64 v[127:128], null, v[0:1], v[0:1], 1.0
	v_rcp_f64_e32 v[136:137], v[127:128]
	v_fma_f64 v[138:139], -v[127:128], v[136:137], 1.0
	v_fma_f64 v[136:137], v[136:137], v[138:139], v[136:137]
	v_fma_f64 v[138:139], -v[127:128], v[136:137], 1.0
	v_fma_f64 v[136:137], v[136:137], v[138:139], v[136:137]
	v_div_scale_f64 v[138:139], vcc_lo, 1.0, v[0:1], 1.0
	v_mul_f64 v[140:141], v[138:139], v[136:137]
	v_fma_f64 v[127:128], -v[127:128], v[140:141], v[138:139]
	v_div_fmas_f64 v[127:128], v[127:128], v[136:137], v[140:141]
	v_div_fixup_f64 v[0:1], v[127:128], v[0:1], 1.0
.LBB118_886:
	s_or_b32 exec_lo, exec_lo, s0
	s_mov_b32 s0, exec_lo
	v_cmpx_ne_u32_e64 v135, v126
	s_xor_b32 s0, exec_lo, s0
	s_cbranch_execz .LBB118_892
; %bb.887:
	s_mov_b32 s1, exec_lo
	v_cmpx_eq_u32_e32 52, v135
	s_cbranch_execz .LBB118_891
; %bb.888:
	v_cmp_ne_u32_e32 vcc_lo, 52, v126
	s_xor_b32 s2, s6, -1
	s_and_b32 s3, s2, vcc_lo
	s_and_saveexec_b32 s2, s3
	s_cbranch_execz .LBB118_890
; %bb.889:
	v_ashrrev_i32_e32 v127, 31, v126
	v_lshlrev_b64 v[127:128], 2, v[126:127]
	v_add_co_u32 v127, vcc_lo, v4, v127
	v_add_co_ci_u32_e64 v128, null, v5, v128, vcc_lo
	s_clause 0x1
	global_load_dword v134, v[127:128], off
	global_load_dword v135, v[4:5], off offset:208
	s_waitcnt vmcnt(1)
	global_store_dword v[4:5], v134, off offset:208
	s_waitcnt vmcnt(0)
	global_store_dword v[127:128], v135, off
.LBB118_890:
	s_or_b32 exec_lo, exec_lo, s2
	v_mov_b32_e32 v134, v126
	v_mov_b32_e32 v135, v126
.LBB118_891:
	s_or_b32 exec_lo, exec_lo, s1
.LBB118_892:
	s_andn2_saveexec_b32 s0, s0
	s_cbranch_execz .LBB118_894
; %bb.893:
	v_mov_b32_e32 v135, 52
	ds_write2_b64 v132, v[16:17], v[14:15] offset0:53 offset1:54
	ds_write2_b64 v132, v[8:9], v[12:13] offset0:55 offset1:56
	;; [unrolled: 1-line block ×3, first 2 shown]
	ds_write_b64 v132, v[124:125] offset:472
.LBB118_894:
	s_or_b32 exec_lo, exec_lo, s0
	s_mov_b32 s0, exec_lo
	s_waitcnt lgkmcnt(0)
	s_waitcnt_vscnt null, 0x0
	s_barrier
	buffer_gl0_inv
	v_cmpx_lt_i32_e32 52, v135
	s_cbranch_execz .LBB118_896
; %bb.895:
	v_mul_f64 v[20:21], v[0:1], v[20:21]
	ds_read2_b64 v[136:139], v132 offset0:53 offset1:54
	ds_read2_b64 v[140:143], v132 offset0:55 offset1:56
	;; [unrolled: 1-line block ×3, first 2 shown]
	ds_read_b64 v[0:1], v132 offset:472
	s_waitcnt lgkmcnt(3)
	v_fma_f64 v[16:17], -v[20:21], v[136:137], v[16:17]
	v_fma_f64 v[14:15], -v[20:21], v[138:139], v[14:15]
	s_waitcnt lgkmcnt(2)
	v_fma_f64 v[8:9], -v[20:21], v[140:141], v[8:9]
	v_fma_f64 v[12:13], -v[20:21], v[142:143], v[12:13]
	s_waitcnt lgkmcnt(1)
	v_fma_f64 v[6:7], -v[20:21], v[144:145], v[6:7]
	v_fma_f64 v[10:11], -v[20:21], v[146:147], v[10:11]
	s_waitcnt lgkmcnt(0)
	v_fma_f64 v[124:125], -v[20:21], v[0:1], v[124:125]
.LBB118_896:
	s_or_b32 exec_lo, exec_lo, s0
	v_lshl_add_u32 v0, v135, 3, v132
	s_barrier
	buffer_gl0_inv
	v_mov_b32_e32 v126, 53
	ds_write_b64 v0, v[16:17]
	s_waitcnt lgkmcnt(0)
	s_barrier
	buffer_gl0_inv
	ds_read_b64 v[0:1], v132 offset:424
	s_cmp_lt_i32 s7, 55
	s_cbranch_scc1 .LBB118_899
; %bb.897:
	v_add3_u32 v127, v133, 0, 0x1b0
	v_mov_b32_e32 v126, 53
	s_mov_b32 s0, 54
.LBB118_898:                            ; =>This Inner Loop Header: Depth=1
	ds_read_b64 v[136:137], v127
	v_add_nc_u32_e32 v127, 8, v127
	s_waitcnt lgkmcnt(0)
	v_cmp_lt_f64_e64 vcc_lo, |v[0:1]|, |v[136:137]|
	v_cndmask_b32_e32 v1, v1, v137, vcc_lo
	v_cndmask_b32_e32 v0, v0, v136, vcc_lo
	v_cndmask_b32_e64 v126, v126, s0, vcc_lo
	s_add_i32 s0, s0, 1
	s_cmp_lg_u32 s7, s0
	s_cbranch_scc1 .LBB118_898
.LBB118_899:
	s_mov_b32 s0, exec_lo
	s_waitcnt lgkmcnt(0)
	v_cmpx_eq_f64_e32 0, v[0:1]
	s_xor_b32 s0, exec_lo, s0
; %bb.900:
	v_cmp_ne_u32_e32 vcc_lo, 0, v129
	v_cndmask_b32_e32 v129, 54, v129, vcc_lo
; %bb.901:
	s_andn2_saveexec_b32 s0, s0
	s_cbranch_execz .LBB118_903
; %bb.902:
	v_div_scale_f64 v[127:128], null, v[0:1], v[0:1], 1.0
	v_rcp_f64_e32 v[136:137], v[127:128]
	v_fma_f64 v[138:139], -v[127:128], v[136:137], 1.0
	v_fma_f64 v[136:137], v[136:137], v[138:139], v[136:137]
	v_fma_f64 v[138:139], -v[127:128], v[136:137], 1.0
	v_fma_f64 v[136:137], v[136:137], v[138:139], v[136:137]
	v_div_scale_f64 v[138:139], vcc_lo, 1.0, v[0:1], 1.0
	v_mul_f64 v[140:141], v[138:139], v[136:137]
	v_fma_f64 v[127:128], -v[127:128], v[140:141], v[138:139]
	v_div_fmas_f64 v[127:128], v[127:128], v[136:137], v[140:141]
	v_div_fixup_f64 v[0:1], v[127:128], v[0:1], 1.0
.LBB118_903:
	s_or_b32 exec_lo, exec_lo, s0
	s_mov_b32 s0, exec_lo
	v_cmpx_ne_u32_e64 v135, v126
	s_xor_b32 s0, exec_lo, s0
	s_cbranch_execz .LBB118_909
; %bb.904:
	s_mov_b32 s1, exec_lo
	v_cmpx_eq_u32_e32 53, v135
	s_cbranch_execz .LBB118_908
; %bb.905:
	v_cmp_ne_u32_e32 vcc_lo, 53, v126
	s_xor_b32 s2, s6, -1
	s_and_b32 s3, s2, vcc_lo
	s_and_saveexec_b32 s2, s3
	s_cbranch_execz .LBB118_907
; %bb.906:
	v_ashrrev_i32_e32 v127, 31, v126
	v_lshlrev_b64 v[127:128], 2, v[126:127]
	v_add_co_u32 v127, vcc_lo, v4, v127
	v_add_co_ci_u32_e64 v128, null, v5, v128, vcc_lo
	s_clause 0x1
	global_load_dword v134, v[127:128], off
	global_load_dword v135, v[4:5], off offset:212
	s_waitcnt vmcnt(1)
	global_store_dword v[4:5], v134, off offset:212
	s_waitcnt vmcnt(0)
	global_store_dword v[127:128], v135, off
.LBB118_907:
	s_or_b32 exec_lo, exec_lo, s2
	v_mov_b32_e32 v134, v126
	v_mov_b32_e32 v135, v126
.LBB118_908:
	s_or_b32 exec_lo, exec_lo, s1
.LBB118_909:
	s_andn2_saveexec_b32 s0, s0
	s_cbranch_execz .LBB118_911
; %bb.910:
	v_mov_b32_e32 v126, v14
	v_mov_b32_e32 v127, v15
	;; [unrolled: 1-line block ×11, first 2 shown]
	ds_write2_b64 v132, v[126:127], v[136:137] offset0:54 offset1:55
	ds_write2_b64 v132, v[138:139], v[140:141] offset0:56 offset1:57
	;; [unrolled: 1-line block ×3, first 2 shown]
.LBB118_911:
	s_or_b32 exec_lo, exec_lo, s0
	s_mov_b32 s0, exec_lo
	s_waitcnt lgkmcnt(0)
	s_waitcnt_vscnt null, 0x0
	s_barrier
	buffer_gl0_inv
	v_cmpx_lt_i32_e32 53, v135
	s_cbranch_execz .LBB118_913
; %bb.912:
	v_mul_f64 v[16:17], v[0:1], v[16:17]
	ds_read2_b64 v[136:139], v132 offset0:54 offset1:55
	ds_read2_b64 v[140:143], v132 offset0:56 offset1:57
	ds_read2_b64 v[144:147], v132 offset0:58 offset1:59
	s_waitcnt lgkmcnt(2)
	v_fma_f64 v[14:15], -v[16:17], v[136:137], v[14:15]
	v_fma_f64 v[8:9], -v[16:17], v[138:139], v[8:9]
	s_waitcnt lgkmcnt(1)
	v_fma_f64 v[12:13], -v[16:17], v[140:141], v[12:13]
	v_fma_f64 v[6:7], -v[16:17], v[142:143], v[6:7]
	;; [unrolled: 3-line block ×3, first 2 shown]
.LBB118_913:
	s_or_b32 exec_lo, exec_lo, s0
	v_lshl_add_u32 v0, v135, 3, v132
	s_barrier
	buffer_gl0_inv
	v_mov_b32_e32 v126, 54
	ds_write_b64 v0, v[14:15]
	s_waitcnt lgkmcnt(0)
	s_barrier
	buffer_gl0_inv
	ds_read_b64 v[0:1], v132 offset:432
	s_cmp_lt_i32 s7, 56
	s_cbranch_scc1 .LBB118_916
; %bb.914:
	v_add3_u32 v127, v133, 0, 0x1b8
	v_mov_b32_e32 v126, 54
	s_mov_b32 s0, 55
.LBB118_915:                            ; =>This Inner Loop Header: Depth=1
	ds_read_b64 v[136:137], v127
	v_add_nc_u32_e32 v127, 8, v127
	s_waitcnt lgkmcnt(0)
	v_cmp_lt_f64_e64 vcc_lo, |v[0:1]|, |v[136:137]|
	v_cndmask_b32_e32 v1, v1, v137, vcc_lo
	v_cndmask_b32_e32 v0, v0, v136, vcc_lo
	v_cndmask_b32_e64 v126, v126, s0, vcc_lo
	s_add_i32 s0, s0, 1
	s_cmp_lg_u32 s7, s0
	s_cbranch_scc1 .LBB118_915
.LBB118_916:
	s_mov_b32 s0, exec_lo
	s_waitcnt lgkmcnt(0)
	v_cmpx_eq_f64_e32 0, v[0:1]
	s_xor_b32 s0, exec_lo, s0
; %bb.917:
	v_cmp_ne_u32_e32 vcc_lo, 0, v129
	v_cndmask_b32_e32 v129, 55, v129, vcc_lo
; %bb.918:
	s_andn2_saveexec_b32 s0, s0
	s_cbranch_execz .LBB118_920
; %bb.919:
	v_div_scale_f64 v[127:128], null, v[0:1], v[0:1], 1.0
	v_rcp_f64_e32 v[136:137], v[127:128]
	v_fma_f64 v[138:139], -v[127:128], v[136:137], 1.0
	v_fma_f64 v[136:137], v[136:137], v[138:139], v[136:137]
	v_fma_f64 v[138:139], -v[127:128], v[136:137], 1.0
	v_fma_f64 v[136:137], v[136:137], v[138:139], v[136:137]
	v_div_scale_f64 v[138:139], vcc_lo, 1.0, v[0:1], 1.0
	v_mul_f64 v[140:141], v[138:139], v[136:137]
	v_fma_f64 v[127:128], -v[127:128], v[140:141], v[138:139]
	v_div_fmas_f64 v[127:128], v[127:128], v[136:137], v[140:141]
	v_div_fixup_f64 v[0:1], v[127:128], v[0:1], 1.0
.LBB118_920:
	s_or_b32 exec_lo, exec_lo, s0
	s_mov_b32 s0, exec_lo
	v_cmpx_ne_u32_e64 v135, v126
	s_xor_b32 s0, exec_lo, s0
	s_cbranch_execz .LBB118_926
; %bb.921:
	s_mov_b32 s1, exec_lo
	v_cmpx_eq_u32_e32 54, v135
	s_cbranch_execz .LBB118_925
; %bb.922:
	v_cmp_ne_u32_e32 vcc_lo, 54, v126
	s_xor_b32 s2, s6, -1
	s_and_b32 s3, s2, vcc_lo
	s_and_saveexec_b32 s2, s3
	s_cbranch_execz .LBB118_924
; %bb.923:
	v_ashrrev_i32_e32 v127, 31, v126
	v_lshlrev_b64 v[127:128], 2, v[126:127]
	v_add_co_u32 v127, vcc_lo, v4, v127
	v_add_co_ci_u32_e64 v128, null, v5, v128, vcc_lo
	s_clause 0x1
	global_load_dword v134, v[127:128], off
	global_load_dword v135, v[4:5], off offset:216
	s_waitcnt vmcnt(1)
	global_store_dword v[4:5], v134, off offset:216
	s_waitcnt vmcnt(0)
	global_store_dword v[127:128], v135, off
.LBB118_924:
	s_or_b32 exec_lo, exec_lo, s2
	v_mov_b32_e32 v134, v126
	v_mov_b32_e32 v135, v126
.LBB118_925:
	s_or_b32 exec_lo, exec_lo, s1
.LBB118_926:
	s_andn2_saveexec_b32 s0, s0
	s_cbranch_execz .LBB118_928
; %bb.927:
	v_mov_b32_e32 v135, 54
	ds_write2_b64 v132, v[8:9], v[12:13] offset0:55 offset1:56
	ds_write2_b64 v132, v[6:7], v[10:11] offset0:57 offset1:58
	ds_write_b64 v132, v[124:125] offset:472
.LBB118_928:
	s_or_b32 exec_lo, exec_lo, s0
	s_mov_b32 s0, exec_lo
	s_waitcnt lgkmcnt(0)
	s_waitcnt_vscnt null, 0x0
	s_barrier
	buffer_gl0_inv
	v_cmpx_lt_i32_e32 54, v135
	s_cbranch_execz .LBB118_930
; %bb.929:
	v_mul_f64 v[14:15], v[0:1], v[14:15]
	ds_read2_b64 v[136:139], v132 offset0:55 offset1:56
	ds_read2_b64 v[140:143], v132 offset0:57 offset1:58
	ds_read_b64 v[0:1], v132 offset:472
	s_waitcnt lgkmcnt(2)
	v_fma_f64 v[8:9], -v[14:15], v[136:137], v[8:9]
	v_fma_f64 v[12:13], -v[14:15], v[138:139], v[12:13]
	s_waitcnt lgkmcnt(1)
	v_fma_f64 v[6:7], -v[14:15], v[140:141], v[6:7]
	v_fma_f64 v[10:11], -v[14:15], v[142:143], v[10:11]
	s_waitcnt lgkmcnt(0)
	v_fma_f64 v[124:125], -v[14:15], v[0:1], v[124:125]
.LBB118_930:
	s_or_b32 exec_lo, exec_lo, s0
	v_lshl_add_u32 v0, v135, 3, v132
	s_barrier
	buffer_gl0_inv
	v_mov_b32_e32 v126, 55
	ds_write_b64 v0, v[8:9]
	s_waitcnt lgkmcnt(0)
	s_barrier
	buffer_gl0_inv
	ds_read_b64 v[0:1], v132 offset:440
	s_cmp_lt_i32 s7, 57
	s_cbranch_scc1 .LBB118_933
; %bb.931:
	v_add3_u32 v127, v133, 0, 0x1c0
	v_mov_b32_e32 v126, 55
	s_mov_b32 s0, 56
.LBB118_932:                            ; =>This Inner Loop Header: Depth=1
	ds_read_b64 v[136:137], v127
	v_add_nc_u32_e32 v127, 8, v127
	s_waitcnt lgkmcnt(0)
	v_cmp_lt_f64_e64 vcc_lo, |v[0:1]|, |v[136:137]|
	v_cndmask_b32_e32 v1, v1, v137, vcc_lo
	v_cndmask_b32_e32 v0, v0, v136, vcc_lo
	v_cndmask_b32_e64 v126, v126, s0, vcc_lo
	s_add_i32 s0, s0, 1
	s_cmp_lg_u32 s7, s0
	s_cbranch_scc1 .LBB118_932
.LBB118_933:
	s_mov_b32 s0, exec_lo
	s_waitcnt lgkmcnt(0)
	v_cmpx_eq_f64_e32 0, v[0:1]
	s_xor_b32 s0, exec_lo, s0
; %bb.934:
	v_cmp_ne_u32_e32 vcc_lo, 0, v129
	v_cndmask_b32_e32 v129, 56, v129, vcc_lo
; %bb.935:
	s_andn2_saveexec_b32 s0, s0
	s_cbranch_execz .LBB118_937
; %bb.936:
	v_div_scale_f64 v[127:128], null, v[0:1], v[0:1], 1.0
	v_rcp_f64_e32 v[136:137], v[127:128]
	v_fma_f64 v[138:139], -v[127:128], v[136:137], 1.0
	v_fma_f64 v[136:137], v[136:137], v[138:139], v[136:137]
	v_fma_f64 v[138:139], -v[127:128], v[136:137], 1.0
	v_fma_f64 v[136:137], v[136:137], v[138:139], v[136:137]
	v_div_scale_f64 v[138:139], vcc_lo, 1.0, v[0:1], 1.0
	v_mul_f64 v[140:141], v[138:139], v[136:137]
	v_fma_f64 v[127:128], -v[127:128], v[140:141], v[138:139]
	v_div_fmas_f64 v[127:128], v[127:128], v[136:137], v[140:141]
	v_div_fixup_f64 v[0:1], v[127:128], v[0:1], 1.0
.LBB118_937:
	s_or_b32 exec_lo, exec_lo, s0
	s_mov_b32 s0, exec_lo
	v_cmpx_ne_u32_e64 v135, v126
	s_xor_b32 s0, exec_lo, s0
	s_cbranch_execz .LBB118_943
; %bb.938:
	s_mov_b32 s1, exec_lo
	v_cmpx_eq_u32_e32 55, v135
	s_cbranch_execz .LBB118_942
; %bb.939:
	v_cmp_ne_u32_e32 vcc_lo, 55, v126
	s_xor_b32 s2, s6, -1
	s_and_b32 s3, s2, vcc_lo
	s_and_saveexec_b32 s2, s3
	s_cbranch_execz .LBB118_941
; %bb.940:
	v_ashrrev_i32_e32 v127, 31, v126
	v_lshlrev_b64 v[127:128], 2, v[126:127]
	v_add_co_u32 v127, vcc_lo, v4, v127
	v_add_co_ci_u32_e64 v128, null, v5, v128, vcc_lo
	s_clause 0x1
	global_load_dword v134, v[127:128], off
	global_load_dword v135, v[4:5], off offset:220
	s_waitcnt vmcnt(1)
	global_store_dword v[4:5], v134, off offset:220
	s_waitcnt vmcnt(0)
	global_store_dword v[127:128], v135, off
.LBB118_941:
	s_or_b32 exec_lo, exec_lo, s2
	v_mov_b32_e32 v134, v126
	v_mov_b32_e32 v135, v126
.LBB118_942:
	s_or_b32 exec_lo, exec_lo, s1
.LBB118_943:
	s_andn2_saveexec_b32 s0, s0
	s_cbranch_execz .LBB118_945
; %bb.944:
	v_mov_b32_e32 v126, v12
	v_mov_b32_e32 v127, v13
	;; [unrolled: 1-line block ×7, first 2 shown]
	ds_write2_b64 v132, v[126:127], v[136:137] offset0:56 offset1:57
	ds_write2_b64 v132, v[138:139], v[124:125] offset0:58 offset1:59
.LBB118_945:
	s_or_b32 exec_lo, exec_lo, s0
	s_mov_b32 s0, exec_lo
	s_waitcnt lgkmcnt(0)
	s_waitcnt_vscnt null, 0x0
	s_barrier
	buffer_gl0_inv
	v_cmpx_lt_i32_e32 55, v135
	s_cbranch_execz .LBB118_947
; %bb.946:
	v_mul_f64 v[8:9], v[0:1], v[8:9]
	ds_read2_b64 v[136:139], v132 offset0:56 offset1:57
	ds_read2_b64 v[140:143], v132 offset0:58 offset1:59
	s_waitcnt lgkmcnt(1)
	v_fma_f64 v[12:13], -v[8:9], v[136:137], v[12:13]
	v_fma_f64 v[6:7], -v[8:9], v[138:139], v[6:7]
	s_waitcnt lgkmcnt(0)
	v_fma_f64 v[10:11], -v[8:9], v[140:141], v[10:11]
	v_fma_f64 v[124:125], -v[8:9], v[142:143], v[124:125]
.LBB118_947:
	s_or_b32 exec_lo, exec_lo, s0
	v_lshl_add_u32 v0, v135, 3, v132
	s_barrier
	buffer_gl0_inv
	v_mov_b32_e32 v126, 56
	ds_write_b64 v0, v[12:13]
	s_waitcnt lgkmcnt(0)
	s_barrier
	buffer_gl0_inv
	ds_read_b64 v[0:1], v132 offset:448
	s_cmp_lt_i32 s7, 58
	s_cbranch_scc1 .LBB118_950
; %bb.948:
	v_add3_u32 v127, v133, 0, 0x1c8
	v_mov_b32_e32 v126, 56
	s_mov_b32 s0, 57
.LBB118_949:                            ; =>This Inner Loop Header: Depth=1
	ds_read_b64 v[136:137], v127
	v_add_nc_u32_e32 v127, 8, v127
	s_waitcnt lgkmcnt(0)
	v_cmp_lt_f64_e64 vcc_lo, |v[0:1]|, |v[136:137]|
	v_cndmask_b32_e32 v1, v1, v137, vcc_lo
	v_cndmask_b32_e32 v0, v0, v136, vcc_lo
	v_cndmask_b32_e64 v126, v126, s0, vcc_lo
	s_add_i32 s0, s0, 1
	s_cmp_lg_u32 s7, s0
	s_cbranch_scc1 .LBB118_949
.LBB118_950:
	s_mov_b32 s0, exec_lo
	s_waitcnt lgkmcnt(0)
	v_cmpx_eq_f64_e32 0, v[0:1]
	s_xor_b32 s0, exec_lo, s0
; %bb.951:
	v_cmp_ne_u32_e32 vcc_lo, 0, v129
	v_cndmask_b32_e32 v129, 57, v129, vcc_lo
; %bb.952:
	s_andn2_saveexec_b32 s0, s0
	s_cbranch_execz .LBB118_954
; %bb.953:
	v_div_scale_f64 v[127:128], null, v[0:1], v[0:1], 1.0
	v_rcp_f64_e32 v[136:137], v[127:128]
	v_fma_f64 v[138:139], -v[127:128], v[136:137], 1.0
	v_fma_f64 v[136:137], v[136:137], v[138:139], v[136:137]
	v_fma_f64 v[138:139], -v[127:128], v[136:137], 1.0
	v_fma_f64 v[136:137], v[136:137], v[138:139], v[136:137]
	v_div_scale_f64 v[138:139], vcc_lo, 1.0, v[0:1], 1.0
	v_mul_f64 v[140:141], v[138:139], v[136:137]
	v_fma_f64 v[127:128], -v[127:128], v[140:141], v[138:139]
	v_div_fmas_f64 v[127:128], v[127:128], v[136:137], v[140:141]
	v_div_fixup_f64 v[0:1], v[127:128], v[0:1], 1.0
.LBB118_954:
	s_or_b32 exec_lo, exec_lo, s0
	s_mov_b32 s0, exec_lo
	v_cmpx_ne_u32_e64 v135, v126
	s_xor_b32 s0, exec_lo, s0
	s_cbranch_execz .LBB118_960
; %bb.955:
	s_mov_b32 s1, exec_lo
	v_cmpx_eq_u32_e32 56, v135
	s_cbranch_execz .LBB118_959
; %bb.956:
	v_cmp_ne_u32_e32 vcc_lo, 56, v126
	s_xor_b32 s2, s6, -1
	s_and_b32 s3, s2, vcc_lo
	s_and_saveexec_b32 s2, s3
	s_cbranch_execz .LBB118_958
; %bb.957:
	v_ashrrev_i32_e32 v127, 31, v126
	v_lshlrev_b64 v[127:128], 2, v[126:127]
	v_add_co_u32 v127, vcc_lo, v4, v127
	v_add_co_ci_u32_e64 v128, null, v5, v128, vcc_lo
	s_clause 0x1
	global_load_dword v134, v[127:128], off
	global_load_dword v135, v[4:5], off offset:224
	s_waitcnt vmcnt(1)
	global_store_dword v[4:5], v134, off offset:224
	s_waitcnt vmcnt(0)
	global_store_dword v[127:128], v135, off
.LBB118_958:
	s_or_b32 exec_lo, exec_lo, s2
	v_mov_b32_e32 v134, v126
	v_mov_b32_e32 v135, v126
.LBB118_959:
	s_or_b32 exec_lo, exec_lo, s1
.LBB118_960:
	s_andn2_saveexec_b32 s0, s0
	s_cbranch_execz .LBB118_962
; %bb.961:
	v_mov_b32_e32 v135, 56
	ds_write2_b64 v132, v[6:7], v[10:11] offset0:57 offset1:58
	ds_write_b64 v132, v[124:125] offset:472
.LBB118_962:
	s_or_b32 exec_lo, exec_lo, s0
	s_mov_b32 s0, exec_lo
	s_waitcnt lgkmcnt(0)
	s_waitcnt_vscnt null, 0x0
	s_barrier
	buffer_gl0_inv
	v_cmpx_lt_i32_e32 56, v135
	s_cbranch_execz .LBB118_964
; %bb.963:
	v_mul_f64 v[12:13], v[0:1], v[12:13]
	ds_read2_b64 v[136:139], v132 offset0:57 offset1:58
	ds_read_b64 v[0:1], v132 offset:472
	s_waitcnt lgkmcnt(1)
	v_fma_f64 v[6:7], -v[12:13], v[136:137], v[6:7]
	v_fma_f64 v[10:11], -v[12:13], v[138:139], v[10:11]
	s_waitcnt lgkmcnt(0)
	v_fma_f64 v[124:125], -v[12:13], v[0:1], v[124:125]
.LBB118_964:
	s_or_b32 exec_lo, exec_lo, s0
	v_lshl_add_u32 v0, v135, 3, v132
	s_barrier
	buffer_gl0_inv
	v_mov_b32_e32 v126, 57
	ds_write_b64 v0, v[6:7]
	s_waitcnt lgkmcnt(0)
	s_barrier
	buffer_gl0_inv
	ds_read_b64 v[0:1], v132 offset:456
	s_cmp_lt_i32 s7, 59
	s_cbranch_scc1 .LBB118_967
; %bb.965:
	v_add3_u32 v127, v133, 0, 0x1d0
	v_mov_b32_e32 v126, 57
	s_mov_b32 s0, 58
.LBB118_966:                            ; =>This Inner Loop Header: Depth=1
	ds_read_b64 v[136:137], v127
	v_add_nc_u32_e32 v127, 8, v127
	s_waitcnt lgkmcnt(0)
	v_cmp_lt_f64_e64 vcc_lo, |v[0:1]|, |v[136:137]|
	v_cndmask_b32_e32 v1, v1, v137, vcc_lo
	v_cndmask_b32_e32 v0, v0, v136, vcc_lo
	v_cndmask_b32_e64 v126, v126, s0, vcc_lo
	s_add_i32 s0, s0, 1
	s_cmp_lg_u32 s7, s0
	s_cbranch_scc1 .LBB118_966
.LBB118_967:
	s_mov_b32 s0, exec_lo
	s_waitcnt lgkmcnt(0)
	v_cmpx_eq_f64_e32 0, v[0:1]
	s_xor_b32 s0, exec_lo, s0
; %bb.968:
	v_cmp_ne_u32_e32 vcc_lo, 0, v129
	v_cndmask_b32_e32 v129, 58, v129, vcc_lo
; %bb.969:
	s_andn2_saveexec_b32 s0, s0
	s_cbranch_execz .LBB118_971
; %bb.970:
	v_div_scale_f64 v[127:128], null, v[0:1], v[0:1], 1.0
	v_rcp_f64_e32 v[136:137], v[127:128]
	v_fma_f64 v[138:139], -v[127:128], v[136:137], 1.0
	v_fma_f64 v[136:137], v[136:137], v[138:139], v[136:137]
	v_fma_f64 v[138:139], -v[127:128], v[136:137], 1.0
	v_fma_f64 v[136:137], v[136:137], v[138:139], v[136:137]
	v_div_scale_f64 v[138:139], vcc_lo, 1.0, v[0:1], 1.0
	v_mul_f64 v[140:141], v[138:139], v[136:137]
	v_fma_f64 v[127:128], -v[127:128], v[140:141], v[138:139]
	v_div_fmas_f64 v[127:128], v[127:128], v[136:137], v[140:141]
	v_div_fixup_f64 v[0:1], v[127:128], v[0:1], 1.0
.LBB118_971:
	s_or_b32 exec_lo, exec_lo, s0
	s_mov_b32 s0, exec_lo
	v_cmpx_ne_u32_e64 v135, v126
	s_xor_b32 s0, exec_lo, s0
	s_cbranch_execz .LBB118_977
; %bb.972:
	s_mov_b32 s1, exec_lo
	v_cmpx_eq_u32_e32 57, v135
	s_cbranch_execz .LBB118_976
; %bb.973:
	v_cmp_ne_u32_e32 vcc_lo, 57, v126
	s_xor_b32 s2, s6, -1
	s_and_b32 s3, s2, vcc_lo
	s_and_saveexec_b32 s2, s3
	s_cbranch_execz .LBB118_975
; %bb.974:
	v_ashrrev_i32_e32 v127, 31, v126
	v_lshlrev_b64 v[127:128], 2, v[126:127]
	v_add_co_u32 v127, vcc_lo, v4, v127
	v_add_co_ci_u32_e64 v128, null, v5, v128, vcc_lo
	s_clause 0x1
	global_load_dword v134, v[127:128], off
	global_load_dword v135, v[4:5], off offset:228
	s_waitcnt vmcnt(1)
	global_store_dword v[4:5], v134, off offset:228
	s_waitcnt vmcnt(0)
	global_store_dword v[127:128], v135, off
.LBB118_975:
	s_or_b32 exec_lo, exec_lo, s2
	v_mov_b32_e32 v134, v126
	v_mov_b32_e32 v135, v126
.LBB118_976:
	s_or_b32 exec_lo, exec_lo, s1
.LBB118_977:
	s_andn2_saveexec_b32 s0, s0
	s_cbranch_execz .LBB118_979
; %bb.978:
	v_mov_b32_e32 v126, v10
	v_mov_b32_e32 v127, v11
	;; [unrolled: 1-line block ×3, first 2 shown]
	ds_write2_b64 v132, v[126:127], v[124:125] offset0:58 offset1:59
.LBB118_979:
	s_or_b32 exec_lo, exec_lo, s0
	s_mov_b32 s0, exec_lo
	s_waitcnt lgkmcnt(0)
	s_waitcnt_vscnt null, 0x0
	s_barrier
	buffer_gl0_inv
	v_cmpx_lt_i32_e32 57, v135
	s_cbranch_execz .LBB118_981
; %bb.980:
	v_mul_f64 v[6:7], v[0:1], v[6:7]
	ds_read2_b64 v[136:139], v132 offset0:58 offset1:59
	s_waitcnt lgkmcnt(0)
	v_fma_f64 v[10:11], -v[6:7], v[136:137], v[10:11]
	v_fma_f64 v[124:125], -v[6:7], v[138:139], v[124:125]
.LBB118_981:
	s_or_b32 exec_lo, exec_lo, s0
	v_lshl_add_u32 v0, v135, 3, v132
	s_barrier
	buffer_gl0_inv
	v_mov_b32_e32 v126, 58
	ds_write_b64 v0, v[10:11]
	s_waitcnt lgkmcnt(0)
	s_barrier
	buffer_gl0_inv
	ds_read_b64 v[0:1], v132 offset:464
	s_cmp_lt_i32 s7, 60
	s_cbranch_scc1 .LBB118_984
; %bb.982:
	v_add3_u32 v127, v133, 0, 0x1d8
	v_mov_b32_e32 v126, 58
	s_mov_b32 s0, 59
.LBB118_983:                            ; =>This Inner Loop Header: Depth=1
	ds_read_b64 v[136:137], v127
	v_add_nc_u32_e32 v127, 8, v127
	s_waitcnt lgkmcnt(0)
	v_cmp_lt_f64_e64 vcc_lo, |v[0:1]|, |v[136:137]|
	v_cndmask_b32_e32 v1, v1, v137, vcc_lo
	v_cndmask_b32_e32 v0, v0, v136, vcc_lo
	v_cndmask_b32_e64 v126, v126, s0, vcc_lo
	s_add_i32 s0, s0, 1
	s_cmp_lg_u32 s7, s0
	s_cbranch_scc1 .LBB118_983
.LBB118_984:
	s_mov_b32 s0, exec_lo
	s_waitcnt lgkmcnt(0)
	v_cmpx_eq_f64_e32 0, v[0:1]
	s_xor_b32 s0, exec_lo, s0
; %bb.985:
	v_cmp_ne_u32_e32 vcc_lo, 0, v129
	v_cndmask_b32_e32 v129, 59, v129, vcc_lo
; %bb.986:
	s_andn2_saveexec_b32 s0, s0
	s_cbranch_execz .LBB118_988
; %bb.987:
	v_div_scale_f64 v[127:128], null, v[0:1], v[0:1], 1.0
	v_rcp_f64_e32 v[136:137], v[127:128]
	v_fma_f64 v[138:139], -v[127:128], v[136:137], 1.0
	v_fma_f64 v[136:137], v[136:137], v[138:139], v[136:137]
	v_fma_f64 v[138:139], -v[127:128], v[136:137], 1.0
	v_fma_f64 v[136:137], v[136:137], v[138:139], v[136:137]
	v_div_scale_f64 v[138:139], vcc_lo, 1.0, v[0:1], 1.0
	v_mul_f64 v[140:141], v[138:139], v[136:137]
	v_fma_f64 v[127:128], -v[127:128], v[140:141], v[138:139]
	v_div_fmas_f64 v[127:128], v[127:128], v[136:137], v[140:141]
	v_div_fixup_f64 v[0:1], v[127:128], v[0:1], 1.0
.LBB118_988:
	s_or_b32 exec_lo, exec_lo, s0
	s_mov_b32 s0, exec_lo
	v_cmpx_ne_u32_e64 v135, v126
	s_xor_b32 s0, exec_lo, s0
	s_cbranch_execz .LBB118_994
; %bb.989:
	s_mov_b32 s1, exec_lo
	v_cmpx_eq_u32_e32 58, v135
	s_cbranch_execz .LBB118_993
; %bb.990:
	v_cmp_ne_u32_e32 vcc_lo, 58, v126
	s_xor_b32 s2, s6, -1
	s_and_b32 s3, s2, vcc_lo
	s_and_saveexec_b32 s2, s3
	s_cbranch_execz .LBB118_992
; %bb.991:
	v_ashrrev_i32_e32 v127, 31, v126
	v_lshlrev_b64 v[127:128], 2, v[126:127]
	v_add_co_u32 v127, vcc_lo, v4, v127
	v_add_co_ci_u32_e64 v128, null, v5, v128, vcc_lo
	s_clause 0x1
	global_load_dword v134, v[127:128], off
	global_load_dword v135, v[4:5], off offset:232
	s_waitcnt vmcnt(1)
	global_store_dword v[4:5], v134, off offset:232
	s_waitcnt vmcnt(0)
	global_store_dword v[127:128], v135, off
.LBB118_992:
	s_or_b32 exec_lo, exec_lo, s2
	v_mov_b32_e32 v134, v126
	v_mov_b32_e32 v135, v126
.LBB118_993:
	s_or_b32 exec_lo, exec_lo, s1
.LBB118_994:
	s_andn2_saveexec_b32 s0, s0
; %bb.995:
	v_mov_b32_e32 v135, 58
	ds_write_b64 v132, v[124:125] offset:472
; %bb.996:
	s_or_b32 exec_lo, exec_lo, s0
	s_mov_b32 s0, exec_lo
	s_waitcnt lgkmcnt(0)
	s_waitcnt_vscnt null, 0x0
	s_barrier
	buffer_gl0_inv
	v_cmpx_lt_i32_e32 58, v135
	s_cbranch_execz .LBB118_998
; %bb.997:
	v_mul_f64 v[10:11], v[0:1], v[10:11]
	ds_read_b64 v[0:1], v132 offset:472
	s_waitcnt lgkmcnt(0)
	v_fma_f64 v[124:125], -v[10:11], v[0:1], v[124:125]
.LBB118_998:
	s_or_b32 exec_lo, exec_lo, s0
	v_lshl_add_u32 v0, v135, 3, v132
	s_barrier
	buffer_gl0_inv
	v_mov_b32_e32 v126, 59
	ds_write_b64 v0, v[124:125]
	s_waitcnt lgkmcnt(0)
	s_barrier
	buffer_gl0_inv
	ds_read_b64 v[0:1], v132 offset:472
	s_cmp_lt_i32 s7, 61
	s_cbranch_scc1 .LBB118_1001
; %bb.999:
	v_add3_u32 v127, v133, 0, 0x1e0
	v_mov_b32_e32 v126, 59
	s_mov_b32 s0, 60
.LBB118_1000:                           ; =>This Inner Loop Header: Depth=1
	ds_read_b64 v[132:133], v127
	v_add_nc_u32_e32 v127, 8, v127
	s_waitcnt lgkmcnt(0)
	v_cmp_lt_f64_e64 vcc_lo, |v[0:1]|, |v[132:133]|
	v_cndmask_b32_e32 v1, v1, v133, vcc_lo
	v_cndmask_b32_e32 v0, v0, v132, vcc_lo
	v_cndmask_b32_e64 v126, v126, s0, vcc_lo
	s_add_i32 s0, s0, 1
	s_cmp_lg_u32 s7, s0
	s_cbranch_scc1 .LBB118_1000
.LBB118_1001:
	s_mov_b32 s0, exec_lo
	s_waitcnt lgkmcnt(0)
	v_cmpx_eq_f64_e32 0, v[0:1]
	s_xor_b32 s0, exec_lo, s0
; %bb.1002:
	v_cmp_ne_u32_e32 vcc_lo, 0, v129
	v_cndmask_b32_e32 v129, 60, v129, vcc_lo
; %bb.1003:
	s_andn2_saveexec_b32 s0, s0
	s_cbranch_execz .LBB118_1005
; %bb.1004:
	v_div_scale_f64 v[127:128], null, v[0:1], v[0:1], 1.0
	v_rcp_f64_e32 v[132:133], v[127:128]
	v_fma_f64 v[136:137], -v[127:128], v[132:133], 1.0
	v_fma_f64 v[132:133], v[132:133], v[136:137], v[132:133]
	v_fma_f64 v[136:137], -v[127:128], v[132:133], 1.0
	v_fma_f64 v[132:133], v[132:133], v[136:137], v[132:133]
	v_div_scale_f64 v[136:137], vcc_lo, 1.0, v[0:1], 1.0
	v_mul_f64 v[138:139], v[136:137], v[132:133]
	v_fma_f64 v[127:128], -v[127:128], v[138:139], v[136:137]
	v_div_fmas_f64 v[127:128], v[127:128], v[132:133], v[138:139]
	v_div_fixup_f64 v[0:1], v[127:128], v[0:1], 1.0
.LBB118_1005:
	s_or_b32 exec_lo, exec_lo, s0
	v_mov_b32_e32 v127, 59
	s_mov_b32 s0, exec_lo
	v_cmpx_ne_u32_e64 v135, v126
	s_cbranch_execz .LBB118_1011
; %bb.1006:
	s_mov_b32 s1, exec_lo
	v_cmpx_eq_u32_e32 59, v135
	s_cbranch_execz .LBB118_1010
; %bb.1007:
	v_cmp_ne_u32_e32 vcc_lo, 59, v126
	s_xor_b32 s2, s6, -1
	s_and_b32 s3, s2, vcc_lo
	s_and_saveexec_b32 s2, s3
	s_cbranch_execz .LBB118_1009
; %bb.1008:
	v_ashrrev_i32_e32 v127, 31, v126
	v_lshlrev_b64 v[127:128], 2, v[126:127]
	v_add_co_u32 v127, vcc_lo, v4, v127
	v_add_co_ci_u32_e64 v128, null, v5, v128, vcc_lo
	s_clause 0x1
	global_load_dword v132, v[127:128], off
	global_load_dword v133, v[4:5], off offset:236
	s_waitcnt vmcnt(1)
	global_store_dword v[4:5], v132, off offset:236
	s_waitcnt vmcnt(0)
	global_store_dword v[127:128], v133, off
.LBB118_1009:
	s_or_b32 exec_lo, exec_lo, s2
	v_mov_b32_e32 v134, v126
	v_mov_b32_e32 v135, v126
.LBB118_1010:
	s_or_b32 exec_lo, exec_lo, s1
	v_mov_b32_e32 v127, v135
.LBB118_1011:
	s_or_b32 exec_lo, exec_lo, s0
	s_load_dwordx8 s[0:7], s[4:5], 0x28
	v_ashrrev_i32_e32 v128, 31, v127
	s_mov_b32 s9, exec_lo
	s_waitcnt lgkmcnt(0)
	s_waitcnt_vscnt null, 0x0
	s_barrier
	buffer_gl0_inv
	s_barrier
	buffer_gl0_inv
	v_cmpx_gt_i32_e32 60, v127
	s_cbranch_execz .LBB118_1013
; %bb.1012:
	v_mul_lo_u32 v126, s5, v2
	v_mul_lo_u32 v132, s4, v3
	v_mad_u64_u32 v[4:5], null, s4, v2, 0
	s_lshl_b64 s[2:3], s[2:3], 2
	v_add3_u32 v5, v5, v132, v126
	v_lshlrev_b64 v[4:5], 2, v[4:5]
	v_add_co_u32 v126, vcc_lo, s0, v4
	v_add_co_ci_u32_e64 v132, null, s1, v5, vcc_lo
	v_lshlrev_b64 v[4:5], 2, v[127:128]
	v_add_co_u32 v126, vcc_lo, v126, s2
	v_add_co_ci_u32_e64 v132, null, s3, v132, vcc_lo
	v_add_co_u32 v4, vcc_lo, v126, v4
	v_add_co_ci_u32_e64 v5, null, v132, v5, vcc_lo
	v_add3_u32 v126, v134, s13, 1
	global_store_dword v[4:5], v126, off
.LBB118_1013:
	s_or_b32 exec_lo, exec_lo, s9
	s_mov_b32 s1, exec_lo
	v_cmpx_eq_u32_e32 0, v127
	s_cbranch_execz .LBB118_1016
; %bb.1014:
	v_lshlrev_b64 v[2:3], 2, v[2:3]
	v_cmp_ne_u32_e64 s0, 0, v129
	v_add_co_u32 v2, vcc_lo, s6, v2
	v_add_co_ci_u32_e64 v3, null, s7, v3, vcc_lo
	global_load_dword v4, v[2:3], off
	s_waitcnt vmcnt(0)
	v_cmp_eq_u32_e32 vcc_lo, 0, v4
	s_and_b32 s0, vcc_lo, s0
	s_and_b32 exec_lo, exec_lo, s0
	s_cbranch_execz .LBB118_1016
; %bb.1015:
	v_add_nc_u32_e32 v4, s13, v129
	global_store_dword v[2:3], v4, off
.LBB118_1016:
	s_or_b32 exec_lo, exec_lo, s1
	v_add3_u32 v2, s8, s8, v127
	v_lshlrev_b64 v[4:5], 3, v[127:128]
	v_mul_f64 v[0:1], v[0:1], v[124:125]
	v_cmp_lt_i32_e32 vcc_lo, 59, v127
	v_ashrrev_i32_e32 v3, 31, v2
	v_add_nc_u32_e32 v126, s8, v2
	v_add_co_u32 v4, s0, v130, v4
	v_add_co_ci_u32_e64 v5, null, v131, v5, s0
	v_lshlrev_b64 v[2:3], 3, v[2:3]
	v_add_co_u32 v132, s0, v4, s10
	v_add_co_ci_u32_e64 v133, null, s11, v5, s0
	v_add_nc_u32_e32 v128, s8, v126
	v_add_co_u32 v2, s0, v130, v2
	v_add_co_ci_u32_e64 v3, null, v131, v3, s0
	v_ashrrev_i32_e32 v127, 31, v126
	flat_store_dwordx2 v[4:5], v[122:123]
	flat_store_dwordx2 v[132:133], v[118:119]
	;; [unrolled: 1-line block ×3, first 2 shown]
	v_add_nc_u32_e32 v118, s8, v128
	v_ashrrev_i32_e32 v129, 31, v128
	v_lshlrev_b64 v[4:5], 3, v[126:127]
	v_cndmask_b32_e32 v1, v125, v1, vcc_lo
	v_cndmask_b32_e32 v0, v124, v0, vcc_lo
	v_add_nc_u32_e32 v120, s8, v118
	v_lshlrev_b64 v[2:3], 3, v[128:129]
	v_ashrrev_i32_e32 v119, 31, v118
	v_add_co_u32 v4, vcc_lo, v130, v4
	v_add_nc_u32_e32 v122, s8, v120
	v_add_co_ci_u32_e64 v5, null, v131, v5, vcc_lo
	v_add_co_u32 v2, vcc_lo, v130, v2
	v_ashrrev_i32_e32 v121, 31, v120
	v_add_co_ci_u32_e64 v3, null, v131, v3, vcc_lo
	v_ashrrev_i32_e32 v123, 31, v122
	v_lshlrev_b64 v[118:119], 3, v[118:119]
	flat_store_dwordx2 v[4:5], v[114:115]
	flat_store_dwordx2 v[2:3], v[116:117]
	v_lshlrev_b64 v[2:3], 3, v[120:121]
	v_add_nc_u32_e32 v116, s8, v122
	v_lshlrev_b64 v[114:115], 3, v[122:123]
	v_add_co_u32 v4, vcc_lo, v130, v118
	v_add_co_ci_u32_e64 v5, null, v131, v119, vcc_lo
	v_add_co_u32 v2, vcc_lo, v130, v2
	v_add_co_ci_u32_e64 v3, null, v131, v3, vcc_lo
	v_add_co_u32 v114, vcc_lo, v130, v114
	v_add_nc_u32_e32 v118, s8, v116
	v_add_co_ci_u32_e64 v115, null, v131, v115, vcc_lo
	v_ashrrev_i32_e32 v117, 31, v116
	flat_store_dwordx2 v[4:5], v[112:113]
	flat_store_dwordx2 v[2:3], v[110:111]
	flat_store_dwordx2 v[114:115], v[108:109]
	v_add_nc_u32_e32 v108, s8, v118
	v_ashrrev_i32_e32 v119, 31, v118
	v_lshlrev_b64 v[4:5], 3, v[116:117]
	v_add_nc_u32_e32 v110, s8, v108
	v_lshlrev_b64 v[2:3], 3, v[118:119]
	v_ashrrev_i32_e32 v109, 31, v108
	v_add_co_u32 v4, vcc_lo, v130, v4
	v_add_nc_u32_e32 v112, s8, v110
	v_add_co_ci_u32_e64 v5, null, v131, v5, vcc_lo
	v_add_co_u32 v2, vcc_lo, v130, v2
	v_ashrrev_i32_e32 v111, 31, v110
	v_add_co_ci_u32_e64 v3, null, v131, v3, vcc_lo
	v_ashrrev_i32_e32 v113, 31, v112
	v_lshlrev_b64 v[108:109], 3, v[108:109]
	flat_store_dwordx2 v[4:5], v[106:107]
	flat_store_dwordx2 v[2:3], v[104:105]
	v_lshlrev_b64 v[2:3], 3, v[110:111]
	v_add_nc_u32_e32 v106, s8, v112
	v_lshlrev_b64 v[104:105], 3, v[112:113]
	v_add_co_u32 v4, vcc_lo, v130, v108
	v_add_co_ci_u32_e64 v5, null, v131, v109, vcc_lo
	v_add_co_u32 v2, vcc_lo, v130, v2
	v_add_co_ci_u32_e64 v3, null, v131, v3, vcc_lo
	v_add_co_u32 v104, vcc_lo, v130, v104
	v_add_nc_u32_e32 v108, s8, v106
	v_add_co_ci_u32_e64 v105, null, v131, v105, vcc_lo
	v_ashrrev_i32_e32 v107, 31, v106
	flat_store_dwordx2 v[4:5], v[102:103]
	flat_store_dwordx2 v[2:3], v[98:99]
	flat_store_dwordx2 v[104:105], v[100:101]
	v_add_nc_u32_e32 v98, s8, v108
	v_ashrrev_i32_e32 v109, 31, v108
	v_lshlrev_b64 v[4:5], 3, v[106:107]
	;; [unrolled: 30-line block ×9, first 2 shown]
	v_add_nc_u32_e32 v30, s8, v28
	v_lshlrev_b64 v[2:3], 3, v[38:39]
	v_ashrrev_i32_e32 v29, 31, v28
	v_add_co_u32 v4, vcc_lo, v130, v4
	v_add_nc_u32_e32 v32, s8, v30
	v_add_co_ci_u32_e64 v5, null, v131, v5, vcc_lo
	v_add_co_u32 v2, vcc_lo, v130, v2
	v_ashrrev_i32_e32 v31, 31, v30
	v_add_co_ci_u32_e64 v3, null, v131, v3, vcc_lo
	v_ashrrev_i32_e32 v33, 31, v32
	v_lshlrev_b64 v[28:29], 3, v[28:29]
	flat_store_dwordx2 v[4:5], v[26:27]
	flat_store_dwordx2 v[2:3], v[24:25]
	v_lshlrev_b64 v[2:3], 3, v[30:31]
	v_add_nc_u32_e32 v26, s8, v32
	v_lshlrev_b64 v[24:25], 3, v[32:33]
	v_add_co_u32 v4, vcc_lo, v130, v28
	v_add_co_ci_u32_e64 v5, null, v131, v29, vcc_lo
	v_add_co_u32 v2, vcc_lo, v130, v2
	v_add_nc_u32_e32 v28, s8, v26
	v_add_co_ci_u32_e64 v3, null, v131, v3, vcc_lo
	v_add_co_u32 v24, vcc_lo, v130, v24
	v_ashrrev_i32_e32 v27, 31, v26
	v_add_co_ci_u32_e64 v25, null, v131, v25, vcc_lo
	v_ashrrev_i32_e32 v29, 31, v28
	flat_store_dwordx2 v[4:5], v[22:23]
	v_lshlrev_b64 v[4:5], 3, v[26:27]
	flat_store_dwordx2 v[2:3], v[18:19]
	flat_store_dwordx2 v[24:25], v[20:21]
	v_add_nc_u32_e32 v18, s8, v28
	v_lshlrev_b64 v[2:3], 3, v[28:29]
	v_add_co_u32 v4, vcc_lo, v130, v4
	v_add_nc_u32_e32 v20, s8, v18
	v_add_co_ci_u32_e64 v5, null, v131, v5, vcc_lo
	v_add_co_u32 v2, vcc_lo, v130, v2
	v_add_co_ci_u32_e64 v3, null, v131, v3, vcc_lo
	v_add_nc_u32_e32 v22, s8, v20
	v_ashrrev_i32_e32 v19, 31, v18
	flat_store_dwordx2 v[4:5], v[16:17]
	flat_store_dwordx2 v[2:3], v[14:15]
	v_ashrrev_i32_e32 v21, 31, v20
	v_add_nc_u32_e32 v14, s8, v22
	v_lshlrev_b64 v[4:5], 3, v[18:19]
	v_ashrrev_i32_e32 v23, 31, v22
	v_lshlrev_b64 v[2:3], 3, v[20:21]
	v_add_nc_u32_e32 v18, s8, v14
	v_ashrrev_i32_e32 v15, 31, v14
	v_lshlrev_b64 v[16:17], 3, v[22:23]
	v_add_co_u32 v4, vcc_lo, v130, v4
	v_ashrrev_i32_e32 v19, 31, v18
	v_lshlrev_b64 v[14:15], 3, v[14:15]
	v_add_co_ci_u32_e64 v5, null, v131, v5, vcc_lo
	v_add_co_u32 v2, vcc_lo, v130, v2
	v_lshlrev_b64 v[18:19], 3, v[18:19]
	v_add_co_ci_u32_e64 v3, null, v131, v3, vcc_lo
	v_add_co_u32 v16, vcc_lo, v130, v16
	v_add_co_ci_u32_e64 v17, null, v131, v17, vcc_lo
	v_add_co_u32 v14, vcc_lo, v130, v14
	;; [unrolled: 2-line block ×3, first 2 shown]
	v_add_co_ci_u32_e64 v19, null, v131, v19, vcc_lo
	flat_store_dwordx2 v[4:5], v[8:9]
	flat_store_dwordx2 v[2:3], v[12:13]
	;; [unrolled: 1-line block ×5, first 2 shown]
.LBB118_1017:
	s_endpgm
	.section	.rodata,"a",@progbits
	.p2align	6, 0x0
	.amdhsa_kernel _ZN9rocsolver6v33100L18getf2_small_kernelILi60EdiiPKPdEEvT1_T3_lS5_lPS5_llPT2_S5_S5_S7_l
		.amdhsa_group_segment_fixed_size 0
		.amdhsa_private_segment_fixed_size 0
		.amdhsa_kernarg_size 352
		.amdhsa_user_sgpr_count 6
		.amdhsa_user_sgpr_private_segment_buffer 1
		.amdhsa_user_sgpr_dispatch_ptr 0
		.amdhsa_user_sgpr_queue_ptr 0
		.amdhsa_user_sgpr_kernarg_segment_ptr 1
		.amdhsa_user_sgpr_dispatch_id 0
		.amdhsa_user_sgpr_flat_scratch_init 0
		.amdhsa_user_sgpr_private_segment_size 0
		.amdhsa_wavefront_size32 1
		.amdhsa_uses_dynamic_stack 0
		.amdhsa_system_sgpr_private_segment_wavefront_offset 0
		.amdhsa_system_sgpr_workgroup_id_x 1
		.amdhsa_system_sgpr_workgroup_id_y 1
		.amdhsa_system_sgpr_workgroup_id_z 0
		.amdhsa_system_sgpr_workgroup_info 0
		.amdhsa_system_vgpr_workitem_id 1
		.amdhsa_next_free_vgpr 248
		.amdhsa_next_free_sgpr 14
		.amdhsa_reserve_vcc 1
		.amdhsa_reserve_flat_scratch 1
		.amdhsa_float_round_mode_32 0
		.amdhsa_float_round_mode_16_64 0
		.amdhsa_float_denorm_mode_32 3
		.amdhsa_float_denorm_mode_16_64 3
		.amdhsa_dx10_clamp 1
		.amdhsa_ieee_mode 1
		.amdhsa_fp16_overflow 0
		.amdhsa_workgroup_processor_mode 1
		.amdhsa_memory_ordered 1
		.amdhsa_forward_progress 1
		.amdhsa_shared_vgpr_count 0
		.amdhsa_exception_fp_ieee_invalid_op 0
		.amdhsa_exception_fp_denorm_src 0
		.amdhsa_exception_fp_ieee_div_zero 0
		.amdhsa_exception_fp_ieee_overflow 0
		.amdhsa_exception_fp_ieee_underflow 0
		.amdhsa_exception_fp_ieee_inexact 0
		.amdhsa_exception_int_div_zero 0
	.end_amdhsa_kernel
	.section	.text._ZN9rocsolver6v33100L18getf2_small_kernelILi60EdiiPKPdEEvT1_T3_lS5_lPS5_llPT2_S5_S5_S7_l,"axG",@progbits,_ZN9rocsolver6v33100L18getf2_small_kernelILi60EdiiPKPdEEvT1_T3_lS5_lPS5_llPT2_S5_S5_S7_l,comdat
.Lfunc_end118:
	.size	_ZN9rocsolver6v33100L18getf2_small_kernelILi60EdiiPKPdEEvT1_T3_lS5_lPS5_llPT2_S5_S5_S7_l, .Lfunc_end118-_ZN9rocsolver6v33100L18getf2_small_kernelILi60EdiiPKPdEEvT1_T3_lS5_lPS5_llPT2_S5_S5_S7_l
                                        ; -- End function
	.set _ZN9rocsolver6v33100L18getf2_small_kernelILi60EdiiPKPdEEvT1_T3_lS5_lPS5_llPT2_S5_S5_S7_l.num_vgpr, 248
	.set _ZN9rocsolver6v33100L18getf2_small_kernelILi60EdiiPKPdEEvT1_T3_lS5_lPS5_llPT2_S5_S5_S7_l.num_agpr, 0
	.set _ZN9rocsolver6v33100L18getf2_small_kernelILi60EdiiPKPdEEvT1_T3_lS5_lPS5_llPT2_S5_S5_S7_l.numbered_sgpr, 14
	.set _ZN9rocsolver6v33100L18getf2_small_kernelILi60EdiiPKPdEEvT1_T3_lS5_lPS5_llPT2_S5_S5_S7_l.num_named_barrier, 0
	.set _ZN9rocsolver6v33100L18getf2_small_kernelILi60EdiiPKPdEEvT1_T3_lS5_lPS5_llPT2_S5_S5_S7_l.private_seg_size, 0
	.set _ZN9rocsolver6v33100L18getf2_small_kernelILi60EdiiPKPdEEvT1_T3_lS5_lPS5_llPT2_S5_S5_S7_l.uses_vcc, 1
	.set _ZN9rocsolver6v33100L18getf2_small_kernelILi60EdiiPKPdEEvT1_T3_lS5_lPS5_llPT2_S5_S5_S7_l.uses_flat_scratch, 1
	.set _ZN9rocsolver6v33100L18getf2_small_kernelILi60EdiiPKPdEEvT1_T3_lS5_lPS5_llPT2_S5_S5_S7_l.has_dyn_sized_stack, 0
	.set _ZN9rocsolver6v33100L18getf2_small_kernelILi60EdiiPKPdEEvT1_T3_lS5_lPS5_llPT2_S5_S5_S7_l.has_recursion, 0
	.set _ZN9rocsolver6v33100L18getf2_small_kernelILi60EdiiPKPdEEvT1_T3_lS5_lPS5_llPT2_S5_S5_S7_l.has_indirect_call, 0
	.section	.AMDGPU.csdata,"",@progbits
; Kernel info:
; codeLenInByte = 71356
; TotalNumSgprs: 16
; NumVgprs: 248
; ScratchSize: 0
; MemoryBound: 0
; FloatMode: 240
; IeeeMode: 1
; LDSByteSize: 0 bytes/workgroup (compile time only)
; SGPRBlocks: 0
; VGPRBlocks: 30
; NumSGPRsForWavesPerEU: 16
; NumVGPRsForWavesPerEU: 248
; Occupancy: 4
; WaveLimiterHint : 1
; COMPUTE_PGM_RSRC2:SCRATCH_EN: 0
; COMPUTE_PGM_RSRC2:USER_SGPR: 6
; COMPUTE_PGM_RSRC2:TRAP_HANDLER: 0
; COMPUTE_PGM_RSRC2:TGID_X_EN: 1
; COMPUTE_PGM_RSRC2:TGID_Y_EN: 1
; COMPUTE_PGM_RSRC2:TGID_Z_EN: 0
; COMPUTE_PGM_RSRC2:TIDIG_COMP_CNT: 1
	.section	.text._ZN9rocsolver6v33100L23getf2_npvt_small_kernelILi60EdiiPKPdEEvT1_T3_lS5_lPT2_S5_S5_,"axG",@progbits,_ZN9rocsolver6v33100L23getf2_npvt_small_kernelILi60EdiiPKPdEEvT1_T3_lS5_lPT2_S5_S5_,comdat
	.globl	_ZN9rocsolver6v33100L23getf2_npvt_small_kernelILi60EdiiPKPdEEvT1_T3_lS5_lPT2_S5_S5_ ; -- Begin function _ZN9rocsolver6v33100L23getf2_npvt_small_kernelILi60EdiiPKPdEEvT1_T3_lS5_lPT2_S5_S5_
	.p2align	8
	.type	_ZN9rocsolver6v33100L23getf2_npvt_small_kernelILi60EdiiPKPdEEvT1_T3_lS5_lPT2_S5_S5_,@function
_ZN9rocsolver6v33100L23getf2_npvt_small_kernelILi60EdiiPKPdEEvT1_T3_lS5_lPT2_S5_S5_: ; @_ZN9rocsolver6v33100L23getf2_npvt_small_kernelILi60EdiiPKPdEEvT1_T3_lS5_lPT2_S5_S5_
; %bb.0:
	s_mov_b64 s[14:15], s[2:3]
	s_mov_b64 s[12:13], s[0:1]
	s_add_u32 s12, s12, s8
	s_clause 0x1
	s_load_dword s0, s[4:5], 0x44
	s_load_dwordx2 s[8:9], s[4:5], 0x30
	s_addc_u32 s13, s13, 0
	s_waitcnt lgkmcnt(0)
	s_lshr_b32 s10, s0, 16
	s_mov_b32 s0, exec_lo
	v_mad_u64_u32 v[2:3], null, s7, s10, v[1:2]
	v_cmpx_gt_i32_e64 s8, v2
	s_cbranch_execz .LBB119_303
; %bb.1:
	s_clause 0x1
	s_load_dwordx4 s[0:3], s[4:5], 0x8
	s_load_dword s6, s[4:5], 0x18
	v_ashrrev_i32_e32 v3, 31, v2
	s_mulk_i32 s10, 0x1e0
	v_lshlrev_b64 v[4:5], 3, v[2:3]
	s_waitcnt lgkmcnt(0)
	v_add_co_u32 v4, vcc_lo, s0, v4
	v_add_co_ci_u32_e64 v5, null, s1, v5, vcc_lo
	v_add3_u32 v6, s6, s6, v0
	s_lshl_b64 s[0:1], s[2:3], 3
	s_ashr_i32 s7, s6, 31
	global_load_dwordx2 v[4:5], v[4:5], off
	v_add_nc_u32_e32 v8, s6, v6
	v_ashrrev_i32_e32 v7, 31, v6
	v_add_nc_u32_e32 v10, s6, v8
	v_ashrrev_i32_e32 v9, 31, v8
	v_lshlrev_b64 v[6:7], 3, v[6:7]
	v_add_nc_u32_e32 v12, s6, v10
	v_ashrrev_i32_e32 v11, 31, v10
	v_lshlrev_b64 v[8:9], 3, v[8:9]
	v_add_nc_u32_e32 v14, s6, v12
	v_ashrrev_i32_e32 v13, 31, v12
	v_lshlrev_b64 v[10:11], 3, v[10:11]
	v_add_nc_u32_e32 v16, s6, v14
	v_ashrrev_i32_e32 v15, 31, v14
	v_lshlrev_b64 v[12:13], 3, v[12:13]
	v_add_nc_u32_e32 v18, s6, v16
	v_ashrrev_i32_e32 v17, 31, v16
	v_lshlrev_b64 v[14:15], 3, v[14:15]
	v_add_nc_u32_e32 v20, s6, v18
	v_ashrrev_i32_e32 v19, 31, v18
	v_lshlrev_b64 v[16:17], 3, v[16:17]
	v_add_nc_u32_e32 v22, s6, v20
	v_ashrrev_i32_e32 v21, 31, v20
	v_lshlrev_b64 v[18:19], 3, v[18:19]
	v_add_nc_u32_e32 v24, s6, v22
	v_ashrrev_i32_e32 v23, 31, v22
	v_lshlrev_b64 v[20:21], 3, v[20:21]
	v_add_nc_u32_e32 v26, s6, v24
	v_ashrrev_i32_e32 v25, 31, v24
	v_lshlrev_b64 v[22:23], 3, v[22:23]
	v_add_nc_u32_e32 v28, s6, v26
	v_ashrrev_i32_e32 v27, 31, v26
	v_lshlrev_b64 v[24:25], 3, v[24:25]
	v_add_nc_u32_e32 v30, s6, v28
	v_ashrrev_i32_e32 v29, 31, v28
	v_lshlrev_b64 v[26:27], 3, v[26:27]
	v_add_nc_u32_e32 v32, s6, v30
	v_ashrrev_i32_e32 v31, 31, v30
	v_lshlrev_b64 v[28:29], 3, v[28:29]
	v_add_nc_u32_e32 v34, s6, v32
	v_ashrrev_i32_e32 v33, 31, v32
	v_lshlrev_b64 v[30:31], 3, v[30:31]
	v_add_nc_u32_e32 v36, s6, v34
	v_ashrrev_i32_e32 v35, 31, v34
	v_lshlrev_b64 v[32:33], 3, v[32:33]
	v_add_nc_u32_e32 v38, s6, v36
	v_ashrrev_i32_e32 v37, 31, v36
	v_lshlrev_b64 v[34:35], 3, v[34:35]
	v_add_nc_u32_e32 v40, s6, v38
	v_ashrrev_i32_e32 v39, 31, v38
	v_lshlrev_b64 v[36:37], 3, v[36:37]
	v_add_nc_u32_e32 v42, s6, v40
	v_ashrrev_i32_e32 v41, 31, v40
	v_lshlrev_b64 v[38:39], 3, v[38:39]
	v_add_nc_u32_e32 v44, s6, v42
	v_ashrrev_i32_e32 v43, 31, v42
	v_lshlrev_b64 v[40:41], 3, v[40:41]
	v_add_nc_u32_e32 v46, s6, v44
	v_ashrrev_i32_e32 v45, 31, v44
	v_lshlrev_b64 v[42:43], 3, v[42:43]
	v_add_nc_u32_e32 v48, s6, v46
	v_ashrrev_i32_e32 v47, 31, v46
	v_lshlrev_b64 v[44:45], 3, v[44:45]
	v_add_nc_u32_e32 v50, s6, v48
	v_ashrrev_i32_e32 v49, 31, v48
	v_lshlrev_b64 v[46:47], 3, v[46:47]
	v_add_nc_u32_e32 v52, s6, v50
	v_ashrrev_i32_e32 v51, 31, v50
	v_lshlrev_b64 v[48:49], 3, v[48:49]
	v_add_nc_u32_e32 v54, s6, v52
	v_ashrrev_i32_e32 v53, 31, v52
	v_lshlrev_b64 v[50:51], 3, v[50:51]
	v_add_nc_u32_e32 v56, s6, v54
	v_ashrrev_i32_e32 v55, 31, v54
	v_lshlrev_b64 v[52:53], 3, v[52:53]
	v_add_nc_u32_e32 v58, s6, v56
	v_ashrrev_i32_e32 v57, 31, v56
	v_lshlrev_b64 v[54:55], 3, v[54:55]
	v_add_nc_u32_e32 v60, s6, v58
	v_ashrrev_i32_e32 v59, 31, v58
	v_lshlrev_b64 v[56:57], 3, v[56:57]
	v_add_nc_u32_e32 v62, s6, v60
	v_ashrrev_i32_e32 v61, 31, v60
	v_lshlrev_b64 v[58:59], 3, v[58:59]
	v_add_nc_u32_e32 v64, s6, v62
	v_ashrrev_i32_e32 v63, 31, v62
	v_lshlrev_b64 v[60:61], 3, v[60:61]
	v_add_nc_u32_e32 v66, s6, v64
	v_ashrrev_i32_e32 v65, 31, v64
	v_lshlrev_b64 v[62:63], 3, v[62:63]
	v_add_nc_u32_e32 v68, s6, v66
	v_ashrrev_i32_e32 v67, 31, v66
	v_lshlrev_b64 v[64:65], 3, v[64:65]
	v_add_nc_u32_e32 v70, s6, v68
	v_ashrrev_i32_e32 v69, 31, v68
	v_lshlrev_b64 v[66:67], 3, v[66:67]
	v_add_nc_u32_e32 v72, s6, v70
	v_ashrrev_i32_e32 v71, 31, v70
	v_lshlrev_b64 v[68:69], 3, v[68:69]
	v_add_nc_u32_e32 v74, s6, v72
	v_ashrrev_i32_e32 v73, 31, v72
	v_lshlrev_b64 v[70:71], 3, v[70:71]
	v_add_nc_u32_e32 v76, s6, v74
	v_ashrrev_i32_e32 v75, 31, v74
	v_lshlrev_b64 v[72:73], 3, v[72:73]
	v_add_nc_u32_e32 v78, s6, v76
	v_ashrrev_i32_e32 v77, 31, v76
	v_lshlrev_b64 v[74:75], 3, v[74:75]
	v_add_nc_u32_e32 v80, s6, v78
	v_ashrrev_i32_e32 v79, 31, v78
	v_lshlrev_b64 v[76:77], 3, v[76:77]
	v_add_nc_u32_e32 v82, s6, v80
	v_ashrrev_i32_e32 v81, 31, v80
	v_lshlrev_b64 v[78:79], 3, v[78:79]
	v_add_nc_u32_e32 v84, s6, v82
	v_ashrrev_i32_e32 v83, 31, v82
	v_lshlrev_b64 v[80:81], 3, v[80:81]
	v_add_nc_u32_e32 v86, s6, v84
	v_ashrrev_i32_e32 v85, 31, v84
	v_lshlrev_b64 v[82:83], 3, v[82:83]
	v_add_nc_u32_e32 v88, s6, v86
	v_ashrrev_i32_e32 v87, 31, v86
	v_lshlrev_b64 v[84:85], 3, v[84:85]
	v_add_nc_u32_e32 v90, s6, v88
	v_ashrrev_i32_e32 v89, 31, v88
	v_lshlrev_b64 v[86:87], 3, v[86:87]
	v_add_nc_u32_e32 v92, s6, v90
	v_ashrrev_i32_e32 v91, 31, v90
	v_lshlrev_b64 v[88:89], 3, v[88:89]
	v_add_nc_u32_e32 v94, s6, v92
	v_ashrrev_i32_e32 v93, 31, v92
	v_lshlrev_b64 v[90:91], 3, v[90:91]
	v_add_nc_u32_e32 v96, s6, v94
	v_ashrrev_i32_e32 v95, 31, v94
	v_lshlrev_b64 v[92:93], 3, v[92:93]
	v_add_nc_u32_e32 v98, s6, v96
	v_ashrrev_i32_e32 v97, 31, v96
	v_lshlrev_b64 v[94:95], 3, v[94:95]
	v_add_nc_u32_e32 v100, s6, v98
	v_ashrrev_i32_e32 v99, 31, v98
	v_lshlrev_b64 v[96:97], 3, v[96:97]
	v_add_nc_u32_e32 v102, s6, v100
	v_ashrrev_i32_e32 v101, 31, v100
	v_lshlrev_b64 v[98:99], 3, v[98:99]
	v_add_nc_u32_e32 v104, s6, v102
	v_ashrrev_i32_e32 v103, 31, v102
	v_lshlrev_b64 v[100:101], 3, v[100:101]
	v_ashrrev_i32_e32 v105, 31, v104
	v_lshlrev_b64 v[102:103], 3, v[102:103]
	s_waitcnt vmcnt(0)
	v_add_co_u32 v118, vcc_lo, v4, s0
	v_add_co_ci_u32_e64 v119, null, s1, v5, vcc_lo
	s_lshl_b64 s[0:1], s[6:7], 3
	v_add_co_u32 v4, vcc_lo, v118, v6
	v_add_co_ci_u32_e64 v5, null, v119, v7, vcc_lo
	v_add_co_u32 v6, vcc_lo, v118, v8
	v_add_co_ci_u32_e64 v7, null, v119, v9, vcc_lo
	;; [unrolled: 2-line block ×37, first 2 shown]
	v_mov_b32_e32 v79, v13
	v_mov_b32_e32 v78, v12
	v_add_co_u32 v12, vcc_lo, v118, v80
	v_add_co_ci_u32_e64 v13, null, v119, v81, vcc_lo
	v_mov_b32_e32 v81, v15
	v_mov_b32_e32 v80, v14
	v_add_co_u32 v14, vcc_lo, v118, v82
	v_add_co_ci_u32_e64 v15, null, v119, v83, vcc_lo
	;; [unrolled: 4-line block ×7, first 2 shown]
	v_mov_b32_e32 v93, v27
	v_mov_b32_e32 v92, v26
	v_add_co_u32 v26, vcc_lo, v118, v94
	v_mov_b32_e32 v63, v5
	v_mov_b32_e32 v62, v4
	v_add_co_ci_u32_e64 v27, null, v119, v95, vcc_lo
	v_mov_b32_e32 v95, v29
	v_add_nc_u32_e32 v4, s6, v104
	v_mov_b32_e32 v94, v28
	v_add_co_u32 v28, vcc_lo, v118, v96
	v_add_co_ci_u32_e64 v29, null, v119, v97, vcc_lo
	v_mov_b32_e32 v97, v31
	v_mov_b32_e32 v67, v9
	v_mov_b32_e32 v96, v30
	v_add_co_u32 v30, vcc_lo, v118, v98
	v_mov_b32_e32 v66, v8
	v_add_nc_u32_e32 v8, s6, v4
	v_mov_b32_e32 v65, v7
	v_add_co_ci_u32_e64 v31, null, v119, v99, vcc_lo
	v_mov_b32_e32 v99, v33
	v_mov_b32_e32 v64, v6
	;; [unrolled: 1-line block ×3, first 2 shown]
	v_add_co_u32 v32, vcc_lo, v118, v100
	v_lshlrev_b64 v[6:7], 3, v[104:105]
	v_ashrrev_i32_e32 v5, 31, v4
	v_mov_b32_e32 v77, v11
	v_add_co_ci_u32_e64 v33, null, v119, v101, vcc_lo
	v_mov_b32_e32 v101, v35
	v_mov_b32_e32 v76, v10
	v_mov_b32_e32 v100, v34
	v_add_co_u32 v34, vcc_lo, v118, v102
	v_ashrrev_i32_e32 v9, 31, v8
	v_add_nc_u32_e32 v10, s6, v8
	v_add_co_ci_u32_e64 v35, null, v119, v103, vcc_lo
	v_mov_b32_e32 v103, v37
	v_lshlrev_b64 v[4:5], 3, v[4:5]
	v_mov_b32_e32 v102, v36
	v_add_co_u32 v36, vcc_lo, v118, v6
	v_add_co_ci_u32_e64 v37, null, v119, v7, vcc_lo
	v_lshlrev_b64 v[6:7], 3, v[8:9]
	v_ashrrev_i32_e32 v11, 31, v10
	v_add_nc_u32_e32 v8, s6, v10
	v_mov_b32_e32 v105, v39
	v_mov_b32_e32 v104, v38
	v_add_co_u32 v38, vcc_lo, v118, v4
	v_add_co_ci_u32_e64 v39, null, v119, v5, vcc_lo
	v_lshlrev_b64 v[4:5], 3, v[10:11]
	v_ashrrev_i32_e32 v9, 31, v8
	v_add_nc_u32_e32 v10, s6, v8
	v_add_co_u32 v52, vcc_lo, v118, v6
	v_add_co_ci_u32_e64 v53, null, v119, v7, vcc_lo
	v_lshlrev_b64 v[6:7], 3, v[8:9]
	v_ashrrev_i32_e32 v11, 31, v10
	v_add_nc_u32_e32 v8, s6, v10
	v_add_co_u32 v54, vcc_lo, v118, v4
	v_add_co_ci_u32_e64 v55, null, v119, v5, vcc_lo
	v_lshlrev_b64 v[4:5], 3, v[10:11]
	v_add_nc_u32_e32 v10, s6, v8
	v_ashrrev_i32_e32 v9, 31, v8
	v_add_co_u32 v56, vcc_lo, v118, v6
	v_add_co_ci_u32_e64 v57, null, v119, v7, vcc_lo
	v_ashrrev_i32_e32 v11, 31, v10
	v_lshlrev_b64 v[6:7], 3, v[8:9]
	v_add_co_u32 v58, vcc_lo, v118, v4
	v_add_co_ci_u32_e64 v59, null, v119, v5, vcc_lo
	v_lshlrev_b64 v[4:5], 3, v[10:11]
	v_add_nc_u32_e32 v8, s6, v10
	v_add_co_u32 v10, vcc_lo, v118, v6
	v_lshlrev_b32_e32 v6, 3, v0
	v_add_co_ci_u32_e64 v11, null, v119, v7, vcc_lo
	v_add_co_u32 v60, vcc_lo, v118, v4
	v_add_co_ci_u32_e64 v61, null, v119, v5, vcc_lo
	v_add_co_u32 v71, vcc_lo, v118, v6
	v_add_co_ci_u32_e64 v72, null, 0, v119, vcc_lo
	v_ashrrev_i32_e32 v9, 31, v8
	v_add_co_u32 v6, vcc_lo, v71, s0
	v_add_co_ci_u32_e64 v7, null, s1, v72, vcc_lo
	flat_load_dwordx2 v[204:205], v[71:72]
	buffer_store_dword v6, off, s[12:15], 0 offset:208 ; 4-byte Folded Spill
	buffer_store_dword v7, off, s[12:15], 0 offset:212 ; 4-byte Folded Spill
	v_lshlrev_b64 v[4:5], 3, v[8:9]
	v_mov_b32_e32 v74, v41
	v_mov_b32_e32 v73, v40
	v_cmp_ne_u32_e64 s1, 0, v0
	v_cmp_eq_u32_e64 s0, 0, v0
	v_add_co_u32 v4, vcc_lo, v118, v4
	v_add_co_ci_u32_e64 v5, null, v119, v5, vcc_lo
	flat_load_dwordx2 v[222:223], v[6:7]
	buffer_store_dword v62, off, s[12:15], 0 offset:456 ; 4-byte Folded Spill
	buffer_store_dword v63, off, s[12:15], 0 offset:460 ; 4-byte Folded Spill
	flat_load_dwordx2 v[240:241], v[62:63]
	buffer_store_dword v64, off, s[12:15], 0 offset:464 ; 4-byte Folded Spill
	buffer_store_dword v65, off, s[12:15], 0 offset:468 ; 4-byte Folded Spill
	;; [unrolled: 3-line block ×3, first 2 shown]
	v_mad_u32_u24 v64, 0x1e0, v1, 0
	s_clause 0x1d
	flat_load_dwordx2 v[238:239], v[66:67]
	flat_load_dwordx2 v[218:219], v[76:77]
	flat_load_dwordx2 v[236:237], v[78:79]
	flat_load_dwordx2 v[216:217], v[80:81]
	flat_load_dwordx2 v[234:235], v[82:83]
	flat_load_dwordx2 v[214:215], v[84:85]
	flat_load_dwordx2 v[232:233], v[86:87]
	flat_load_dwordx2 v[212:213], v[88:89]
	flat_load_dwordx2 v[230:231], v[90:91]
	flat_load_dwordx2 v[210:211], v[92:93]
	flat_load_dwordx2 v[228:229], v[94:95]
	flat_load_dwordx2 v[208:209], v[96:97]
	flat_load_dwordx2 v[226:227], v[98:99]
	flat_load_dwordx2 v[206:207], v[100:101]
	flat_load_dwordx2 v[224:225], v[104:105]
	flat_load_dwordx2 v[162:163], v[102:103]
	flat_load_dwordx2 v[202:203], v[106:107]
	flat_load_dwordx2 v[160:161], v[108:109]
	flat_load_dwordx2 v[200:201], v[110:111]
	flat_load_dwordx2 v[158:159], v[112:113]
	flat_load_dwordx2 v[198:199], v[114:115]
	flat_load_dwordx2 v[156:157], v[116:117]
	flat_load_dwordx2 v[196:197], v[40:41]
	flat_load_dwordx2 v[154:155], v[122:123]
	flat_load_dwordx2 v[194:195], v[244:245]
	flat_load_dwordx2 v[152:153], v[246:247]
	flat_load_dwordx2 v[192:193], v[248:249]
	flat_load_dwordx2 v[150:151], v[250:251]
	flat_load_dwordx2 v[190:191], v[252:253]
	flat_load_dwordx2 v[148:149], v[254:255]
	buffer_store_dword v42, off, s[12:15], 0 ; 4-byte Folded Spill
	buffer_store_dword v43, off, s[12:15], 0 offset:4 ; 4-byte Folded Spill
	flat_load_dwordx2 v[188:189], v[42:43]
	buffer_store_dword v44, off, s[12:15], 0 offset:8 ; 4-byte Folded Spill
	buffer_store_dword v45, off, s[12:15], 0 offset:12 ; 4-byte Folded Spill
	flat_load_dwordx2 v[146:147], v[44:45]
	buffer_store_dword v46, off, s[12:15], 0 offset:16 ; 4-byte Folded Spill
	;; [unrolled: 3-line block ×25, first 2 shown]
	buffer_store_dword v5, off, s[12:15], 0 offset:204 ; 4-byte Folded Spill
	flat_load_dwordx2 v[242:243], v[4:5]
	v_lshlrev_b32_e32 v4, 3, v1
	v_add3_u32 v1, 0, s10, v4
	s_and_saveexec_b32 s2, s0
	s_cbranch_execz .LBB119_4
; %bb.2:
	s_waitcnt vmcnt(59) lgkmcnt(59)
	ds_write_b64 v1, v[204:205]
	s_waitcnt vmcnt(57) lgkmcnt(58)
	ds_write2_b64 v64, v[222:223], v[240:241] offset0:1 offset1:2
	s_waitcnt vmcnt(55) lgkmcnt(57)
	ds_write2_b64 v64, v[220:221], v[238:239] offset0:3 offset1:4
	;; [unrolled: 2-line block ×29, first 2 shown]
	s_waitcnt vmcnt(0) lgkmcnt(30)
	ds_write_b64 v64, v[242:243] offset:472
	ds_read_b64 v[4:5], v1
	s_waitcnt lgkmcnt(0)
	v_cmp_neq_f64_e32 vcc_lo, 0, v[4:5]
	s_and_b32 exec_lo, exec_lo, vcc_lo
	s_cbranch_execz .LBB119_4
; %bb.3:
	v_div_scale_f64 v[6:7], null, v[4:5], v[4:5], 1.0
	v_rcp_f64_e32 v[8:9], v[6:7]
	v_fma_f64 v[10:11], -v[6:7], v[8:9], 1.0
	v_fma_f64 v[8:9], v[8:9], v[10:11], v[8:9]
	v_fma_f64 v[10:11], -v[6:7], v[8:9], 1.0
	v_fma_f64 v[8:9], v[8:9], v[10:11], v[8:9]
	v_div_scale_f64 v[10:11], vcc_lo, 1.0, v[4:5], 1.0
	v_mul_f64 v[12:13], v[10:11], v[8:9]
	v_fma_f64 v[6:7], -v[6:7], v[12:13], v[10:11]
	v_div_fmas_f64 v[6:7], v[6:7], v[8:9], v[12:13]
	v_div_fixup_f64 v[4:5], v[6:7], v[4:5], 1.0
	ds_write_b64 v1, v[4:5]
.LBB119_4:
	s_or_b32 exec_lo, exec_lo, s2
	s_waitcnt vmcnt(0) lgkmcnt(0)
	s_waitcnt_vscnt null, 0x0
	s_barrier
	buffer_gl0_inv
	ds_read_b64 v[4:5], v1
	s_waitcnt lgkmcnt(0)
	buffer_store_dword v4, off, s[12:15], 0 offset:216 ; 4-byte Folded Spill
	buffer_store_dword v5, off, s[12:15], 0 offset:220 ; 4-byte Folded Spill
	s_and_saveexec_b32 s2, s1
	s_cbranch_execz .LBB119_6
; %bb.5:
	s_clause 0x1
	buffer_load_dword v4, off, s[12:15], 0 offset:216
	buffer_load_dword v5, off, s[12:15], 0 offset:220
	s_waitcnt vmcnt(0)
	v_mul_f64 v[204:205], v[4:5], v[204:205]
	ds_read2_b64 v[4:7], v64 offset0:1 offset1:2
	s_waitcnt lgkmcnt(0)
	v_fma_f64 v[222:223], -v[204:205], v[4:5], v[222:223]
	v_fma_f64 v[240:241], -v[204:205], v[6:7], v[240:241]
	ds_read2_b64 v[4:7], v64 offset0:3 offset1:4
	s_waitcnt lgkmcnt(0)
	v_fma_f64 v[220:221], -v[204:205], v[4:5], v[220:221]
	v_fma_f64 v[238:239], -v[204:205], v[6:7], v[238:239]
	;; [unrolled: 4-line block ×28, first 2 shown]
	ds_read2_b64 v[4:7], v64 offset0:57 offset1:58
	s_waitcnt lgkmcnt(0)
	v_fma_f64 v[124:125], -v[204:205], v[4:5], v[124:125]
	ds_read_b64 v[4:5], v64 offset:472
	v_fma_f64 v[164:165], -v[204:205], v[6:7], v[164:165]
	s_waitcnt lgkmcnt(0)
	v_fma_f64 v[242:243], -v[204:205], v[4:5], v[242:243]
.LBB119_6:
	s_or_b32 exec_lo, exec_lo, s2
	s_mov_b32 s1, exec_lo
	s_waitcnt_vscnt null, 0x0
	s_barrier
	buffer_gl0_inv
	v_cmpx_eq_u32_e32 1, v0
	s_cbranch_execz .LBB119_9
; %bb.7:
	v_mov_b32_e32 v4, v240
	v_mov_b32_e32 v5, v241
	;; [unrolled: 1-line block ×4, first 2 shown]
	ds_write_b64 v1, v[222:223]
	ds_write2_b64 v64, v[4:5], v[6:7] offset0:2 offset1:3
	v_mov_b32_e32 v4, v238
	v_mov_b32_e32 v5, v239
	v_mov_b32_e32 v6, v218
	v_mov_b32_e32 v7, v219
	ds_write2_b64 v64, v[4:5], v[6:7] offset0:4 offset1:5
	v_mov_b32_e32 v4, v236
	v_mov_b32_e32 v5, v237
	v_mov_b32_e32 v6, v216
	v_mov_b32_e32 v7, v217
	;; [unrolled: 5-line block ×27, first 2 shown]
	ds_write2_b64 v64, v[4:5], v[6:7] offset0:56 offset1:57
	v_mov_b32_e32 v4, v164
	v_mov_b32_e32 v5, v165
	ds_write2_b64 v64, v[4:5], v[242:243] offset0:58 offset1:59
	ds_read_b64 v[4:5], v1
	s_waitcnt lgkmcnt(0)
	v_cmp_neq_f64_e32 vcc_lo, 0, v[4:5]
	s_and_b32 exec_lo, exec_lo, vcc_lo
	s_cbranch_execz .LBB119_9
; %bb.8:
	v_div_scale_f64 v[6:7], null, v[4:5], v[4:5], 1.0
	v_rcp_f64_e32 v[8:9], v[6:7]
	v_fma_f64 v[10:11], -v[6:7], v[8:9], 1.0
	v_fma_f64 v[8:9], v[8:9], v[10:11], v[8:9]
	v_fma_f64 v[10:11], -v[6:7], v[8:9], 1.0
	v_fma_f64 v[8:9], v[8:9], v[10:11], v[8:9]
	v_div_scale_f64 v[10:11], vcc_lo, 1.0, v[4:5], 1.0
	v_mul_f64 v[12:13], v[10:11], v[8:9]
	v_fma_f64 v[6:7], -v[6:7], v[12:13], v[10:11]
	v_div_fmas_f64 v[6:7], v[6:7], v[8:9], v[12:13]
	v_div_fixup_f64 v[4:5], v[6:7], v[4:5], 1.0
	ds_write_b64 v1, v[4:5]
.LBB119_9:
	s_or_b32 exec_lo, exec_lo, s1
	s_waitcnt lgkmcnt(0)
	s_barrier
	buffer_gl0_inv
	ds_read_b64 v[4:5], v1
	s_mov_b32 s1, exec_lo
	s_waitcnt lgkmcnt(0)
	buffer_store_dword v4, off, s[12:15], 0 offset:224 ; 4-byte Folded Spill
	buffer_store_dword v5, off, s[12:15], 0 offset:228 ; 4-byte Folded Spill
	v_cmpx_lt_u32_e32 1, v0
	s_cbranch_execz .LBB119_11
; %bb.10:
	s_clause 0x1
	buffer_load_dword v4, off, s[12:15], 0 offset:224
	buffer_load_dword v5, off, s[12:15], 0 offset:228
	s_waitcnt vmcnt(0)
	v_mul_f64 v[222:223], v[4:5], v[222:223]
	ds_read2_b64 v[4:7], v64 offset0:2 offset1:3
	s_waitcnt lgkmcnt(0)
	v_fma_f64 v[240:241], -v[222:223], v[4:5], v[240:241]
	v_fma_f64 v[220:221], -v[222:223], v[6:7], v[220:221]
	ds_read2_b64 v[4:7], v64 offset0:4 offset1:5
	s_waitcnt lgkmcnt(0)
	v_fma_f64 v[238:239], -v[222:223], v[4:5], v[238:239]
	v_fma_f64 v[218:219], -v[222:223], v[6:7], v[218:219]
	;; [unrolled: 4-line block ×29, first 2 shown]
.LBB119_11:
	s_or_b32 exec_lo, exec_lo, s1
	s_mov_b32 s1, exec_lo
	s_waitcnt_vscnt null, 0x0
	s_barrier
	buffer_gl0_inv
	v_cmpx_eq_u32_e32 2, v0
	s_cbranch_execz .LBB119_14
; %bb.12:
	ds_write_b64 v1, v[240:241]
	ds_write2_b64 v64, v[220:221], v[238:239] offset0:3 offset1:4
	ds_write2_b64 v64, v[218:219], v[236:237] offset0:5 offset1:6
	;; [unrolled: 1-line block ×28, first 2 shown]
	ds_write_b64 v64, v[242:243] offset:472
	ds_read_b64 v[4:5], v1
	s_waitcnt lgkmcnt(0)
	v_cmp_neq_f64_e32 vcc_lo, 0, v[4:5]
	s_and_b32 exec_lo, exec_lo, vcc_lo
	s_cbranch_execz .LBB119_14
; %bb.13:
	v_div_scale_f64 v[6:7], null, v[4:5], v[4:5], 1.0
	v_rcp_f64_e32 v[8:9], v[6:7]
	v_fma_f64 v[10:11], -v[6:7], v[8:9], 1.0
	v_fma_f64 v[8:9], v[8:9], v[10:11], v[8:9]
	v_fma_f64 v[10:11], -v[6:7], v[8:9], 1.0
	v_fma_f64 v[8:9], v[8:9], v[10:11], v[8:9]
	v_div_scale_f64 v[10:11], vcc_lo, 1.0, v[4:5], 1.0
	v_mul_f64 v[12:13], v[10:11], v[8:9]
	v_fma_f64 v[6:7], -v[6:7], v[12:13], v[10:11]
	v_div_fmas_f64 v[6:7], v[6:7], v[8:9], v[12:13]
	v_div_fixup_f64 v[4:5], v[6:7], v[4:5], 1.0
	ds_write_b64 v1, v[4:5]
.LBB119_14:
	s_or_b32 exec_lo, exec_lo, s1
	s_waitcnt lgkmcnt(0)
	s_barrier
	buffer_gl0_inv
	ds_read_b64 v[4:5], v1
	s_mov_b32 s1, exec_lo
	s_waitcnt lgkmcnt(0)
	buffer_store_dword v4, off, s[12:15], 0 offset:232 ; 4-byte Folded Spill
	buffer_store_dword v5, off, s[12:15], 0 offset:236 ; 4-byte Folded Spill
	v_cmpx_lt_u32_e32 2, v0
	s_cbranch_execz .LBB119_16
; %bb.15:
	s_clause 0x1
	buffer_load_dword v4, off, s[12:15], 0 offset:232
	buffer_load_dword v5, off, s[12:15], 0 offset:236
	s_waitcnt vmcnt(0)
	v_mul_f64 v[240:241], v[4:5], v[240:241]
	ds_read2_b64 v[4:7], v64 offset0:3 offset1:4
	s_waitcnt lgkmcnt(0)
	v_fma_f64 v[220:221], -v[240:241], v[4:5], v[220:221]
	v_fma_f64 v[238:239], -v[240:241], v[6:7], v[238:239]
	ds_read2_b64 v[4:7], v64 offset0:5 offset1:6
	s_waitcnt lgkmcnt(0)
	v_fma_f64 v[218:219], -v[240:241], v[4:5], v[218:219]
	v_fma_f64 v[236:237], -v[240:241], v[6:7], v[236:237]
	;; [unrolled: 4-line block ×27, first 2 shown]
	ds_read2_b64 v[4:7], v64 offset0:57 offset1:58
	s_waitcnt lgkmcnt(0)
	v_fma_f64 v[124:125], -v[240:241], v[4:5], v[124:125]
	ds_read_b64 v[4:5], v64 offset:472
	v_fma_f64 v[164:165], -v[240:241], v[6:7], v[164:165]
	s_waitcnt lgkmcnt(0)
	v_fma_f64 v[242:243], -v[240:241], v[4:5], v[242:243]
.LBB119_16:
	s_or_b32 exec_lo, exec_lo, s1
	s_mov_b32 s1, exec_lo
	s_waitcnt_vscnt null, 0x0
	s_barrier
	buffer_gl0_inv
	v_cmpx_eq_u32_e32 3, v0
	s_cbranch_execz .LBB119_19
; %bb.17:
	v_mov_b32_e32 v4, v238
	v_mov_b32_e32 v5, v239
	;; [unrolled: 1-line block ×4, first 2 shown]
	ds_write_b64 v1, v[220:221]
	ds_write2_b64 v64, v[4:5], v[6:7] offset0:4 offset1:5
	v_mov_b32_e32 v4, v236
	v_mov_b32_e32 v5, v237
	v_mov_b32_e32 v6, v216
	v_mov_b32_e32 v7, v217
	ds_write2_b64 v64, v[4:5], v[6:7] offset0:6 offset1:7
	v_mov_b32_e32 v4, v234
	v_mov_b32_e32 v5, v235
	v_mov_b32_e32 v6, v214
	v_mov_b32_e32 v7, v215
	;; [unrolled: 5-line block ×26, first 2 shown]
	ds_write2_b64 v64, v[4:5], v[6:7] offset0:56 offset1:57
	v_mov_b32_e32 v4, v164
	v_mov_b32_e32 v5, v165
	ds_write2_b64 v64, v[4:5], v[242:243] offset0:58 offset1:59
	ds_read_b64 v[4:5], v1
	s_waitcnt lgkmcnt(0)
	v_cmp_neq_f64_e32 vcc_lo, 0, v[4:5]
	s_and_b32 exec_lo, exec_lo, vcc_lo
	s_cbranch_execz .LBB119_19
; %bb.18:
	v_div_scale_f64 v[6:7], null, v[4:5], v[4:5], 1.0
	v_rcp_f64_e32 v[8:9], v[6:7]
	v_fma_f64 v[10:11], -v[6:7], v[8:9], 1.0
	v_fma_f64 v[8:9], v[8:9], v[10:11], v[8:9]
	v_fma_f64 v[10:11], -v[6:7], v[8:9], 1.0
	v_fma_f64 v[8:9], v[8:9], v[10:11], v[8:9]
	v_div_scale_f64 v[10:11], vcc_lo, 1.0, v[4:5], 1.0
	v_mul_f64 v[12:13], v[10:11], v[8:9]
	v_fma_f64 v[6:7], -v[6:7], v[12:13], v[10:11]
	v_div_fmas_f64 v[6:7], v[6:7], v[8:9], v[12:13]
	v_div_fixup_f64 v[4:5], v[6:7], v[4:5], 1.0
	ds_write_b64 v1, v[4:5]
.LBB119_19:
	s_or_b32 exec_lo, exec_lo, s1
	s_waitcnt lgkmcnt(0)
	s_barrier
	buffer_gl0_inv
	ds_read_b64 v[4:5], v1
	s_mov_b32 s1, exec_lo
	s_waitcnt lgkmcnt(0)
	buffer_store_dword v4, off, s[12:15], 0 offset:240 ; 4-byte Folded Spill
	buffer_store_dword v5, off, s[12:15], 0 offset:244 ; 4-byte Folded Spill
	v_cmpx_lt_u32_e32 3, v0
	s_cbranch_execz .LBB119_21
; %bb.20:
	s_clause 0x1
	buffer_load_dword v4, off, s[12:15], 0 offset:240
	buffer_load_dword v5, off, s[12:15], 0 offset:244
	s_waitcnt vmcnt(0)
	v_mul_f64 v[220:221], v[4:5], v[220:221]
	ds_read2_b64 v[4:7], v64 offset0:4 offset1:5
	s_waitcnt lgkmcnt(0)
	v_fma_f64 v[238:239], -v[220:221], v[4:5], v[238:239]
	v_fma_f64 v[218:219], -v[220:221], v[6:7], v[218:219]
	ds_read2_b64 v[4:7], v64 offset0:6 offset1:7
	s_waitcnt lgkmcnt(0)
	v_fma_f64 v[236:237], -v[220:221], v[4:5], v[236:237]
	v_fma_f64 v[216:217], -v[220:221], v[6:7], v[216:217]
	;; [unrolled: 4-line block ×28, first 2 shown]
.LBB119_21:
	s_or_b32 exec_lo, exec_lo, s1
	s_mov_b32 s1, exec_lo
	s_waitcnt_vscnt null, 0x0
	s_barrier
	buffer_gl0_inv
	v_cmpx_eq_u32_e32 4, v0
	s_cbranch_execz .LBB119_24
; %bb.22:
	ds_write_b64 v1, v[238:239]
	ds_write2_b64 v64, v[218:219], v[236:237] offset0:5 offset1:6
	ds_write2_b64 v64, v[216:217], v[234:235] offset0:7 offset1:8
	ds_write2_b64 v64, v[214:215], v[232:233] offset0:9 offset1:10
	ds_write2_b64 v64, v[212:213], v[230:231] offset0:11 offset1:12
	ds_write2_b64 v64, v[210:211], v[228:229] offset0:13 offset1:14
	ds_write2_b64 v64, v[208:209], v[226:227] offset0:15 offset1:16
	ds_write2_b64 v64, v[206:207], v[224:225] offset0:17 offset1:18
	ds_write2_b64 v64, v[162:163], v[202:203] offset0:19 offset1:20
	ds_write2_b64 v64, v[160:161], v[200:201] offset0:21 offset1:22
	ds_write2_b64 v64, v[158:159], v[198:199] offset0:23 offset1:24
	ds_write2_b64 v64, v[156:157], v[196:197] offset0:25 offset1:26
	ds_write2_b64 v64, v[154:155], v[194:195] offset0:27 offset1:28
	ds_write2_b64 v64, v[152:153], v[192:193] offset0:29 offset1:30
	ds_write2_b64 v64, v[150:151], v[190:191] offset0:31 offset1:32
	ds_write2_b64 v64, v[148:149], v[188:189] offset0:33 offset1:34
	ds_write2_b64 v64, v[146:147], v[186:187] offset0:35 offset1:36
	ds_write2_b64 v64, v[144:145], v[184:185] offset0:37 offset1:38
	ds_write2_b64 v64, v[142:143], v[182:183] offset0:39 offset1:40
	ds_write2_b64 v64, v[140:141], v[180:181] offset0:41 offset1:42
	ds_write2_b64 v64, v[138:139], v[178:179] offset0:43 offset1:44
	ds_write2_b64 v64, v[136:137], v[176:177] offset0:45 offset1:46
	ds_write2_b64 v64, v[134:135], v[174:175] offset0:47 offset1:48
	ds_write2_b64 v64, v[132:133], v[172:173] offset0:49 offset1:50
	ds_write2_b64 v64, v[130:131], v[170:171] offset0:51 offset1:52
	ds_write2_b64 v64, v[128:129], v[168:169] offset0:53 offset1:54
	ds_write2_b64 v64, v[126:127], v[166:167] offset0:55 offset1:56
	ds_write2_b64 v64, v[124:125], v[164:165] offset0:57 offset1:58
	ds_write_b64 v64, v[242:243] offset:472
	ds_read_b64 v[4:5], v1
	s_waitcnt lgkmcnt(0)
	v_cmp_neq_f64_e32 vcc_lo, 0, v[4:5]
	s_and_b32 exec_lo, exec_lo, vcc_lo
	s_cbranch_execz .LBB119_24
; %bb.23:
	v_div_scale_f64 v[6:7], null, v[4:5], v[4:5], 1.0
	v_rcp_f64_e32 v[8:9], v[6:7]
	v_fma_f64 v[10:11], -v[6:7], v[8:9], 1.0
	v_fma_f64 v[8:9], v[8:9], v[10:11], v[8:9]
	v_fma_f64 v[10:11], -v[6:7], v[8:9], 1.0
	v_fma_f64 v[8:9], v[8:9], v[10:11], v[8:9]
	v_div_scale_f64 v[10:11], vcc_lo, 1.0, v[4:5], 1.0
	v_mul_f64 v[12:13], v[10:11], v[8:9]
	v_fma_f64 v[6:7], -v[6:7], v[12:13], v[10:11]
	v_div_fmas_f64 v[6:7], v[6:7], v[8:9], v[12:13]
	v_div_fixup_f64 v[4:5], v[6:7], v[4:5], 1.0
	ds_write_b64 v1, v[4:5]
.LBB119_24:
	s_or_b32 exec_lo, exec_lo, s1
	s_waitcnt lgkmcnt(0)
	s_barrier
	buffer_gl0_inv
	ds_read_b64 v[4:5], v1
	s_mov_b32 s1, exec_lo
	s_waitcnt lgkmcnt(0)
	buffer_store_dword v4, off, s[12:15], 0 offset:248 ; 4-byte Folded Spill
	buffer_store_dword v5, off, s[12:15], 0 offset:252 ; 4-byte Folded Spill
	v_cmpx_lt_u32_e32 4, v0
	s_cbranch_execz .LBB119_26
; %bb.25:
	s_clause 0x1
	buffer_load_dword v4, off, s[12:15], 0 offset:248
	buffer_load_dword v5, off, s[12:15], 0 offset:252
	s_waitcnt vmcnt(0)
	v_mul_f64 v[238:239], v[4:5], v[238:239]
	ds_read2_b64 v[4:7], v64 offset0:5 offset1:6
	s_waitcnt lgkmcnt(0)
	v_fma_f64 v[218:219], -v[238:239], v[4:5], v[218:219]
	v_fma_f64 v[236:237], -v[238:239], v[6:7], v[236:237]
	ds_read2_b64 v[4:7], v64 offset0:7 offset1:8
	s_waitcnt lgkmcnt(0)
	v_fma_f64 v[216:217], -v[238:239], v[4:5], v[216:217]
	v_fma_f64 v[234:235], -v[238:239], v[6:7], v[234:235]
	;; [unrolled: 4-line block ×26, first 2 shown]
	ds_read2_b64 v[4:7], v64 offset0:57 offset1:58
	s_waitcnt lgkmcnt(0)
	v_fma_f64 v[124:125], -v[238:239], v[4:5], v[124:125]
	ds_read_b64 v[4:5], v64 offset:472
	v_fma_f64 v[164:165], -v[238:239], v[6:7], v[164:165]
	s_waitcnt lgkmcnt(0)
	v_fma_f64 v[242:243], -v[238:239], v[4:5], v[242:243]
.LBB119_26:
	s_or_b32 exec_lo, exec_lo, s1
	s_mov_b32 s1, exec_lo
	s_waitcnt_vscnt null, 0x0
	s_barrier
	buffer_gl0_inv
	v_cmpx_eq_u32_e32 5, v0
	s_cbranch_execz .LBB119_29
; %bb.27:
	v_mov_b32_e32 v4, v236
	v_mov_b32_e32 v5, v237
	;; [unrolled: 1-line block ×4, first 2 shown]
	ds_write_b64 v1, v[218:219]
	ds_write2_b64 v64, v[4:5], v[6:7] offset0:6 offset1:7
	v_mov_b32_e32 v4, v234
	v_mov_b32_e32 v5, v235
	v_mov_b32_e32 v6, v214
	v_mov_b32_e32 v7, v215
	ds_write2_b64 v64, v[4:5], v[6:7] offset0:8 offset1:9
	v_mov_b32_e32 v4, v232
	v_mov_b32_e32 v5, v233
	v_mov_b32_e32 v6, v212
	v_mov_b32_e32 v7, v213
	;; [unrolled: 5-line block ×25, first 2 shown]
	ds_write2_b64 v64, v[4:5], v[6:7] offset0:56 offset1:57
	v_mov_b32_e32 v4, v164
	v_mov_b32_e32 v5, v165
	ds_write2_b64 v64, v[4:5], v[242:243] offset0:58 offset1:59
	ds_read_b64 v[4:5], v1
	s_waitcnt lgkmcnt(0)
	v_cmp_neq_f64_e32 vcc_lo, 0, v[4:5]
	s_and_b32 exec_lo, exec_lo, vcc_lo
	s_cbranch_execz .LBB119_29
; %bb.28:
	v_div_scale_f64 v[6:7], null, v[4:5], v[4:5], 1.0
	v_rcp_f64_e32 v[8:9], v[6:7]
	v_fma_f64 v[10:11], -v[6:7], v[8:9], 1.0
	v_fma_f64 v[8:9], v[8:9], v[10:11], v[8:9]
	v_fma_f64 v[10:11], -v[6:7], v[8:9], 1.0
	v_fma_f64 v[8:9], v[8:9], v[10:11], v[8:9]
	v_div_scale_f64 v[10:11], vcc_lo, 1.0, v[4:5], 1.0
	v_mul_f64 v[12:13], v[10:11], v[8:9]
	v_fma_f64 v[6:7], -v[6:7], v[12:13], v[10:11]
	v_div_fmas_f64 v[6:7], v[6:7], v[8:9], v[12:13]
	v_div_fixup_f64 v[4:5], v[6:7], v[4:5], 1.0
	ds_write_b64 v1, v[4:5]
.LBB119_29:
	s_or_b32 exec_lo, exec_lo, s1
	s_waitcnt lgkmcnt(0)
	s_barrier
	buffer_gl0_inv
	ds_read_b64 v[4:5], v1
	s_mov_b32 s1, exec_lo
	s_waitcnt lgkmcnt(0)
	buffer_store_dword v4, off, s[12:15], 0 offset:256 ; 4-byte Folded Spill
	buffer_store_dword v5, off, s[12:15], 0 offset:260 ; 4-byte Folded Spill
	v_cmpx_lt_u32_e32 5, v0
	s_cbranch_execz .LBB119_31
; %bb.30:
	s_clause 0x1
	buffer_load_dword v4, off, s[12:15], 0 offset:256
	buffer_load_dword v5, off, s[12:15], 0 offset:260
	s_waitcnt vmcnt(0)
	v_mul_f64 v[218:219], v[4:5], v[218:219]
	ds_read2_b64 v[4:7], v64 offset0:6 offset1:7
	s_waitcnt lgkmcnt(0)
	v_fma_f64 v[236:237], -v[218:219], v[4:5], v[236:237]
	v_fma_f64 v[216:217], -v[218:219], v[6:7], v[216:217]
	ds_read2_b64 v[4:7], v64 offset0:8 offset1:9
	s_waitcnt lgkmcnt(0)
	v_fma_f64 v[234:235], -v[218:219], v[4:5], v[234:235]
	v_fma_f64 v[214:215], -v[218:219], v[6:7], v[214:215]
	;; [unrolled: 4-line block ×27, first 2 shown]
.LBB119_31:
	s_or_b32 exec_lo, exec_lo, s1
	s_mov_b32 s1, exec_lo
	s_waitcnt_vscnt null, 0x0
	s_barrier
	buffer_gl0_inv
	v_cmpx_eq_u32_e32 6, v0
	s_cbranch_execz .LBB119_34
; %bb.32:
	ds_write_b64 v1, v[236:237]
	ds_write2_b64 v64, v[216:217], v[234:235] offset0:7 offset1:8
	ds_write2_b64 v64, v[214:215], v[232:233] offset0:9 offset1:10
	;; [unrolled: 1-line block ×26, first 2 shown]
	ds_write_b64 v64, v[242:243] offset:472
	ds_read_b64 v[4:5], v1
	s_waitcnt lgkmcnt(0)
	v_cmp_neq_f64_e32 vcc_lo, 0, v[4:5]
	s_and_b32 exec_lo, exec_lo, vcc_lo
	s_cbranch_execz .LBB119_34
; %bb.33:
	v_div_scale_f64 v[6:7], null, v[4:5], v[4:5], 1.0
	v_rcp_f64_e32 v[8:9], v[6:7]
	v_fma_f64 v[10:11], -v[6:7], v[8:9], 1.0
	v_fma_f64 v[8:9], v[8:9], v[10:11], v[8:9]
	v_fma_f64 v[10:11], -v[6:7], v[8:9], 1.0
	v_fma_f64 v[8:9], v[8:9], v[10:11], v[8:9]
	v_div_scale_f64 v[10:11], vcc_lo, 1.0, v[4:5], 1.0
	v_mul_f64 v[12:13], v[10:11], v[8:9]
	v_fma_f64 v[6:7], -v[6:7], v[12:13], v[10:11]
	v_div_fmas_f64 v[6:7], v[6:7], v[8:9], v[12:13]
	v_div_fixup_f64 v[4:5], v[6:7], v[4:5], 1.0
	ds_write_b64 v1, v[4:5]
.LBB119_34:
	s_or_b32 exec_lo, exec_lo, s1
	s_waitcnt lgkmcnt(0)
	s_barrier
	buffer_gl0_inv
	ds_read_b64 v[4:5], v1
	s_mov_b32 s1, exec_lo
	s_waitcnt lgkmcnt(0)
	buffer_store_dword v4, off, s[12:15], 0 offset:264 ; 4-byte Folded Spill
	buffer_store_dword v5, off, s[12:15], 0 offset:268 ; 4-byte Folded Spill
	v_cmpx_lt_u32_e32 6, v0
	s_cbranch_execz .LBB119_36
; %bb.35:
	s_clause 0x1
	buffer_load_dword v4, off, s[12:15], 0 offset:264
	buffer_load_dword v5, off, s[12:15], 0 offset:268
	s_waitcnt vmcnt(0)
	v_mul_f64 v[236:237], v[4:5], v[236:237]
	ds_read2_b64 v[4:7], v64 offset0:7 offset1:8
	s_waitcnt lgkmcnt(0)
	v_fma_f64 v[216:217], -v[236:237], v[4:5], v[216:217]
	v_fma_f64 v[234:235], -v[236:237], v[6:7], v[234:235]
	ds_read2_b64 v[4:7], v64 offset0:9 offset1:10
	s_waitcnt lgkmcnt(0)
	v_fma_f64 v[214:215], -v[236:237], v[4:5], v[214:215]
	v_fma_f64 v[232:233], -v[236:237], v[6:7], v[232:233]
	;; [unrolled: 4-line block ×25, first 2 shown]
	ds_read2_b64 v[4:7], v64 offset0:57 offset1:58
	s_waitcnt lgkmcnt(0)
	v_fma_f64 v[124:125], -v[236:237], v[4:5], v[124:125]
	ds_read_b64 v[4:5], v64 offset:472
	v_fma_f64 v[164:165], -v[236:237], v[6:7], v[164:165]
	s_waitcnt lgkmcnt(0)
	v_fma_f64 v[242:243], -v[236:237], v[4:5], v[242:243]
.LBB119_36:
	s_or_b32 exec_lo, exec_lo, s1
	s_mov_b32 s1, exec_lo
	s_waitcnt_vscnt null, 0x0
	s_barrier
	buffer_gl0_inv
	v_cmpx_eq_u32_e32 7, v0
	s_cbranch_execz .LBB119_39
; %bb.37:
	v_mov_b32_e32 v4, v234
	v_mov_b32_e32 v5, v235
	;; [unrolled: 1-line block ×4, first 2 shown]
	ds_write_b64 v1, v[216:217]
	ds_write2_b64 v64, v[4:5], v[6:7] offset0:8 offset1:9
	v_mov_b32_e32 v4, v232
	v_mov_b32_e32 v5, v233
	v_mov_b32_e32 v6, v212
	v_mov_b32_e32 v7, v213
	ds_write2_b64 v64, v[4:5], v[6:7] offset0:10 offset1:11
	v_mov_b32_e32 v4, v230
	v_mov_b32_e32 v5, v231
	v_mov_b32_e32 v6, v210
	v_mov_b32_e32 v7, v211
	;; [unrolled: 5-line block ×24, first 2 shown]
	ds_write2_b64 v64, v[4:5], v[6:7] offset0:56 offset1:57
	v_mov_b32_e32 v4, v164
	v_mov_b32_e32 v5, v165
	ds_write2_b64 v64, v[4:5], v[242:243] offset0:58 offset1:59
	ds_read_b64 v[4:5], v1
	s_waitcnt lgkmcnt(0)
	v_cmp_neq_f64_e32 vcc_lo, 0, v[4:5]
	s_and_b32 exec_lo, exec_lo, vcc_lo
	s_cbranch_execz .LBB119_39
; %bb.38:
	v_div_scale_f64 v[6:7], null, v[4:5], v[4:5], 1.0
	v_rcp_f64_e32 v[8:9], v[6:7]
	v_fma_f64 v[10:11], -v[6:7], v[8:9], 1.0
	v_fma_f64 v[8:9], v[8:9], v[10:11], v[8:9]
	v_fma_f64 v[10:11], -v[6:7], v[8:9], 1.0
	v_fma_f64 v[8:9], v[8:9], v[10:11], v[8:9]
	v_div_scale_f64 v[10:11], vcc_lo, 1.0, v[4:5], 1.0
	v_mul_f64 v[12:13], v[10:11], v[8:9]
	v_fma_f64 v[6:7], -v[6:7], v[12:13], v[10:11]
	v_div_fmas_f64 v[6:7], v[6:7], v[8:9], v[12:13]
	v_div_fixup_f64 v[4:5], v[6:7], v[4:5], 1.0
	ds_write_b64 v1, v[4:5]
.LBB119_39:
	s_or_b32 exec_lo, exec_lo, s1
	s_waitcnt lgkmcnt(0)
	s_barrier
	buffer_gl0_inv
	ds_read_b64 v[4:5], v1
	s_mov_b32 s1, exec_lo
	s_waitcnt lgkmcnt(0)
	buffer_store_dword v4, off, s[12:15], 0 offset:272 ; 4-byte Folded Spill
	buffer_store_dword v5, off, s[12:15], 0 offset:276 ; 4-byte Folded Spill
	v_cmpx_lt_u32_e32 7, v0
	s_cbranch_execz .LBB119_41
; %bb.40:
	s_clause 0x1
	buffer_load_dword v4, off, s[12:15], 0 offset:272
	buffer_load_dword v5, off, s[12:15], 0 offset:276
	s_waitcnt vmcnt(0)
	v_mul_f64 v[216:217], v[4:5], v[216:217]
	ds_read2_b64 v[4:7], v64 offset0:8 offset1:9
	s_waitcnt lgkmcnt(0)
	v_fma_f64 v[234:235], -v[216:217], v[4:5], v[234:235]
	v_fma_f64 v[214:215], -v[216:217], v[6:7], v[214:215]
	ds_read2_b64 v[4:7], v64 offset0:10 offset1:11
	s_waitcnt lgkmcnt(0)
	v_fma_f64 v[232:233], -v[216:217], v[4:5], v[232:233]
	v_fma_f64 v[212:213], -v[216:217], v[6:7], v[212:213]
	;; [unrolled: 4-line block ×26, first 2 shown]
.LBB119_41:
	s_or_b32 exec_lo, exec_lo, s1
	s_mov_b32 s1, exec_lo
	s_waitcnt_vscnt null, 0x0
	s_barrier
	buffer_gl0_inv
	v_cmpx_eq_u32_e32 8, v0
	s_cbranch_execz .LBB119_44
; %bb.42:
	ds_write_b64 v1, v[234:235]
	ds_write2_b64 v64, v[214:215], v[232:233] offset0:9 offset1:10
	ds_write2_b64 v64, v[212:213], v[230:231] offset0:11 offset1:12
	;; [unrolled: 1-line block ×25, first 2 shown]
	ds_write_b64 v64, v[242:243] offset:472
	ds_read_b64 v[4:5], v1
	s_waitcnt lgkmcnt(0)
	v_cmp_neq_f64_e32 vcc_lo, 0, v[4:5]
	s_and_b32 exec_lo, exec_lo, vcc_lo
	s_cbranch_execz .LBB119_44
; %bb.43:
	v_div_scale_f64 v[6:7], null, v[4:5], v[4:5], 1.0
	v_rcp_f64_e32 v[8:9], v[6:7]
	v_fma_f64 v[10:11], -v[6:7], v[8:9], 1.0
	v_fma_f64 v[8:9], v[8:9], v[10:11], v[8:9]
	v_fma_f64 v[10:11], -v[6:7], v[8:9], 1.0
	v_fma_f64 v[8:9], v[8:9], v[10:11], v[8:9]
	v_div_scale_f64 v[10:11], vcc_lo, 1.0, v[4:5], 1.0
	v_mul_f64 v[12:13], v[10:11], v[8:9]
	v_fma_f64 v[6:7], -v[6:7], v[12:13], v[10:11]
	v_div_fmas_f64 v[6:7], v[6:7], v[8:9], v[12:13]
	v_div_fixup_f64 v[4:5], v[6:7], v[4:5], 1.0
	ds_write_b64 v1, v[4:5]
.LBB119_44:
	s_or_b32 exec_lo, exec_lo, s1
	s_waitcnt lgkmcnt(0)
	s_barrier
	buffer_gl0_inv
	ds_read_b64 v[4:5], v1
	s_mov_b32 s1, exec_lo
	s_waitcnt lgkmcnt(0)
	buffer_store_dword v4, off, s[12:15], 0 offset:280 ; 4-byte Folded Spill
	buffer_store_dword v5, off, s[12:15], 0 offset:284 ; 4-byte Folded Spill
	v_cmpx_lt_u32_e32 8, v0
	s_cbranch_execz .LBB119_46
; %bb.45:
	s_clause 0x1
	buffer_load_dword v4, off, s[12:15], 0 offset:280
	buffer_load_dword v5, off, s[12:15], 0 offset:284
	s_waitcnt vmcnt(0)
	v_mul_f64 v[234:235], v[4:5], v[234:235]
	ds_read2_b64 v[4:7], v64 offset0:9 offset1:10
	s_waitcnt lgkmcnt(0)
	v_fma_f64 v[214:215], -v[234:235], v[4:5], v[214:215]
	v_fma_f64 v[232:233], -v[234:235], v[6:7], v[232:233]
	ds_read2_b64 v[4:7], v64 offset0:11 offset1:12
	s_waitcnt lgkmcnt(0)
	v_fma_f64 v[212:213], -v[234:235], v[4:5], v[212:213]
	v_fma_f64 v[230:231], -v[234:235], v[6:7], v[230:231]
	;; [unrolled: 4-line block ×24, first 2 shown]
	ds_read2_b64 v[4:7], v64 offset0:57 offset1:58
	s_waitcnt lgkmcnt(0)
	v_fma_f64 v[124:125], -v[234:235], v[4:5], v[124:125]
	ds_read_b64 v[4:5], v64 offset:472
	v_fma_f64 v[164:165], -v[234:235], v[6:7], v[164:165]
	s_waitcnt lgkmcnt(0)
	v_fma_f64 v[242:243], -v[234:235], v[4:5], v[242:243]
.LBB119_46:
	s_or_b32 exec_lo, exec_lo, s1
	s_mov_b32 s1, exec_lo
	s_waitcnt_vscnt null, 0x0
	s_barrier
	buffer_gl0_inv
	v_cmpx_eq_u32_e32 9, v0
	s_cbranch_execz .LBB119_49
; %bb.47:
	v_mov_b32_e32 v4, v232
	v_mov_b32_e32 v5, v233
	;; [unrolled: 1-line block ×4, first 2 shown]
	ds_write_b64 v1, v[214:215]
	ds_write2_b64 v64, v[4:5], v[6:7] offset0:10 offset1:11
	v_mov_b32_e32 v4, v230
	v_mov_b32_e32 v5, v231
	v_mov_b32_e32 v6, v210
	v_mov_b32_e32 v7, v211
	ds_write2_b64 v64, v[4:5], v[6:7] offset0:12 offset1:13
	v_mov_b32_e32 v4, v228
	v_mov_b32_e32 v5, v229
	v_mov_b32_e32 v6, v208
	v_mov_b32_e32 v7, v209
	;; [unrolled: 5-line block ×23, first 2 shown]
	ds_write2_b64 v64, v[4:5], v[6:7] offset0:56 offset1:57
	v_mov_b32_e32 v4, v164
	v_mov_b32_e32 v5, v165
	ds_write2_b64 v64, v[4:5], v[242:243] offset0:58 offset1:59
	ds_read_b64 v[4:5], v1
	s_waitcnt lgkmcnt(0)
	v_cmp_neq_f64_e32 vcc_lo, 0, v[4:5]
	s_and_b32 exec_lo, exec_lo, vcc_lo
	s_cbranch_execz .LBB119_49
; %bb.48:
	v_div_scale_f64 v[6:7], null, v[4:5], v[4:5], 1.0
	v_rcp_f64_e32 v[8:9], v[6:7]
	v_fma_f64 v[10:11], -v[6:7], v[8:9], 1.0
	v_fma_f64 v[8:9], v[8:9], v[10:11], v[8:9]
	v_fma_f64 v[10:11], -v[6:7], v[8:9], 1.0
	v_fma_f64 v[8:9], v[8:9], v[10:11], v[8:9]
	v_div_scale_f64 v[10:11], vcc_lo, 1.0, v[4:5], 1.0
	v_mul_f64 v[12:13], v[10:11], v[8:9]
	v_fma_f64 v[6:7], -v[6:7], v[12:13], v[10:11]
	v_div_fmas_f64 v[6:7], v[6:7], v[8:9], v[12:13]
	v_div_fixup_f64 v[4:5], v[6:7], v[4:5], 1.0
	ds_write_b64 v1, v[4:5]
.LBB119_49:
	s_or_b32 exec_lo, exec_lo, s1
	s_waitcnt lgkmcnt(0)
	s_barrier
	buffer_gl0_inv
	ds_read_b64 v[4:5], v1
	s_mov_b32 s1, exec_lo
	s_waitcnt lgkmcnt(0)
	buffer_store_dword v4, off, s[12:15], 0 offset:288 ; 4-byte Folded Spill
	buffer_store_dword v5, off, s[12:15], 0 offset:292 ; 4-byte Folded Spill
	v_cmpx_lt_u32_e32 9, v0
	s_cbranch_execz .LBB119_51
; %bb.50:
	s_clause 0x1
	buffer_load_dword v4, off, s[12:15], 0 offset:288
	buffer_load_dword v5, off, s[12:15], 0 offset:292
	s_waitcnt vmcnt(0)
	v_mul_f64 v[214:215], v[4:5], v[214:215]
	ds_read2_b64 v[4:7], v64 offset0:10 offset1:11
	s_waitcnt lgkmcnt(0)
	v_fma_f64 v[232:233], -v[214:215], v[4:5], v[232:233]
	v_fma_f64 v[212:213], -v[214:215], v[6:7], v[212:213]
	ds_read2_b64 v[4:7], v64 offset0:12 offset1:13
	s_waitcnt lgkmcnt(0)
	v_fma_f64 v[230:231], -v[214:215], v[4:5], v[230:231]
	v_fma_f64 v[210:211], -v[214:215], v[6:7], v[210:211]
	;; [unrolled: 4-line block ×25, first 2 shown]
.LBB119_51:
	s_or_b32 exec_lo, exec_lo, s1
	s_mov_b32 s1, exec_lo
	s_waitcnt_vscnt null, 0x0
	s_barrier
	buffer_gl0_inv
	v_cmpx_eq_u32_e32 10, v0
	s_cbranch_execz .LBB119_54
; %bb.52:
	ds_write_b64 v1, v[232:233]
	ds_write2_b64 v64, v[212:213], v[230:231] offset0:11 offset1:12
	ds_write2_b64 v64, v[210:211], v[228:229] offset0:13 offset1:14
	;; [unrolled: 1-line block ×24, first 2 shown]
	ds_write_b64 v64, v[242:243] offset:472
	ds_read_b64 v[4:5], v1
	s_waitcnt lgkmcnt(0)
	v_cmp_neq_f64_e32 vcc_lo, 0, v[4:5]
	s_and_b32 exec_lo, exec_lo, vcc_lo
	s_cbranch_execz .LBB119_54
; %bb.53:
	v_div_scale_f64 v[6:7], null, v[4:5], v[4:5], 1.0
	v_rcp_f64_e32 v[8:9], v[6:7]
	v_fma_f64 v[10:11], -v[6:7], v[8:9], 1.0
	v_fma_f64 v[8:9], v[8:9], v[10:11], v[8:9]
	v_fma_f64 v[10:11], -v[6:7], v[8:9], 1.0
	v_fma_f64 v[8:9], v[8:9], v[10:11], v[8:9]
	v_div_scale_f64 v[10:11], vcc_lo, 1.0, v[4:5], 1.0
	v_mul_f64 v[12:13], v[10:11], v[8:9]
	v_fma_f64 v[6:7], -v[6:7], v[12:13], v[10:11]
	v_div_fmas_f64 v[6:7], v[6:7], v[8:9], v[12:13]
	v_div_fixup_f64 v[4:5], v[6:7], v[4:5], 1.0
	ds_write_b64 v1, v[4:5]
.LBB119_54:
	s_or_b32 exec_lo, exec_lo, s1
	s_waitcnt lgkmcnt(0)
	s_barrier
	buffer_gl0_inv
	ds_read_b64 v[4:5], v1
	s_mov_b32 s1, exec_lo
	s_waitcnt lgkmcnt(0)
	buffer_store_dword v4, off, s[12:15], 0 offset:296 ; 4-byte Folded Spill
	buffer_store_dword v5, off, s[12:15], 0 offset:300 ; 4-byte Folded Spill
	v_cmpx_lt_u32_e32 10, v0
	s_cbranch_execz .LBB119_56
; %bb.55:
	s_clause 0x1
	buffer_load_dword v4, off, s[12:15], 0 offset:296
	buffer_load_dword v5, off, s[12:15], 0 offset:300
	s_waitcnt vmcnt(0)
	v_mul_f64 v[232:233], v[4:5], v[232:233]
	ds_read2_b64 v[4:7], v64 offset0:11 offset1:12
	s_waitcnt lgkmcnt(0)
	v_fma_f64 v[212:213], -v[232:233], v[4:5], v[212:213]
	v_fma_f64 v[230:231], -v[232:233], v[6:7], v[230:231]
	ds_read2_b64 v[4:7], v64 offset0:13 offset1:14
	s_waitcnt lgkmcnt(0)
	v_fma_f64 v[210:211], -v[232:233], v[4:5], v[210:211]
	v_fma_f64 v[228:229], -v[232:233], v[6:7], v[228:229]
	;; [unrolled: 4-line block ×23, first 2 shown]
	ds_read2_b64 v[4:7], v64 offset0:57 offset1:58
	s_waitcnt lgkmcnt(0)
	v_fma_f64 v[124:125], -v[232:233], v[4:5], v[124:125]
	ds_read_b64 v[4:5], v64 offset:472
	v_fma_f64 v[164:165], -v[232:233], v[6:7], v[164:165]
	s_waitcnt lgkmcnt(0)
	v_fma_f64 v[242:243], -v[232:233], v[4:5], v[242:243]
.LBB119_56:
	s_or_b32 exec_lo, exec_lo, s1
	s_mov_b32 s1, exec_lo
	s_waitcnt_vscnt null, 0x0
	s_barrier
	buffer_gl0_inv
	v_cmpx_eq_u32_e32 11, v0
	s_cbranch_execz .LBB119_59
; %bb.57:
	v_mov_b32_e32 v4, v230
	v_mov_b32_e32 v5, v231
	;; [unrolled: 1-line block ×4, first 2 shown]
	ds_write_b64 v1, v[212:213]
	ds_write2_b64 v64, v[4:5], v[6:7] offset0:12 offset1:13
	v_mov_b32_e32 v4, v228
	v_mov_b32_e32 v5, v229
	v_mov_b32_e32 v6, v208
	v_mov_b32_e32 v7, v209
	ds_write2_b64 v64, v[4:5], v[6:7] offset0:14 offset1:15
	v_mov_b32_e32 v4, v226
	v_mov_b32_e32 v5, v227
	v_mov_b32_e32 v6, v206
	v_mov_b32_e32 v7, v207
	;; [unrolled: 5-line block ×22, first 2 shown]
	ds_write2_b64 v64, v[4:5], v[6:7] offset0:56 offset1:57
	v_mov_b32_e32 v4, v164
	v_mov_b32_e32 v5, v165
	ds_write2_b64 v64, v[4:5], v[242:243] offset0:58 offset1:59
	ds_read_b64 v[4:5], v1
	s_waitcnt lgkmcnt(0)
	v_cmp_neq_f64_e32 vcc_lo, 0, v[4:5]
	s_and_b32 exec_lo, exec_lo, vcc_lo
	s_cbranch_execz .LBB119_59
; %bb.58:
	v_div_scale_f64 v[6:7], null, v[4:5], v[4:5], 1.0
	v_rcp_f64_e32 v[8:9], v[6:7]
	v_fma_f64 v[10:11], -v[6:7], v[8:9], 1.0
	v_fma_f64 v[8:9], v[8:9], v[10:11], v[8:9]
	v_fma_f64 v[10:11], -v[6:7], v[8:9], 1.0
	v_fma_f64 v[8:9], v[8:9], v[10:11], v[8:9]
	v_div_scale_f64 v[10:11], vcc_lo, 1.0, v[4:5], 1.0
	v_mul_f64 v[12:13], v[10:11], v[8:9]
	v_fma_f64 v[6:7], -v[6:7], v[12:13], v[10:11]
	v_div_fmas_f64 v[6:7], v[6:7], v[8:9], v[12:13]
	v_div_fixup_f64 v[4:5], v[6:7], v[4:5], 1.0
	ds_write_b64 v1, v[4:5]
.LBB119_59:
	s_or_b32 exec_lo, exec_lo, s1
	s_waitcnt lgkmcnt(0)
	s_barrier
	buffer_gl0_inv
	ds_read_b64 v[4:5], v1
	s_mov_b32 s1, exec_lo
	s_waitcnt lgkmcnt(0)
	buffer_store_dword v4, off, s[12:15], 0 offset:304 ; 4-byte Folded Spill
	buffer_store_dword v5, off, s[12:15], 0 offset:308 ; 4-byte Folded Spill
	v_cmpx_lt_u32_e32 11, v0
	s_cbranch_execz .LBB119_61
; %bb.60:
	s_clause 0x1
	buffer_load_dword v4, off, s[12:15], 0 offset:304
	buffer_load_dword v5, off, s[12:15], 0 offset:308
	s_waitcnt vmcnt(0)
	v_mul_f64 v[212:213], v[4:5], v[212:213]
	ds_read2_b64 v[4:7], v64 offset0:12 offset1:13
	s_waitcnt lgkmcnt(0)
	v_fma_f64 v[230:231], -v[212:213], v[4:5], v[230:231]
	v_fma_f64 v[210:211], -v[212:213], v[6:7], v[210:211]
	ds_read2_b64 v[4:7], v64 offset0:14 offset1:15
	s_waitcnt lgkmcnt(0)
	v_fma_f64 v[228:229], -v[212:213], v[4:5], v[228:229]
	v_fma_f64 v[208:209], -v[212:213], v[6:7], v[208:209]
	;; [unrolled: 4-line block ×24, first 2 shown]
.LBB119_61:
	s_or_b32 exec_lo, exec_lo, s1
	s_mov_b32 s1, exec_lo
	s_waitcnt_vscnt null, 0x0
	s_barrier
	buffer_gl0_inv
	v_cmpx_eq_u32_e32 12, v0
	s_cbranch_execz .LBB119_64
; %bb.62:
	ds_write_b64 v1, v[230:231]
	ds_write2_b64 v64, v[210:211], v[228:229] offset0:13 offset1:14
	ds_write2_b64 v64, v[208:209], v[226:227] offset0:15 offset1:16
	;; [unrolled: 1-line block ×23, first 2 shown]
	ds_write_b64 v64, v[242:243] offset:472
	ds_read_b64 v[4:5], v1
	s_waitcnt lgkmcnt(0)
	v_cmp_neq_f64_e32 vcc_lo, 0, v[4:5]
	s_and_b32 exec_lo, exec_lo, vcc_lo
	s_cbranch_execz .LBB119_64
; %bb.63:
	v_div_scale_f64 v[6:7], null, v[4:5], v[4:5], 1.0
	v_rcp_f64_e32 v[8:9], v[6:7]
	v_fma_f64 v[10:11], -v[6:7], v[8:9], 1.0
	v_fma_f64 v[8:9], v[8:9], v[10:11], v[8:9]
	v_fma_f64 v[10:11], -v[6:7], v[8:9], 1.0
	v_fma_f64 v[8:9], v[8:9], v[10:11], v[8:9]
	v_div_scale_f64 v[10:11], vcc_lo, 1.0, v[4:5], 1.0
	v_mul_f64 v[12:13], v[10:11], v[8:9]
	v_fma_f64 v[6:7], -v[6:7], v[12:13], v[10:11]
	v_div_fmas_f64 v[6:7], v[6:7], v[8:9], v[12:13]
	v_div_fixup_f64 v[4:5], v[6:7], v[4:5], 1.0
	ds_write_b64 v1, v[4:5]
.LBB119_64:
	s_or_b32 exec_lo, exec_lo, s1
	s_waitcnt lgkmcnt(0)
	s_barrier
	buffer_gl0_inv
	ds_read_b64 v[4:5], v1
	s_mov_b32 s1, exec_lo
	s_waitcnt lgkmcnt(0)
	buffer_store_dword v4, off, s[12:15], 0 offset:312 ; 4-byte Folded Spill
	buffer_store_dword v5, off, s[12:15], 0 offset:316 ; 4-byte Folded Spill
	v_cmpx_lt_u32_e32 12, v0
	s_cbranch_execz .LBB119_66
; %bb.65:
	s_clause 0x1
	buffer_load_dword v4, off, s[12:15], 0 offset:312
	buffer_load_dword v5, off, s[12:15], 0 offset:316
	s_waitcnt vmcnt(0)
	v_mul_f64 v[230:231], v[4:5], v[230:231]
	ds_read2_b64 v[4:7], v64 offset0:13 offset1:14
	s_waitcnt lgkmcnt(0)
	v_fma_f64 v[210:211], -v[230:231], v[4:5], v[210:211]
	v_fma_f64 v[228:229], -v[230:231], v[6:7], v[228:229]
	ds_read2_b64 v[4:7], v64 offset0:15 offset1:16
	s_waitcnt lgkmcnt(0)
	v_fma_f64 v[208:209], -v[230:231], v[4:5], v[208:209]
	v_fma_f64 v[226:227], -v[230:231], v[6:7], v[226:227]
	;; [unrolled: 4-line block ×22, first 2 shown]
	ds_read2_b64 v[4:7], v64 offset0:57 offset1:58
	s_waitcnt lgkmcnt(0)
	v_fma_f64 v[124:125], -v[230:231], v[4:5], v[124:125]
	ds_read_b64 v[4:5], v64 offset:472
	v_fma_f64 v[164:165], -v[230:231], v[6:7], v[164:165]
	s_waitcnt lgkmcnt(0)
	v_fma_f64 v[242:243], -v[230:231], v[4:5], v[242:243]
.LBB119_66:
	s_or_b32 exec_lo, exec_lo, s1
	s_mov_b32 s1, exec_lo
	s_waitcnt_vscnt null, 0x0
	s_barrier
	buffer_gl0_inv
	v_cmpx_eq_u32_e32 13, v0
	s_cbranch_execz .LBB119_69
; %bb.67:
	v_mov_b32_e32 v4, v228
	v_mov_b32_e32 v5, v229
	;; [unrolled: 1-line block ×4, first 2 shown]
	ds_write_b64 v1, v[210:211]
	ds_write2_b64 v64, v[4:5], v[6:7] offset0:14 offset1:15
	v_mov_b32_e32 v4, v226
	v_mov_b32_e32 v5, v227
	v_mov_b32_e32 v6, v206
	v_mov_b32_e32 v7, v207
	ds_write2_b64 v64, v[4:5], v[6:7] offset0:16 offset1:17
	v_mov_b32_e32 v4, v224
	v_mov_b32_e32 v5, v225
	v_mov_b32_e32 v6, v162
	v_mov_b32_e32 v7, v163
	;; [unrolled: 5-line block ×21, first 2 shown]
	ds_write2_b64 v64, v[4:5], v[6:7] offset0:56 offset1:57
	v_mov_b32_e32 v4, v164
	v_mov_b32_e32 v5, v165
	ds_write2_b64 v64, v[4:5], v[242:243] offset0:58 offset1:59
	ds_read_b64 v[4:5], v1
	s_waitcnt lgkmcnt(0)
	v_cmp_neq_f64_e32 vcc_lo, 0, v[4:5]
	s_and_b32 exec_lo, exec_lo, vcc_lo
	s_cbranch_execz .LBB119_69
; %bb.68:
	v_div_scale_f64 v[6:7], null, v[4:5], v[4:5], 1.0
	v_rcp_f64_e32 v[8:9], v[6:7]
	v_fma_f64 v[10:11], -v[6:7], v[8:9], 1.0
	v_fma_f64 v[8:9], v[8:9], v[10:11], v[8:9]
	v_fma_f64 v[10:11], -v[6:7], v[8:9], 1.0
	v_fma_f64 v[8:9], v[8:9], v[10:11], v[8:9]
	v_div_scale_f64 v[10:11], vcc_lo, 1.0, v[4:5], 1.0
	v_mul_f64 v[12:13], v[10:11], v[8:9]
	v_fma_f64 v[6:7], -v[6:7], v[12:13], v[10:11]
	v_div_fmas_f64 v[6:7], v[6:7], v[8:9], v[12:13]
	v_div_fixup_f64 v[4:5], v[6:7], v[4:5], 1.0
	ds_write_b64 v1, v[4:5]
.LBB119_69:
	s_or_b32 exec_lo, exec_lo, s1
	s_waitcnt lgkmcnt(0)
	s_barrier
	buffer_gl0_inv
	ds_read_b64 v[4:5], v1
	s_mov_b32 s1, exec_lo
	s_waitcnt lgkmcnt(0)
	buffer_store_dword v4, off, s[12:15], 0 offset:320 ; 4-byte Folded Spill
	buffer_store_dword v5, off, s[12:15], 0 offset:324 ; 4-byte Folded Spill
	v_cmpx_lt_u32_e32 13, v0
	s_cbranch_execz .LBB119_71
; %bb.70:
	s_clause 0x1
	buffer_load_dword v4, off, s[12:15], 0 offset:320
	buffer_load_dword v5, off, s[12:15], 0 offset:324
	s_waitcnt vmcnt(0)
	v_mul_f64 v[210:211], v[4:5], v[210:211]
	ds_read2_b64 v[4:7], v64 offset0:14 offset1:15
	s_waitcnt lgkmcnt(0)
	v_fma_f64 v[228:229], -v[210:211], v[4:5], v[228:229]
	v_fma_f64 v[208:209], -v[210:211], v[6:7], v[208:209]
	ds_read2_b64 v[4:7], v64 offset0:16 offset1:17
	s_waitcnt lgkmcnt(0)
	v_fma_f64 v[226:227], -v[210:211], v[4:5], v[226:227]
	v_fma_f64 v[206:207], -v[210:211], v[6:7], v[206:207]
	;; [unrolled: 4-line block ×23, first 2 shown]
.LBB119_71:
	s_or_b32 exec_lo, exec_lo, s1
	s_mov_b32 s1, exec_lo
	s_waitcnt_vscnt null, 0x0
	s_barrier
	buffer_gl0_inv
	v_cmpx_eq_u32_e32 14, v0
	s_cbranch_execz .LBB119_74
; %bb.72:
	ds_write_b64 v1, v[228:229]
	ds_write2_b64 v64, v[208:209], v[226:227] offset0:15 offset1:16
	ds_write2_b64 v64, v[206:207], v[224:225] offset0:17 offset1:18
	;; [unrolled: 1-line block ×22, first 2 shown]
	ds_write_b64 v64, v[242:243] offset:472
	ds_read_b64 v[4:5], v1
	s_waitcnt lgkmcnt(0)
	v_cmp_neq_f64_e32 vcc_lo, 0, v[4:5]
	s_and_b32 exec_lo, exec_lo, vcc_lo
	s_cbranch_execz .LBB119_74
; %bb.73:
	v_div_scale_f64 v[6:7], null, v[4:5], v[4:5], 1.0
	v_rcp_f64_e32 v[8:9], v[6:7]
	v_fma_f64 v[10:11], -v[6:7], v[8:9], 1.0
	v_fma_f64 v[8:9], v[8:9], v[10:11], v[8:9]
	v_fma_f64 v[10:11], -v[6:7], v[8:9], 1.0
	v_fma_f64 v[8:9], v[8:9], v[10:11], v[8:9]
	v_div_scale_f64 v[10:11], vcc_lo, 1.0, v[4:5], 1.0
	v_mul_f64 v[12:13], v[10:11], v[8:9]
	v_fma_f64 v[6:7], -v[6:7], v[12:13], v[10:11]
	v_div_fmas_f64 v[6:7], v[6:7], v[8:9], v[12:13]
	v_div_fixup_f64 v[4:5], v[6:7], v[4:5], 1.0
	ds_write_b64 v1, v[4:5]
.LBB119_74:
	s_or_b32 exec_lo, exec_lo, s1
	s_waitcnt lgkmcnt(0)
	s_barrier
	buffer_gl0_inv
	ds_read_b64 v[4:5], v1
	s_mov_b32 s1, exec_lo
	s_waitcnt lgkmcnt(0)
	buffer_store_dword v4, off, s[12:15], 0 offset:328 ; 4-byte Folded Spill
	buffer_store_dword v5, off, s[12:15], 0 offset:332 ; 4-byte Folded Spill
	v_cmpx_lt_u32_e32 14, v0
	s_cbranch_execz .LBB119_76
; %bb.75:
	s_clause 0x1
	buffer_load_dword v4, off, s[12:15], 0 offset:328
	buffer_load_dword v5, off, s[12:15], 0 offset:332
	s_waitcnt vmcnt(0)
	v_mul_f64 v[228:229], v[4:5], v[228:229]
	ds_read2_b64 v[4:7], v64 offset0:15 offset1:16
	s_waitcnt lgkmcnt(0)
	v_fma_f64 v[208:209], -v[228:229], v[4:5], v[208:209]
	v_fma_f64 v[226:227], -v[228:229], v[6:7], v[226:227]
	ds_read2_b64 v[4:7], v64 offset0:17 offset1:18
	s_waitcnt lgkmcnt(0)
	v_fma_f64 v[206:207], -v[228:229], v[4:5], v[206:207]
	v_fma_f64 v[224:225], -v[228:229], v[6:7], v[224:225]
	;; [unrolled: 4-line block ×21, first 2 shown]
	ds_read2_b64 v[4:7], v64 offset0:57 offset1:58
	s_waitcnt lgkmcnt(0)
	v_fma_f64 v[124:125], -v[228:229], v[4:5], v[124:125]
	ds_read_b64 v[4:5], v64 offset:472
	v_fma_f64 v[164:165], -v[228:229], v[6:7], v[164:165]
	s_waitcnt lgkmcnt(0)
	v_fma_f64 v[242:243], -v[228:229], v[4:5], v[242:243]
.LBB119_76:
	s_or_b32 exec_lo, exec_lo, s1
	s_mov_b32 s1, exec_lo
	s_waitcnt_vscnt null, 0x0
	s_barrier
	buffer_gl0_inv
	v_cmpx_eq_u32_e32 15, v0
	s_cbranch_execz .LBB119_79
; %bb.77:
	v_mov_b32_e32 v4, v226
	v_mov_b32_e32 v5, v227
	v_mov_b32_e32 v6, v206
	v_mov_b32_e32 v7, v207
	ds_write_b64 v1, v[208:209]
	ds_write2_b64 v64, v[4:5], v[6:7] offset0:16 offset1:17
	v_mov_b32_e32 v4, v224
	v_mov_b32_e32 v5, v225
	v_mov_b32_e32 v6, v162
	v_mov_b32_e32 v7, v163
	ds_write2_b64 v64, v[4:5], v[6:7] offset0:18 offset1:19
	v_mov_b32_e32 v4, v202
	v_mov_b32_e32 v5, v203
	v_mov_b32_e32 v6, v160
	v_mov_b32_e32 v7, v161
	;; [unrolled: 5-line block ×20, first 2 shown]
	ds_write2_b64 v64, v[4:5], v[6:7] offset0:56 offset1:57
	v_mov_b32_e32 v4, v164
	v_mov_b32_e32 v5, v165
	ds_write2_b64 v64, v[4:5], v[242:243] offset0:58 offset1:59
	ds_read_b64 v[4:5], v1
	s_waitcnt lgkmcnt(0)
	v_cmp_neq_f64_e32 vcc_lo, 0, v[4:5]
	s_and_b32 exec_lo, exec_lo, vcc_lo
	s_cbranch_execz .LBB119_79
; %bb.78:
	v_div_scale_f64 v[6:7], null, v[4:5], v[4:5], 1.0
	v_rcp_f64_e32 v[8:9], v[6:7]
	v_fma_f64 v[10:11], -v[6:7], v[8:9], 1.0
	v_fma_f64 v[8:9], v[8:9], v[10:11], v[8:9]
	v_fma_f64 v[10:11], -v[6:7], v[8:9], 1.0
	v_fma_f64 v[8:9], v[8:9], v[10:11], v[8:9]
	v_div_scale_f64 v[10:11], vcc_lo, 1.0, v[4:5], 1.0
	v_mul_f64 v[12:13], v[10:11], v[8:9]
	v_fma_f64 v[6:7], -v[6:7], v[12:13], v[10:11]
	v_div_fmas_f64 v[6:7], v[6:7], v[8:9], v[12:13]
	v_div_fixup_f64 v[4:5], v[6:7], v[4:5], 1.0
	ds_write_b64 v1, v[4:5]
.LBB119_79:
	s_or_b32 exec_lo, exec_lo, s1
	s_waitcnt lgkmcnt(0)
	s_barrier
	buffer_gl0_inv
	ds_read_b64 v[4:5], v1
	s_mov_b32 s1, exec_lo
	s_waitcnt lgkmcnt(0)
	buffer_store_dword v4, off, s[12:15], 0 offset:336 ; 4-byte Folded Spill
	buffer_store_dword v5, off, s[12:15], 0 offset:340 ; 4-byte Folded Spill
	v_cmpx_lt_u32_e32 15, v0
	s_cbranch_execz .LBB119_81
; %bb.80:
	s_clause 0x1
	buffer_load_dword v4, off, s[12:15], 0 offset:336
	buffer_load_dword v5, off, s[12:15], 0 offset:340
	s_waitcnt vmcnt(0)
	v_mul_f64 v[208:209], v[4:5], v[208:209]
	ds_read2_b64 v[4:7], v64 offset0:16 offset1:17
	s_waitcnt lgkmcnt(0)
	v_fma_f64 v[226:227], -v[208:209], v[4:5], v[226:227]
	v_fma_f64 v[206:207], -v[208:209], v[6:7], v[206:207]
	ds_read2_b64 v[4:7], v64 offset0:18 offset1:19
	s_waitcnt lgkmcnt(0)
	v_fma_f64 v[224:225], -v[208:209], v[4:5], v[224:225]
	v_fma_f64 v[162:163], -v[208:209], v[6:7], v[162:163]
	;; [unrolled: 4-line block ×22, first 2 shown]
.LBB119_81:
	s_or_b32 exec_lo, exec_lo, s1
	s_mov_b32 s1, exec_lo
	s_waitcnt_vscnt null, 0x0
	s_barrier
	buffer_gl0_inv
	v_cmpx_eq_u32_e32 16, v0
	s_cbranch_execz .LBB119_84
; %bb.82:
	ds_write_b64 v1, v[226:227]
	ds_write2_b64 v64, v[206:207], v[224:225] offset0:17 offset1:18
	ds_write2_b64 v64, v[162:163], v[202:203] offset0:19 offset1:20
	;; [unrolled: 1-line block ×21, first 2 shown]
	ds_write_b64 v64, v[242:243] offset:472
	ds_read_b64 v[4:5], v1
	s_waitcnt lgkmcnt(0)
	v_cmp_neq_f64_e32 vcc_lo, 0, v[4:5]
	s_and_b32 exec_lo, exec_lo, vcc_lo
	s_cbranch_execz .LBB119_84
; %bb.83:
	v_div_scale_f64 v[6:7], null, v[4:5], v[4:5], 1.0
	v_rcp_f64_e32 v[8:9], v[6:7]
	v_fma_f64 v[10:11], -v[6:7], v[8:9], 1.0
	v_fma_f64 v[8:9], v[8:9], v[10:11], v[8:9]
	v_fma_f64 v[10:11], -v[6:7], v[8:9], 1.0
	v_fma_f64 v[8:9], v[8:9], v[10:11], v[8:9]
	v_div_scale_f64 v[10:11], vcc_lo, 1.0, v[4:5], 1.0
	v_mul_f64 v[12:13], v[10:11], v[8:9]
	v_fma_f64 v[6:7], -v[6:7], v[12:13], v[10:11]
	v_div_fmas_f64 v[6:7], v[6:7], v[8:9], v[12:13]
	v_div_fixup_f64 v[4:5], v[6:7], v[4:5], 1.0
	ds_write_b64 v1, v[4:5]
.LBB119_84:
	s_or_b32 exec_lo, exec_lo, s1
	s_waitcnt lgkmcnt(0)
	s_barrier
	buffer_gl0_inv
	ds_read_b64 v[4:5], v1
	s_mov_b32 s1, exec_lo
	s_waitcnt lgkmcnt(0)
	buffer_store_dword v4, off, s[12:15], 0 offset:344 ; 4-byte Folded Spill
	buffer_store_dword v5, off, s[12:15], 0 offset:348 ; 4-byte Folded Spill
	v_cmpx_lt_u32_e32 16, v0
	s_cbranch_execz .LBB119_86
; %bb.85:
	s_clause 0x1
	buffer_load_dword v4, off, s[12:15], 0 offset:344
	buffer_load_dword v5, off, s[12:15], 0 offset:348
	s_waitcnt vmcnt(0)
	v_mul_f64 v[226:227], v[4:5], v[226:227]
	ds_read2_b64 v[4:7], v64 offset0:17 offset1:18
	s_waitcnt lgkmcnt(0)
	v_fma_f64 v[206:207], -v[226:227], v[4:5], v[206:207]
	v_fma_f64 v[224:225], -v[226:227], v[6:7], v[224:225]
	ds_read2_b64 v[4:7], v64 offset0:19 offset1:20
	s_waitcnt lgkmcnt(0)
	v_fma_f64 v[162:163], -v[226:227], v[4:5], v[162:163]
	v_fma_f64 v[202:203], -v[226:227], v[6:7], v[202:203]
	ds_read2_b64 v[4:7], v64 offset0:21 offset1:22
	s_waitcnt lgkmcnt(0)
	v_fma_f64 v[160:161], -v[226:227], v[4:5], v[160:161]
	v_fma_f64 v[200:201], -v[226:227], v[6:7], v[200:201]
	ds_read2_b64 v[4:7], v64 offset0:23 offset1:24
	s_waitcnt lgkmcnt(0)
	v_fma_f64 v[158:159], -v[226:227], v[4:5], v[158:159]
	v_fma_f64 v[198:199], -v[226:227], v[6:7], v[198:199]
	ds_read2_b64 v[4:7], v64 offset0:25 offset1:26
	s_waitcnt lgkmcnt(0)
	v_fma_f64 v[156:157], -v[226:227], v[4:5], v[156:157]
	v_fma_f64 v[196:197], -v[226:227], v[6:7], v[196:197]
	ds_read2_b64 v[4:7], v64 offset0:27 offset1:28
	s_waitcnt lgkmcnt(0)
	v_fma_f64 v[154:155], -v[226:227], v[4:5], v[154:155]
	v_fma_f64 v[194:195], -v[226:227], v[6:7], v[194:195]
	ds_read2_b64 v[4:7], v64 offset0:29 offset1:30
	s_waitcnt lgkmcnt(0)
	v_fma_f64 v[152:153], -v[226:227], v[4:5], v[152:153]
	v_fma_f64 v[192:193], -v[226:227], v[6:7], v[192:193]
	ds_read2_b64 v[4:7], v64 offset0:31 offset1:32
	s_waitcnt lgkmcnt(0)
	v_fma_f64 v[150:151], -v[226:227], v[4:5], v[150:151]
	v_fma_f64 v[190:191], -v[226:227], v[6:7], v[190:191]
	ds_read2_b64 v[4:7], v64 offset0:33 offset1:34
	s_waitcnt lgkmcnt(0)
	v_fma_f64 v[148:149], -v[226:227], v[4:5], v[148:149]
	v_fma_f64 v[188:189], -v[226:227], v[6:7], v[188:189]
	ds_read2_b64 v[4:7], v64 offset0:35 offset1:36
	s_waitcnt lgkmcnt(0)
	v_fma_f64 v[146:147], -v[226:227], v[4:5], v[146:147]
	v_fma_f64 v[186:187], -v[226:227], v[6:7], v[186:187]
	ds_read2_b64 v[4:7], v64 offset0:37 offset1:38
	s_waitcnt lgkmcnt(0)
	v_fma_f64 v[144:145], -v[226:227], v[4:5], v[144:145]
	v_fma_f64 v[184:185], -v[226:227], v[6:7], v[184:185]
	ds_read2_b64 v[4:7], v64 offset0:39 offset1:40
	s_waitcnt lgkmcnt(0)
	v_fma_f64 v[142:143], -v[226:227], v[4:5], v[142:143]
	v_fma_f64 v[182:183], -v[226:227], v[6:7], v[182:183]
	ds_read2_b64 v[4:7], v64 offset0:41 offset1:42
	s_waitcnt lgkmcnt(0)
	v_fma_f64 v[140:141], -v[226:227], v[4:5], v[140:141]
	v_fma_f64 v[180:181], -v[226:227], v[6:7], v[180:181]
	ds_read2_b64 v[4:7], v64 offset0:43 offset1:44
	s_waitcnt lgkmcnt(0)
	v_fma_f64 v[138:139], -v[226:227], v[4:5], v[138:139]
	v_fma_f64 v[178:179], -v[226:227], v[6:7], v[178:179]
	ds_read2_b64 v[4:7], v64 offset0:45 offset1:46
	s_waitcnt lgkmcnt(0)
	v_fma_f64 v[136:137], -v[226:227], v[4:5], v[136:137]
	v_fma_f64 v[176:177], -v[226:227], v[6:7], v[176:177]
	ds_read2_b64 v[4:7], v64 offset0:47 offset1:48
	s_waitcnt lgkmcnt(0)
	v_fma_f64 v[134:135], -v[226:227], v[4:5], v[134:135]
	v_fma_f64 v[174:175], -v[226:227], v[6:7], v[174:175]
	ds_read2_b64 v[4:7], v64 offset0:49 offset1:50
	s_waitcnt lgkmcnt(0)
	v_fma_f64 v[132:133], -v[226:227], v[4:5], v[132:133]
	v_fma_f64 v[172:173], -v[226:227], v[6:7], v[172:173]
	ds_read2_b64 v[4:7], v64 offset0:51 offset1:52
	s_waitcnt lgkmcnt(0)
	v_fma_f64 v[130:131], -v[226:227], v[4:5], v[130:131]
	v_fma_f64 v[170:171], -v[226:227], v[6:7], v[170:171]
	ds_read2_b64 v[4:7], v64 offset0:53 offset1:54
	s_waitcnt lgkmcnt(0)
	v_fma_f64 v[128:129], -v[226:227], v[4:5], v[128:129]
	v_fma_f64 v[168:169], -v[226:227], v[6:7], v[168:169]
	ds_read2_b64 v[4:7], v64 offset0:55 offset1:56
	s_waitcnt lgkmcnt(0)
	v_fma_f64 v[126:127], -v[226:227], v[4:5], v[126:127]
	v_fma_f64 v[166:167], -v[226:227], v[6:7], v[166:167]
	ds_read2_b64 v[4:7], v64 offset0:57 offset1:58
	s_waitcnt lgkmcnt(0)
	v_fma_f64 v[124:125], -v[226:227], v[4:5], v[124:125]
	ds_read_b64 v[4:5], v64 offset:472
	v_fma_f64 v[164:165], -v[226:227], v[6:7], v[164:165]
	s_waitcnt lgkmcnt(0)
	v_fma_f64 v[242:243], -v[226:227], v[4:5], v[242:243]
.LBB119_86:
	s_or_b32 exec_lo, exec_lo, s1
	s_mov_b32 s1, exec_lo
	s_waitcnt_vscnt null, 0x0
	s_barrier
	buffer_gl0_inv
	v_cmpx_eq_u32_e32 17, v0
	s_cbranch_execz .LBB119_89
; %bb.87:
	v_mov_b32_e32 v4, v224
	v_mov_b32_e32 v5, v225
	;; [unrolled: 1-line block ×4, first 2 shown]
	ds_write_b64 v1, v[206:207]
	ds_write2_b64 v64, v[4:5], v[6:7] offset0:18 offset1:19
	v_mov_b32_e32 v4, v202
	v_mov_b32_e32 v5, v203
	v_mov_b32_e32 v6, v160
	v_mov_b32_e32 v7, v161
	ds_write2_b64 v64, v[4:5], v[6:7] offset0:20 offset1:21
	v_mov_b32_e32 v4, v200
	v_mov_b32_e32 v5, v201
	v_mov_b32_e32 v6, v158
	v_mov_b32_e32 v7, v159
	ds_write2_b64 v64, v[4:5], v[6:7] offset0:22 offset1:23
	v_mov_b32_e32 v4, v198
	v_mov_b32_e32 v5, v199
	v_mov_b32_e32 v6, v156
	v_mov_b32_e32 v7, v157
	ds_write2_b64 v64, v[4:5], v[6:7] offset0:24 offset1:25
	v_mov_b32_e32 v4, v196
	v_mov_b32_e32 v5, v197
	v_mov_b32_e32 v6, v154
	v_mov_b32_e32 v7, v155
	ds_write2_b64 v64, v[4:5], v[6:7] offset0:26 offset1:27
	v_mov_b32_e32 v4, v194
	v_mov_b32_e32 v5, v195
	v_mov_b32_e32 v6, v152
	v_mov_b32_e32 v7, v153
	ds_write2_b64 v64, v[4:5], v[6:7] offset0:28 offset1:29
	v_mov_b32_e32 v4, v192
	v_mov_b32_e32 v5, v193
	v_mov_b32_e32 v6, v150
	v_mov_b32_e32 v7, v151
	ds_write2_b64 v64, v[4:5], v[6:7] offset0:30 offset1:31
	v_mov_b32_e32 v4, v190
	v_mov_b32_e32 v5, v191
	v_mov_b32_e32 v6, v148
	v_mov_b32_e32 v7, v149
	ds_write2_b64 v64, v[4:5], v[6:7] offset0:32 offset1:33
	v_mov_b32_e32 v4, v188
	v_mov_b32_e32 v5, v189
	v_mov_b32_e32 v6, v146
	v_mov_b32_e32 v7, v147
	ds_write2_b64 v64, v[4:5], v[6:7] offset0:34 offset1:35
	v_mov_b32_e32 v4, v186
	v_mov_b32_e32 v5, v187
	v_mov_b32_e32 v6, v144
	v_mov_b32_e32 v7, v145
	ds_write2_b64 v64, v[4:5], v[6:7] offset0:36 offset1:37
	v_mov_b32_e32 v4, v184
	v_mov_b32_e32 v5, v185
	v_mov_b32_e32 v6, v142
	v_mov_b32_e32 v7, v143
	ds_write2_b64 v64, v[4:5], v[6:7] offset0:38 offset1:39
	v_mov_b32_e32 v4, v182
	v_mov_b32_e32 v5, v183
	v_mov_b32_e32 v6, v140
	v_mov_b32_e32 v7, v141
	ds_write2_b64 v64, v[4:5], v[6:7] offset0:40 offset1:41
	v_mov_b32_e32 v4, v180
	v_mov_b32_e32 v5, v181
	v_mov_b32_e32 v6, v138
	v_mov_b32_e32 v7, v139
	ds_write2_b64 v64, v[4:5], v[6:7] offset0:42 offset1:43
	v_mov_b32_e32 v4, v178
	v_mov_b32_e32 v5, v179
	v_mov_b32_e32 v6, v136
	v_mov_b32_e32 v7, v137
	ds_write2_b64 v64, v[4:5], v[6:7] offset0:44 offset1:45
	v_mov_b32_e32 v4, v176
	v_mov_b32_e32 v5, v177
	v_mov_b32_e32 v6, v134
	v_mov_b32_e32 v7, v135
	ds_write2_b64 v64, v[4:5], v[6:7] offset0:46 offset1:47
	v_mov_b32_e32 v4, v174
	v_mov_b32_e32 v5, v175
	v_mov_b32_e32 v6, v132
	v_mov_b32_e32 v7, v133
	ds_write2_b64 v64, v[4:5], v[6:7] offset0:48 offset1:49
	v_mov_b32_e32 v4, v172
	v_mov_b32_e32 v5, v173
	v_mov_b32_e32 v6, v130
	v_mov_b32_e32 v7, v131
	ds_write2_b64 v64, v[4:5], v[6:7] offset0:50 offset1:51
	v_mov_b32_e32 v4, v170
	v_mov_b32_e32 v5, v171
	v_mov_b32_e32 v6, v128
	v_mov_b32_e32 v7, v129
	ds_write2_b64 v64, v[4:5], v[6:7] offset0:52 offset1:53
	v_mov_b32_e32 v4, v168
	v_mov_b32_e32 v5, v169
	v_mov_b32_e32 v6, v126
	v_mov_b32_e32 v7, v127
	ds_write2_b64 v64, v[4:5], v[6:7] offset0:54 offset1:55
	v_mov_b32_e32 v4, v166
	v_mov_b32_e32 v5, v167
	v_mov_b32_e32 v6, v124
	v_mov_b32_e32 v7, v125
	ds_write2_b64 v64, v[4:5], v[6:7] offset0:56 offset1:57
	v_mov_b32_e32 v4, v164
	v_mov_b32_e32 v5, v165
	ds_write2_b64 v64, v[4:5], v[242:243] offset0:58 offset1:59
	ds_read_b64 v[4:5], v1
	s_waitcnt lgkmcnt(0)
	v_cmp_neq_f64_e32 vcc_lo, 0, v[4:5]
	s_and_b32 exec_lo, exec_lo, vcc_lo
	s_cbranch_execz .LBB119_89
; %bb.88:
	v_div_scale_f64 v[6:7], null, v[4:5], v[4:5], 1.0
	v_rcp_f64_e32 v[8:9], v[6:7]
	v_fma_f64 v[10:11], -v[6:7], v[8:9], 1.0
	v_fma_f64 v[8:9], v[8:9], v[10:11], v[8:9]
	v_fma_f64 v[10:11], -v[6:7], v[8:9], 1.0
	v_fma_f64 v[8:9], v[8:9], v[10:11], v[8:9]
	v_div_scale_f64 v[10:11], vcc_lo, 1.0, v[4:5], 1.0
	v_mul_f64 v[12:13], v[10:11], v[8:9]
	v_fma_f64 v[6:7], -v[6:7], v[12:13], v[10:11]
	v_div_fmas_f64 v[6:7], v[6:7], v[8:9], v[12:13]
	v_div_fixup_f64 v[4:5], v[6:7], v[4:5], 1.0
	ds_write_b64 v1, v[4:5]
.LBB119_89:
	s_or_b32 exec_lo, exec_lo, s1
	s_waitcnt lgkmcnt(0)
	s_barrier
	buffer_gl0_inv
	ds_read_b64 v[4:5], v1
	s_mov_b32 s1, exec_lo
	s_waitcnt lgkmcnt(0)
	buffer_store_dword v4, off, s[12:15], 0 offset:352 ; 4-byte Folded Spill
	buffer_store_dword v5, off, s[12:15], 0 offset:356 ; 4-byte Folded Spill
	v_cmpx_lt_u32_e32 17, v0
	s_cbranch_execz .LBB119_91
; %bb.90:
	s_clause 0x1
	buffer_load_dword v4, off, s[12:15], 0 offset:352
	buffer_load_dword v5, off, s[12:15], 0 offset:356
	s_waitcnt vmcnt(0)
	v_mul_f64 v[206:207], v[4:5], v[206:207]
	ds_read2_b64 v[4:7], v64 offset0:18 offset1:19
	s_waitcnt lgkmcnt(0)
	v_fma_f64 v[224:225], -v[206:207], v[4:5], v[224:225]
	v_fma_f64 v[162:163], -v[206:207], v[6:7], v[162:163]
	ds_read2_b64 v[4:7], v64 offset0:20 offset1:21
	s_waitcnt lgkmcnt(0)
	v_fma_f64 v[202:203], -v[206:207], v[4:5], v[202:203]
	v_fma_f64 v[160:161], -v[206:207], v[6:7], v[160:161]
	;; [unrolled: 4-line block ×21, first 2 shown]
.LBB119_91:
	s_or_b32 exec_lo, exec_lo, s1
	s_mov_b32 s1, exec_lo
	s_waitcnt_vscnt null, 0x0
	s_barrier
	buffer_gl0_inv
	v_cmpx_eq_u32_e32 18, v0
	s_cbranch_execz .LBB119_94
; %bb.92:
	ds_write_b64 v1, v[224:225]
	ds_write2_b64 v64, v[162:163], v[202:203] offset0:19 offset1:20
	ds_write2_b64 v64, v[160:161], v[200:201] offset0:21 offset1:22
	;; [unrolled: 1-line block ×20, first 2 shown]
	ds_write_b64 v64, v[242:243] offset:472
	ds_read_b64 v[4:5], v1
	s_waitcnt lgkmcnt(0)
	v_cmp_neq_f64_e32 vcc_lo, 0, v[4:5]
	s_and_b32 exec_lo, exec_lo, vcc_lo
	s_cbranch_execz .LBB119_94
; %bb.93:
	v_div_scale_f64 v[6:7], null, v[4:5], v[4:5], 1.0
	v_rcp_f64_e32 v[8:9], v[6:7]
	v_fma_f64 v[10:11], -v[6:7], v[8:9], 1.0
	v_fma_f64 v[8:9], v[8:9], v[10:11], v[8:9]
	v_fma_f64 v[10:11], -v[6:7], v[8:9], 1.0
	v_fma_f64 v[8:9], v[8:9], v[10:11], v[8:9]
	v_div_scale_f64 v[10:11], vcc_lo, 1.0, v[4:5], 1.0
	v_mul_f64 v[12:13], v[10:11], v[8:9]
	v_fma_f64 v[6:7], -v[6:7], v[12:13], v[10:11]
	v_div_fmas_f64 v[6:7], v[6:7], v[8:9], v[12:13]
	v_div_fixup_f64 v[4:5], v[6:7], v[4:5], 1.0
	ds_write_b64 v1, v[4:5]
.LBB119_94:
	s_or_b32 exec_lo, exec_lo, s1
	s_waitcnt lgkmcnt(0)
	s_barrier
	buffer_gl0_inv
	ds_read_b64 v[4:5], v1
	s_mov_b32 s1, exec_lo
	s_waitcnt lgkmcnt(0)
	buffer_store_dword v4, off, s[12:15], 0 offset:360 ; 4-byte Folded Spill
	buffer_store_dword v5, off, s[12:15], 0 offset:364 ; 4-byte Folded Spill
	v_cmpx_lt_u32_e32 18, v0
	s_cbranch_execz .LBB119_96
; %bb.95:
	s_clause 0x1
	buffer_load_dword v4, off, s[12:15], 0 offset:360
	buffer_load_dword v5, off, s[12:15], 0 offset:364
	s_waitcnt vmcnt(0)
	v_mul_f64 v[224:225], v[4:5], v[224:225]
	ds_read2_b64 v[4:7], v64 offset0:19 offset1:20
	s_waitcnt lgkmcnt(0)
	v_fma_f64 v[162:163], -v[224:225], v[4:5], v[162:163]
	v_fma_f64 v[202:203], -v[224:225], v[6:7], v[202:203]
	ds_read2_b64 v[4:7], v64 offset0:21 offset1:22
	s_waitcnt lgkmcnt(0)
	v_fma_f64 v[160:161], -v[224:225], v[4:5], v[160:161]
	v_fma_f64 v[200:201], -v[224:225], v[6:7], v[200:201]
	;; [unrolled: 4-line block ×19, first 2 shown]
	ds_read2_b64 v[4:7], v64 offset0:57 offset1:58
	s_waitcnt lgkmcnt(0)
	v_fma_f64 v[124:125], -v[224:225], v[4:5], v[124:125]
	ds_read_b64 v[4:5], v64 offset:472
	v_fma_f64 v[164:165], -v[224:225], v[6:7], v[164:165]
	s_waitcnt lgkmcnt(0)
	v_fma_f64 v[242:243], -v[224:225], v[4:5], v[242:243]
.LBB119_96:
	s_or_b32 exec_lo, exec_lo, s1
	s_mov_b32 s1, exec_lo
	s_waitcnt_vscnt null, 0x0
	s_barrier
	buffer_gl0_inv
	v_cmpx_eq_u32_e32 19, v0
	s_cbranch_execz .LBB119_99
; %bb.97:
	v_mov_b32_e32 v4, v202
	v_mov_b32_e32 v5, v203
	;; [unrolled: 1-line block ×4, first 2 shown]
	ds_write_b64 v1, v[162:163]
	ds_write2_b64 v64, v[4:5], v[6:7] offset0:20 offset1:21
	v_mov_b32_e32 v4, v200
	v_mov_b32_e32 v5, v201
	v_mov_b32_e32 v6, v158
	v_mov_b32_e32 v7, v159
	ds_write2_b64 v64, v[4:5], v[6:7] offset0:22 offset1:23
	v_mov_b32_e32 v4, v198
	v_mov_b32_e32 v5, v199
	v_mov_b32_e32 v6, v156
	v_mov_b32_e32 v7, v157
	;; [unrolled: 5-line block ×18, first 2 shown]
	ds_write2_b64 v64, v[4:5], v[6:7] offset0:56 offset1:57
	v_mov_b32_e32 v4, v164
	v_mov_b32_e32 v5, v165
	ds_write2_b64 v64, v[4:5], v[242:243] offset0:58 offset1:59
	ds_read_b64 v[4:5], v1
	s_waitcnt lgkmcnt(0)
	v_cmp_neq_f64_e32 vcc_lo, 0, v[4:5]
	s_and_b32 exec_lo, exec_lo, vcc_lo
	s_cbranch_execz .LBB119_99
; %bb.98:
	v_div_scale_f64 v[6:7], null, v[4:5], v[4:5], 1.0
	v_rcp_f64_e32 v[8:9], v[6:7]
	v_fma_f64 v[10:11], -v[6:7], v[8:9], 1.0
	v_fma_f64 v[8:9], v[8:9], v[10:11], v[8:9]
	v_fma_f64 v[10:11], -v[6:7], v[8:9], 1.0
	v_fma_f64 v[8:9], v[8:9], v[10:11], v[8:9]
	v_div_scale_f64 v[10:11], vcc_lo, 1.0, v[4:5], 1.0
	v_mul_f64 v[12:13], v[10:11], v[8:9]
	v_fma_f64 v[6:7], -v[6:7], v[12:13], v[10:11]
	v_div_fmas_f64 v[6:7], v[6:7], v[8:9], v[12:13]
	v_div_fixup_f64 v[4:5], v[6:7], v[4:5], 1.0
	ds_write_b64 v1, v[4:5]
.LBB119_99:
	s_or_b32 exec_lo, exec_lo, s1
	s_waitcnt lgkmcnt(0)
	s_barrier
	buffer_gl0_inv
	ds_read_b64 v[4:5], v1
	s_mov_b32 s1, exec_lo
	s_waitcnt lgkmcnt(0)
	buffer_store_dword v4, off, s[12:15], 0 offset:368 ; 4-byte Folded Spill
	buffer_store_dword v5, off, s[12:15], 0 offset:372 ; 4-byte Folded Spill
	v_cmpx_lt_u32_e32 19, v0
	s_cbranch_execz .LBB119_101
; %bb.100:
	s_clause 0x1
	buffer_load_dword v4, off, s[12:15], 0 offset:368
	buffer_load_dword v5, off, s[12:15], 0 offset:372
	s_waitcnt vmcnt(0)
	v_mul_f64 v[162:163], v[4:5], v[162:163]
	ds_read2_b64 v[4:7], v64 offset0:20 offset1:21
	s_waitcnt lgkmcnt(0)
	v_fma_f64 v[202:203], -v[162:163], v[4:5], v[202:203]
	v_fma_f64 v[160:161], -v[162:163], v[6:7], v[160:161]
	ds_read2_b64 v[4:7], v64 offset0:22 offset1:23
	s_waitcnt lgkmcnt(0)
	v_fma_f64 v[200:201], -v[162:163], v[4:5], v[200:201]
	v_fma_f64 v[158:159], -v[162:163], v[6:7], v[158:159]
	;; [unrolled: 4-line block ×20, first 2 shown]
.LBB119_101:
	s_or_b32 exec_lo, exec_lo, s1
	s_mov_b32 s1, exec_lo
	s_waitcnt_vscnt null, 0x0
	s_barrier
	buffer_gl0_inv
	v_cmpx_eq_u32_e32 20, v0
	s_cbranch_execz .LBB119_104
; %bb.102:
	ds_write_b64 v1, v[202:203]
	ds_write2_b64 v64, v[160:161], v[200:201] offset0:21 offset1:22
	ds_write2_b64 v64, v[158:159], v[198:199] offset0:23 offset1:24
	;; [unrolled: 1-line block ×19, first 2 shown]
	ds_write_b64 v64, v[242:243] offset:472
	ds_read_b64 v[4:5], v1
	s_waitcnt lgkmcnt(0)
	v_cmp_neq_f64_e32 vcc_lo, 0, v[4:5]
	s_and_b32 exec_lo, exec_lo, vcc_lo
	s_cbranch_execz .LBB119_104
; %bb.103:
	v_div_scale_f64 v[6:7], null, v[4:5], v[4:5], 1.0
	v_rcp_f64_e32 v[8:9], v[6:7]
	v_fma_f64 v[10:11], -v[6:7], v[8:9], 1.0
	v_fma_f64 v[8:9], v[8:9], v[10:11], v[8:9]
	v_fma_f64 v[10:11], -v[6:7], v[8:9], 1.0
	v_fma_f64 v[8:9], v[8:9], v[10:11], v[8:9]
	v_div_scale_f64 v[10:11], vcc_lo, 1.0, v[4:5], 1.0
	v_mul_f64 v[12:13], v[10:11], v[8:9]
	v_fma_f64 v[6:7], -v[6:7], v[12:13], v[10:11]
	v_div_fmas_f64 v[6:7], v[6:7], v[8:9], v[12:13]
	v_div_fixup_f64 v[4:5], v[6:7], v[4:5], 1.0
	ds_write_b64 v1, v[4:5]
.LBB119_104:
	s_or_b32 exec_lo, exec_lo, s1
	s_waitcnt lgkmcnt(0)
	s_barrier
	buffer_gl0_inv
	ds_read_b64 v[4:5], v1
	s_mov_b32 s1, exec_lo
	s_waitcnt lgkmcnt(0)
	buffer_store_dword v4, off, s[12:15], 0 offset:376 ; 4-byte Folded Spill
	buffer_store_dword v5, off, s[12:15], 0 offset:380 ; 4-byte Folded Spill
	v_cmpx_lt_u32_e32 20, v0
	s_cbranch_execz .LBB119_106
; %bb.105:
	s_clause 0x1
	buffer_load_dword v4, off, s[12:15], 0 offset:376
	buffer_load_dword v5, off, s[12:15], 0 offset:380
	s_waitcnt vmcnt(0)
	v_mul_f64 v[202:203], v[4:5], v[202:203]
	ds_read2_b64 v[4:7], v64 offset0:21 offset1:22
	s_waitcnt lgkmcnt(0)
	v_fma_f64 v[160:161], -v[202:203], v[4:5], v[160:161]
	v_fma_f64 v[200:201], -v[202:203], v[6:7], v[200:201]
	ds_read2_b64 v[4:7], v64 offset0:23 offset1:24
	s_waitcnt lgkmcnt(0)
	v_fma_f64 v[158:159], -v[202:203], v[4:5], v[158:159]
	v_fma_f64 v[198:199], -v[202:203], v[6:7], v[198:199]
	;; [unrolled: 4-line block ×18, first 2 shown]
	ds_read2_b64 v[4:7], v64 offset0:57 offset1:58
	s_waitcnt lgkmcnt(0)
	v_fma_f64 v[124:125], -v[202:203], v[4:5], v[124:125]
	ds_read_b64 v[4:5], v64 offset:472
	v_fma_f64 v[164:165], -v[202:203], v[6:7], v[164:165]
	s_waitcnt lgkmcnt(0)
	v_fma_f64 v[242:243], -v[202:203], v[4:5], v[242:243]
.LBB119_106:
	s_or_b32 exec_lo, exec_lo, s1
	s_mov_b32 s1, exec_lo
	s_waitcnt_vscnt null, 0x0
	s_barrier
	buffer_gl0_inv
	v_cmpx_eq_u32_e32 21, v0
	s_cbranch_execz .LBB119_109
; %bb.107:
	v_mov_b32_e32 v4, v200
	v_mov_b32_e32 v5, v201
	;; [unrolled: 1-line block ×4, first 2 shown]
	ds_write_b64 v1, v[160:161]
	ds_write2_b64 v64, v[4:5], v[6:7] offset0:22 offset1:23
	v_mov_b32_e32 v4, v198
	v_mov_b32_e32 v5, v199
	v_mov_b32_e32 v6, v156
	v_mov_b32_e32 v7, v157
	ds_write2_b64 v64, v[4:5], v[6:7] offset0:24 offset1:25
	v_mov_b32_e32 v4, v196
	v_mov_b32_e32 v5, v197
	v_mov_b32_e32 v6, v154
	v_mov_b32_e32 v7, v155
	;; [unrolled: 5-line block ×17, first 2 shown]
	ds_write2_b64 v64, v[4:5], v[6:7] offset0:56 offset1:57
	v_mov_b32_e32 v4, v164
	v_mov_b32_e32 v5, v165
	ds_write2_b64 v64, v[4:5], v[242:243] offset0:58 offset1:59
	ds_read_b64 v[4:5], v1
	s_waitcnt lgkmcnt(0)
	v_cmp_neq_f64_e32 vcc_lo, 0, v[4:5]
	s_and_b32 exec_lo, exec_lo, vcc_lo
	s_cbranch_execz .LBB119_109
; %bb.108:
	v_div_scale_f64 v[6:7], null, v[4:5], v[4:5], 1.0
	v_rcp_f64_e32 v[8:9], v[6:7]
	v_fma_f64 v[10:11], -v[6:7], v[8:9], 1.0
	v_fma_f64 v[8:9], v[8:9], v[10:11], v[8:9]
	v_fma_f64 v[10:11], -v[6:7], v[8:9], 1.0
	v_fma_f64 v[8:9], v[8:9], v[10:11], v[8:9]
	v_div_scale_f64 v[10:11], vcc_lo, 1.0, v[4:5], 1.0
	v_mul_f64 v[12:13], v[10:11], v[8:9]
	v_fma_f64 v[6:7], -v[6:7], v[12:13], v[10:11]
	v_div_fmas_f64 v[6:7], v[6:7], v[8:9], v[12:13]
	v_div_fixup_f64 v[4:5], v[6:7], v[4:5], 1.0
	ds_write_b64 v1, v[4:5]
.LBB119_109:
	s_or_b32 exec_lo, exec_lo, s1
	s_waitcnt lgkmcnt(0)
	s_barrier
	buffer_gl0_inv
	ds_read_b64 v[4:5], v1
	s_mov_b32 s1, exec_lo
	s_waitcnt lgkmcnt(0)
	buffer_store_dword v4, off, s[12:15], 0 offset:384 ; 4-byte Folded Spill
	buffer_store_dword v5, off, s[12:15], 0 offset:388 ; 4-byte Folded Spill
	v_cmpx_lt_u32_e32 21, v0
	s_cbranch_execz .LBB119_111
; %bb.110:
	s_clause 0x1
	buffer_load_dword v4, off, s[12:15], 0 offset:384
	buffer_load_dword v5, off, s[12:15], 0 offset:388
	s_waitcnt vmcnt(0)
	v_mul_f64 v[160:161], v[4:5], v[160:161]
	ds_read2_b64 v[4:7], v64 offset0:22 offset1:23
	s_waitcnt lgkmcnt(0)
	v_fma_f64 v[200:201], -v[160:161], v[4:5], v[200:201]
	v_fma_f64 v[158:159], -v[160:161], v[6:7], v[158:159]
	ds_read2_b64 v[4:7], v64 offset0:24 offset1:25
	s_waitcnt lgkmcnt(0)
	v_fma_f64 v[198:199], -v[160:161], v[4:5], v[198:199]
	v_fma_f64 v[156:157], -v[160:161], v[6:7], v[156:157]
	;; [unrolled: 4-line block ×19, first 2 shown]
.LBB119_111:
	s_or_b32 exec_lo, exec_lo, s1
	s_mov_b32 s1, exec_lo
	s_waitcnt_vscnt null, 0x0
	s_barrier
	buffer_gl0_inv
	v_cmpx_eq_u32_e32 22, v0
	s_cbranch_execz .LBB119_114
; %bb.112:
	ds_write_b64 v1, v[200:201]
	ds_write2_b64 v64, v[158:159], v[198:199] offset0:23 offset1:24
	ds_write2_b64 v64, v[156:157], v[196:197] offset0:25 offset1:26
	;; [unrolled: 1-line block ×18, first 2 shown]
	ds_write_b64 v64, v[242:243] offset:472
	ds_read_b64 v[4:5], v1
	s_waitcnt lgkmcnt(0)
	v_cmp_neq_f64_e32 vcc_lo, 0, v[4:5]
	s_and_b32 exec_lo, exec_lo, vcc_lo
	s_cbranch_execz .LBB119_114
; %bb.113:
	v_div_scale_f64 v[6:7], null, v[4:5], v[4:5], 1.0
	v_rcp_f64_e32 v[8:9], v[6:7]
	v_fma_f64 v[10:11], -v[6:7], v[8:9], 1.0
	v_fma_f64 v[8:9], v[8:9], v[10:11], v[8:9]
	v_fma_f64 v[10:11], -v[6:7], v[8:9], 1.0
	v_fma_f64 v[8:9], v[8:9], v[10:11], v[8:9]
	v_div_scale_f64 v[10:11], vcc_lo, 1.0, v[4:5], 1.0
	v_mul_f64 v[12:13], v[10:11], v[8:9]
	v_fma_f64 v[6:7], -v[6:7], v[12:13], v[10:11]
	v_div_fmas_f64 v[6:7], v[6:7], v[8:9], v[12:13]
	v_div_fixup_f64 v[4:5], v[6:7], v[4:5], 1.0
	ds_write_b64 v1, v[4:5]
.LBB119_114:
	s_or_b32 exec_lo, exec_lo, s1
	s_waitcnt lgkmcnt(0)
	s_barrier
	buffer_gl0_inv
	ds_read_b64 v[4:5], v1
	s_mov_b32 s1, exec_lo
	s_waitcnt lgkmcnt(0)
	buffer_store_dword v4, off, s[12:15], 0 offset:392 ; 4-byte Folded Spill
	buffer_store_dword v5, off, s[12:15], 0 offset:396 ; 4-byte Folded Spill
	v_cmpx_lt_u32_e32 22, v0
	s_cbranch_execz .LBB119_116
; %bb.115:
	s_clause 0x1
	buffer_load_dword v4, off, s[12:15], 0 offset:392
	buffer_load_dword v5, off, s[12:15], 0 offset:396
	s_waitcnt vmcnt(0)
	v_mul_f64 v[200:201], v[4:5], v[200:201]
	ds_read2_b64 v[4:7], v64 offset0:23 offset1:24
	s_waitcnt lgkmcnt(0)
	v_fma_f64 v[158:159], -v[200:201], v[4:5], v[158:159]
	v_fma_f64 v[198:199], -v[200:201], v[6:7], v[198:199]
	ds_read2_b64 v[4:7], v64 offset0:25 offset1:26
	s_waitcnt lgkmcnt(0)
	v_fma_f64 v[156:157], -v[200:201], v[4:5], v[156:157]
	v_fma_f64 v[196:197], -v[200:201], v[6:7], v[196:197]
	;; [unrolled: 4-line block ×17, first 2 shown]
	ds_read2_b64 v[4:7], v64 offset0:57 offset1:58
	s_waitcnt lgkmcnt(0)
	v_fma_f64 v[124:125], -v[200:201], v[4:5], v[124:125]
	ds_read_b64 v[4:5], v64 offset:472
	v_fma_f64 v[164:165], -v[200:201], v[6:7], v[164:165]
	s_waitcnt lgkmcnt(0)
	v_fma_f64 v[242:243], -v[200:201], v[4:5], v[242:243]
.LBB119_116:
	s_or_b32 exec_lo, exec_lo, s1
	s_mov_b32 s1, exec_lo
	s_waitcnt_vscnt null, 0x0
	s_barrier
	buffer_gl0_inv
	v_cmpx_eq_u32_e32 23, v0
	s_cbranch_execz .LBB119_119
; %bb.117:
	v_mov_b32_e32 v4, v198
	v_mov_b32_e32 v5, v199
	;; [unrolled: 1-line block ×4, first 2 shown]
	ds_write_b64 v1, v[158:159]
	ds_write2_b64 v64, v[4:5], v[6:7] offset0:24 offset1:25
	v_mov_b32_e32 v4, v196
	v_mov_b32_e32 v5, v197
	v_mov_b32_e32 v6, v154
	v_mov_b32_e32 v7, v155
	ds_write2_b64 v64, v[4:5], v[6:7] offset0:26 offset1:27
	v_mov_b32_e32 v4, v194
	v_mov_b32_e32 v5, v195
	v_mov_b32_e32 v6, v152
	v_mov_b32_e32 v7, v153
	;; [unrolled: 5-line block ×16, first 2 shown]
	ds_write2_b64 v64, v[4:5], v[6:7] offset0:56 offset1:57
	v_mov_b32_e32 v4, v164
	v_mov_b32_e32 v5, v165
	ds_write2_b64 v64, v[4:5], v[242:243] offset0:58 offset1:59
	ds_read_b64 v[4:5], v1
	s_waitcnt lgkmcnt(0)
	v_cmp_neq_f64_e32 vcc_lo, 0, v[4:5]
	s_and_b32 exec_lo, exec_lo, vcc_lo
	s_cbranch_execz .LBB119_119
; %bb.118:
	v_div_scale_f64 v[6:7], null, v[4:5], v[4:5], 1.0
	v_rcp_f64_e32 v[8:9], v[6:7]
	v_fma_f64 v[10:11], -v[6:7], v[8:9], 1.0
	v_fma_f64 v[8:9], v[8:9], v[10:11], v[8:9]
	v_fma_f64 v[10:11], -v[6:7], v[8:9], 1.0
	v_fma_f64 v[8:9], v[8:9], v[10:11], v[8:9]
	v_div_scale_f64 v[10:11], vcc_lo, 1.0, v[4:5], 1.0
	v_mul_f64 v[12:13], v[10:11], v[8:9]
	v_fma_f64 v[6:7], -v[6:7], v[12:13], v[10:11]
	v_div_fmas_f64 v[6:7], v[6:7], v[8:9], v[12:13]
	v_div_fixup_f64 v[4:5], v[6:7], v[4:5], 1.0
	ds_write_b64 v1, v[4:5]
.LBB119_119:
	s_or_b32 exec_lo, exec_lo, s1
	s_waitcnt lgkmcnt(0)
	s_barrier
	buffer_gl0_inv
	ds_read_b64 v[4:5], v1
	s_mov_b32 s1, exec_lo
	s_waitcnt lgkmcnt(0)
	buffer_store_dword v4, off, s[12:15], 0 offset:400 ; 4-byte Folded Spill
	buffer_store_dword v5, off, s[12:15], 0 offset:404 ; 4-byte Folded Spill
	v_cmpx_lt_u32_e32 23, v0
	s_cbranch_execz .LBB119_121
; %bb.120:
	s_clause 0x1
	buffer_load_dword v4, off, s[12:15], 0 offset:400
	buffer_load_dword v5, off, s[12:15], 0 offset:404
	s_waitcnt vmcnt(0)
	v_mul_f64 v[158:159], v[4:5], v[158:159]
	ds_read2_b64 v[4:7], v64 offset0:24 offset1:25
	s_waitcnt lgkmcnt(0)
	v_fma_f64 v[198:199], -v[158:159], v[4:5], v[198:199]
	v_fma_f64 v[156:157], -v[158:159], v[6:7], v[156:157]
	ds_read2_b64 v[4:7], v64 offset0:26 offset1:27
	s_waitcnt lgkmcnt(0)
	v_fma_f64 v[196:197], -v[158:159], v[4:5], v[196:197]
	v_fma_f64 v[154:155], -v[158:159], v[6:7], v[154:155]
	;; [unrolled: 4-line block ×18, first 2 shown]
.LBB119_121:
	s_or_b32 exec_lo, exec_lo, s1
	s_mov_b32 s1, exec_lo
	s_waitcnt_vscnt null, 0x0
	s_barrier
	buffer_gl0_inv
	v_cmpx_eq_u32_e32 24, v0
	s_cbranch_execz .LBB119_124
; %bb.122:
	ds_write_b64 v1, v[198:199]
	ds_write2_b64 v64, v[156:157], v[196:197] offset0:25 offset1:26
	ds_write2_b64 v64, v[154:155], v[194:195] offset0:27 offset1:28
	;; [unrolled: 1-line block ×17, first 2 shown]
	ds_write_b64 v64, v[242:243] offset:472
	ds_read_b64 v[4:5], v1
	s_waitcnt lgkmcnt(0)
	v_cmp_neq_f64_e32 vcc_lo, 0, v[4:5]
	s_and_b32 exec_lo, exec_lo, vcc_lo
	s_cbranch_execz .LBB119_124
; %bb.123:
	v_div_scale_f64 v[6:7], null, v[4:5], v[4:5], 1.0
	v_rcp_f64_e32 v[8:9], v[6:7]
	v_fma_f64 v[10:11], -v[6:7], v[8:9], 1.0
	v_fma_f64 v[8:9], v[8:9], v[10:11], v[8:9]
	v_fma_f64 v[10:11], -v[6:7], v[8:9], 1.0
	v_fma_f64 v[8:9], v[8:9], v[10:11], v[8:9]
	v_div_scale_f64 v[10:11], vcc_lo, 1.0, v[4:5], 1.0
	v_mul_f64 v[12:13], v[10:11], v[8:9]
	v_fma_f64 v[6:7], -v[6:7], v[12:13], v[10:11]
	v_div_fmas_f64 v[6:7], v[6:7], v[8:9], v[12:13]
	v_div_fixup_f64 v[4:5], v[6:7], v[4:5], 1.0
	ds_write_b64 v1, v[4:5]
.LBB119_124:
	s_or_b32 exec_lo, exec_lo, s1
	s_waitcnt lgkmcnt(0)
	s_barrier
	buffer_gl0_inv
	ds_read_b64 v[4:5], v1
	s_mov_b32 s1, exec_lo
	s_waitcnt lgkmcnt(0)
	buffer_store_dword v4, off, s[12:15], 0 offset:408 ; 4-byte Folded Spill
	buffer_store_dword v5, off, s[12:15], 0 offset:412 ; 4-byte Folded Spill
	v_cmpx_lt_u32_e32 24, v0
	s_cbranch_execz .LBB119_126
; %bb.125:
	s_clause 0x1
	buffer_load_dword v4, off, s[12:15], 0 offset:408
	buffer_load_dword v5, off, s[12:15], 0 offset:412
	s_waitcnt vmcnt(0)
	v_mul_f64 v[198:199], v[4:5], v[198:199]
	ds_read2_b64 v[4:7], v64 offset0:25 offset1:26
	s_waitcnt lgkmcnt(0)
	v_fma_f64 v[156:157], -v[198:199], v[4:5], v[156:157]
	v_fma_f64 v[196:197], -v[198:199], v[6:7], v[196:197]
	ds_read2_b64 v[4:7], v64 offset0:27 offset1:28
	s_waitcnt lgkmcnt(0)
	v_fma_f64 v[154:155], -v[198:199], v[4:5], v[154:155]
	v_fma_f64 v[194:195], -v[198:199], v[6:7], v[194:195]
	;; [unrolled: 4-line block ×16, first 2 shown]
	ds_read2_b64 v[4:7], v64 offset0:57 offset1:58
	s_waitcnt lgkmcnt(0)
	v_fma_f64 v[124:125], -v[198:199], v[4:5], v[124:125]
	ds_read_b64 v[4:5], v64 offset:472
	v_fma_f64 v[164:165], -v[198:199], v[6:7], v[164:165]
	s_waitcnt lgkmcnt(0)
	v_fma_f64 v[242:243], -v[198:199], v[4:5], v[242:243]
.LBB119_126:
	s_or_b32 exec_lo, exec_lo, s1
	s_mov_b32 s1, exec_lo
	s_waitcnt_vscnt null, 0x0
	s_barrier
	buffer_gl0_inv
	v_cmpx_eq_u32_e32 25, v0
	s_cbranch_execz .LBB119_129
; %bb.127:
	v_mov_b32_e32 v4, v196
	v_mov_b32_e32 v5, v197
	v_mov_b32_e32 v6, v154
	v_mov_b32_e32 v7, v155
	ds_write_b64 v1, v[156:157]
	ds_write2_b64 v64, v[4:5], v[6:7] offset0:26 offset1:27
	v_mov_b32_e32 v4, v194
	v_mov_b32_e32 v5, v195
	v_mov_b32_e32 v6, v152
	v_mov_b32_e32 v7, v153
	ds_write2_b64 v64, v[4:5], v[6:7] offset0:28 offset1:29
	v_mov_b32_e32 v4, v192
	v_mov_b32_e32 v5, v193
	v_mov_b32_e32 v6, v150
	v_mov_b32_e32 v7, v151
	;; [unrolled: 5-line block ×15, first 2 shown]
	ds_write2_b64 v64, v[4:5], v[6:7] offset0:56 offset1:57
	v_mov_b32_e32 v4, v164
	v_mov_b32_e32 v5, v165
	ds_write2_b64 v64, v[4:5], v[242:243] offset0:58 offset1:59
	ds_read_b64 v[4:5], v1
	s_waitcnt lgkmcnt(0)
	v_cmp_neq_f64_e32 vcc_lo, 0, v[4:5]
	s_and_b32 exec_lo, exec_lo, vcc_lo
	s_cbranch_execz .LBB119_129
; %bb.128:
	v_div_scale_f64 v[6:7], null, v[4:5], v[4:5], 1.0
	v_rcp_f64_e32 v[8:9], v[6:7]
	v_fma_f64 v[10:11], -v[6:7], v[8:9], 1.0
	v_fma_f64 v[8:9], v[8:9], v[10:11], v[8:9]
	v_fma_f64 v[10:11], -v[6:7], v[8:9], 1.0
	v_fma_f64 v[8:9], v[8:9], v[10:11], v[8:9]
	v_div_scale_f64 v[10:11], vcc_lo, 1.0, v[4:5], 1.0
	v_mul_f64 v[12:13], v[10:11], v[8:9]
	v_fma_f64 v[6:7], -v[6:7], v[12:13], v[10:11]
	v_div_fmas_f64 v[6:7], v[6:7], v[8:9], v[12:13]
	v_div_fixup_f64 v[4:5], v[6:7], v[4:5], 1.0
	ds_write_b64 v1, v[4:5]
.LBB119_129:
	s_or_b32 exec_lo, exec_lo, s1
	s_waitcnt lgkmcnt(0)
	s_barrier
	buffer_gl0_inv
	ds_read_b64 v[4:5], v1
	s_mov_b32 s1, exec_lo
	s_waitcnt lgkmcnt(0)
	buffer_store_dword v4, off, s[12:15], 0 offset:416 ; 4-byte Folded Spill
	buffer_store_dword v5, off, s[12:15], 0 offset:420 ; 4-byte Folded Spill
	v_cmpx_lt_u32_e32 25, v0
	s_cbranch_execz .LBB119_131
; %bb.130:
	s_clause 0x1
	buffer_load_dword v4, off, s[12:15], 0 offset:416
	buffer_load_dword v5, off, s[12:15], 0 offset:420
	s_waitcnt vmcnt(0)
	v_mul_f64 v[156:157], v[4:5], v[156:157]
	ds_read2_b64 v[4:7], v64 offset0:26 offset1:27
	s_waitcnt lgkmcnt(0)
	v_fma_f64 v[196:197], -v[156:157], v[4:5], v[196:197]
	v_fma_f64 v[154:155], -v[156:157], v[6:7], v[154:155]
	ds_read2_b64 v[4:7], v64 offset0:28 offset1:29
	s_waitcnt lgkmcnt(0)
	v_fma_f64 v[194:195], -v[156:157], v[4:5], v[194:195]
	v_fma_f64 v[152:153], -v[156:157], v[6:7], v[152:153]
	;; [unrolled: 4-line block ×17, first 2 shown]
.LBB119_131:
	s_or_b32 exec_lo, exec_lo, s1
	s_mov_b32 s1, exec_lo
	s_waitcnt_vscnt null, 0x0
	s_barrier
	buffer_gl0_inv
	v_cmpx_eq_u32_e32 26, v0
	s_cbranch_execz .LBB119_134
; %bb.132:
	ds_write_b64 v1, v[196:197]
	ds_write2_b64 v64, v[154:155], v[194:195] offset0:27 offset1:28
	ds_write2_b64 v64, v[152:153], v[192:193] offset0:29 offset1:30
	;; [unrolled: 1-line block ×16, first 2 shown]
	ds_write_b64 v64, v[242:243] offset:472
	ds_read_b64 v[4:5], v1
	s_waitcnt lgkmcnt(0)
	v_cmp_neq_f64_e32 vcc_lo, 0, v[4:5]
	s_and_b32 exec_lo, exec_lo, vcc_lo
	s_cbranch_execz .LBB119_134
; %bb.133:
	v_div_scale_f64 v[6:7], null, v[4:5], v[4:5], 1.0
	v_rcp_f64_e32 v[8:9], v[6:7]
	v_fma_f64 v[10:11], -v[6:7], v[8:9], 1.0
	v_fma_f64 v[8:9], v[8:9], v[10:11], v[8:9]
	v_fma_f64 v[10:11], -v[6:7], v[8:9], 1.0
	v_fma_f64 v[8:9], v[8:9], v[10:11], v[8:9]
	v_div_scale_f64 v[10:11], vcc_lo, 1.0, v[4:5], 1.0
	v_mul_f64 v[12:13], v[10:11], v[8:9]
	v_fma_f64 v[6:7], -v[6:7], v[12:13], v[10:11]
	v_div_fmas_f64 v[6:7], v[6:7], v[8:9], v[12:13]
	v_div_fixup_f64 v[4:5], v[6:7], v[4:5], 1.0
	ds_write_b64 v1, v[4:5]
.LBB119_134:
	s_or_b32 exec_lo, exec_lo, s1
	s_waitcnt lgkmcnt(0)
	s_barrier
	buffer_gl0_inv
	ds_read_b64 v[4:5], v1
	s_mov_b32 s1, exec_lo
	s_waitcnt lgkmcnt(0)
	buffer_store_dword v4, off, s[12:15], 0 offset:424 ; 4-byte Folded Spill
	buffer_store_dword v5, off, s[12:15], 0 offset:428 ; 4-byte Folded Spill
	v_cmpx_lt_u32_e32 26, v0
	s_cbranch_execz .LBB119_136
; %bb.135:
	s_clause 0x1
	buffer_load_dword v4, off, s[12:15], 0 offset:424
	buffer_load_dword v5, off, s[12:15], 0 offset:428
	s_waitcnt vmcnt(0)
	v_mul_f64 v[196:197], v[4:5], v[196:197]
	ds_read2_b64 v[4:7], v64 offset0:27 offset1:28
	s_waitcnt lgkmcnt(0)
	v_fma_f64 v[154:155], -v[196:197], v[4:5], v[154:155]
	v_fma_f64 v[194:195], -v[196:197], v[6:7], v[194:195]
	ds_read2_b64 v[4:7], v64 offset0:29 offset1:30
	s_waitcnt lgkmcnt(0)
	v_fma_f64 v[152:153], -v[196:197], v[4:5], v[152:153]
	v_fma_f64 v[192:193], -v[196:197], v[6:7], v[192:193]
	;; [unrolled: 4-line block ×15, first 2 shown]
	ds_read2_b64 v[4:7], v64 offset0:57 offset1:58
	s_waitcnt lgkmcnt(0)
	v_fma_f64 v[124:125], -v[196:197], v[4:5], v[124:125]
	ds_read_b64 v[4:5], v64 offset:472
	v_fma_f64 v[164:165], -v[196:197], v[6:7], v[164:165]
	s_waitcnt lgkmcnt(0)
	v_fma_f64 v[242:243], -v[196:197], v[4:5], v[242:243]
.LBB119_136:
	s_or_b32 exec_lo, exec_lo, s1
	s_mov_b32 s1, exec_lo
	s_waitcnt_vscnt null, 0x0
	s_barrier
	buffer_gl0_inv
	v_cmpx_eq_u32_e32 27, v0
	s_cbranch_execz .LBB119_139
; %bb.137:
	v_mov_b32_e32 v4, v194
	v_mov_b32_e32 v5, v195
	;; [unrolled: 1-line block ×4, first 2 shown]
	ds_write_b64 v1, v[154:155]
	ds_write2_b64 v64, v[4:5], v[6:7] offset0:28 offset1:29
	v_mov_b32_e32 v4, v192
	v_mov_b32_e32 v5, v193
	v_mov_b32_e32 v6, v150
	v_mov_b32_e32 v7, v151
	ds_write2_b64 v64, v[4:5], v[6:7] offset0:30 offset1:31
	v_mov_b32_e32 v4, v190
	v_mov_b32_e32 v5, v191
	v_mov_b32_e32 v6, v148
	v_mov_b32_e32 v7, v149
	;; [unrolled: 5-line block ×14, first 2 shown]
	ds_write2_b64 v64, v[4:5], v[6:7] offset0:56 offset1:57
	v_mov_b32_e32 v4, v164
	v_mov_b32_e32 v5, v165
	ds_write2_b64 v64, v[4:5], v[242:243] offset0:58 offset1:59
	ds_read_b64 v[4:5], v1
	s_waitcnt lgkmcnt(0)
	v_cmp_neq_f64_e32 vcc_lo, 0, v[4:5]
	s_and_b32 exec_lo, exec_lo, vcc_lo
	s_cbranch_execz .LBB119_139
; %bb.138:
	v_div_scale_f64 v[6:7], null, v[4:5], v[4:5], 1.0
	v_rcp_f64_e32 v[8:9], v[6:7]
	v_fma_f64 v[10:11], -v[6:7], v[8:9], 1.0
	v_fma_f64 v[8:9], v[8:9], v[10:11], v[8:9]
	v_fma_f64 v[10:11], -v[6:7], v[8:9], 1.0
	v_fma_f64 v[8:9], v[8:9], v[10:11], v[8:9]
	v_div_scale_f64 v[10:11], vcc_lo, 1.0, v[4:5], 1.0
	v_mul_f64 v[12:13], v[10:11], v[8:9]
	v_fma_f64 v[6:7], -v[6:7], v[12:13], v[10:11]
	v_div_fmas_f64 v[6:7], v[6:7], v[8:9], v[12:13]
	v_div_fixup_f64 v[4:5], v[6:7], v[4:5], 1.0
	ds_write_b64 v1, v[4:5]
.LBB119_139:
	s_or_b32 exec_lo, exec_lo, s1
	s_waitcnt lgkmcnt(0)
	s_barrier
	buffer_gl0_inv
	ds_read_b64 v[4:5], v1
	s_mov_b32 s1, exec_lo
	s_waitcnt lgkmcnt(0)
	buffer_store_dword v4, off, s[12:15], 0 offset:432 ; 4-byte Folded Spill
	buffer_store_dword v5, off, s[12:15], 0 offset:436 ; 4-byte Folded Spill
	v_cmpx_lt_u32_e32 27, v0
	s_cbranch_execz .LBB119_141
; %bb.140:
	s_clause 0x1
	buffer_load_dword v4, off, s[12:15], 0 offset:432
	buffer_load_dword v5, off, s[12:15], 0 offset:436
	s_waitcnt vmcnt(0)
	v_mul_f64 v[154:155], v[4:5], v[154:155]
	ds_read2_b64 v[4:7], v64 offset0:28 offset1:29
	s_waitcnt lgkmcnt(0)
	v_fma_f64 v[194:195], -v[154:155], v[4:5], v[194:195]
	v_fma_f64 v[152:153], -v[154:155], v[6:7], v[152:153]
	ds_read2_b64 v[4:7], v64 offset0:30 offset1:31
	s_waitcnt lgkmcnt(0)
	v_fma_f64 v[192:193], -v[154:155], v[4:5], v[192:193]
	v_fma_f64 v[150:151], -v[154:155], v[6:7], v[150:151]
	;; [unrolled: 4-line block ×16, first 2 shown]
.LBB119_141:
	s_or_b32 exec_lo, exec_lo, s1
	s_mov_b32 s1, exec_lo
	s_waitcnt_vscnt null, 0x0
	s_barrier
	buffer_gl0_inv
	v_cmpx_eq_u32_e32 28, v0
	s_cbranch_execz .LBB119_144
; %bb.142:
	ds_write_b64 v1, v[194:195]
	ds_write2_b64 v64, v[152:153], v[192:193] offset0:29 offset1:30
	ds_write2_b64 v64, v[150:151], v[190:191] offset0:31 offset1:32
	ds_write2_b64 v64, v[148:149], v[188:189] offset0:33 offset1:34
	ds_write2_b64 v64, v[146:147], v[186:187] offset0:35 offset1:36
	ds_write2_b64 v64, v[144:145], v[184:185] offset0:37 offset1:38
	ds_write2_b64 v64, v[142:143], v[182:183] offset0:39 offset1:40
	ds_write2_b64 v64, v[140:141], v[180:181] offset0:41 offset1:42
	ds_write2_b64 v64, v[138:139], v[178:179] offset0:43 offset1:44
	ds_write2_b64 v64, v[136:137], v[176:177] offset0:45 offset1:46
	ds_write2_b64 v64, v[134:135], v[174:175] offset0:47 offset1:48
	ds_write2_b64 v64, v[132:133], v[172:173] offset0:49 offset1:50
	ds_write2_b64 v64, v[130:131], v[170:171] offset0:51 offset1:52
	ds_write2_b64 v64, v[128:129], v[168:169] offset0:53 offset1:54
	ds_write2_b64 v64, v[126:127], v[166:167] offset0:55 offset1:56
	ds_write2_b64 v64, v[124:125], v[164:165] offset0:57 offset1:58
	ds_write_b64 v64, v[242:243] offset:472
	ds_read_b64 v[4:5], v1
	s_waitcnt lgkmcnt(0)
	v_cmp_neq_f64_e32 vcc_lo, 0, v[4:5]
	s_and_b32 exec_lo, exec_lo, vcc_lo
	s_cbranch_execz .LBB119_144
; %bb.143:
	v_div_scale_f64 v[6:7], null, v[4:5], v[4:5], 1.0
	v_rcp_f64_e32 v[8:9], v[6:7]
	v_fma_f64 v[10:11], -v[6:7], v[8:9], 1.0
	v_fma_f64 v[8:9], v[8:9], v[10:11], v[8:9]
	v_fma_f64 v[10:11], -v[6:7], v[8:9], 1.0
	v_fma_f64 v[8:9], v[8:9], v[10:11], v[8:9]
	v_div_scale_f64 v[10:11], vcc_lo, 1.0, v[4:5], 1.0
	v_mul_f64 v[12:13], v[10:11], v[8:9]
	v_fma_f64 v[6:7], -v[6:7], v[12:13], v[10:11]
	v_div_fmas_f64 v[6:7], v[6:7], v[8:9], v[12:13]
	v_div_fixup_f64 v[4:5], v[6:7], v[4:5], 1.0
	ds_write_b64 v1, v[4:5]
.LBB119_144:
	s_or_b32 exec_lo, exec_lo, s1
	s_waitcnt lgkmcnt(0)
	s_barrier
	buffer_gl0_inv
	ds_read_b64 v[4:5], v1
	s_mov_b32 s1, exec_lo
	s_waitcnt lgkmcnt(0)
	buffer_store_dword v4, off, s[12:15], 0 offset:440 ; 4-byte Folded Spill
	buffer_store_dword v5, off, s[12:15], 0 offset:444 ; 4-byte Folded Spill
	v_cmpx_lt_u32_e32 28, v0
	s_cbranch_execz .LBB119_146
; %bb.145:
	s_clause 0x1
	buffer_load_dword v4, off, s[12:15], 0 offset:440
	buffer_load_dword v5, off, s[12:15], 0 offset:444
	s_waitcnt vmcnt(0)
	v_mul_f64 v[194:195], v[4:5], v[194:195]
	ds_read2_b64 v[4:7], v64 offset0:29 offset1:30
	s_waitcnt lgkmcnt(0)
	v_fma_f64 v[152:153], -v[194:195], v[4:5], v[152:153]
	v_fma_f64 v[192:193], -v[194:195], v[6:7], v[192:193]
	ds_read2_b64 v[4:7], v64 offset0:31 offset1:32
	s_waitcnt lgkmcnt(0)
	v_fma_f64 v[150:151], -v[194:195], v[4:5], v[150:151]
	v_fma_f64 v[190:191], -v[194:195], v[6:7], v[190:191]
	;; [unrolled: 4-line block ×14, first 2 shown]
	ds_read2_b64 v[4:7], v64 offset0:57 offset1:58
	s_waitcnt lgkmcnt(0)
	v_fma_f64 v[124:125], -v[194:195], v[4:5], v[124:125]
	ds_read_b64 v[4:5], v64 offset:472
	v_fma_f64 v[164:165], -v[194:195], v[6:7], v[164:165]
	s_waitcnt lgkmcnt(0)
	v_fma_f64 v[242:243], -v[194:195], v[4:5], v[242:243]
.LBB119_146:
	s_or_b32 exec_lo, exec_lo, s1
	s_mov_b32 s1, exec_lo
	s_waitcnt_vscnt null, 0x0
	s_barrier
	buffer_gl0_inv
	v_cmpx_eq_u32_e32 29, v0
	s_cbranch_execz .LBB119_149
; %bb.147:
	v_mov_b32_e32 v4, v192
	v_mov_b32_e32 v5, v193
	;; [unrolled: 1-line block ×4, first 2 shown]
	ds_write_b64 v1, v[152:153]
	ds_write2_b64 v64, v[4:5], v[6:7] offset0:30 offset1:31
	v_mov_b32_e32 v4, v190
	v_mov_b32_e32 v5, v191
	v_mov_b32_e32 v6, v148
	v_mov_b32_e32 v7, v149
	ds_write2_b64 v64, v[4:5], v[6:7] offset0:32 offset1:33
	v_mov_b32_e32 v4, v188
	v_mov_b32_e32 v5, v189
	v_mov_b32_e32 v6, v146
	v_mov_b32_e32 v7, v147
	;; [unrolled: 5-line block ×13, first 2 shown]
	ds_write2_b64 v64, v[4:5], v[6:7] offset0:56 offset1:57
	v_mov_b32_e32 v4, v164
	v_mov_b32_e32 v5, v165
	ds_write2_b64 v64, v[4:5], v[242:243] offset0:58 offset1:59
	ds_read_b64 v[4:5], v1
	s_waitcnt lgkmcnt(0)
	v_cmp_neq_f64_e32 vcc_lo, 0, v[4:5]
	s_and_b32 exec_lo, exec_lo, vcc_lo
	s_cbranch_execz .LBB119_149
; %bb.148:
	v_div_scale_f64 v[6:7], null, v[4:5], v[4:5], 1.0
	v_rcp_f64_e32 v[8:9], v[6:7]
	v_fma_f64 v[10:11], -v[6:7], v[8:9], 1.0
	v_fma_f64 v[8:9], v[8:9], v[10:11], v[8:9]
	v_fma_f64 v[10:11], -v[6:7], v[8:9], 1.0
	v_fma_f64 v[8:9], v[8:9], v[10:11], v[8:9]
	v_div_scale_f64 v[10:11], vcc_lo, 1.0, v[4:5], 1.0
	v_mul_f64 v[12:13], v[10:11], v[8:9]
	v_fma_f64 v[6:7], -v[6:7], v[12:13], v[10:11]
	v_div_fmas_f64 v[6:7], v[6:7], v[8:9], v[12:13]
	v_div_fixup_f64 v[4:5], v[6:7], v[4:5], 1.0
	ds_write_b64 v1, v[4:5]
.LBB119_149:
	s_or_b32 exec_lo, exec_lo, s1
	s_waitcnt lgkmcnt(0)
	s_barrier
	buffer_gl0_inv
	ds_read_b64 v[4:5], v1
	s_mov_b32 s1, exec_lo
	s_waitcnt lgkmcnt(0)
	buffer_store_dword v4, off, s[12:15], 0 offset:448 ; 4-byte Folded Spill
	buffer_store_dword v5, off, s[12:15], 0 offset:452 ; 4-byte Folded Spill
	v_cmpx_lt_u32_e32 29, v0
	s_cbranch_execz .LBB119_151
; %bb.150:
	s_clause 0x1
	buffer_load_dword v4, off, s[12:15], 0 offset:448
	buffer_load_dword v5, off, s[12:15], 0 offset:452
	s_waitcnt vmcnt(0)
	v_mul_f64 v[152:153], v[4:5], v[152:153]
	ds_read2_b64 v[4:7], v64 offset0:30 offset1:31
	s_waitcnt lgkmcnt(0)
	v_fma_f64 v[192:193], -v[152:153], v[4:5], v[192:193]
	v_fma_f64 v[150:151], -v[152:153], v[6:7], v[150:151]
	ds_read2_b64 v[4:7], v64 offset0:32 offset1:33
	s_waitcnt lgkmcnt(0)
	v_fma_f64 v[190:191], -v[152:153], v[4:5], v[190:191]
	v_fma_f64 v[148:149], -v[152:153], v[6:7], v[148:149]
	;; [unrolled: 4-line block ×15, first 2 shown]
.LBB119_151:
	s_or_b32 exec_lo, exec_lo, s1
	s_mov_b32 s1, exec_lo
	s_waitcnt_vscnt null, 0x0
	s_barrier
	buffer_gl0_inv
	v_cmpx_eq_u32_e32 30, v0
	s_cbranch_execz .LBB119_154
; %bb.152:
	ds_write_b64 v1, v[192:193]
	ds_write2_b64 v64, v[150:151], v[190:191] offset0:31 offset1:32
	ds_write2_b64 v64, v[148:149], v[188:189] offset0:33 offset1:34
	;; [unrolled: 1-line block ×14, first 2 shown]
	ds_write_b64 v64, v[242:243] offset:472
	ds_read_b64 v[4:5], v1
	s_waitcnt lgkmcnt(0)
	v_cmp_neq_f64_e32 vcc_lo, 0, v[4:5]
	s_and_b32 exec_lo, exec_lo, vcc_lo
	s_cbranch_execz .LBB119_154
; %bb.153:
	v_div_scale_f64 v[6:7], null, v[4:5], v[4:5], 1.0
	v_rcp_f64_e32 v[8:9], v[6:7]
	v_fma_f64 v[10:11], -v[6:7], v[8:9], 1.0
	v_fma_f64 v[8:9], v[8:9], v[10:11], v[8:9]
	v_fma_f64 v[10:11], -v[6:7], v[8:9], 1.0
	v_fma_f64 v[8:9], v[8:9], v[10:11], v[8:9]
	v_div_scale_f64 v[10:11], vcc_lo, 1.0, v[4:5], 1.0
	v_mul_f64 v[12:13], v[10:11], v[8:9]
	v_fma_f64 v[6:7], -v[6:7], v[12:13], v[10:11]
	v_div_fmas_f64 v[6:7], v[6:7], v[8:9], v[12:13]
	v_div_fixup_f64 v[4:5], v[6:7], v[4:5], 1.0
	ds_write_b64 v1, v[4:5]
.LBB119_154:
	s_or_b32 exec_lo, exec_lo, s1
	s_waitcnt lgkmcnt(0)
	s_barrier
	buffer_gl0_inv
	ds_read_b64 v[4:5], v1
	s_mov_b32 s1, exec_lo
	v_cmpx_lt_u32_e32 30, v0
	s_cbranch_execz .LBB119_156
; %bb.155:
	s_waitcnt lgkmcnt(0)
	v_mul_f64 v[192:193], v[4:5], v[192:193]
	ds_read2_b64 v[6:9], v64 offset0:31 offset1:32
	s_waitcnt lgkmcnt(0)
	v_fma_f64 v[150:151], -v[192:193], v[6:7], v[150:151]
	v_fma_f64 v[190:191], -v[192:193], v[8:9], v[190:191]
	ds_read2_b64 v[6:9], v64 offset0:33 offset1:34
	s_waitcnt lgkmcnt(0)
	v_fma_f64 v[148:149], -v[192:193], v[6:7], v[148:149]
	v_fma_f64 v[188:189], -v[192:193], v[8:9], v[188:189]
	;; [unrolled: 4-line block ×13, first 2 shown]
	ds_read2_b64 v[6:9], v64 offset0:57 offset1:58
	s_waitcnt lgkmcnt(0)
	v_fma_f64 v[124:125], -v[192:193], v[6:7], v[124:125]
	ds_read_b64 v[6:7], v64 offset:472
	v_fma_f64 v[164:165], -v[192:193], v[8:9], v[164:165]
	s_waitcnt lgkmcnt(0)
	v_fma_f64 v[242:243], -v[192:193], v[6:7], v[242:243]
.LBB119_156:
	s_or_b32 exec_lo, exec_lo, s1
	s_mov_b32 s1, exec_lo
	s_waitcnt lgkmcnt(0)
	s_barrier
	buffer_gl0_inv
	v_cmpx_eq_u32_e32 31, v0
	s_cbranch_execz .LBB119_159
; %bb.157:
	v_mov_b32_e32 v6, v190
	v_mov_b32_e32 v7, v191
	;; [unrolled: 1-line block ×4, first 2 shown]
	ds_write_b64 v1, v[150:151]
	ds_write2_b64 v64, v[6:7], v[8:9] offset0:32 offset1:33
	v_mov_b32_e32 v6, v188
	v_mov_b32_e32 v7, v189
	v_mov_b32_e32 v8, v146
	v_mov_b32_e32 v9, v147
	ds_write2_b64 v64, v[6:7], v[8:9] offset0:34 offset1:35
	v_mov_b32_e32 v6, v186
	v_mov_b32_e32 v7, v187
	v_mov_b32_e32 v8, v144
	v_mov_b32_e32 v9, v145
	;; [unrolled: 5-line block ×12, first 2 shown]
	ds_write2_b64 v64, v[6:7], v[8:9] offset0:56 offset1:57
	v_mov_b32_e32 v6, v164
	v_mov_b32_e32 v7, v165
	ds_write2_b64 v64, v[6:7], v[242:243] offset0:58 offset1:59
	ds_read_b64 v[6:7], v1
	s_waitcnt lgkmcnt(0)
	v_cmp_neq_f64_e32 vcc_lo, 0, v[6:7]
	s_and_b32 exec_lo, exec_lo, vcc_lo
	s_cbranch_execz .LBB119_159
; %bb.158:
	v_div_scale_f64 v[8:9], null, v[6:7], v[6:7], 1.0
	v_rcp_f64_e32 v[10:11], v[8:9]
	v_fma_f64 v[12:13], -v[8:9], v[10:11], 1.0
	v_fma_f64 v[10:11], v[10:11], v[12:13], v[10:11]
	v_fma_f64 v[12:13], -v[8:9], v[10:11], 1.0
	v_fma_f64 v[10:11], v[10:11], v[12:13], v[10:11]
	v_div_scale_f64 v[12:13], vcc_lo, 1.0, v[6:7], 1.0
	v_mul_f64 v[14:15], v[12:13], v[10:11]
	v_fma_f64 v[8:9], -v[8:9], v[14:15], v[12:13]
	v_div_fmas_f64 v[8:9], v[8:9], v[10:11], v[14:15]
	v_div_fixup_f64 v[6:7], v[8:9], v[6:7], 1.0
	ds_write_b64 v1, v[6:7]
.LBB119_159:
	s_or_b32 exec_lo, exec_lo, s1
	s_waitcnt lgkmcnt(0)
	s_barrier
	buffer_gl0_inv
	ds_read_b64 v[6:7], v1
	s_mov_b32 s1, exec_lo
	v_cmpx_lt_u32_e32 31, v0
	s_cbranch_execz .LBB119_161
; %bb.160:
	s_waitcnt lgkmcnt(0)
	v_mul_f64 v[150:151], v[6:7], v[150:151]
	ds_read2_b64 v[8:11], v64 offset0:32 offset1:33
	s_waitcnt lgkmcnt(0)
	v_fma_f64 v[190:191], -v[150:151], v[8:9], v[190:191]
	v_fma_f64 v[148:149], -v[150:151], v[10:11], v[148:149]
	ds_read2_b64 v[8:11], v64 offset0:34 offset1:35
	s_waitcnt lgkmcnt(0)
	v_fma_f64 v[188:189], -v[150:151], v[8:9], v[188:189]
	v_fma_f64 v[146:147], -v[150:151], v[10:11], v[146:147]
	;; [unrolled: 4-line block ×14, first 2 shown]
.LBB119_161:
	s_or_b32 exec_lo, exec_lo, s1
	s_mov_b32 s1, exec_lo
	s_waitcnt lgkmcnt(0)
	s_barrier
	buffer_gl0_inv
	v_cmpx_eq_u32_e32 32, v0
	s_cbranch_execz .LBB119_164
; %bb.162:
	ds_write_b64 v1, v[190:191]
	ds_write2_b64 v64, v[148:149], v[188:189] offset0:33 offset1:34
	ds_write2_b64 v64, v[146:147], v[186:187] offset0:35 offset1:36
	;; [unrolled: 1-line block ×13, first 2 shown]
	ds_write_b64 v64, v[242:243] offset:472
	ds_read_b64 v[8:9], v1
	s_waitcnt lgkmcnt(0)
	v_cmp_neq_f64_e32 vcc_lo, 0, v[8:9]
	s_and_b32 exec_lo, exec_lo, vcc_lo
	s_cbranch_execz .LBB119_164
; %bb.163:
	v_div_scale_f64 v[10:11], null, v[8:9], v[8:9], 1.0
	v_rcp_f64_e32 v[12:13], v[10:11]
	v_fma_f64 v[14:15], -v[10:11], v[12:13], 1.0
	v_fma_f64 v[12:13], v[12:13], v[14:15], v[12:13]
	v_fma_f64 v[14:15], -v[10:11], v[12:13], 1.0
	v_fma_f64 v[12:13], v[12:13], v[14:15], v[12:13]
	v_div_scale_f64 v[14:15], vcc_lo, 1.0, v[8:9], 1.0
	v_mul_f64 v[16:17], v[14:15], v[12:13]
	v_fma_f64 v[10:11], -v[10:11], v[16:17], v[14:15]
	v_div_fmas_f64 v[10:11], v[10:11], v[12:13], v[16:17]
	v_div_fixup_f64 v[8:9], v[10:11], v[8:9], 1.0
	ds_write_b64 v1, v[8:9]
.LBB119_164:
	s_or_b32 exec_lo, exec_lo, s1
	s_waitcnt lgkmcnt(0)
	s_barrier
	buffer_gl0_inv
	ds_read_b64 v[8:9], v1
	s_mov_b32 s1, exec_lo
	v_cmpx_lt_u32_e32 32, v0
	s_cbranch_execz .LBB119_166
; %bb.165:
	s_waitcnt lgkmcnt(0)
	v_mul_f64 v[190:191], v[8:9], v[190:191]
	ds_read2_b64 v[10:13], v64 offset0:33 offset1:34
	s_waitcnt lgkmcnt(0)
	v_fma_f64 v[148:149], -v[190:191], v[10:11], v[148:149]
	v_fma_f64 v[188:189], -v[190:191], v[12:13], v[188:189]
	ds_read2_b64 v[10:13], v64 offset0:35 offset1:36
	s_waitcnt lgkmcnt(0)
	v_fma_f64 v[146:147], -v[190:191], v[10:11], v[146:147]
	v_fma_f64 v[186:187], -v[190:191], v[12:13], v[186:187]
	;; [unrolled: 4-line block ×12, first 2 shown]
	ds_read2_b64 v[10:13], v64 offset0:57 offset1:58
	s_waitcnt lgkmcnt(0)
	v_fma_f64 v[124:125], -v[190:191], v[10:11], v[124:125]
	ds_read_b64 v[10:11], v64 offset:472
	v_fma_f64 v[164:165], -v[190:191], v[12:13], v[164:165]
	s_waitcnt lgkmcnt(0)
	v_fma_f64 v[242:243], -v[190:191], v[10:11], v[242:243]
.LBB119_166:
	s_or_b32 exec_lo, exec_lo, s1
	s_mov_b32 s1, exec_lo
	s_waitcnt lgkmcnt(0)
	s_barrier
	buffer_gl0_inv
	v_cmpx_eq_u32_e32 33, v0
	s_cbranch_execz .LBB119_169
; %bb.167:
	v_mov_b32_e32 v10, v188
	v_mov_b32_e32 v11, v189
	v_mov_b32_e32 v12, v146
	v_mov_b32_e32 v13, v147
	ds_write_b64 v1, v[148:149]
	ds_write2_b64 v64, v[10:11], v[12:13] offset0:34 offset1:35
	v_mov_b32_e32 v10, v186
	v_mov_b32_e32 v11, v187
	v_mov_b32_e32 v12, v144
	v_mov_b32_e32 v13, v145
	ds_write2_b64 v64, v[10:11], v[12:13] offset0:36 offset1:37
	v_mov_b32_e32 v10, v184
	v_mov_b32_e32 v11, v185
	v_mov_b32_e32 v12, v142
	v_mov_b32_e32 v13, v143
	;; [unrolled: 5-line block ×11, first 2 shown]
	ds_write2_b64 v64, v[10:11], v[12:13] offset0:56 offset1:57
	v_mov_b32_e32 v10, v164
	v_mov_b32_e32 v11, v165
	ds_write2_b64 v64, v[10:11], v[242:243] offset0:58 offset1:59
	ds_read_b64 v[10:11], v1
	s_waitcnt lgkmcnt(0)
	v_cmp_neq_f64_e32 vcc_lo, 0, v[10:11]
	s_and_b32 exec_lo, exec_lo, vcc_lo
	s_cbranch_execz .LBB119_169
; %bb.168:
	v_div_scale_f64 v[12:13], null, v[10:11], v[10:11], 1.0
	v_rcp_f64_e32 v[14:15], v[12:13]
	v_fma_f64 v[16:17], -v[12:13], v[14:15], 1.0
	v_fma_f64 v[14:15], v[14:15], v[16:17], v[14:15]
	v_fma_f64 v[16:17], -v[12:13], v[14:15], 1.0
	v_fma_f64 v[14:15], v[14:15], v[16:17], v[14:15]
	v_div_scale_f64 v[16:17], vcc_lo, 1.0, v[10:11], 1.0
	v_mul_f64 v[18:19], v[16:17], v[14:15]
	v_fma_f64 v[12:13], -v[12:13], v[18:19], v[16:17]
	v_div_fmas_f64 v[12:13], v[12:13], v[14:15], v[18:19]
	v_div_fixup_f64 v[10:11], v[12:13], v[10:11], 1.0
	ds_write_b64 v1, v[10:11]
.LBB119_169:
	s_or_b32 exec_lo, exec_lo, s1
	s_waitcnt lgkmcnt(0)
	s_barrier
	buffer_gl0_inv
	ds_read_b64 v[10:11], v1
	s_mov_b32 s1, exec_lo
	v_cmpx_lt_u32_e32 33, v0
	s_cbranch_execz .LBB119_171
; %bb.170:
	s_waitcnt lgkmcnt(0)
	v_mul_f64 v[148:149], v[10:11], v[148:149]
	ds_read2_b64 v[12:15], v64 offset0:34 offset1:35
	s_waitcnt lgkmcnt(0)
	v_fma_f64 v[188:189], -v[148:149], v[12:13], v[188:189]
	v_fma_f64 v[146:147], -v[148:149], v[14:15], v[146:147]
	ds_read2_b64 v[12:15], v64 offset0:36 offset1:37
	s_waitcnt lgkmcnt(0)
	v_fma_f64 v[186:187], -v[148:149], v[12:13], v[186:187]
	v_fma_f64 v[144:145], -v[148:149], v[14:15], v[144:145]
	;; [unrolled: 4-line block ×13, first 2 shown]
.LBB119_171:
	s_or_b32 exec_lo, exec_lo, s1
	s_mov_b32 s1, exec_lo
	s_waitcnt lgkmcnt(0)
	s_barrier
	buffer_gl0_inv
	v_cmpx_eq_u32_e32 34, v0
	s_cbranch_execz .LBB119_174
; %bb.172:
	ds_write_b64 v1, v[188:189]
	ds_write2_b64 v64, v[146:147], v[186:187] offset0:35 offset1:36
	ds_write2_b64 v64, v[144:145], v[184:185] offset0:37 offset1:38
	;; [unrolled: 1-line block ×12, first 2 shown]
	ds_write_b64 v64, v[242:243] offset:472
	ds_read_b64 v[12:13], v1
	s_waitcnt lgkmcnt(0)
	v_cmp_neq_f64_e32 vcc_lo, 0, v[12:13]
	s_and_b32 exec_lo, exec_lo, vcc_lo
	s_cbranch_execz .LBB119_174
; %bb.173:
	v_div_scale_f64 v[14:15], null, v[12:13], v[12:13], 1.0
	v_rcp_f64_e32 v[16:17], v[14:15]
	v_fma_f64 v[18:19], -v[14:15], v[16:17], 1.0
	v_fma_f64 v[16:17], v[16:17], v[18:19], v[16:17]
	v_fma_f64 v[18:19], -v[14:15], v[16:17], 1.0
	v_fma_f64 v[16:17], v[16:17], v[18:19], v[16:17]
	v_div_scale_f64 v[18:19], vcc_lo, 1.0, v[12:13], 1.0
	v_mul_f64 v[20:21], v[18:19], v[16:17]
	v_fma_f64 v[14:15], -v[14:15], v[20:21], v[18:19]
	v_div_fmas_f64 v[14:15], v[14:15], v[16:17], v[20:21]
	v_div_fixup_f64 v[12:13], v[14:15], v[12:13], 1.0
	ds_write_b64 v1, v[12:13]
.LBB119_174:
	s_or_b32 exec_lo, exec_lo, s1
	s_waitcnt lgkmcnt(0)
	s_barrier
	buffer_gl0_inv
	ds_read_b64 v[12:13], v1
	s_mov_b32 s1, exec_lo
	v_cmpx_lt_u32_e32 34, v0
	s_cbranch_execz .LBB119_176
; %bb.175:
	s_waitcnt lgkmcnt(0)
	v_mul_f64 v[188:189], v[12:13], v[188:189]
	ds_read2_b64 v[14:17], v64 offset0:35 offset1:36
	s_waitcnt lgkmcnt(0)
	v_fma_f64 v[146:147], -v[188:189], v[14:15], v[146:147]
	v_fma_f64 v[186:187], -v[188:189], v[16:17], v[186:187]
	ds_read2_b64 v[14:17], v64 offset0:37 offset1:38
	s_waitcnt lgkmcnt(0)
	v_fma_f64 v[144:145], -v[188:189], v[14:15], v[144:145]
	v_fma_f64 v[184:185], -v[188:189], v[16:17], v[184:185]
	;; [unrolled: 4-line block ×11, first 2 shown]
	ds_read2_b64 v[14:17], v64 offset0:57 offset1:58
	s_waitcnt lgkmcnt(0)
	v_fma_f64 v[124:125], -v[188:189], v[14:15], v[124:125]
	ds_read_b64 v[14:15], v64 offset:472
	v_fma_f64 v[164:165], -v[188:189], v[16:17], v[164:165]
	s_waitcnt lgkmcnt(0)
	v_fma_f64 v[242:243], -v[188:189], v[14:15], v[242:243]
.LBB119_176:
	s_or_b32 exec_lo, exec_lo, s1
	s_mov_b32 s1, exec_lo
	s_waitcnt lgkmcnt(0)
	s_barrier
	buffer_gl0_inv
	v_cmpx_eq_u32_e32 35, v0
	s_cbranch_execz .LBB119_179
; %bb.177:
	v_mov_b32_e32 v14, v186
	v_mov_b32_e32 v15, v187
	;; [unrolled: 1-line block ×4, first 2 shown]
	ds_write_b64 v1, v[146:147]
	ds_write2_b64 v64, v[14:15], v[16:17] offset0:36 offset1:37
	v_mov_b32_e32 v14, v184
	v_mov_b32_e32 v15, v185
	v_mov_b32_e32 v16, v142
	v_mov_b32_e32 v17, v143
	ds_write2_b64 v64, v[14:15], v[16:17] offset0:38 offset1:39
	v_mov_b32_e32 v14, v182
	v_mov_b32_e32 v15, v183
	v_mov_b32_e32 v16, v140
	v_mov_b32_e32 v17, v141
	;; [unrolled: 5-line block ×10, first 2 shown]
	ds_write2_b64 v64, v[14:15], v[16:17] offset0:56 offset1:57
	v_mov_b32_e32 v14, v164
	v_mov_b32_e32 v15, v165
	ds_write2_b64 v64, v[14:15], v[242:243] offset0:58 offset1:59
	ds_read_b64 v[14:15], v1
	s_waitcnt lgkmcnt(0)
	v_cmp_neq_f64_e32 vcc_lo, 0, v[14:15]
	s_and_b32 exec_lo, exec_lo, vcc_lo
	s_cbranch_execz .LBB119_179
; %bb.178:
	v_div_scale_f64 v[16:17], null, v[14:15], v[14:15], 1.0
	v_rcp_f64_e32 v[18:19], v[16:17]
	v_fma_f64 v[20:21], -v[16:17], v[18:19], 1.0
	v_fma_f64 v[18:19], v[18:19], v[20:21], v[18:19]
	v_fma_f64 v[20:21], -v[16:17], v[18:19], 1.0
	v_fma_f64 v[18:19], v[18:19], v[20:21], v[18:19]
	v_div_scale_f64 v[20:21], vcc_lo, 1.0, v[14:15], 1.0
	v_mul_f64 v[22:23], v[20:21], v[18:19]
	v_fma_f64 v[16:17], -v[16:17], v[22:23], v[20:21]
	v_div_fmas_f64 v[16:17], v[16:17], v[18:19], v[22:23]
	v_div_fixup_f64 v[14:15], v[16:17], v[14:15], 1.0
	ds_write_b64 v1, v[14:15]
.LBB119_179:
	s_or_b32 exec_lo, exec_lo, s1
	s_waitcnt lgkmcnt(0)
	s_barrier
	buffer_gl0_inv
	ds_read_b64 v[14:15], v1
	s_mov_b32 s1, exec_lo
	v_cmpx_lt_u32_e32 35, v0
	s_cbranch_execz .LBB119_181
; %bb.180:
	s_waitcnt lgkmcnt(0)
	v_mul_f64 v[146:147], v[14:15], v[146:147]
	ds_read2_b64 v[16:19], v64 offset0:36 offset1:37
	s_waitcnt lgkmcnt(0)
	v_fma_f64 v[186:187], -v[146:147], v[16:17], v[186:187]
	v_fma_f64 v[144:145], -v[146:147], v[18:19], v[144:145]
	ds_read2_b64 v[16:19], v64 offset0:38 offset1:39
	s_waitcnt lgkmcnt(0)
	v_fma_f64 v[184:185], -v[146:147], v[16:17], v[184:185]
	v_fma_f64 v[142:143], -v[146:147], v[18:19], v[142:143]
	;; [unrolled: 4-line block ×12, first 2 shown]
.LBB119_181:
	s_or_b32 exec_lo, exec_lo, s1
	s_mov_b32 s1, exec_lo
	s_waitcnt lgkmcnt(0)
	s_barrier
	buffer_gl0_inv
	v_cmpx_eq_u32_e32 36, v0
	s_cbranch_execz .LBB119_184
; %bb.182:
	ds_write_b64 v1, v[186:187]
	ds_write2_b64 v64, v[144:145], v[184:185] offset0:37 offset1:38
	ds_write2_b64 v64, v[142:143], v[182:183] offset0:39 offset1:40
	;; [unrolled: 1-line block ×11, first 2 shown]
	ds_write_b64 v64, v[242:243] offset:472
	ds_read_b64 v[16:17], v1
	s_waitcnt lgkmcnt(0)
	v_cmp_neq_f64_e32 vcc_lo, 0, v[16:17]
	s_and_b32 exec_lo, exec_lo, vcc_lo
	s_cbranch_execz .LBB119_184
; %bb.183:
	v_div_scale_f64 v[18:19], null, v[16:17], v[16:17], 1.0
	v_rcp_f64_e32 v[20:21], v[18:19]
	v_fma_f64 v[22:23], -v[18:19], v[20:21], 1.0
	v_fma_f64 v[20:21], v[20:21], v[22:23], v[20:21]
	v_fma_f64 v[22:23], -v[18:19], v[20:21], 1.0
	v_fma_f64 v[20:21], v[20:21], v[22:23], v[20:21]
	v_div_scale_f64 v[22:23], vcc_lo, 1.0, v[16:17], 1.0
	v_mul_f64 v[24:25], v[22:23], v[20:21]
	v_fma_f64 v[18:19], -v[18:19], v[24:25], v[22:23]
	v_div_fmas_f64 v[18:19], v[18:19], v[20:21], v[24:25]
	v_div_fixup_f64 v[16:17], v[18:19], v[16:17], 1.0
	ds_write_b64 v1, v[16:17]
.LBB119_184:
	s_or_b32 exec_lo, exec_lo, s1
	s_waitcnt lgkmcnt(0)
	s_barrier
	buffer_gl0_inv
	ds_read_b64 v[16:17], v1
	s_mov_b32 s1, exec_lo
	v_cmpx_lt_u32_e32 36, v0
	s_cbranch_execz .LBB119_186
; %bb.185:
	s_waitcnt lgkmcnt(0)
	v_mul_f64 v[186:187], v[16:17], v[186:187]
	ds_read2_b64 v[18:21], v64 offset0:37 offset1:38
	s_waitcnt lgkmcnt(0)
	v_fma_f64 v[144:145], -v[186:187], v[18:19], v[144:145]
	v_fma_f64 v[184:185], -v[186:187], v[20:21], v[184:185]
	ds_read2_b64 v[18:21], v64 offset0:39 offset1:40
	s_waitcnt lgkmcnt(0)
	v_fma_f64 v[142:143], -v[186:187], v[18:19], v[142:143]
	v_fma_f64 v[182:183], -v[186:187], v[20:21], v[182:183]
	;; [unrolled: 4-line block ×10, first 2 shown]
	ds_read2_b64 v[18:21], v64 offset0:57 offset1:58
	s_waitcnt lgkmcnt(0)
	v_fma_f64 v[124:125], -v[186:187], v[18:19], v[124:125]
	ds_read_b64 v[18:19], v64 offset:472
	v_fma_f64 v[164:165], -v[186:187], v[20:21], v[164:165]
	s_waitcnt lgkmcnt(0)
	v_fma_f64 v[242:243], -v[186:187], v[18:19], v[242:243]
.LBB119_186:
	s_or_b32 exec_lo, exec_lo, s1
	s_mov_b32 s1, exec_lo
	s_waitcnt lgkmcnt(0)
	s_barrier
	buffer_gl0_inv
	v_cmpx_eq_u32_e32 37, v0
	s_cbranch_execz .LBB119_189
; %bb.187:
	v_mov_b32_e32 v18, v184
	v_mov_b32_e32 v19, v185
	;; [unrolled: 1-line block ×4, first 2 shown]
	ds_write_b64 v1, v[144:145]
	ds_write2_b64 v64, v[18:19], v[20:21] offset0:38 offset1:39
	v_mov_b32_e32 v18, v182
	v_mov_b32_e32 v19, v183
	v_mov_b32_e32 v20, v140
	v_mov_b32_e32 v21, v141
	ds_write2_b64 v64, v[18:19], v[20:21] offset0:40 offset1:41
	v_mov_b32_e32 v18, v180
	v_mov_b32_e32 v19, v181
	v_mov_b32_e32 v20, v138
	v_mov_b32_e32 v21, v139
	;; [unrolled: 5-line block ×9, first 2 shown]
	ds_write2_b64 v64, v[18:19], v[20:21] offset0:56 offset1:57
	v_mov_b32_e32 v18, v164
	v_mov_b32_e32 v19, v165
	ds_write2_b64 v64, v[18:19], v[242:243] offset0:58 offset1:59
	ds_read_b64 v[18:19], v1
	s_waitcnt lgkmcnt(0)
	v_cmp_neq_f64_e32 vcc_lo, 0, v[18:19]
	s_and_b32 exec_lo, exec_lo, vcc_lo
	s_cbranch_execz .LBB119_189
; %bb.188:
	v_div_scale_f64 v[20:21], null, v[18:19], v[18:19], 1.0
	v_rcp_f64_e32 v[22:23], v[20:21]
	v_fma_f64 v[24:25], -v[20:21], v[22:23], 1.0
	v_fma_f64 v[22:23], v[22:23], v[24:25], v[22:23]
	v_fma_f64 v[24:25], -v[20:21], v[22:23], 1.0
	v_fma_f64 v[22:23], v[22:23], v[24:25], v[22:23]
	v_div_scale_f64 v[24:25], vcc_lo, 1.0, v[18:19], 1.0
	v_mul_f64 v[26:27], v[24:25], v[22:23]
	v_fma_f64 v[20:21], -v[20:21], v[26:27], v[24:25]
	v_div_fmas_f64 v[20:21], v[20:21], v[22:23], v[26:27]
	v_div_fixup_f64 v[18:19], v[20:21], v[18:19], 1.0
	ds_write_b64 v1, v[18:19]
.LBB119_189:
	s_or_b32 exec_lo, exec_lo, s1
	s_waitcnt lgkmcnt(0)
	s_barrier
	buffer_gl0_inv
	ds_read_b64 v[18:19], v1
	s_mov_b32 s1, exec_lo
	v_cmpx_lt_u32_e32 37, v0
	s_cbranch_execz .LBB119_191
; %bb.190:
	s_waitcnt lgkmcnt(0)
	v_mul_f64 v[144:145], v[18:19], v[144:145]
	ds_read2_b64 v[20:23], v64 offset0:38 offset1:39
	s_waitcnt lgkmcnt(0)
	v_fma_f64 v[184:185], -v[144:145], v[20:21], v[184:185]
	v_fma_f64 v[142:143], -v[144:145], v[22:23], v[142:143]
	ds_read2_b64 v[20:23], v64 offset0:40 offset1:41
	s_waitcnt lgkmcnt(0)
	v_fma_f64 v[182:183], -v[144:145], v[20:21], v[182:183]
	v_fma_f64 v[140:141], -v[144:145], v[22:23], v[140:141]
	ds_read2_b64 v[20:23], v64 offset0:42 offset1:43
	s_waitcnt lgkmcnt(0)
	v_fma_f64 v[180:181], -v[144:145], v[20:21], v[180:181]
	v_fma_f64 v[138:139], -v[144:145], v[22:23], v[138:139]
	ds_read2_b64 v[20:23], v64 offset0:44 offset1:45
	s_waitcnt lgkmcnt(0)
	v_fma_f64 v[178:179], -v[144:145], v[20:21], v[178:179]
	v_fma_f64 v[136:137], -v[144:145], v[22:23], v[136:137]
	ds_read2_b64 v[20:23], v64 offset0:46 offset1:47
	s_waitcnt lgkmcnt(0)
	v_fma_f64 v[176:177], -v[144:145], v[20:21], v[176:177]
	v_fma_f64 v[134:135], -v[144:145], v[22:23], v[134:135]
	ds_read2_b64 v[20:23], v64 offset0:48 offset1:49
	s_waitcnt lgkmcnt(0)
	v_fma_f64 v[174:175], -v[144:145], v[20:21], v[174:175]
	v_fma_f64 v[132:133], -v[144:145], v[22:23], v[132:133]
	ds_read2_b64 v[20:23], v64 offset0:50 offset1:51
	s_waitcnt lgkmcnt(0)
	v_fma_f64 v[172:173], -v[144:145], v[20:21], v[172:173]
	v_fma_f64 v[130:131], -v[144:145], v[22:23], v[130:131]
	ds_read2_b64 v[20:23], v64 offset0:52 offset1:53
	s_waitcnt lgkmcnt(0)
	v_fma_f64 v[170:171], -v[144:145], v[20:21], v[170:171]
	v_fma_f64 v[128:129], -v[144:145], v[22:23], v[128:129]
	ds_read2_b64 v[20:23], v64 offset0:54 offset1:55
	s_waitcnt lgkmcnt(0)
	v_fma_f64 v[168:169], -v[144:145], v[20:21], v[168:169]
	v_fma_f64 v[126:127], -v[144:145], v[22:23], v[126:127]
	ds_read2_b64 v[20:23], v64 offset0:56 offset1:57
	s_waitcnt lgkmcnt(0)
	v_fma_f64 v[166:167], -v[144:145], v[20:21], v[166:167]
	v_fma_f64 v[124:125], -v[144:145], v[22:23], v[124:125]
	ds_read2_b64 v[20:23], v64 offset0:58 offset1:59
	s_waitcnt lgkmcnt(0)
	v_fma_f64 v[164:165], -v[144:145], v[20:21], v[164:165]
	v_fma_f64 v[242:243], -v[144:145], v[22:23], v[242:243]
.LBB119_191:
	s_or_b32 exec_lo, exec_lo, s1
	s_mov_b32 s1, exec_lo
	s_waitcnt lgkmcnt(0)
	s_barrier
	buffer_gl0_inv
	v_cmpx_eq_u32_e32 38, v0
	s_cbranch_execz .LBB119_194
; %bb.192:
	ds_write_b64 v1, v[184:185]
	ds_write2_b64 v64, v[142:143], v[182:183] offset0:39 offset1:40
	ds_write2_b64 v64, v[140:141], v[180:181] offset0:41 offset1:42
	;; [unrolled: 1-line block ×10, first 2 shown]
	ds_write_b64 v64, v[242:243] offset:472
	ds_read_b64 v[20:21], v1
	s_waitcnt lgkmcnt(0)
	v_cmp_neq_f64_e32 vcc_lo, 0, v[20:21]
	s_and_b32 exec_lo, exec_lo, vcc_lo
	s_cbranch_execz .LBB119_194
; %bb.193:
	v_div_scale_f64 v[22:23], null, v[20:21], v[20:21], 1.0
	v_rcp_f64_e32 v[24:25], v[22:23]
	v_fma_f64 v[26:27], -v[22:23], v[24:25], 1.0
	v_fma_f64 v[24:25], v[24:25], v[26:27], v[24:25]
	v_fma_f64 v[26:27], -v[22:23], v[24:25], 1.0
	v_fma_f64 v[24:25], v[24:25], v[26:27], v[24:25]
	v_div_scale_f64 v[26:27], vcc_lo, 1.0, v[20:21], 1.0
	v_mul_f64 v[28:29], v[26:27], v[24:25]
	v_fma_f64 v[22:23], -v[22:23], v[28:29], v[26:27]
	v_div_fmas_f64 v[22:23], v[22:23], v[24:25], v[28:29]
	v_div_fixup_f64 v[20:21], v[22:23], v[20:21], 1.0
	ds_write_b64 v1, v[20:21]
.LBB119_194:
	s_or_b32 exec_lo, exec_lo, s1
	s_waitcnt lgkmcnt(0)
	s_barrier
	buffer_gl0_inv
	ds_read_b64 v[20:21], v1
	s_mov_b32 s1, exec_lo
	v_cmpx_lt_u32_e32 38, v0
	s_cbranch_execz .LBB119_196
; %bb.195:
	s_waitcnt lgkmcnt(0)
	v_mul_f64 v[184:185], v[20:21], v[184:185]
	ds_read2_b64 v[22:25], v64 offset0:39 offset1:40
	s_waitcnt lgkmcnt(0)
	v_fma_f64 v[142:143], -v[184:185], v[22:23], v[142:143]
	v_fma_f64 v[182:183], -v[184:185], v[24:25], v[182:183]
	ds_read2_b64 v[22:25], v64 offset0:41 offset1:42
	s_waitcnt lgkmcnt(0)
	v_fma_f64 v[140:141], -v[184:185], v[22:23], v[140:141]
	v_fma_f64 v[180:181], -v[184:185], v[24:25], v[180:181]
	;; [unrolled: 4-line block ×9, first 2 shown]
	ds_read2_b64 v[22:25], v64 offset0:57 offset1:58
	s_waitcnt lgkmcnt(0)
	v_fma_f64 v[124:125], -v[184:185], v[22:23], v[124:125]
	ds_read_b64 v[22:23], v64 offset:472
	v_fma_f64 v[164:165], -v[184:185], v[24:25], v[164:165]
	s_waitcnt lgkmcnt(0)
	v_fma_f64 v[242:243], -v[184:185], v[22:23], v[242:243]
.LBB119_196:
	s_or_b32 exec_lo, exec_lo, s1
	s_mov_b32 s1, exec_lo
	s_waitcnt lgkmcnt(0)
	s_barrier
	buffer_gl0_inv
	v_cmpx_eq_u32_e32 39, v0
	s_cbranch_execz .LBB119_199
; %bb.197:
	v_mov_b32_e32 v22, v182
	v_mov_b32_e32 v23, v183
	v_mov_b32_e32 v24, v140
	v_mov_b32_e32 v25, v141
	ds_write_b64 v1, v[142:143]
	ds_write2_b64 v64, v[22:23], v[24:25] offset0:40 offset1:41
	v_mov_b32_e32 v22, v180
	v_mov_b32_e32 v23, v181
	v_mov_b32_e32 v24, v138
	v_mov_b32_e32 v25, v139
	ds_write2_b64 v64, v[22:23], v[24:25] offset0:42 offset1:43
	v_mov_b32_e32 v22, v178
	v_mov_b32_e32 v23, v179
	v_mov_b32_e32 v24, v136
	v_mov_b32_e32 v25, v137
	;; [unrolled: 5-line block ×8, first 2 shown]
	ds_write2_b64 v64, v[22:23], v[24:25] offset0:56 offset1:57
	v_mov_b32_e32 v22, v164
	v_mov_b32_e32 v23, v165
	ds_write2_b64 v64, v[22:23], v[242:243] offset0:58 offset1:59
	ds_read_b64 v[22:23], v1
	s_waitcnt lgkmcnt(0)
	v_cmp_neq_f64_e32 vcc_lo, 0, v[22:23]
	s_and_b32 exec_lo, exec_lo, vcc_lo
	s_cbranch_execz .LBB119_199
; %bb.198:
	v_div_scale_f64 v[24:25], null, v[22:23], v[22:23], 1.0
	v_rcp_f64_e32 v[26:27], v[24:25]
	v_fma_f64 v[28:29], -v[24:25], v[26:27], 1.0
	v_fma_f64 v[26:27], v[26:27], v[28:29], v[26:27]
	v_fma_f64 v[28:29], -v[24:25], v[26:27], 1.0
	v_fma_f64 v[26:27], v[26:27], v[28:29], v[26:27]
	v_div_scale_f64 v[28:29], vcc_lo, 1.0, v[22:23], 1.0
	v_mul_f64 v[30:31], v[28:29], v[26:27]
	v_fma_f64 v[24:25], -v[24:25], v[30:31], v[28:29]
	v_div_fmas_f64 v[24:25], v[24:25], v[26:27], v[30:31]
	v_div_fixup_f64 v[22:23], v[24:25], v[22:23], 1.0
	ds_write_b64 v1, v[22:23]
.LBB119_199:
	s_or_b32 exec_lo, exec_lo, s1
	s_waitcnt lgkmcnt(0)
	s_barrier
	buffer_gl0_inv
	ds_read_b64 v[22:23], v1
	s_mov_b32 s1, exec_lo
	v_cmpx_lt_u32_e32 39, v0
	s_cbranch_execz .LBB119_201
; %bb.200:
	s_waitcnt lgkmcnt(0)
	v_mul_f64 v[142:143], v[22:23], v[142:143]
	ds_read2_b64 v[24:27], v64 offset0:40 offset1:41
	s_waitcnt lgkmcnt(0)
	v_fma_f64 v[182:183], -v[142:143], v[24:25], v[182:183]
	v_fma_f64 v[140:141], -v[142:143], v[26:27], v[140:141]
	ds_read2_b64 v[24:27], v64 offset0:42 offset1:43
	s_waitcnt lgkmcnt(0)
	v_fma_f64 v[180:181], -v[142:143], v[24:25], v[180:181]
	v_fma_f64 v[138:139], -v[142:143], v[26:27], v[138:139]
	;; [unrolled: 4-line block ×10, first 2 shown]
.LBB119_201:
	s_or_b32 exec_lo, exec_lo, s1
	s_mov_b32 s1, exec_lo
	s_waitcnt lgkmcnt(0)
	s_barrier
	buffer_gl0_inv
	v_cmpx_eq_u32_e32 40, v0
	s_cbranch_execz .LBB119_204
; %bb.202:
	ds_write_b64 v1, v[182:183]
	ds_write2_b64 v64, v[140:141], v[180:181] offset0:41 offset1:42
	ds_write2_b64 v64, v[138:139], v[178:179] offset0:43 offset1:44
	;; [unrolled: 1-line block ×9, first 2 shown]
	ds_write_b64 v64, v[242:243] offset:472
	ds_read_b64 v[24:25], v1
	s_waitcnt lgkmcnt(0)
	v_cmp_neq_f64_e32 vcc_lo, 0, v[24:25]
	s_and_b32 exec_lo, exec_lo, vcc_lo
	s_cbranch_execz .LBB119_204
; %bb.203:
	v_div_scale_f64 v[26:27], null, v[24:25], v[24:25], 1.0
	v_rcp_f64_e32 v[28:29], v[26:27]
	v_fma_f64 v[30:31], -v[26:27], v[28:29], 1.0
	v_fma_f64 v[28:29], v[28:29], v[30:31], v[28:29]
	v_fma_f64 v[30:31], -v[26:27], v[28:29], 1.0
	v_fma_f64 v[28:29], v[28:29], v[30:31], v[28:29]
	v_div_scale_f64 v[30:31], vcc_lo, 1.0, v[24:25], 1.0
	v_mul_f64 v[32:33], v[30:31], v[28:29]
	v_fma_f64 v[26:27], -v[26:27], v[32:33], v[30:31]
	v_div_fmas_f64 v[26:27], v[26:27], v[28:29], v[32:33]
	v_div_fixup_f64 v[24:25], v[26:27], v[24:25], 1.0
	ds_write_b64 v1, v[24:25]
.LBB119_204:
	s_or_b32 exec_lo, exec_lo, s1
	s_waitcnt lgkmcnt(0)
	s_barrier
	buffer_gl0_inv
	ds_read_b64 v[24:25], v1
	s_mov_b32 s1, exec_lo
	v_cmpx_lt_u32_e32 40, v0
	s_cbranch_execz .LBB119_206
; %bb.205:
	s_waitcnt lgkmcnt(0)
	v_mul_f64 v[182:183], v[24:25], v[182:183]
	ds_read2_b64 v[26:29], v64 offset0:41 offset1:42
	s_waitcnt lgkmcnt(0)
	v_fma_f64 v[140:141], -v[182:183], v[26:27], v[140:141]
	v_fma_f64 v[180:181], -v[182:183], v[28:29], v[180:181]
	ds_read2_b64 v[26:29], v64 offset0:43 offset1:44
	s_waitcnt lgkmcnt(0)
	v_fma_f64 v[138:139], -v[182:183], v[26:27], v[138:139]
	v_fma_f64 v[178:179], -v[182:183], v[28:29], v[178:179]
	;; [unrolled: 4-line block ×8, first 2 shown]
	ds_read2_b64 v[26:29], v64 offset0:57 offset1:58
	s_waitcnt lgkmcnt(0)
	v_fma_f64 v[124:125], -v[182:183], v[26:27], v[124:125]
	ds_read_b64 v[26:27], v64 offset:472
	v_fma_f64 v[164:165], -v[182:183], v[28:29], v[164:165]
	s_waitcnt lgkmcnt(0)
	v_fma_f64 v[242:243], -v[182:183], v[26:27], v[242:243]
.LBB119_206:
	s_or_b32 exec_lo, exec_lo, s1
	s_mov_b32 s1, exec_lo
	s_waitcnt lgkmcnt(0)
	s_barrier
	buffer_gl0_inv
	v_cmpx_eq_u32_e32 41, v0
	s_cbranch_execz .LBB119_209
; %bb.207:
	v_mov_b32_e32 v26, v180
	v_mov_b32_e32 v27, v181
	;; [unrolled: 1-line block ×4, first 2 shown]
	ds_write_b64 v1, v[140:141]
	ds_write2_b64 v64, v[26:27], v[28:29] offset0:42 offset1:43
	v_mov_b32_e32 v26, v178
	v_mov_b32_e32 v27, v179
	v_mov_b32_e32 v28, v136
	v_mov_b32_e32 v29, v137
	ds_write2_b64 v64, v[26:27], v[28:29] offset0:44 offset1:45
	v_mov_b32_e32 v26, v176
	v_mov_b32_e32 v27, v177
	v_mov_b32_e32 v28, v134
	v_mov_b32_e32 v29, v135
	;; [unrolled: 5-line block ×7, first 2 shown]
	ds_write2_b64 v64, v[26:27], v[28:29] offset0:56 offset1:57
	v_mov_b32_e32 v26, v164
	v_mov_b32_e32 v27, v165
	ds_write2_b64 v64, v[26:27], v[242:243] offset0:58 offset1:59
	ds_read_b64 v[26:27], v1
	s_waitcnt lgkmcnt(0)
	v_cmp_neq_f64_e32 vcc_lo, 0, v[26:27]
	s_and_b32 exec_lo, exec_lo, vcc_lo
	s_cbranch_execz .LBB119_209
; %bb.208:
	v_div_scale_f64 v[28:29], null, v[26:27], v[26:27], 1.0
	v_rcp_f64_e32 v[30:31], v[28:29]
	v_fma_f64 v[32:33], -v[28:29], v[30:31], 1.0
	v_fma_f64 v[30:31], v[30:31], v[32:33], v[30:31]
	v_fma_f64 v[32:33], -v[28:29], v[30:31], 1.0
	v_fma_f64 v[30:31], v[30:31], v[32:33], v[30:31]
	v_div_scale_f64 v[32:33], vcc_lo, 1.0, v[26:27], 1.0
	v_mul_f64 v[34:35], v[32:33], v[30:31]
	v_fma_f64 v[28:29], -v[28:29], v[34:35], v[32:33]
	v_div_fmas_f64 v[28:29], v[28:29], v[30:31], v[34:35]
	v_div_fixup_f64 v[26:27], v[28:29], v[26:27], 1.0
	ds_write_b64 v1, v[26:27]
.LBB119_209:
	s_or_b32 exec_lo, exec_lo, s1
	s_waitcnt lgkmcnt(0)
	s_barrier
	buffer_gl0_inv
	ds_read_b64 v[26:27], v1
	s_mov_b32 s1, exec_lo
	v_cmpx_lt_u32_e32 41, v0
	s_cbranch_execz .LBB119_211
; %bb.210:
	s_waitcnt lgkmcnt(0)
	v_mul_f64 v[140:141], v[26:27], v[140:141]
	ds_read2_b64 v[28:31], v64 offset0:42 offset1:43
	s_waitcnt lgkmcnt(0)
	v_fma_f64 v[180:181], -v[140:141], v[28:29], v[180:181]
	v_fma_f64 v[138:139], -v[140:141], v[30:31], v[138:139]
	ds_read2_b64 v[28:31], v64 offset0:44 offset1:45
	s_waitcnt lgkmcnt(0)
	v_fma_f64 v[178:179], -v[140:141], v[28:29], v[178:179]
	v_fma_f64 v[136:137], -v[140:141], v[30:31], v[136:137]
	;; [unrolled: 4-line block ×9, first 2 shown]
.LBB119_211:
	s_or_b32 exec_lo, exec_lo, s1
	s_mov_b32 s1, exec_lo
	s_waitcnt lgkmcnt(0)
	s_barrier
	buffer_gl0_inv
	v_cmpx_eq_u32_e32 42, v0
	s_cbranch_execz .LBB119_214
; %bb.212:
	ds_write_b64 v1, v[180:181]
	ds_write2_b64 v64, v[138:139], v[178:179] offset0:43 offset1:44
	ds_write2_b64 v64, v[136:137], v[176:177] offset0:45 offset1:46
	;; [unrolled: 1-line block ×8, first 2 shown]
	ds_write_b64 v64, v[242:243] offset:472
	ds_read_b64 v[28:29], v1
	s_waitcnt lgkmcnt(0)
	v_cmp_neq_f64_e32 vcc_lo, 0, v[28:29]
	s_and_b32 exec_lo, exec_lo, vcc_lo
	s_cbranch_execz .LBB119_214
; %bb.213:
	v_div_scale_f64 v[30:31], null, v[28:29], v[28:29], 1.0
	v_rcp_f64_e32 v[32:33], v[30:31]
	v_fma_f64 v[34:35], -v[30:31], v[32:33], 1.0
	v_fma_f64 v[32:33], v[32:33], v[34:35], v[32:33]
	v_fma_f64 v[34:35], -v[30:31], v[32:33], 1.0
	v_fma_f64 v[32:33], v[32:33], v[34:35], v[32:33]
	v_div_scale_f64 v[34:35], vcc_lo, 1.0, v[28:29], 1.0
	v_mul_f64 v[36:37], v[34:35], v[32:33]
	v_fma_f64 v[30:31], -v[30:31], v[36:37], v[34:35]
	v_div_fmas_f64 v[30:31], v[30:31], v[32:33], v[36:37]
	v_div_fixup_f64 v[28:29], v[30:31], v[28:29], 1.0
	ds_write_b64 v1, v[28:29]
.LBB119_214:
	s_or_b32 exec_lo, exec_lo, s1
	s_waitcnt lgkmcnt(0)
	s_barrier
	buffer_gl0_inv
	ds_read_b64 v[28:29], v1
	s_mov_b32 s1, exec_lo
	v_cmpx_lt_u32_e32 42, v0
	s_cbranch_execz .LBB119_216
; %bb.215:
	s_waitcnt lgkmcnt(0)
	v_mul_f64 v[180:181], v[28:29], v[180:181]
	ds_read2_b64 v[30:33], v64 offset0:43 offset1:44
	s_waitcnt lgkmcnt(0)
	v_fma_f64 v[138:139], -v[180:181], v[30:31], v[138:139]
	v_fma_f64 v[178:179], -v[180:181], v[32:33], v[178:179]
	ds_read2_b64 v[30:33], v64 offset0:45 offset1:46
	s_waitcnt lgkmcnt(0)
	v_fma_f64 v[136:137], -v[180:181], v[30:31], v[136:137]
	v_fma_f64 v[176:177], -v[180:181], v[32:33], v[176:177]
	;; [unrolled: 4-line block ×7, first 2 shown]
	ds_read2_b64 v[30:33], v64 offset0:57 offset1:58
	s_waitcnt lgkmcnt(0)
	v_fma_f64 v[124:125], -v[180:181], v[30:31], v[124:125]
	ds_read_b64 v[30:31], v64 offset:472
	v_fma_f64 v[164:165], -v[180:181], v[32:33], v[164:165]
	s_waitcnt lgkmcnt(0)
	v_fma_f64 v[242:243], -v[180:181], v[30:31], v[242:243]
.LBB119_216:
	s_or_b32 exec_lo, exec_lo, s1
	s_mov_b32 s1, exec_lo
	s_waitcnt lgkmcnt(0)
	s_barrier
	buffer_gl0_inv
	v_cmpx_eq_u32_e32 43, v0
	s_cbranch_execz .LBB119_219
; %bb.217:
	v_mov_b32_e32 v30, v178
	v_mov_b32_e32 v31, v179
	;; [unrolled: 1-line block ×4, first 2 shown]
	ds_write_b64 v1, v[138:139]
	ds_write2_b64 v64, v[30:31], v[32:33] offset0:44 offset1:45
	v_mov_b32_e32 v30, v176
	v_mov_b32_e32 v31, v177
	v_mov_b32_e32 v32, v134
	v_mov_b32_e32 v33, v135
	ds_write2_b64 v64, v[30:31], v[32:33] offset0:46 offset1:47
	v_mov_b32_e32 v30, v174
	v_mov_b32_e32 v31, v175
	v_mov_b32_e32 v32, v132
	v_mov_b32_e32 v33, v133
	ds_write2_b64 v64, v[30:31], v[32:33] offset0:48 offset1:49
	v_mov_b32_e32 v30, v172
	v_mov_b32_e32 v31, v173
	v_mov_b32_e32 v32, v130
	v_mov_b32_e32 v33, v131
	ds_write2_b64 v64, v[30:31], v[32:33] offset0:50 offset1:51
	v_mov_b32_e32 v30, v170
	v_mov_b32_e32 v31, v171
	v_mov_b32_e32 v32, v128
	v_mov_b32_e32 v33, v129
	ds_write2_b64 v64, v[30:31], v[32:33] offset0:52 offset1:53
	v_mov_b32_e32 v30, v168
	v_mov_b32_e32 v31, v169
	v_mov_b32_e32 v32, v126
	v_mov_b32_e32 v33, v127
	ds_write2_b64 v64, v[30:31], v[32:33] offset0:54 offset1:55
	v_mov_b32_e32 v30, v166
	v_mov_b32_e32 v31, v167
	v_mov_b32_e32 v32, v124
	v_mov_b32_e32 v33, v125
	ds_write2_b64 v64, v[30:31], v[32:33] offset0:56 offset1:57
	v_mov_b32_e32 v30, v164
	v_mov_b32_e32 v31, v165
	ds_write2_b64 v64, v[30:31], v[242:243] offset0:58 offset1:59
	ds_read_b64 v[30:31], v1
	s_waitcnt lgkmcnt(0)
	v_cmp_neq_f64_e32 vcc_lo, 0, v[30:31]
	s_and_b32 exec_lo, exec_lo, vcc_lo
	s_cbranch_execz .LBB119_219
; %bb.218:
	v_div_scale_f64 v[32:33], null, v[30:31], v[30:31], 1.0
	v_rcp_f64_e32 v[34:35], v[32:33]
	v_fma_f64 v[36:37], -v[32:33], v[34:35], 1.0
	v_fma_f64 v[34:35], v[34:35], v[36:37], v[34:35]
	v_fma_f64 v[36:37], -v[32:33], v[34:35], 1.0
	v_fma_f64 v[34:35], v[34:35], v[36:37], v[34:35]
	v_div_scale_f64 v[36:37], vcc_lo, 1.0, v[30:31], 1.0
	v_mul_f64 v[38:39], v[36:37], v[34:35]
	v_fma_f64 v[32:33], -v[32:33], v[38:39], v[36:37]
	v_div_fmas_f64 v[32:33], v[32:33], v[34:35], v[38:39]
	v_div_fixup_f64 v[30:31], v[32:33], v[30:31], 1.0
	ds_write_b64 v1, v[30:31]
.LBB119_219:
	s_or_b32 exec_lo, exec_lo, s1
	s_waitcnt lgkmcnt(0)
	s_barrier
	buffer_gl0_inv
	ds_read_b64 v[30:31], v1
	s_mov_b32 s1, exec_lo
	v_cmpx_lt_u32_e32 43, v0
	s_cbranch_execz .LBB119_221
; %bb.220:
	s_waitcnt lgkmcnt(0)
	v_mul_f64 v[138:139], v[30:31], v[138:139]
	ds_read2_b64 v[32:35], v64 offset0:44 offset1:45
	s_waitcnt lgkmcnt(0)
	v_fma_f64 v[178:179], -v[138:139], v[32:33], v[178:179]
	v_fma_f64 v[136:137], -v[138:139], v[34:35], v[136:137]
	ds_read2_b64 v[32:35], v64 offset0:46 offset1:47
	s_waitcnt lgkmcnt(0)
	v_fma_f64 v[176:177], -v[138:139], v[32:33], v[176:177]
	v_fma_f64 v[134:135], -v[138:139], v[34:35], v[134:135]
	ds_read2_b64 v[32:35], v64 offset0:48 offset1:49
	s_waitcnt lgkmcnt(0)
	v_fma_f64 v[174:175], -v[138:139], v[32:33], v[174:175]
	v_fma_f64 v[132:133], -v[138:139], v[34:35], v[132:133]
	ds_read2_b64 v[32:35], v64 offset0:50 offset1:51
	s_waitcnt lgkmcnt(0)
	v_fma_f64 v[172:173], -v[138:139], v[32:33], v[172:173]
	v_fma_f64 v[130:131], -v[138:139], v[34:35], v[130:131]
	ds_read2_b64 v[32:35], v64 offset0:52 offset1:53
	s_waitcnt lgkmcnt(0)
	v_fma_f64 v[170:171], -v[138:139], v[32:33], v[170:171]
	v_fma_f64 v[128:129], -v[138:139], v[34:35], v[128:129]
	ds_read2_b64 v[32:35], v64 offset0:54 offset1:55
	s_waitcnt lgkmcnt(0)
	v_fma_f64 v[168:169], -v[138:139], v[32:33], v[168:169]
	v_fma_f64 v[126:127], -v[138:139], v[34:35], v[126:127]
	ds_read2_b64 v[32:35], v64 offset0:56 offset1:57
	s_waitcnt lgkmcnt(0)
	v_fma_f64 v[166:167], -v[138:139], v[32:33], v[166:167]
	v_fma_f64 v[124:125], -v[138:139], v[34:35], v[124:125]
	ds_read2_b64 v[32:35], v64 offset0:58 offset1:59
	s_waitcnt lgkmcnt(0)
	v_fma_f64 v[164:165], -v[138:139], v[32:33], v[164:165]
	v_fma_f64 v[242:243], -v[138:139], v[34:35], v[242:243]
.LBB119_221:
	s_or_b32 exec_lo, exec_lo, s1
	s_mov_b32 s1, exec_lo
	s_waitcnt lgkmcnt(0)
	s_barrier
	buffer_gl0_inv
	v_cmpx_eq_u32_e32 44, v0
	s_cbranch_execz .LBB119_224
; %bb.222:
	ds_write_b64 v1, v[178:179]
	ds_write2_b64 v64, v[136:137], v[176:177] offset0:45 offset1:46
	ds_write2_b64 v64, v[134:135], v[174:175] offset0:47 offset1:48
	;; [unrolled: 1-line block ×7, first 2 shown]
	ds_write_b64 v64, v[242:243] offset:472
	ds_read_b64 v[32:33], v1
	s_waitcnt lgkmcnt(0)
	v_cmp_neq_f64_e32 vcc_lo, 0, v[32:33]
	s_and_b32 exec_lo, exec_lo, vcc_lo
	s_cbranch_execz .LBB119_224
; %bb.223:
	v_div_scale_f64 v[34:35], null, v[32:33], v[32:33], 1.0
	v_rcp_f64_e32 v[36:37], v[34:35]
	v_fma_f64 v[38:39], -v[34:35], v[36:37], 1.0
	v_fma_f64 v[36:37], v[36:37], v[38:39], v[36:37]
	v_fma_f64 v[38:39], -v[34:35], v[36:37], 1.0
	v_fma_f64 v[36:37], v[36:37], v[38:39], v[36:37]
	v_div_scale_f64 v[38:39], vcc_lo, 1.0, v[32:33], 1.0
	v_mul_f64 v[40:41], v[38:39], v[36:37]
	v_fma_f64 v[34:35], -v[34:35], v[40:41], v[38:39]
	v_div_fmas_f64 v[34:35], v[34:35], v[36:37], v[40:41]
	v_div_fixup_f64 v[32:33], v[34:35], v[32:33], 1.0
	ds_write_b64 v1, v[32:33]
.LBB119_224:
	s_or_b32 exec_lo, exec_lo, s1
	s_waitcnt lgkmcnt(0)
	s_barrier
	buffer_gl0_inv
	ds_read_b64 v[32:33], v1
	s_mov_b32 s1, exec_lo
	v_cmpx_lt_u32_e32 44, v0
	s_cbranch_execz .LBB119_226
; %bb.225:
	s_waitcnt lgkmcnt(0)
	v_mul_f64 v[178:179], v[32:33], v[178:179]
	ds_read2_b64 v[34:37], v64 offset0:45 offset1:46
	s_waitcnt lgkmcnt(0)
	v_fma_f64 v[136:137], -v[178:179], v[34:35], v[136:137]
	v_fma_f64 v[176:177], -v[178:179], v[36:37], v[176:177]
	ds_read2_b64 v[34:37], v64 offset0:47 offset1:48
	s_waitcnt lgkmcnt(0)
	v_fma_f64 v[134:135], -v[178:179], v[34:35], v[134:135]
	v_fma_f64 v[174:175], -v[178:179], v[36:37], v[174:175]
	;; [unrolled: 4-line block ×6, first 2 shown]
	ds_read2_b64 v[34:37], v64 offset0:57 offset1:58
	s_waitcnt lgkmcnt(0)
	v_fma_f64 v[124:125], -v[178:179], v[34:35], v[124:125]
	ds_read_b64 v[34:35], v64 offset:472
	v_fma_f64 v[164:165], -v[178:179], v[36:37], v[164:165]
	s_waitcnt lgkmcnt(0)
	v_fma_f64 v[242:243], -v[178:179], v[34:35], v[242:243]
.LBB119_226:
	s_or_b32 exec_lo, exec_lo, s1
	s_mov_b32 s1, exec_lo
	s_waitcnt lgkmcnt(0)
	s_barrier
	buffer_gl0_inv
	v_cmpx_eq_u32_e32 45, v0
	s_cbranch_execz .LBB119_229
; %bb.227:
	v_mov_b32_e32 v34, v176
	v_mov_b32_e32 v35, v177
	;; [unrolled: 1-line block ×4, first 2 shown]
	ds_write_b64 v1, v[136:137]
	ds_write2_b64 v64, v[34:35], v[36:37] offset0:46 offset1:47
	v_mov_b32_e32 v34, v174
	v_mov_b32_e32 v35, v175
	v_mov_b32_e32 v36, v132
	v_mov_b32_e32 v37, v133
	ds_write2_b64 v64, v[34:35], v[36:37] offset0:48 offset1:49
	v_mov_b32_e32 v34, v172
	v_mov_b32_e32 v35, v173
	v_mov_b32_e32 v36, v130
	v_mov_b32_e32 v37, v131
	;; [unrolled: 5-line block ×5, first 2 shown]
	ds_write2_b64 v64, v[34:35], v[36:37] offset0:56 offset1:57
	v_mov_b32_e32 v34, v164
	v_mov_b32_e32 v35, v165
	ds_write2_b64 v64, v[34:35], v[242:243] offset0:58 offset1:59
	ds_read_b64 v[34:35], v1
	s_waitcnt lgkmcnt(0)
	v_cmp_neq_f64_e32 vcc_lo, 0, v[34:35]
	s_and_b32 exec_lo, exec_lo, vcc_lo
	s_cbranch_execz .LBB119_229
; %bb.228:
	v_div_scale_f64 v[36:37], null, v[34:35], v[34:35], 1.0
	v_rcp_f64_e32 v[38:39], v[36:37]
	v_fma_f64 v[40:41], -v[36:37], v[38:39], 1.0
	v_fma_f64 v[38:39], v[38:39], v[40:41], v[38:39]
	v_fma_f64 v[40:41], -v[36:37], v[38:39], 1.0
	v_fma_f64 v[38:39], v[38:39], v[40:41], v[38:39]
	v_div_scale_f64 v[40:41], vcc_lo, 1.0, v[34:35], 1.0
	v_mul_f64 v[42:43], v[40:41], v[38:39]
	v_fma_f64 v[36:37], -v[36:37], v[42:43], v[40:41]
	v_div_fmas_f64 v[36:37], v[36:37], v[38:39], v[42:43]
	v_div_fixup_f64 v[34:35], v[36:37], v[34:35], 1.0
	ds_write_b64 v1, v[34:35]
.LBB119_229:
	s_or_b32 exec_lo, exec_lo, s1
	s_waitcnt lgkmcnt(0)
	s_barrier
	buffer_gl0_inv
	ds_read_b64 v[34:35], v1
	s_mov_b32 s1, exec_lo
	v_cmpx_lt_u32_e32 45, v0
	s_cbranch_execz .LBB119_231
; %bb.230:
	s_waitcnt lgkmcnt(0)
	v_mul_f64 v[136:137], v[34:35], v[136:137]
	ds_read2_b64 v[36:39], v64 offset0:46 offset1:47
	s_waitcnt lgkmcnt(0)
	v_fma_f64 v[176:177], -v[136:137], v[36:37], v[176:177]
	v_fma_f64 v[134:135], -v[136:137], v[38:39], v[134:135]
	ds_read2_b64 v[36:39], v64 offset0:48 offset1:49
	s_waitcnt lgkmcnt(0)
	v_fma_f64 v[174:175], -v[136:137], v[36:37], v[174:175]
	v_fma_f64 v[132:133], -v[136:137], v[38:39], v[132:133]
	;; [unrolled: 4-line block ×7, first 2 shown]
.LBB119_231:
	s_or_b32 exec_lo, exec_lo, s1
	s_mov_b32 s1, exec_lo
	s_waitcnt lgkmcnt(0)
	s_barrier
	buffer_gl0_inv
	v_cmpx_eq_u32_e32 46, v0
	s_cbranch_execz .LBB119_234
; %bb.232:
	ds_write_b64 v1, v[176:177]
	ds_write2_b64 v64, v[134:135], v[174:175] offset0:47 offset1:48
	ds_write2_b64 v64, v[132:133], v[172:173] offset0:49 offset1:50
	;; [unrolled: 1-line block ×6, first 2 shown]
	ds_write_b64 v64, v[242:243] offset:472
	ds_read_b64 v[36:37], v1
	s_waitcnt lgkmcnt(0)
	v_cmp_neq_f64_e32 vcc_lo, 0, v[36:37]
	s_and_b32 exec_lo, exec_lo, vcc_lo
	s_cbranch_execz .LBB119_234
; %bb.233:
	v_div_scale_f64 v[38:39], null, v[36:37], v[36:37], 1.0
	v_rcp_f64_e32 v[40:41], v[38:39]
	v_fma_f64 v[42:43], -v[38:39], v[40:41], 1.0
	v_fma_f64 v[40:41], v[40:41], v[42:43], v[40:41]
	v_fma_f64 v[42:43], -v[38:39], v[40:41], 1.0
	v_fma_f64 v[40:41], v[40:41], v[42:43], v[40:41]
	v_div_scale_f64 v[42:43], vcc_lo, 1.0, v[36:37], 1.0
	v_mul_f64 v[44:45], v[42:43], v[40:41]
	v_fma_f64 v[38:39], -v[38:39], v[44:45], v[42:43]
	v_div_fmas_f64 v[38:39], v[38:39], v[40:41], v[44:45]
	v_div_fixup_f64 v[36:37], v[38:39], v[36:37], 1.0
	ds_write_b64 v1, v[36:37]
.LBB119_234:
	s_or_b32 exec_lo, exec_lo, s1
	s_waitcnt lgkmcnt(0)
	s_barrier
	buffer_gl0_inv
	ds_read_b64 v[36:37], v1
	s_mov_b32 s1, exec_lo
	v_cmpx_lt_u32_e32 46, v0
	s_cbranch_execz .LBB119_236
; %bb.235:
	s_waitcnt lgkmcnt(0)
	v_mul_f64 v[176:177], v[36:37], v[176:177]
	ds_read2_b64 v[38:41], v64 offset0:47 offset1:48
	s_waitcnt lgkmcnt(0)
	v_fma_f64 v[134:135], -v[176:177], v[38:39], v[134:135]
	v_fma_f64 v[174:175], -v[176:177], v[40:41], v[174:175]
	ds_read2_b64 v[38:41], v64 offset0:49 offset1:50
	s_waitcnt lgkmcnt(0)
	v_fma_f64 v[132:133], -v[176:177], v[38:39], v[132:133]
	v_fma_f64 v[172:173], -v[176:177], v[40:41], v[172:173]
	;; [unrolled: 4-line block ×5, first 2 shown]
	ds_read2_b64 v[38:41], v64 offset0:57 offset1:58
	s_waitcnt lgkmcnt(0)
	v_fma_f64 v[124:125], -v[176:177], v[38:39], v[124:125]
	ds_read_b64 v[38:39], v64 offset:472
	v_fma_f64 v[164:165], -v[176:177], v[40:41], v[164:165]
	s_waitcnt lgkmcnt(0)
	v_fma_f64 v[242:243], -v[176:177], v[38:39], v[242:243]
.LBB119_236:
	s_or_b32 exec_lo, exec_lo, s1
	s_mov_b32 s1, exec_lo
	s_waitcnt lgkmcnt(0)
	s_barrier
	buffer_gl0_inv
	v_cmpx_eq_u32_e32 47, v0
	s_cbranch_execz .LBB119_239
; %bb.237:
	v_mov_b32_e32 v38, v174
	v_mov_b32_e32 v39, v175
	;; [unrolled: 1-line block ×4, first 2 shown]
	ds_write_b64 v1, v[134:135]
	ds_write2_b64 v64, v[38:39], v[40:41] offset0:48 offset1:49
	v_mov_b32_e32 v38, v172
	v_mov_b32_e32 v39, v173
	v_mov_b32_e32 v40, v130
	v_mov_b32_e32 v41, v131
	ds_write2_b64 v64, v[38:39], v[40:41] offset0:50 offset1:51
	v_mov_b32_e32 v38, v170
	v_mov_b32_e32 v39, v171
	v_mov_b32_e32 v40, v128
	v_mov_b32_e32 v41, v129
	;; [unrolled: 5-line block ×4, first 2 shown]
	ds_write2_b64 v64, v[38:39], v[40:41] offset0:56 offset1:57
	v_mov_b32_e32 v38, v164
	v_mov_b32_e32 v39, v165
	ds_write2_b64 v64, v[38:39], v[242:243] offset0:58 offset1:59
	ds_read_b64 v[38:39], v1
	s_waitcnt lgkmcnt(0)
	v_cmp_neq_f64_e32 vcc_lo, 0, v[38:39]
	s_and_b32 exec_lo, exec_lo, vcc_lo
	s_cbranch_execz .LBB119_239
; %bb.238:
	v_div_scale_f64 v[40:41], null, v[38:39], v[38:39], 1.0
	v_rcp_f64_e32 v[42:43], v[40:41]
	v_fma_f64 v[44:45], -v[40:41], v[42:43], 1.0
	v_fma_f64 v[42:43], v[42:43], v[44:45], v[42:43]
	v_fma_f64 v[44:45], -v[40:41], v[42:43], 1.0
	v_fma_f64 v[42:43], v[42:43], v[44:45], v[42:43]
	v_div_scale_f64 v[44:45], vcc_lo, 1.0, v[38:39], 1.0
	v_mul_f64 v[46:47], v[44:45], v[42:43]
	v_fma_f64 v[40:41], -v[40:41], v[46:47], v[44:45]
	v_div_fmas_f64 v[40:41], v[40:41], v[42:43], v[46:47]
	v_div_fixup_f64 v[38:39], v[40:41], v[38:39], 1.0
	ds_write_b64 v1, v[38:39]
.LBB119_239:
	s_or_b32 exec_lo, exec_lo, s1
	s_waitcnt lgkmcnt(0)
	s_barrier
	buffer_gl0_inv
	ds_read_b64 v[38:39], v1
	s_mov_b32 s1, exec_lo
	v_cmpx_lt_u32_e32 47, v0
	s_cbranch_execz .LBB119_241
; %bb.240:
	s_waitcnt lgkmcnt(0)
	v_mul_f64 v[134:135], v[38:39], v[134:135]
	ds_read2_b64 v[40:43], v64 offset0:48 offset1:49
	s_waitcnt lgkmcnt(0)
	v_fma_f64 v[174:175], -v[134:135], v[40:41], v[174:175]
	v_fma_f64 v[132:133], -v[134:135], v[42:43], v[132:133]
	ds_read2_b64 v[40:43], v64 offset0:50 offset1:51
	s_waitcnt lgkmcnt(0)
	v_fma_f64 v[172:173], -v[134:135], v[40:41], v[172:173]
	v_fma_f64 v[130:131], -v[134:135], v[42:43], v[130:131]
	;; [unrolled: 4-line block ×6, first 2 shown]
.LBB119_241:
	s_or_b32 exec_lo, exec_lo, s1
	s_mov_b32 s1, exec_lo
	s_waitcnt lgkmcnt(0)
	s_barrier
	buffer_gl0_inv
	v_cmpx_eq_u32_e32 48, v0
	s_cbranch_execz .LBB119_244
; %bb.242:
	ds_write_b64 v1, v[174:175]
	ds_write2_b64 v64, v[132:133], v[172:173] offset0:49 offset1:50
	ds_write2_b64 v64, v[130:131], v[170:171] offset0:51 offset1:52
	;; [unrolled: 1-line block ×5, first 2 shown]
	ds_write_b64 v64, v[242:243] offset:472
	ds_read_b64 v[40:41], v1
	s_waitcnt lgkmcnt(0)
	v_cmp_neq_f64_e32 vcc_lo, 0, v[40:41]
	s_and_b32 exec_lo, exec_lo, vcc_lo
	s_cbranch_execz .LBB119_244
; %bb.243:
	v_div_scale_f64 v[42:43], null, v[40:41], v[40:41], 1.0
	v_rcp_f64_e32 v[44:45], v[42:43]
	v_fma_f64 v[46:47], -v[42:43], v[44:45], 1.0
	v_fma_f64 v[44:45], v[44:45], v[46:47], v[44:45]
	v_fma_f64 v[46:47], -v[42:43], v[44:45], 1.0
	v_fma_f64 v[44:45], v[44:45], v[46:47], v[44:45]
	v_div_scale_f64 v[46:47], vcc_lo, 1.0, v[40:41], 1.0
	v_mul_f64 v[48:49], v[46:47], v[44:45]
	v_fma_f64 v[42:43], -v[42:43], v[48:49], v[46:47]
	v_div_fmas_f64 v[42:43], v[42:43], v[44:45], v[48:49]
	v_div_fixup_f64 v[40:41], v[42:43], v[40:41], 1.0
	ds_write_b64 v1, v[40:41]
.LBB119_244:
	s_or_b32 exec_lo, exec_lo, s1
	s_waitcnt lgkmcnt(0)
	s_barrier
	buffer_gl0_inv
	ds_read_b64 v[40:41], v1
	s_mov_b32 s1, exec_lo
	v_cmpx_lt_u32_e32 48, v0
	s_cbranch_execz .LBB119_246
; %bb.245:
	s_waitcnt lgkmcnt(0)
	v_mul_f64 v[174:175], v[40:41], v[174:175]
	ds_read2_b64 v[42:45], v64 offset0:49 offset1:50
	s_waitcnt lgkmcnt(0)
	v_fma_f64 v[132:133], -v[174:175], v[42:43], v[132:133]
	v_fma_f64 v[172:173], -v[174:175], v[44:45], v[172:173]
	ds_read2_b64 v[42:45], v64 offset0:51 offset1:52
	s_waitcnt lgkmcnt(0)
	v_fma_f64 v[130:131], -v[174:175], v[42:43], v[130:131]
	v_fma_f64 v[170:171], -v[174:175], v[44:45], v[170:171]
	ds_read2_b64 v[42:45], v64 offset0:53 offset1:54
	s_waitcnt lgkmcnt(0)
	v_fma_f64 v[128:129], -v[174:175], v[42:43], v[128:129]
	v_fma_f64 v[168:169], -v[174:175], v[44:45], v[168:169]
	ds_read2_b64 v[42:45], v64 offset0:55 offset1:56
	s_waitcnt lgkmcnt(0)
	v_fma_f64 v[126:127], -v[174:175], v[42:43], v[126:127]
	v_fma_f64 v[166:167], -v[174:175], v[44:45], v[166:167]
	ds_read2_b64 v[42:45], v64 offset0:57 offset1:58
	s_waitcnt lgkmcnt(0)
	v_fma_f64 v[124:125], -v[174:175], v[42:43], v[124:125]
	ds_read_b64 v[42:43], v64 offset:472
	v_fma_f64 v[164:165], -v[174:175], v[44:45], v[164:165]
	s_waitcnt lgkmcnt(0)
	v_fma_f64 v[242:243], -v[174:175], v[42:43], v[242:243]
.LBB119_246:
	s_or_b32 exec_lo, exec_lo, s1
	s_mov_b32 s1, exec_lo
	s_waitcnt lgkmcnt(0)
	s_barrier
	buffer_gl0_inv
	v_cmpx_eq_u32_e32 49, v0
	s_cbranch_execz .LBB119_249
; %bb.247:
	v_mov_b32_e32 v42, v172
	v_mov_b32_e32 v43, v173
	;; [unrolled: 1-line block ×4, first 2 shown]
	ds_write_b64 v1, v[132:133]
	ds_write2_b64 v64, v[42:43], v[44:45] offset0:50 offset1:51
	v_mov_b32_e32 v42, v170
	v_mov_b32_e32 v43, v171
	v_mov_b32_e32 v44, v128
	v_mov_b32_e32 v45, v129
	ds_write2_b64 v64, v[42:43], v[44:45] offset0:52 offset1:53
	v_mov_b32_e32 v42, v168
	v_mov_b32_e32 v43, v169
	v_mov_b32_e32 v44, v126
	v_mov_b32_e32 v45, v127
	;; [unrolled: 5-line block ×3, first 2 shown]
	ds_write2_b64 v64, v[42:43], v[44:45] offset0:56 offset1:57
	v_mov_b32_e32 v42, v164
	v_mov_b32_e32 v43, v165
	ds_write2_b64 v64, v[42:43], v[242:243] offset0:58 offset1:59
	ds_read_b64 v[42:43], v1
	s_waitcnt lgkmcnt(0)
	v_cmp_neq_f64_e32 vcc_lo, 0, v[42:43]
	s_and_b32 exec_lo, exec_lo, vcc_lo
	s_cbranch_execz .LBB119_249
; %bb.248:
	v_div_scale_f64 v[44:45], null, v[42:43], v[42:43], 1.0
	v_rcp_f64_e32 v[46:47], v[44:45]
	v_fma_f64 v[48:49], -v[44:45], v[46:47], 1.0
	v_fma_f64 v[46:47], v[46:47], v[48:49], v[46:47]
	v_fma_f64 v[48:49], -v[44:45], v[46:47], 1.0
	v_fma_f64 v[46:47], v[46:47], v[48:49], v[46:47]
	v_div_scale_f64 v[48:49], vcc_lo, 1.0, v[42:43], 1.0
	v_mul_f64 v[50:51], v[48:49], v[46:47]
	v_fma_f64 v[44:45], -v[44:45], v[50:51], v[48:49]
	v_div_fmas_f64 v[44:45], v[44:45], v[46:47], v[50:51]
	v_div_fixup_f64 v[42:43], v[44:45], v[42:43], 1.0
	ds_write_b64 v1, v[42:43]
.LBB119_249:
	s_or_b32 exec_lo, exec_lo, s1
	s_waitcnt lgkmcnt(0)
	s_barrier
	buffer_gl0_inv
	ds_read_b64 v[42:43], v1
	s_mov_b32 s1, exec_lo
	v_cmpx_lt_u32_e32 49, v0
	s_cbranch_execz .LBB119_251
; %bb.250:
	s_waitcnt lgkmcnt(0)
	v_mul_f64 v[132:133], v[42:43], v[132:133]
	ds_read2_b64 v[44:47], v64 offset0:50 offset1:51
	s_waitcnt lgkmcnt(0)
	v_fma_f64 v[172:173], -v[132:133], v[44:45], v[172:173]
	v_fma_f64 v[130:131], -v[132:133], v[46:47], v[130:131]
	ds_read2_b64 v[44:47], v64 offset0:52 offset1:53
	s_waitcnt lgkmcnt(0)
	v_fma_f64 v[170:171], -v[132:133], v[44:45], v[170:171]
	v_fma_f64 v[128:129], -v[132:133], v[46:47], v[128:129]
	;; [unrolled: 4-line block ×5, first 2 shown]
.LBB119_251:
	s_or_b32 exec_lo, exec_lo, s1
	s_mov_b32 s1, exec_lo
	s_waitcnt lgkmcnt(0)
	s_barrier
	buffer_gl0_inv
	v_cmpx_eq_u32_e32 50, v0
	s_cbranch_execz .LBB119_254
; %bb.252:
	ds_write_b64 v1, v[172:173]
	ds_write2_b64 v64, v[130:131], v[170:171] offset0:51 offset1:52
	ds_write2_b64 v64, v[128:129], v[168:169] offset0:53 offset1:54
	;; [unrolled: 1-line block ×4, first 2 shown]
	ds_write_b64 v64, v[242:243] offset:472
	ds_read_b64 v[44:45], v1
	s_waitcnt lgkmcnt(0)
	v_cmp_neq_f64_e32 vcc_lo, 0, v[44:45]
	s_and_b32 exec_lo, exec_lo, vcc_lo
	s_cbranch_execz .LBB119_254
; %bb.253:
	v_div_scale_f64 v[46:47], null, v[44:45], v[44:45], 1.0
	v_rcp_f64_e32 v[48:49], v[46:47]
	v_fma_f64 v[50:51], -v[46:47], v[48:49], 1.0
	v_fma_f64 v[48:49], v[48:49], v[50:51], v[48:49]
	v_fma_f64 v[50:51], -v[46:47], v[48:49], 1.0
	v_fma_f64 v[48:49], v[48:49], v[50:51], v[48:49]
	v_div_scale_f64 v[50:51], vcc_lo, 1.0, v[44:45], 1.0
	v_mul_f64 v[52:53], v[50:51], v[48:49]
	v_fma_f64 v[46:47], -v[46:47], v[52:53], v[50:51]
	v_div_fmas_f64 v[46:47], v[46:47], v[48:49], v[52:53]
	v_div_fixup_f64 v[44:45], v[46:47], v[44:45], 1.0
	ds_write_b64 v1, v[44:45]
.LBB119_254:
	s_or_b32 exec_lo, exec_lo, s1
	s_waitcnt lgkmcnt(0)
	s_barrier
	buffer_gl0_inv
	ds_read_b64 v[44:45], v1
	s_mov_b32 s1, exec_lo
	v_cmpx_lt_u32_e32 50, v0
	s_cbranch_execz .LBB119_256
; %bb.255:
	s_waitcnt lgkmcnt(0)
	v_mul_f64 v[172:173], v[44:45], v[172:173]
	ds_read2_b64 v[46:49], v64 offset0:51 offset1:52
	s_waitcnt lgkmcnt(0)
	v_fma_f64 v[130:131], -v[172:173], v[46:47], v[130:131]
	v_fma_f64 v[170:171], -v[172:173], v[48:49], v[170:171]
	ds_read2_b64 v[46:49], v64 offset0:53 offset1:54
	s_waitcnt lgkmcnt(0)
	v_fma_f64 v[128:129], -v[172:173], v[46:47], v[128:129]
	v_fma_f64 v[168:169], -v[172:173], v[48:49], v[168:169]
	;; [unrolled: 4-line block ×3, first 2 shown]
	ds_read2_b64 v[46:49], v64 offset0:57 offset1:58
	s_waitcnt lgkmcnt(0)
	v_fma_f64 v[124:125], -v[172:173], v[46:47], v[124:125]
	ds_read_b64 v[46:47], v64 offset:472
	v_fma_f64 v[164:165], -v[172:173], v[48:49], v[164:165]
	s_waitcnt lgkmcnt(0)
	v_fma_f64 v[242:243], -v[172:173], v[46:47], v[242:243]
.LBB119_256:
	s_or_b32 exec_lo, exec_lo, s1
	s_mov_b32 s1, exec_lo
	s_waitcnt lgkmcnt(0)
	s_barrier
	buffer_gl0_inv
	v_cmpx_eq_u32_e32 51, v0
	s_cbranch_execz .LBB119_259
; %bb.257:
	v_mov_b32_e32 v46, v170
	v_mov_b32_e32 v47, v171
	;; [unrolled: 1-line block ×4, first 2 shown]
	ds_write_b64 v1, v[130:131]
	ds_write2_b64 v64, v[46:47], v[48:49] offset0:52 offset1:53
	v_mov_b32_e32 v46, v168
	v_mov_b32_e32 v47, v169
	;; [unrolled: 1-line block ×4, first 2 shown]
	ds_write2_b64 v64, v[46:47], v[48:49] offset0:54 offset1:55
	v_mov_b32_e32 v46, v166
	v_mov_b32_e32 v47, v167
	;; [unrolled: 1-line block ×4, first 2 shown]
	ds_write2_b64 v64, v[46:47], v[48:49] offset0:56 offset1:57
	v_mov_b32_e32 v46, v164
	v_mov_b32_e32 v47, v165
	ds_write2_b64 v64, v[46:47], v[242:243] offset0:58 offset1:59
	ds_read_b64 v[46:47], v1
	s_waitcnt lgkmcnt(0)
	v_cmp_neq_f64_e32 vcc_lo, 0, v[46:47]
	s_and_b32 exec_lo, exec_lo, vcc_lo
	s_cbranch_execz .LBB119_259
; %bb.258:
	v_div_scale_f64 v[48:49], null, v[46:47], v[46:47], 1.0
	v_rcp_f64_e32 v[50:51], v[48:49]
	v_fma_f64 v[52:53], -v[48:49], v[50:51], 1.0
	v_fma_f64 v[50:51], v[50:51], v[52:53], v[50:51]
	v_fma_f64 v[52:53], -v[48:49], v[50:51], 1.0
	v_fma_f64 v[50:51], v[50:51], v[52:53], v[50:51]
	v_div_scale_f64 v[52:53], vcc_lo, 1.0, v[46:47], 1.0
	v_mul_f64 v[54:55], v[52:53], v[50:51]
	v_fma_f64 v[48:49], -v[48:49], v[54:55], v[52:53]
	v_div_fmas_f64 v[48:49], v[48:49], v[50:51], v[54:55]
	v_div_fixup_f64 v[46:47], v[48:49], v[46:47], 1.0
	ds_write_b64 v1, v[46:47]
.LBB119_259:
	s_or_b32 exec_lo, exec_lo, s1
	s_waitcnt lgkmcnt(0)
	s_barrier
	buffer_gl0_inv
	ds_read_b64 v[46:47], v1
	s_mov_b32 s1, exec_lo
	v_cmpx_lt_u32_e32 51, v0
	s_cbranch_execz .LBB119_261
; %bb.260:
	s_waitcnt lgkmcnt(0)
	v_mul_f64 v[130:131], v[46:47], v[130:131]
	ds_read2_b64 v[48:51], v64 offset0:52 offset1:53
	s_waitcnt lgkmcnt(0)
	v_fma_f64 v[170:171], -v[130:131], v[48:49], v[170:171]
	v_fma_f64 v[128:129], -v[130:131], v[50:51], v[128:129]
	ds_read2_b64 v[48:51], v64 offset0:54 offset1:55
	s_waitcnt lgkmcnt(0)
	v_fma_f64 v[168:169], -v[130:131], v[48:49], v[168:169]
	v_fma_f64 v[126:127], -v[130:131], v[50:51], v[126:127]
	;; [unrolled: 4-line block ×4, first 2 shown]
.LBB119_261:
	s_or_b32 exec_lo, exec_lo, s1
	s_mov_b32 s1, exec_lo
	s_waitcnt lgkmcnt(0)
	s_barrier
	buffer_gl0_inv
	v_cmpx_eq_u32_e32 52, v0
	s_cbranch_execz .LBB119_264
; %bb.262:
	ds_write_b64 v1, v[170:171]
	ds_write2_b64 v64, v[128:129], v[168:169] offset0:53 offset1:54
	ds_write2_b64 v64, v[126:127], v[166:167] offset0:55 offset1:56
	;; [unrolled: 1-line block ×3, first 2 shown]
	ds_write_b64 v64, v[242:243] offset:472
	ds_read_b64 v[48:49], v1
	s_waitcnt lgkmcnt(0)
	v_cmp_neq_f64_e32 vcc_lo, 0, v[48:49]
	s_and_b32 exec_lo, exec_lo, vcc_lo
	s_cbranch_execz .LBB119_264
; %bb.263:
	v_div_scale_f64 v[50:51], null, v[48:49], v[48:49], 1.0
	v_rcp_f64_e32 v[52:53], v[50:51]
	v_fma_f64 v[54:55], -v[50:51], v[52:53], 1.0
	v_fma_f64 v[52:53], v[52:53], v[54:55], v[52:53]
	v_fma_f64 v[54:55], -v[50:51], v[52:53], 1.0
	v_fma_f64 v[52:53], v[52:53], v[54:55], v[52:53]
	v_div_scale_f64 v[54:55], vcc_lo, 1.0, v[48:49], 1.0
	v_mul_f64 v[56:57], v[54:55], v[52:53]
	v_fma_f64 v[50:51], -v[50:51], v[56:57], v[54:55]
	v_div_fmas_f64 v[50:51], v[50:51], v[52:53], v[56:57]
	v_div_fixup_f64 v[48:49], v[50:51], v[48:49], 1.0
	ds_write_b64 v1, v[48:49]
.LBB119_264:
	s_or_b32 exec_lo, exec_lo, s1
	s_waitcnt lgkmcnt(0)
	s_barrier
	buffer_gl0_inv
	ds_read_b64 v[50:51], v1
	s_mov_b32 s1, exec_lo
	v_cmpx_lt_u32_e32 52, v0
	s_cbranch_execz .LBB119_266
; %bb.265:
	s_waitcnt lgkmcnt(0)
	v_mul_f64 v[170:171], v[50:51], v[170:171]
	ds_read2_b64 v[52:55], v64 offset0:53 offset1:54
	ds_read_b64 v[48:49], v64 offset:472
	s_waitcnt lgkmcnt(1)
	v_fma_f64 v[128:129], -v[170:171], v[52:53], v[128:129]
	v_fma_f64 v[168:169], -v[170:171], v[54:55], v[168:169]
	ds_read2_b64 v[52:55], v64 offset0:55 offset1:56
	s_waitcnt lgkmcnt(1)
	v_fma_f64 v[242:243], -v[170:171], v[48:49], v[242:243]
	s_waitcnt lgkmcnt(0)
	v_fma_f64 v[126:127], -v[170:171], v[52:53], v[126:127]
	v_fma_f64 v[166:167], -v[170:171], v[54:55], v[166:167]
	ds_read2_b64 v[52:55], v64 offset0:57 offset1:58
	s_waitcnt lgkmcnt(0)
	v_fma_f64 v[124:125], -v[170:171], v[52:53], v[124:125]
	v_fma_f64 v[164:165], -v[170:171], v[54:55], v[164:165]
.LBB119_266:
	s_or_b32 exec_lo, exec_lo, s1
	s_mov_b32 s1, exec_lo
	s_waitcnt lgkmcnt(0)
	s_barrier
	buffer_gl0_inv
	v_cmpx_eq_u32_e32 53, v0
	s_cbranch_execz .LBB119_269
; %bb.267:
	v_mov_b32_e32 v48, v168
	v_mov_b32_e32 v49, v169
	;; [unrolled: 1-line block ×4, first 2 shown]
	ds_write_b64 v1, v[128:129]
	ds_write2_b64 v64, v[48:49], v[52:53] offset0:54 offset1:55
	v_mov_b32_e32 v48, v166
	v_mov_b32_e32 v49, v167
	;; [unrolled: 1-line block ×4, first 2 shown]
	ds_write2_b64 v64, v[48:49], v[52:53] offset0:56 offset1:57
	v_mov_b32_e32 v48, v164
	v_mov_b32_e32 v49, v165
	ds_write2_b64 v64, v[48:49], v[242:243] offset0:58 offset1:59
	ds_read_b64 v[48:49], v1
	s_waitcnt lgkmcnt(0)
	v_cmp_neq_f64_e32 vcc_lo, 0, v[48:49]
	s_and_b32 exec_lo, exec_lo, vcc_lo
	s_cbranch_execz .LBB119_269
; %bb.268:
	v_div_scale_f64 v[52:53], null, v[48:49], v[48:49], 1.0
	v_rcp_f64_e32 v[54:55], v[52:53]
	v_fma_f64 v[56:57], -v[52:53], v[54:55], 1.0
	v_fma_f64 v[54:55], v[54:55], v[56:57], v[54:55]
	v_fma_f64 v[56:57], -v[52:53], v[54:55], 1.0
	v_fma_f64 v[54:55], v[54:55], v[56:57], v[54:55]
	v_div_scale_f64 v[56:57], vcc_lo, 1.0, v[48:49], 1.0
	v_mul_f64 v[58:59], v[56:57], v[54:55]
	v_fma_f64 v[52:53], -v[52:53], v[58:59], v[56:57]
	v_div_fmas_f64 v[52:53], v[52:53], v[54:55], v[58:59]
	v_div_fixup_f64 v[48:49], v[52:53], v[48:49], 1.0
	ds_write_b64 v1, v[48:49]
.LBB119_269:
	s_or_b32 exec_lo, exec_lo, s1
	s_waitcnt lgkmcnt(0)
	s_barrier
	buffer_gl0_inv
	ds_read_b64 v[52:53], v1
	s_mov_b32 s1, exec_lo
	v_cmpx_lt_u32_e32 53, v0
	s_cbranch_execz .LBB119_271
; %bb.270:
	s_waitcnt lgkmcnt(0)
	v_mul_f64 v[128:129], v[52:53], v[128:129]
	ds_read2_b64 v[54:57], v64 offset0:54 offset1:55
	s_waitcnt lgkmcnt(0)
	v_fma_f64 v[168:169], -v[128:129], v[54:55], v[168:169]
	v_fma_f64 v[126:127], -v[128:129], v[56:57], v[126:127]
	ds_read2_b64 v[54:57], v64 offset0:56 offset1:57
	s_waitcnt lgkmcnt(0)
	v_fma_f64 v[166:167], -v[128:129], v[54:55], v[166:167]
	v_fma_f64 v[124:125], -v[128:129], v[56:57], v[124:125]
	;; [unrolled: 4-line block ×3, first 2 shown]
.LBB119_271:
	s_or_b32 exec_lo, exec_lo, s1
	s_mov_b32 s1, exec_lo
	s_waitcnt lgkmcnt(0)
	s_barrier
	buffer_gl0_inv
	v_cmpx_eq_u32_e32 54, v0
	s_cbranch_execz .LBB119_274
; %bb.272:
	ds_write_b64 v1, v[168:169]
	ds_write2_b64 v64, v[126:127], v[166:167] offset0:55 offset1:56
	ds_write2_b64 v64, v[124:125], v[164:165] offset0:57 offset1:58
	ds_write_b64 v64, v[242:243] offset:472
	ds_read_b64 v[48:49], v1
	s_waitcnt lgkmcnt(0)
	v_cmp_neq_f64_e32 vcc_lo, 0, v[48:49]
	s_and_b32 exec_lo, exec_lo, vcc_lo
	s_cbranch_execz .LBB119_274
; %bb.273:
	v_div_scale_f64 v[54:55], null, v[48:49], v[48:49], 1.0
	v_rcp_f64_e32 v[56:57], v[54:55]
	v_fma_f64 v[58:59], -v[54:55], v[56:57], 1.0
	v_fma_f64 v[56:57], v[56:57], v[58:59], v[56:57]
	v_fma_f64 v[58:59], -v[54:55], v[56:57], 1.0
	v_fma_f64 v[56:57], v[56:57], v[58:59], v[56:57]
	v_div_scale_f64 v[58:59], vcc_lo, 1.0, v[48:49], 1.0
	v_mul_f64 v[60:61], v[58:59], v[56:57]
	v_fma_f64 v[54:55], -v[54:55], v[60:61], v[58:59]
	v_div_fmas_f64 v[54:55], v[54:55], v[56:57], v[60:61]
	v_div_fixup_f64 v[48:49], v[54:55], v[48:49], 1.0
	ds_write_b64 v1, v[48:49]
.LBB119_274:
	s_or_b32 exec_lo, exec_lo, s1
	s_waitcnt lgkmcnt(0)
	s_barrier
	buffer_gl0_inv
	ds_read_b64 v[54:55], v1
	s_mov_b32 s1, exec_lo
	v_cmpx_lt_u32_e32 54, v0
	s_cbranch_execz .LBB119_276
; %bb.275:
	s_waitcnt lgkmcnt(0)
	v_mul_f64 v[168:169], v[54:55], v[168:169]
	ds_read2_b64 v[56:59], v64 offset0:55 offset1:56
	ds_read_b64 v[48:49], v64 offset:472
	s_waitcnt lgkmcnt(1)
	v_fma_f64 v[126:127], -v[168:169], v[56:57], v[126:127]
	v_fma_f64 v[166:167], -v[168:169], v[58:59], v[166:167]
	ds_read2_b64 v[56:59], v64 offset0:57 offset1:58
	s_waitcnt lgkmcnt(1)
	v_fma_f64 v[242:243], -v[168:169], v[48:49], v[242:243]
	s_waitcnt lgkmcnt(0)
	v_fma_f64 v[124:125], -v[168:169], v[56:57], v[124:125]
	v_fma_f64 v[164:165], -v[168:169], v[58:59], v[164:165]
.LBB119_276:
	s_or_b32 exec_lo, exec_lo, s1
	s_mov_b32 s1, exec_lo
	s_waitcnt lgkmcnt(0)
	s_barrier
	buffer_gl0_inv
	v_cmpx_eq_u32_e32 55, v0
	s_cbranch_execz .LBB119_279
; %bb.277:
	v_mov_b32_e32 v48, v166
	v_mov_b32_e32 v49, v167
	;; [unrolled: 1-line block ×4, first 2 shown]
	ds_write_b64 v1, v[126:127]
	ds_write2_b64 v64, v[48:49], v[56:57] offset0:56 offset1:57
	v_mov_b32_e32 v48, v164
	v_mov_b32_e32 v49, v165
	ds_write2_b64 v64, v[48:49], v[242:243] offset0:58 offset1:59
	ds_read_b64 v[48:49], v1
	s_waitcnt lgkmcnt(0)
	v_cmp_neq_f64_e32 vcc_lo, 0, v[48:49]
	s_and_b32 exec_lo, exec_lo, vcc_lo
	s_cbranch_execz .LBB119_279
; %bb.278:
	v_div_scale_f64 v[56:57], null, v[48:49], v[48:49], 1.0
	v_rcp_f64_e32 v[58:59], v[56:57]
	v_fma_f64 v[60:61], -v[56:57], v[58:59], 1.0
	v_fma_f64 v[58:59], v[58:59], v[60:61], v[58:59]
	v_fma_f64 v[60:61], -v[56:57], v[58:59], 1.0
	v_fma_f64 v[58:59], v[58:59], v[60:61], v[58:59]
	v_div_scale_f64 v[60:61], vcc_lo, 1.0, v[48:49], 1.0
	v_mul_f64 v[62:63], v[60:61], v[58:59]
	v_fma_f64 v[56:57], -v[56:57], v[62:63], v[60:61]
	v_div_fmas_f64 v[56:57], v[56:57], v[58:59], v[62:63]
	v_div_fixup_f64 v[48:49], v[56:57], v[48:49], 1.0
	ds_write_b64 v1, v[48:49]
.LBB119_279:
	s_or_b32 exec_lo, exec_lo, s1
	s_waitcnt lgkmcnt(0)
	s_barrier
	buffer_gl0_inv
	ds_read_b64 v[56:57], v1
	s_mov_b32 s1, exec_lo
	v_cmpx_lt_u32_e32 55, v0
	s_cbranch_execz .LBB119_281
; %bb.280:
	s_waitcnt lgkmcnt(0)
	v_mul_f64 v[126:127], v[56:57], v[126:127]
	ds_read2_b64 v[58:61], v64 offset0:56 offset1:57
	s_waitcnt lgkmcnt(0)
	v_fma_f64 v[166:167], -v[126:127], v[58:59], v[166:167]
	v_fma_f64 v[124:125], -v[126:127], v[60:61], v[124:125]
	ds_read2_b64 v[58:61], v64 offset0:58 offset1:59
	s_waitcnt lgkmcnt(0)
	v_fma_f64 v[164:165], -v[126:127], v[58:59], v[164:165]
	v_fma_f64 v[242:243], -v[126:127], v[60:61], v[242:243]
.LBB119_281:
	s_or_b32 exec_lo, exec_lo, s1
	s_mov_b32 s1, exec_lo
	s_waitcnt lgkmcnt(0)
	s_barrier
	buffer_gl0_inv
	v_cmpx_eq_u32_e32 56, v0
	s_cbranch_execz .LBB119_284
; %bb.282:
	ds_write_b64 v1, v[166:167]
	ds_write2_b64 v64, v[124:125], v[164:165] offset0:57 offset1:58
	ds_write_b64 v64, v[242:243] offset:472
	ds_read_b64 v[48:49], v1
	s_waitcnt lgkmcnt(0)
	v_cmp_neq_f64_e32 vcc_lo, 0, v[48:49]
	s_and_b32 exec_lo, exec_lo, vcc_lo
	s_cbranch_execz .LBB119_284
; %bb.283:
	v_div_scale_f64 v[58:59], null, v[48:49], v[48:49], 1.0
	v_rcp_f64_e32 v[60:61], v[58:59]
	v_fma_f64 v[62:63], -v[58:59], v[60:61], 1.0
	v_fma_f64 v[60:61], v[60:61], v[62:63], v[60:61]
	v_fma_f64 v[62:63], -v[58:59], v[60:61], 1.0
	v_fma_f64 v[60:61], v[60:61], v[62:63], v[60:61]
	v_div_scale_f64 v[62:63], vcc_lo, 1.0, v[48:49], 1.0
	v_mul_f64 v[65:66], v[62:63], v[60:61]
	v_fma_f64 v[58:59], -v[58:59], v[65:66], v[62:63]
	v_div_fmas_f64 v[58:59], v[58:59], v[60:61], v[65:66]
	v_div_fixup_f64 v[48:49], v[58:59], v[48:49], 1.0
	ds_write_b64 v1, v[48:49]
.LBB119_284:
	s_or_b32 exec_lo, exec_lo, s1
	s_waitcnt lgkmcnt(0)
	s_barrier
	buffer_gl0_inv
	ds_read_b64 v[58:59], v1
	s_mov_b32 s1, exec_lo
	v_cmpx_lt_u32_e32 56, v0
	s_cbranch_execz .LBB119_286
; %bb.285:
	s_waitcnt lgkmcnt(0)
	v_mul_f64 v[166:167], v[58:59], v[166:167]
	ds_read2_b64 v[60:63], v64 offset0:57 offset1:58
	ds_read_b64 v[48:49], v64 offset:472
	s_waitcnt lgkmcnt(1)
	v_fma_f64 v[124:125], -v[166:167], v[60:61], v[124:125]
	v_fma_f64 v[164:165], -v[166:167], v[62:63], v[164:165]
	s_waitcnt lgkmcnt(0)
	v_fma_f64 v[242:243], -v[166:167], v[48:49], v[242:243]
.LBB119_286:
	s_or_b32 exec_lo, exec_lo, s1
	s_mov_b32 s1, exec_lo
	s_waitcnt lgkmcnt(0)
	s_barrier
	buffer_gl0_inv
	v_cmpx_eq_u32_e32 57, v0
	s_cbranch_execz .LBB119_289
; %bb.287:
	v_mov_b32_e32 v48, v164
	v_mov_b32_e32 v49, v165
	ds_write_b64 v1, v[124:125]
	ds_write2_b64 v64, v[48:49], v[242:243] offset0:58 offset1:59
	ds_read_b64 v[48:49], v1
	s_waitcnt lgkmcnt(0)
	v_cmp_neq_f64_e32 vcc_lo, 0, v[48:49]
	s_and_b32 exec_lo, exec_lo, vcc_lo
	s_cbranch_execz .LBB119_289
; %bb.288:
	v_div_scale_f64 v[60:61], null, v[48:49], v[48:49], 1.0
	v_rcp_f64_e32 v[62:63], v[60:61]
	v_fma_f64 v[65:66], -v[60:61], v[62:63], 1.0
	v_fma_f64 v[62:63], v[62:63], v[65:66], v[62:63]
	v_fma_f64 v[65:66], -v[60:61], v[62:63], 1.0
	v_fma_f64 v[62:63], v[62:63], v[65:66], v[62:63]
	v_div_scale_f64 v[65:66], vcc_lo, 1.0, v[48:49], 1.0
	v_mul_f64 v[67:68], v[65:66], v[62:63]
	v_fma_f64 v[60:61], -v[60:61], v[67:68], v[65:66]
	v_div_fmas_f64 v[60:61], v[60:61], v[62:63], v[67:68]
	v_div_fixup_f64 v[48:49], v[60:61], v[48:49], 1.0
	ds_write_b64 v1, v[48:49]
.LBB119_289:
	s_or_b32 exec_lo, exec_lo, s1
	s_waitcnt lgkmcnt(0)
	s_barrier
	buffer_gl0_inv
	ds_read_b64 v[60:61], v1
	s_mov_b32 s1, exec_lo
	v_cmpx_lt_u32_e32 57, v0
	s_cbranch_execz .LBB119_291
; %bb.290:
	s_waitcnt lgkmcnt(0)
	v_mul_f64 v[124:125], v[60:61], v[124:125]
	ds_read2_b64 v[65:68], v64 offset0:58 offset1:59
	s_waitcnt lgkmcnt(0)
	v_fma_f64 v[164:165], -v[124:125], v[65:66], v[164:165]
	v_fma_f64 v[242:243], -v[124:125], v[67:68], v[242:243]
.LBB119_291:
	s_or_b32 exec_lo, exec_lo, s1
	s_mov_b32 s1, exec_lo
	s_waitcnt lgkmcnt(0)
	s_barrier
	buffer_gl0_inv
	v_cmpx_eq_u32_e32 58, v0
	s_cbranch_execz .LBB119_294
; %bb.292:
	ds_write_b64 v1, v[164:165]
	ds_write_b64 v64, v[242:243] offset:472
	ds_read_b64 v[48:49], v1
	s_waitcnt lgkmcnt(0)
	v_cmp_neq_f64_e32 vcc_lo, 0, v[48:49]
	s_and_b32 exec_lo, exec_lo, vcc_lo
	s_cbranch_execz .LBB119_294
; %bb.293:
	v_div_scale_f64 v[62:63], null, v[48:49], v[48:49], 1.0
	v_mov_b32_e32 v118, v117
	v_mov_b32_e32 v117, v116
	;; [unrolled: 1-line block ×20, first 2 shown]
	v_rcp_f64_e32 v[65:66], v[62:63]
	v_mov_b32_e32 v98, v97
	v_mov_b32_e32 v97, v96
	;; [unrolled: 1-line block ×23, first 2 shown]
	v_fma_f64 v[67:68], -v[62:63], v[65:66], 1.0
	v_mov_b32_e32 v119, v4
	v_mov_b32_e32 v4, v254
	;; [unrolled: 1-line block ×21, first 2 shown]
	v_fma_f64 v[65:66], v[65:66], v[67:68], v[65:66]
	v_mov_b32_e32 v252, v250
	v_mov_b32_e32 v251, v249
	;; [unrolled: 1-line block ×21, first 2 shown]
	v_fma_f64 v[67:68], -v[62:63], v[65:66], 1.0
	v_mov_b32_e32 v246, v248
	v_mov_b32_e32 v107, v108
	;; [unrolled: 1-line block ×21, first 2 shown]
	v_fma_f64 v[65:66], v[65:66], v[67:68], v[65:66]
	v_div_scale_f64 v[67:68], vcc_lo, 1.0, v[48:49], 1.0
	v_mov_b32_e32 v117, v118
	v_mov_b32_e32 v5, v120
	v_mul_f64 v[69:70], v[67:68], v[65:66]
	v_fma_f64 v[62:63], -v[62:63], v[69:70], v[67:68]
	v_div_fmas_f64 v[62:63], v[62:63], v[65:66], v[69:70]
	v_div_fixup_f64 v[48:49], v[62:63], v[48:49], 1.0
	ds_write_b64 v1, v[48:49]
.LBB119_294:
	s_or_b32 exec_lo, exec_lo, s1
	s_waitcnt lgkmcnt(0)
	s_barrier
	buffer_gl0_inv
	ds_read_b64 v[62:63], v1
	s_mov_b32 s1, exec_lo
	v_cmpx_lt_u32_e32 58, v0
	s_cbranch_execz .LBB119_296
; %bb.295:
	s_waitcnt lgkmcnt(0)
	v_mul_f64 v[164:165], v[62:63], v[164:165]
	ds_read_b64 v[48:49], v64 offset:472
	s_waitcnt lgkmcnt(0)
	v_fma_f64 v[242:243], -v[164:165], v[48:49], v[242:243]
.LBB119_296:
	s_or_b32 exec_lo, exec_lo, s1
	s_mov_b32 s1, exec_lo
	s_waitcnt lgkmcnt(0)
	s_barrier
	buffer_gl0_inv
	v_cmpx_eq_u32_e32 59, v0
	s_cbranch_execz .LBB119_299
; %bb.297:
	v_cmp_neq_f64_e32 vcc_lo, 0, v[242:243]
	ds_write_b64 v1, v[242:243]
	s_and_b32 exec_lo, exec_lo, vcc_lo
	s_cbranch_execz .LBB119_299
; %bb.298:
	v_div_scale_f64 v[48:49], null, v[242:243], v[242:243], 1.0
	v_rcp_f64_e32 v[64:65], v[48:49]
	v_fma_f64 v[66:67], -v[48:49], v[64:65], 1.0
	v_fma_f64 v[64:65], v[64:65], v[66:67], v[64:65]
	v_fma_f64 v[66:67], -v[48:49], v[64:65], 1.0
	v_fma_f64 v[64:65], v[64:65], v[66:67], v[64:65]
	v_div_scale_f64 v[66:67], vcc_lo, 1.0, v[242:243], 1.0
	v_mul_f64 v[68:69], v[66:67], v[64:65]
	v_fma_f64 v[48:49], -v[48:49], v[68:69], v[66:67]
	v_div_fmas_f64 v[48:49], v[48:49], v[64:65], v[68:69]
	v_div_fixup_f64 v[48:49], v[48:49], v[242:243], 1.0
	ds_write_b64 v1, v[48:49]
.LBB119_299:
	s_or_b32 exec_lo, exec_lo, s1
	s_waitcnt lgkmcnt(0)
	s_barrier
	buffer_gl0_inv
	ds_read_b64 v[48:49], v1
	s_waitcnt lgkmcnt(0)
	s_barrier
	buffer_gl0_inv
	s_and_saveexec_b32 s1, s0
	s_cbranch_execz .LBB119_302
; %bb.300:
	v_mov_b32_e32 v65, v5
	v_mov_b32_e32 v64, v4
	s_clause 0x1
	buffer_load_dword v4, off, s[12:15], 0 offset:216
	buffer_load_dword v5, off, s[12:15], 0 offset:220
	s_load_dwordx2 s[2:3], s[4:5], 0x28
	s_waitcnt vmcnt(0)
	v_cmp_eq_f64_e32 vcc_lo, 0, v[4:5]
	s_clause 0x1
	buffer_load_dword v4, off, s[12:15], 0 offset:224
	buffer_load_dword v5, off, s[12:15], 0 offset:228
	v_cndmask_b32_e64 v1, 0, 1, vcc_lo
	s_waitcnt vmcnt(0)
	v_cmp_neq_f64_e64 s0, 0, v[4:5]
	s_clause 0x1
	buffer_load_dword v4, off, s[12:15], 0 offset:232
	buffer_load_dword v5, off, s[12:15], 0 offset:236
	s_or_b32 vcc_lo, s0, vcc_lo
	v_cndmask_b32_e32 v1, 2, v1, vcc_lo
	v_cmp_eq_u32_e64 s0, 0, v1
	s_waitcnt vmcnt(0)
	v_cmp_eq_f64_e32 vcc_lo, 0, v[4:5]
	s_clause 0x1
	buffer_load_dword v4, off, s[12:15], 0 offset:240
	buffer_load_dword v5, off, s[12:15], 0 offset:244
	s_and_b32 s0, vcc_lo, s0
	v_cndmask_b32_e64 v1, v1, 3, s0
	v_cmp_eq_u32_e64 s0, 0, v1
	s_waitcnt vmcnt(0)
	v_cmp_eq_f64_e32 vcc_lo, 0, v[4:5]
	s_clause 0x1
	buffer_load_dword v4, off, s[12:15], 0 offset:248
	buffer_load_dword v5, off, s[12:15], 0 offset:252
	s_and_b32 s0, vcc_lo, s0
	v_cndmask_b32_e64 v1, v1, 4, s0
	v_cmp_eq_u32_e64 s0, 0, v1
	s_waitcnt vmcnt(0)
	v_cmp_eq_f64_e32 vcc_lo, 0, v[4:5]
	s_clause 0x1
	buffer_load_dword v4, off, s[12:15], 0 offset:256
	buffer_load_dword v5, off, s[12:15], 0 offset:260
	s_and_b32 s0, vcc_lo, s0
	v_cndmask_b32_e64 v1, v1, 5, s0
	v_cmp_eq_u32_e64 s0, 0, v1
	s_waitcnt vmcnt(0)
	v_cmp_eq_f64_e32 vcc_lo, 0, v[4:5]
	s_clause 0x1
	buffer_load_dword v4, off, s[12:15], 0 offset:264
	buffer_load_dword v5, off, s[12:15], 0 offset:268
	s_and_b32 s0, vcc_lo, s0
	v_cndmask_b32_e64 v1, v1, 6, s0
	v_cmp_eq_u32_e64 s0, 0, v1
	s_waitcnt vmcnt(0)
	v_cmp_eq_f64_e32 vcc_lo, 0, v[4:5]
	s_clause 0x1
	buffer_load_dword v4, off, s[12:15], 0 offset:272
	buffer_load_dword v5, off, s[12:15], 0 offset:276
	s_and_b32 s0, vcc_lo, s0
	v_cndmask_b32_e64 v1, v1, 7, s0
	v_cmp_eq_u32_e64 s0, 0, v1
	s_waitcnt vmcnt(0)
	v_cmp_eq_f64_e32 vcc_lo, 0, v[4:5]
	s_clause 0x1
	buffer_load_dword v4, off, s[12:15], 0 offset:280
	buffer_load_dword v5, off, s[12:15], 0 offset:284
	s_and_b32 s0, vcc_lo, s0
	v_cndmask_b32_e64 v1, v1, 8, s0
	v_cmp_eq_u32_e64 s0, 0, v1
	s_waitcnt vmcnt(0)
	v_cmp_eq_f64_e32 vcc_lo, 0, v[4:5]
	s_clause 0x1
	buffer_load_dword v4, off, s[12:15], 0 offset:288
	buffer_load_dword v5, off, s[12:15], 0 offset:292
	s_and_b32 s0, vcc_lo, s0
	v_cndmask_b32_e64 v1, v1, 9, s0
	v_cmp_eq_u32_e64 s0, 0, v1
	s_waitcnt vmcnt(0)
	v_cmp_eq_f64_e32 vcc_lo, 0, v[4:5]
	s_clause 0x1
	buffer_load_dword v4, off, s[12:15], 0 offset:296
	buffer_load_dword v5, off, s[12:15], 0 offset:300
	s_and_b32 s0, vcc_lo, s0
	v_cndmask_b32_e64 v1, v1, 10, s0
	v_cmp_eq_u32_e64 s0, 0, v1
	s_waitcnt vmcnt(0)
	v_cmp_eq_f64_e32 vcc_lo, 0, v[4:5]
	s_clause 0x1
	buffer_load_dword v4, off, s[12:15], 0 offset:304
	buffer_load_dword v5, off, s[12:15], 0 offset:308
	s_and_b32 s0, vcc_lo, s0
	v_cndmask_b32_e64 v1, v1, 11, s0
	v_cmp_eq_u32_e64 s0, 0, v1
	s_waitcnt vmcnt(0)
	v_cmp_eq_f64_e32 vcc_lo, 0, v[4:5]
	s_clause 0x1
	buffer_load_dword v4, off, s[12:15], 0 offset:312
	buffer_load_dword v5, off, s[12:15], 0 offset:316
	s_and_b32 s0, vcc_lo, s0
	v_cndmask_b32_e64 v1, v1, 12, s0
	v_cmp_eq_u32_e64 s0, 0, v1
	s_waitcnt vmcnt(0)
	v_cmp_eq_f64_e32 vcc_lo, 0, v[4:5]
	s_clause 0x1
	buffer_load_dword v4, off, s[12:15], 0 offset:320
	buffer_load_dword v5, off, s[12:15], 0 offset:324
	s_and_b32 s0, vcc_lo, s0
	v_cndmask_b32_e64 v1, v1, 13, s0
	v_cmp_eq_u32_e64 s0, 0, v1
	s_waitcnt vmcnt(0)
	v_cmp_eq_f64_e32 vcc_lo, 0, v[4:5]
	s_clause 0x1
	buffer_load_dword v4, off, s[12:15], 0 offset:328
	buffer_load_dword v5, off, s[12:15], 0 offset:332
	s_and_b32 s0, vcc_lo, s0
	v_cndmask_b32_e64 v1, v1, 14, s0
	v_cmp_eq_u32_e64 s0, 0, v1
	s_waitcnt vmcnt(0)
	v_cmp_eq_f64_e32 vcc_lo, 0, v[4:5]
	s_clause 0x1
	buffer_load_dword v4, off, s[12:15], 0 offset:336
	buffer_load_dword v5, off, s[12:15], 0 offset:340
	s_and_b32 s0, vcc_lo, s0
	v_cndmask_b32_e64 v1, v1, 15, s0
	v_cmp_eq_u32_e64 s0, 0, v1
	s_waitcnt vmcnt(0)
	v_cmp_eq_f64_e32 vcc_lo, 0, v[4:5]
	s_clause 0x1
	buffer_load_dword v4, off, s[12:15], 0 offset:344
	buffer_load_dword v5, off, s[12:15], 0 offset:348
	s_and_b32 s0, vcc_lo, s0
	v_cndmask_b32_e64 v1, v1, 16, s0
	v_cmp_eq_u32_e64 s0, 0, v1
	s_waitcnt vmcnt(0)
	v_cmp_eq_f64_e32 vcc_lo, 0, v[4:5]
	s_clause 0x1
	buffer_load_dword v4, off, s[12:15], 0 offset:352
	buffer_load_dword v5, off, s[12:15], 0 offset:356
	s_and_b32 s0, vcc_lo, s0
	v_cndmask_b32_e64 v1, v1, 17, s0
	v_cmp_eq_u32_e64 s0, 0, v1
	s_waitcnt vmcnt(0)
	v_cmp_eq_f64_e32 vcc_lo, 0, v[4:5]
	s_clause 0x1
	buffer_load_dword v4, off, s[12:15], 0 offset:360
	buffer_load_dword v5, off, s[12:15], 0 offset:364
	s_and_b32 s0, vcc_lo, s0
	v_cndmask_b32_e64 v1, v1, 18, s0
	v_cmp_eq_u32_e64 s0, 0, v1
	s_waitcnt vmcnt(0)
	v_cmp_eq_f64_e32 vcc_lo, 0, v[4:5]
	s_clause 0x1
	buffer_load_dword v4, off, s[12:15], 0 offset:368
	buffer_load_dword v5, off, s[12:15], 0 offset:372
	s_and_b32 s0, vcc_lo, s0
	v_cndmask_b32_e64 v1, v1, 19, s0
	v_cmp_eq_u32_e64 s0, 0, v1
	s_waitcnt vmcnt(0)
	v_cmp_eq_f64_e32 vcc_lo, 0, v[4:5]
	s_clause 0x1
	buffer_load_dword v4, off, s[12:15], 0 offset:376
	buffer_load_dword v5, off, s[12:15], 0 offset:380
	s_and_b32 s0, vcc_lo, s0
	v_cndmask_b32_e64 v1, v1, 20, s0
	v_cmp_eq_u32_e64 s0, 0, v1
	s_waitcnt vmcnt(0)
	v_cmp_eq_f64_e32 vcc_lo, 0, v[4:5]
	s_clause 0x1
	buffer_load_dword v4, off, s[12:15], 0 offset:384
	buffer_load_dword v5, off, s[12:15], 0 offset:388
	s_and_b32 s0, vcc_lo, s0
	v_cndmask_b32_e64 v1, v1, 21, s0
	v_cmp_eq_u32_e64 s0, 0, v1
	s_waitcnt vmcnt(0)
	v_cmp_eq_f64_e32 vcc_lo, 0, v[4:5]
	s_clause 0x1
	buffer_load_dword v4, off, s[12:15], 0 offset:392
	buffer_load_dword v5, off, s[12:15], 0 offset:396
	s_and_b32 s0, vcc_lo, s0
	v_cndmask_b32_e64 v1, v1, 22, s0
	v_cmp_eq_u32_e64 s0, 0, v1
	s_waitcnt vmcnt(0)
	v_cmp_eq_f64_e32 vcc_lo, 0, v[4:5]
	s_clause 0x1
	buffer_load_dword v4, off, s[12:15], 0 offset:400
	buffer_load_dword v5, off, s[12:15], 0 offset:404
	s_and_b32 s0, vcc_lo, s0
	v_cndmask_b32_e64 v1, v1, 23, s0
	v_cmp_eq_u32_e64 s0, 0, v1
	s_waitcnt vmcnt(0)
	v_cmp_eq_f64_e32 vcc_lo, 0, v[4:5]
	s_clause 0x1
	buffer_load_dword v4, off, s[12:15], 0 offset:408
	buffer_load_dword v5, off, s[12:15], 0 offset:412
	s_and_b32 s0, vcc_lo, s0
	v_cndmask_b32_e64 v1, v1, 24, s0
	v_cmp_eq_u32_e64 s0, 0, v1
	s_waitcnt vmcnt(0)
	v_cmp_eq_f64_e32 vcc_lo, 0, v[4:5]
	s_clause 0x1
	buffer_load_dword v4, off, s[12:15], 0 offset:416
	buffer_load_dword v5, off, s[12:15], 0 offset:420
	s_and_b32 s0, vcc_lo, s0
	v_cndmask_b32_e64 v1, v1, 25, s0
	v_cmp_eq_u32_e64 s0, 0, v1
	s_waitcnt vmcnt(0)
	v_cmp_eq_f64_e32 vcc_lo, 0, v[4:5]
	s_clause 0x1
	buffer_load_dword v4, off, s[12:15], 0 offset:424
	buffer_load_dword v5, off, s[12:15], 0 offset:428
	s_and_b32 s0, vcc_lo, s0
	v_cndmask_b32_e64 v1, v1, 26, s0
	v_cmp_eq_u32_e64 s0, 0, v1
	s_waitcnt vmcnt(0)
	v_cmp_eq_f64_e32 vcc_lo, 0, v[4:5]
	s_clause 0x1
	buffer_load_dword v4, off, s[12:15], 0 offset:432
	buffer_load_dword v5, off, s[12:15], 0 offset:436
	s_and_b32 s0, vcc_lo, s0
	v_cndmask_b32_e64 v1, v1, 27, s0
	v_cmp_eq_u32_e64 s0, 0, v1
	s_waitcnt vmcnt(0)
	v_cmp_eq_f64_e32 vcc_lo, 0, v[4:5]
	s_clause 0x1
	buffer_load_dword v4, off, s[12:15], 0 offset:440
	buffer_load_dword v5, off, s[12:15], 0 offset:444
	s_and_b32 s0, vcc_lo, s0
	v_cndmask_b32_e64 v1, v1, 28, s0
	v_cmp_eq_u32_e64 s0, 0, v1
	s_waitcnt vmcnt(0)
	v_cmp_eq_f64_e32 vcc_lo, 0, v[4:5]
	s_clause 0x1
	buffer_load_dword v4, off, s[12:15], 0 offset:448
	buffer_load_dword v5, off, s[12:15], 0 offset:452
	s_and_b32 s0, vcc_lo, s0
	v_cndmask_b32_e64 v1, v1, 29, s0
	v_cmp_eq_u32_e64 s0, 0, v1
	s_waitcnt vmcnt(0)
	v_cmp_eq_f64_e32 vcc_lo, 0, v[4:5]
	s_and_b32 s0, vcc_lo, s0
	v_cmp_eq_f64_e32 vcc_lo, 0, v[64:65]
	v_cndmask_b32_e64 v1, v1, 30, s0
	v_cmp_eq_u32_e64 s0, 0, v1
	s_and_b32 s0, vcc_lo, s0
	v_cmp_eq_f64_e32 vcc_lo, 0, v[6:7]
	v_cndmask_b32_e64 v1, v1, 31, s0
	v_cmp_eq_u32_e64 s0, 0, v1
	;; [unrolled: 4-line block ×30, first 2 shown]
	s_and_b32 s0, vcc_lo, s0
	v_cndmask_b32_e64 v4, v1, 60, s0
	v_lshlrev_b64 v[1:2], 2, v[2:3]
	v_cmp_ne_u32_e64 s0, 0, v4
	s_waitcnt lgkmcnt(0)
	v_add_co_u32 v1, vcc_lo, s2, v1
	v_add_co_ci_u32_e64 v2, null, s3, v2, vcc_lo
	global_load_dword v3, v[1:2], off
	s_waitcnt vmcnt(0)
	v_cmp_eq_u32_e32 vcc_lo, 0, v3
	s_and_b32 s0, vcc_lo, s0
	s_and_b32 exec_lo, exec_lo, s0
	s_cbranch_execz .LBB119_302
; %bb.301:
	v_add_nc_u32_e32 v3, s9, v4
	global_store_dword v[1:2], v3, off
.LBB119_302:
	s_or_b32 exec_lo, exec_lo, s1
	flat_store_dwordx2 v[71:72], v[204:205]
	s_clause 0x1
	buffer_load_dword v3, off, s[12:15], 0 offset:208
	buffer_load_dword v4, off, s[12:15], 0 offset:212
	v_mul_f64 v[1:2], v[48:49], v[242:243]
	v_cmp_lt_u32_e32 vcc_lo, 59, v0
	v_cndmask_b32_e32 v2, v243, v2, vcc_lo
	v_cndmask_b32_e32 v1, v242, v1, vcc_lo
	s_waitcnt vmcnt(0)
	flat_store_dwordx2 v[3:4], v[222:223]
	s_clause 0x1
	buffer_load_dword v3, off, s[12:15], 0 offset:456
	buffer_load_dword v4, off, s[12:15], 0 offset:460
	s_waitcnt vmcnt(0)
	flat_store_dwordx2 v[3:4], v[240:241]
	s_clause 0x1
	buffer_load_dword v3, off, s[12:15], 0 offset:464
	buffer_load_dword v4, off, s[12:15], 0 offset:468
	;; [unrolled: 5-line block ×3, first 2 shown]
	s_waitcnt vmcnt(0)
	flat_store_dwordx2 v[3:4], v[238:239]
	flat_store_dwordx2 v[76:77], v[218:219]
	;; [unrolled: 1-line block ×30, first 2 shown]
	s_clause 0x1
	buffer_load_dword v3, off, s[12:15], 0
	buffer_load_dword v4, off, s[12:15], 0 offset:4
	s_waitcnt vmcnt(0)
	flat_store_dwordx2 v[3:4], v[188:189]
	s_clause 0x1
	buffer_load_dword v3, off, s[12:15], 0 offset:8
	buffer_load_dword v4, off, s[12:15], 0 offset:12
	s_waitcnt vmcnt(0)
	flat_store_dwordx2 v[3:4], v[146:147]
	s_clause 0x1
	buffer_load_dword v3, off, s[12:15], 0 offset:16
	;; [unrolled: 5-line block ×25, first 2 shown]
	buffer_load_dword v4, off, s[12:15], 0 offset:204
	s_waitcnt vmcnt(0)
	flat_store_dwordx2 v[3:4], v[1:2]
.LBB119_303:
	s_endpgm
	.section	.rodata,"a",@progbits
	.p2align	6, 0x0
	.amdhsa_kernel _ZN9rocsolver6v33100L23getf2_npvt_small_kernelILi60EdiiPKPdEEvT1_T3_lS5_lPT2_S5_S5_
		.amdhsa_group_segment_fixed_size 0
		.amdhsa_private_segment_fixed_size 484
		.amdhsa_kernarg_size 312
		.amdhsa_user_sgpr_count 6
		.amdhsa_user_sgpr_private_segment_buffer 1
		.amdhsa_user_sgpr_dispatch_ptr 0
		.amdhsa_user_sgpr_queue_ptr 0
		.amdhsa_user_sgpr_kernarg_segment_ptr 1
		.amdhsa_user_sgpr_dispatch_id 0
		.amdhsa_user_sgpr_flat_scratch_init 0
		.amdhsa_user_sgpr_private_segment_size 0
		.amdhsa_wavefront_size32 1
		.amdhsa_uses_dynamic_stack 0
		.amdhsa_system_sgpr_private_segment_wavefront_offset 1
		.amdhsa_system_sgpr_workgroup_id_x 1
		.amdhsa_system_sgpr_workgroup_id_y 1
		.amdhsa_system_sgpr_workgroup_id_z 0
		.amdhsa_system_sgpr_workgroup_info 0
		.amdhsa_system_vgpr_workitem_id 1
		.amdhsa_next_free_vgpr 256
		.amdhsa_next_free_sgpr 16
		.amdhsa_reserve_vcc 1
		.amdhsa_reserve_flat_scratch 1
		.amdhsa_float_round_mode_32 0
		.amdhsa_float_round_mode_16_64 0
		.amdhsa_float_denorm_mode_32 3
		.amdhsa_float_denorm_mode_16_64 3
		.amdhsa_dx10_clamp 1
		.amdhsa_ieee_mode 1
		.amdhsa_fp16_overflow 0
		.amdhsa_workgroup_processor_mode 1
		.amdhsa_memory_ordered 1
		.amdhsa_forward_progress 1
		.amdhsa_shared_vgpr_count 0
		.amdhsa_exception_fp_ieee_invalid_op 0
		.amdhsa_exception_fp_denorm_src 0
		.amdhsa_exception_fp_ieee_div_zero 0
		.amdhsa_exception_fp_ieee_overflow 0
		.amdhsa_exception_fp_ieee_underflow 0
		.amdhsa_exception_fp_ieee_inexact 0
		.amdhsa_exception_int_div_zero 0
	.end_amdhsa_kernel
	.section	.text._ZN9rocsolver6v33100L23getf2_npvt_small_kernelILi60EdiiPKPdEEvT1_T3_lS5_lPT2_S5_S5_,"axG",@progbits,_ZN9rocsolver6v33100L23getf2_npvt_small_kernelILi60EdiiPKPdEEvT1_T3_lS5_lPT2_S5_S5_,comdat
.Lfunc_end119:
	.size	_ZN9rocsolver6v33100L23getf2_npvt_small_kernelILi60EdiiPKPdEEvT1_T3_lS5_lPT2_S5_S5_, .Lfunc_end119-_ZN9rocsolver6v33100L23getf2_npvt_small_kernelILi60EdiiPKPdEEvT1_T3_lS5_lPT2_S5_S5_
                                        ; -- End function
	.set _ZN9rocsolver6v33100L23getf2_npvt_small_kernelILi60EdiiPKPdEEvT1_T3_lS5_lPT2_S5_S5_.num_vgpr, 256
	.set _ZN9rocsolver6v33100L23getf2_npvt_small_kernelILi60EdiiPKPdEEvT1_T3_lS5_lPT2_S5_S5_.num_agpr, 0
	.set _ZN9rocsolver6v33100L23getf2_npvt_small_kernelILi60EdiiPKPdEEvT1_T3_lS5_lPT2_S5_S5_.numbered_sgpr, 16
	.set _ZN9rocsolver6v33100L23getf2_npvt_small_kernelILi60EdiiPKPdEEvT1_T3_lS5_lPT2_S5_S5_.num_named_barrier, 0
	.set _ZN9rocsolver6v33100L23getf2_npvt_small_kernelILi60EdiiPKPdEEvT1_T3_lS5_lPT2_S5_S5_.private_seg_size, 484
	.set _ZN9rocsolver6v33100L23getf2_npvt_small_kernelILi60EdiiPKPdEEvT1_T3_lS5_lPT2_S5_S5_.uses_vcc, 1
	.set _ZN9rocsolver6v33100L23getf2_npvt_small_kernelILi60EdiiPKPdEEvT1_T3_lS5_lPT2_S5_S5_.uses_flat_scratch, 1
	.set _ZN9rocsolver6v33100L23getf2_npvt_small_kernelILi60EdiiPKPdEEvT1_T3_lS5_lPT2_S5_S5_.has_dyn_sized_stack, 0
	.set _ZN9rocsolver6v33100L23getf2_npvt_small_kernelILi60EdiiPKPdEEvT1_T3_lS5_lPT2_S5_S5_.has_recursion, 0
	.set _ZN9rocsolver6v33100L23getf2_npvt_small_kernelILi60EdiiPKPdEEvT1_T3_lS5_lPT2_S5_S5_.has_indirect_call, 0
	.section	.AMDGPU.csdata,"",@progbits
; Kernel info:
; codeLenInByte = 59764
; TotalNumSgprs: 18
; NumVgprs: 256
; ScratchSize: 484
; MemoryBound: 0
; FloatMode: 240
; IeeeMode: 1
; LDSByteSize: 0 bytes/workgroup (compile time only)
; SGPRBlocks: 0
; VGPRBlocks: 31
; NumSGPRsForWavesPerEU: 18
; NumVGPRsForWavesPerEU: 256
; Occupancy: 4
; WaveLimiterHint : 1
; COMPUTE_PGM_RSRC2:SCRATCH_EN: 1
; COMPUTE_PGM_RSRC2:USER_SGPR: 6
; COMPUTE_PGM_RSRC2:TRAP_HANDLER: 0
; COMPUTE_PGM_RSRC2:TGID_X_EN: 1
; COMPUTE_PGM_RSRC2:TGID_Y_EN: 1
; COMPUTE_PGM_RSRC2:TGID_Z_EN: 0
; COMPUTE_PGM_RSRC2:TIDIG_COMP_CNT: 1
	.section	.text._ZN9rocsolver6v33100L18getf2_small_kernelILi61EdiiPKPdEEvT1_T3_lS5_lPS5_llPT2_S5_S5_S7_l,"axG",@progbits,_ZN9rocsolver6v33100L18getf2_small_kernelILi61EdiiPKPdEEvT1_T3_lS5_lPS5_llPT2_S5_S5_S7_l,comdat
	.globl	_ZN9rocsolver6v33100L18getf2_small_kernelILi61EdiiPKPdEEvT1_T3_lS5_lPS5_llPT2_S5_S5_S7_l ; -- Begin function _ZN9rocsolver6v33100L18getf2_small_kernelILi61EdiiPKPdEEvT1_T3_lS5_lPS5_llPT2_S5_S5_S7_l
	.p2align	8
	.type	_ZN9rocsolver6v33100L18getf2_small_kernelILi61EdiiPKPdEEvT1_T3_lS5_lPS5_llPT2_S5_S5_S7_l,@function
_ZN9rocsolver6v33100L18getf2_small_kernelILi61EdiiPKPdEEvT1_T3_lS5_lPS5_llPT2_S5_S5_S7_l: ; @_ZN9rocsolver6v33100L18getf2_small_kernelILi61EdiiPKPdEEvT1_T3_lS5_lPS5_llPT2_S5_S5_S7_l
; %bb.0:
	s_clause 0x1
	s_load_dword s0, s[4:5], 0x6c
	s_load_dwordx2 s[12:13], s[4:5], 0x48
	s_waitcnt lgkmcnt(0)
	s_lshr_b32 s0, s0, 16
	v_mad_u64_u32 v[2:3], null, s7, s0, v[1:2]
	s_mov_b32 s0, exec_lo
	v_cmpx_gt_i32_e64 s12, v2
	s_cbranch_execz .LBB120_1034
; %bb.1:
	s_clause 0x1
	s_load_dwordx4 s[0:3], s[4:5], 0x8
	s_load_dwordx4 s[8:11], s[4:5], 0x50
	v_ashrrev_i32_e32 v3, 31, v2
	v_lshlrev_b64 v[4:5], 3, v[2:3]
	s_waitcnt lgkmcnt(0)
	v_add_co_u32 v4, vcc_lo, s0, v4
	v_add_co_ci_u32_e64 v5, null, s1, v5, vcc_lo
	s_cmp_eq_u64 s[8:9], 0
	s_cselect_b32 s6, -1, 0
	global_load_dwordx2 v[6:7], v[4:5], off
	v_mov_b32_e32 v4, 0
	v_mov_b32_e32 v5, 0
	s_and_b32 vcc_lo, exec_lo, s6
	s_cbranch_vccnz .LBB120_3
; %bb.2:
	v_mul_lo_u32 v8, s11, v2
	v_mul_lo_u32 v9, s10, v3
	v_mad_u64_u32 v[4:5], null, s10, v2, 0
	v_add3_u32 v5, v5, v9, v8
	v_lshlrev_b64 v[4:5], 2, v[4:5]
	v_add_co_u32 v4, vcc_lo, s8, v4
	v_add_co_ci_u32_e64 v5, null, s9, v5, vcc_lo
.LBB120_3:
	s_clause 0x1
	s_load_dword s8, s[4:5], 0x18
	s_load_dword s7, s[4:5], 0x0
	s_lshl_b64 s[0:1], s[2:3], 3
	v_lshlrev_b32_e32 v188, 3, v0
	s_waitcnt vmcnt(0)
	v_add_co_u32 v132, vcc_lo, v6, s0
	v_add_co_ci_u32_e64 v133, null, s1, v7, vcc_lo
	s_waitcnt lgkmcnt(0)
	v_add3_u32 v8, s8, s8, v0
	s_ashr_i32 s9, s8, 31
	s_max_i32 s0, s7, 61
	s_lshl_b64 s[10:11], s[8:9], 3
	v_mul_lo_u32 v1, s0, v1
	v_add_nc_u32_e32 v10, s8, v8
	v_ashrrev_i32_e32 v9, 31, v8
	s_cmp_lt_i32 s7, 2
	v_ashrrev_i32_e32 v11, 31, v10
	v_add_nc_u32_e32 v12, s8, v10
	v_lshlrev_b64 v[8:9], 3, v[8:9]
	v_lshlrev_b64 v[6:7], 3, v[10:11]
	v_add_nc_u32_e32 v10, s8, v12
	v_ashrrev_i32_e32 v13, 31, v12
	v_add_co_u32 v8, vcc_lo, v132, v8
	v_add_co_ci_u32_e64 v9, null, v133, v9, vcc_lo
	v_add_nc_u32_e32 v14, s8, v10
	v_ashrrev_i32_e32 v11, 31, v10
	v_lshlrev_b64 v[12:13], 3, v[12:13]
	v_add_co_u32 v6, vcc_lo, v132, v6
	v_add_nc_u32_e32 v16, s8, v14
	v_ashrrev_i32_e32 v15, 31, v14
	v_lshlrev_b64 v[10:11], 3, v[10:11]
	v_add_co_ci_u32_e64 v7, null, v133, v7, vcc_lo
	v_add_nc_u32_e32 v18, s8, v16
	v_ashrrev_i32_e32 v17, 31, v16
	v_lshlrev_b64 v[14:15], 3, v[14:15]
	v_add_co_u32 v12, vcc_lo, v132, v12
	v_add_nc_u32_e32 v20, s8, v18
	v_ashrrev_i32_e32 v19, 31, v18
	v_lshlrev_b64 v[16:17], 3, v[16:17]
	v_add_co_ci_u32_e64 v13, null, v133, v13, vcc_lo
	v_add_nc_u32_e32 v22, s8, v20
	v_ashrrev_i32_e32 v21, 31, v20
	v_add_co_u32 v10, vcc_lo, v132, v10
	v_lshlrev_b64 v[18:19], 3, v[18:19]
	v_add_nc_u32_e32 v24, s8, v22
	v_ashrrev_i32_e32 v23, 31, v22
	v_add_co_ci_u32_e64 v11, null, v133, v11, vcc_lo
	v_add_co_u32 v14, vcc_lo, v132, v14
	v_add_nc_u32_e32 v26, s8, v24
	v_ashrrev_i32_e32 v25, 31, v24
	v_lshlrev_b64 v[20:21], 3, v[20:21]
	v_add_co_ci_u32_e64 v15, null, v133, v15, vcc_lo
	v_add_nc_u32_e32 v28, s8, v26
	v_ashrrev_i32_e32 v27, 31, v26
	v_add_co_u32 v16, vcc_lo, v132, v16
	v_lshlrev_b64 v[22:23], 3, v[22:23]
	v_add_nc_u32_e32 v30, s8, v28
	v_ashrrev_i32_e32 v29, 31, v28
	v_add_co_ci_u32_e64 v17, null, v133, v17, vcc_lo
	v_add_co_u32 v18, vcc_lo, v132, v18
	v_add_nc_u32_e32 v32, s8, v30
	v_lshlrev_b64 v[24:25], 3, v[24:25]
	v_ashrrev_i32_e32 v31, 31, v30
	v_add_co_ci_u32_e64 v19, null, v133, v19, vcc_lo
	v_add_nc_u32_e32 v34, s8, v32
	v_add_co_u32 v20, vcc_lo, v132, v20
	v_lshlrev_b64 v[26:27], 3, v[26:27]
	v_ashrrev_i32_e32 v33, 31, v32
	v_add_nc_u32_e32 v36, s8, v34
	v_add_co_ci_u32_e64 v21, null, v133, v21, vcc_lo
	v_add_co_u32 v22, vcc_lo, v132, v22
	v_add_nc_u32_e32 v38, s8, v36
	v_lshlrev_b64 v[28:29], 3, v[28:29]
	v_ashrrev_i32_e32 v35, 31, v34
	v_add_co_ci_u32_e64 v23, null, v133, v23, vcc_lo
	v_add_nc_u32_e32 v40, s8, v38
	v_add_co_u32 v24, vcc_lo, v132, v24
	v_lshlrev_b64 v[30:31], 3, v[30:31]
	v_ashrrev_i32_e32 v37, 31, v36
	v_add_nc_u32_e32 v42, s8, v40
	;; [unrolled: 11-line block ×5, first 2 shown]
	v_add_co_ci_u32_e64 v37, null, v133, v37, vcc_lo
	v_add_co_u32 v38, vcc_lo, v132, v38
	v_lshlrev_b64 v[44:45], 3, v[44:45]
	v_ashrrev_i32_e32 v51, 31, v50
	v_add_co_ci_u32_e64 v39, null, v133, v39, vcc_lo
	v_add_co_u32 v40, vcc_lo, v132, v40
	v_lshlrev_b64 v[46:47], 3, v[46:47]
	v_ashrrev_i32_e32 v53, 31, v52
	v_add_nc_u32_e32 v62, s8, v60
	v_add_co_ci_u32_e64 v41, null, v133, v41, vcc_lo
	v_add_co_u32 v42, vcc_lo, v132, v42
	v_lshlrev_b64 v[48:49], 3, v[48:49]
	v_ashrrev_i32_e32 v55, 31, v54
	v_add_co_ci_u32_e64 v43, null, v133, v43, vcc_lo
	v_add_co_u32 v44, vcc_lo, v132, v44
	v_lshlrev_b64 v[50:51], 3, v[50:51]
	v_ashrrev_i32_e32 v57, 31, v56
	v_add_co_ci_u32_e64 v45, null, v133, v45, vcc_lo
	v_add_co_u32 v46, vcc_lo, v132, v46
	v_lshlrev_b64 v[52:53], 3, v[52:53]
	v_add_nc_u32_e32 v64, s8, v62
	v_ashrrev_i32_e32 v59, 31, v58
	v_add_co_ci_u32_e64 v47, null, v133, v47, vcc_lo
	v_add_co_u32 v48, vcc_lo, v132, v48
	v_lshlrev_b64 v[54:55], 3, v[54:55]
	v_ashrrev_i32_e32 v61, 31, v60
	v_add_co_ci_u32_e64 v49, null, v133, v49, vcc_lo
	v_add_co_u32 v50, vcc_lo, v132, v50
	v_lshlrev_b64 v[56:57], 3, v[56:57]
	v_ashrrev_i32_e32 v63, 31, v62
	v_add_nc_u32_e32 v66, s8, v64
	v_add_co_ci_u32_e64 v51, null, v133, v51, vcc_lo
	v_add_co_u32 v52, vcc_lo, v132, v52
	v_lshlrev_b64 v[58:59], 3, v[58:59]
	v_ashrrev_i32_e32 v65, 31, v64
	v_add_co_ci_u32_e64 v53, null, v133, v53, vcc_lo
	v_add_co_u32 v54, vcc_lo, v132, v54
	v_lshlrev_b64 v[60:61], 3, v[60:61]
	v_add_co_ci_u32_e64 v55, null, v133, v55, vcc_lo
	v_add_co_u32 v56, vcc_lo, v132, v56
	v_lshlrev_b64 v[62:63], 3, v[62:63]
	v_add_nc_u32_e32 v68, s8, v66
	v_add_co_ci_u32_e64 v57, null, v133, v57, vcc_lo
	v_add_co_u32 v58, vcc_lo, v132, v58
	v_lshlrev_b64 v[64:65], 3, v[64:65]
	v_ashrrev_i32_e32 v67, 31, v66
	v_add_co_ci_u32_e64 v59, null, v133, v59, vcc_lo
	v_add_co_u32 v60, vcc_lo, v132, v60
	v_ashrrev_i32_e32 v69, 31, v68
	v_add_nc_u32_e32 v70, s8, v68
	v_add_co_ci_u32_e64 v61, null, v133, v61, vcc_lo
	v_add_co_u32 v62, vcc_lo, v132, v62
	v_lshlrev_b64 v[66:67], 3, v[66:67]
	v_add_co_ci_u32_e64 v63, null, v133, v63, vcc_lo
	v_add_co_u32 v126, vcc_lo, v132, v64
	v_add_co_ci_u32_e64 v127, null, v133, v65, vcc_lo
	v_lshlrev_b64 v[64:65], 3, v[68:69]
	v_ashrrev_i32_e32 v71, 31, v70
	v_add_nc_u32_e32 v68, s8, v70
	v_add_co_u32 v128, vcc_lo, v132, v66
	v_add_co_ci_u32_e64 v129, null, v133, v67, vcc_lo
	v_lshlrev_b64 v[66:67], 3, v[70:71]
	v_ashrrev_i32_e32 v69, 31, v68
	v_add_nc_u32_e32 v70, s8, v68
	;; [unrolled: 5-line block ×24, first 2 shown]
	v_add_co_u32 v176, vcc_lo, v132, v64
	v_add_co_ci_u32_e64 v177, null, v133, v65, vcc_lo
	v_lshlrev_b64 v[64:65], 3, v[68:69]
	v_add_nc_u32_e32 v68, s8, v70
	v_ashrrev_i32_e32 v71, 31, v70
	v_add_co_u32 v178, vcc_lo, v132, v66
	v_add_co_ci_u32_e64 v179, null, v133, v67, vcc_lo
	v_ashrrev_i32_e32 v69, 31, v68
	v_lshlrev_b64 v[66:67], 3, v[70:71]
	v_add_co_u32 v180, vcc_lo, v132, v64
	v_add_co_ci_u32_e64 v181, null, v133, v65, vcc_lo
	v_lshlrev_b64 v[64:65], 3, v[68:69]
	v_add_nc_u32_e32 v68, s8, v68
	v_add_co_u32 v182, vcc_lo, v132, v66
	v_add_co_ci_u32_e64 v183, null, v133, v67, vcc_lo
	v_ashrrev_i32_e32 v69, 31, v68
	v_add_co_u32 v184, vcc_lo, v132, v64
	v_add_co_ci_u32_e64 v185, null, v133, v65, vcc_lo
	v_add_co_u32 v66, vcc_lo, v132, v188
	v_add_co_ci_u32_e64 v67, null, 0, v133, vcc_lo
	v_lshlrev_b64 v[64:65], 3, v[68:69]
	v_add_co_u32 v68, vcc_lo, v66, s10
	v_add_co_ci_u32_e64 v69, null, s11, v67, vcc_lo
	v_add_co_u32 v186, vcc_lo, v132, v64
	v_add_co_ci_u32_e64 v187, null, v133, v65, vcc_lo
	s_clause 0x3c
	flat_load_dwordx2 v[124:125], v[66:67]
	flat_load_dwordx2 v[122:123], v[68:69]
	;; [unrolled: 1-line block ×61, first 2 shown]
	v_lshl_add_u32 v134, v1, 3, 0
	v_lshlrev_b32_e32 v135, 3, v1
	v_mov_b32_e32 v130, 0
	v_add_nc_u32_e32 v128, v134, v188
	s_waitcnt vmcnt(60) lgkmcnt(60)
	ds_write_b64 v128, v[124:125]
	s_waitcnt vmcnt(0) lgkmcnt(0)
	s_barrier
	buffer_gl0_inv
	ds_read_b64 v[128:129], v134
	s_cbranch_scc1 .LBB120_6
; %bb.4:
	v_add3_u32 v1, v135, 0, 8
	v_mov_b32_e32 v130, 0
	s_mov_b32 s0, 1
.LBB120_5:                              ; =>This Inner Loop Header: Depth=1
	ds_read_b64 v[136:137], v1
	v_add_nc_u32_e32 v1, 8, v1
	s_waitcnt lgkmcnt(0)
	v_cmp_lt_f64_e64 vcc_lo, |v[128:129]|, |v[136:137]|
	v_cndmask_b32_e32 v129, v129, v137, vcc_lo
	v_cndmask_b32_e32 v128, v128, v136, vcc_lo
	v_cndmask_b32_e64 v130, v130, s0, vcc_lo
	s_add_i32 s0, s0, 1
	s_cmp_eq_u32 s7, s0
	s_cbranch_scc0 .LBB120_5
.LBB120_6:
	s_mov_b32 s0, exec_lo
                                        ; implicit-def: $vgpr137
	v_cmpx_ne_u32_e64 v0, v130
	s_xor_b32 s0, exec_lo, s0
	s_cbranch_execz .LBB120_12
; %bb.7:
	s_mov_b32 s1, exec_lo
	v_cmpx_eq_u32_e32 0, v0
	s_cbranch_execz .LBB120_11
; %bb.8:
	v_cmp_ne_u32_e32 vcc_lo, 0, v130
	s_xor_b32 s2, s6, -1
	s_and_b32 s3, s2, vcc_lo
	s_and_saveexec_b32 s2, s3
	s_cbranch_execz .LBB120_10
; %bb.9:
	v_ashrrev_i32_e32 v131, 31, v130
	v_lshlrev_b64 v[0:1], 2, v[130:131]
	v_add_co_u32 v0, vcc_lo, v4, v0
	v_add_co_ci_u32_e64 v1, null, v5, v1, vcc_lo
	s_clause 0x1
	global_load_dword v131, v[0:1], off
	global_load_dword v136, v[4:5], off
	s_waitcnt vmcnt(1)
	global_store_dword v[4:5], v131, off
	s_waitcnt vmcnt(0)
	global_store_dword v[0:1], v136, off
.LBB120_10:
	s_or_b32 exec_lo, exec_lo, s2
	v_mov_b32_e32 v0, v130
.LBB120_11:
	s_or_b32 exec_lo, exec_lo, s1
	v_mov_b32_e32 v137, v0
                                        ; implicit-def: $vgpr0
.LBB120_12:
	s_or_saveexec_b32 s0, s0
	v_mov_b32_e32 v136, v137
	s_xor_b32 exec_lo, exec_lo, s0
	s_cbranch_execz .LBB120_14
; %bb.13:
	v_mov_b32_e32 v137, 0
	v_mov_b32_e32 v136, v0
	ds_write2_b64 v134, v[122:123], v[120:121] offset0:1 offset1:2
	ds_write2_b64 v134, v[118:119], v[116:117] offset0:3 offset1:4
	;; [unrolled: 1-line block ×30, first 2 shown]
.LBB120_14:
	s_or_b32 exec_lo, exec_lo, s0
	s_waitcnt lgkmcnt(0)
	v_cmp_eq_f64_e64 s0, 0, v[128:129]
	s_mov_b32 s1, exec_lo
	s_waitcnt_vscnt null, 0x0
	s_barrier
	buffer_gl0_inv
	v_cmpx_lt_i32_e32 0, v137
	s_cbranch_execz .LBB120_16
; %bb.15:
	v_div_scale_f64 v[0:1], null, v[128:129], v[128:129], 1.0
	v_div_scale_f64 v[140:141], vcc_lo, 1.0, v[128:129], 1.0
	v_rcp_f64_e32 v[130:131], v[0:1]
	v_fma_f64 v[138:139], -v[0:1], v[130:131], 1.0
	v_fma_f64 v[130:131], v[130:131], v[138:139], v[130:131]
	v_fma_f64 v[138:139], -v[0:1], v[130:131], 1.0
	v_fma_f64 v[130:131], v[130:131], v[138:139], v[130:131]
	v_mul_f64 v[138:139], v[140:141], v[130:131]
	v_fma_f64 v[0:1], -v[0:1], v[138:139], v[140:141]
	v_div_fmas_f64 v[0:1], v[0:1], v[130:131], v[138:139]
	v_div_fixup_f64 v[0:1], v[0:1], v[128:129], 1.0
	v_cndmask_b32_e64 v1, v1, v129, s0
	v_cndmask_b32_e64 v0, v0, v128, s0
	ds_read2_b64 v[128:131], v134 offset0:1 offset1:2
	ds_read2_b64 v[138:141], v134 offset0:3 offset1:4
	;; [unrolled: 1-line block ×16, first 2 shown]
	v_mul_f64 v[124:125], v[0:1], v[124:125]
	s_waitcnt lgkmcnt(15)
	v_fma_f64 v[122:123], -v[124:125], v[128:129], v[122:123]
	v_fma_f64 v[120:121], -v[124:125], v[130:131], v[120:121]
	s_waitcnt lgkmcnt(14)
	v_fma_f64 v[118:119], -v[124:125], v[138:139], v[118:119]
	v_fma_f64 v[116:117], -v[124:125], v[140:141], v[116:117]
	ds_read2_b64 v[128:131], v134 offset0:33 offset1:34
	ds_read2_b64 v[138:141], v134 offset0:35 offset1:36
	s_waitcnt lgkmcnt(15)
	v_fma_f64 v[114:115], -v[124:125], v[142:143], v[114:115]
	v_fma_f64 v[112:113], -v[124:125], v[144:145], v[112:113]
	s_waitcnt lgkmcnt(14)
	v_fma_f64 v[108:109], -v[124:125], v[146:147], v[108:109]
	v_fma_f64 v[110:111], -v[124:125], v[148:149], v[110:111]
	ds_read2_b64 v[142:145], v134 offset0:37 offset1:38
	ds_read2_b64 v[146:149], v134 offset0:39 offset1:40
	;; [unrolled: 8-line block ×7, first 2 shown]
	s_waitcnt lgkmcnt(15)
	v_fma_f64 v[64:65], -v[124:125], v[190:191], v[64:65]
	v_fma_f64 v[66:67], -v[124:125], v[192:193], v[66:67]
	s_waitcnt lgkmcnt(14)
	v_fma_f64 v[62:63], -v[124:125], v[194:195], v[62:63]
	v_fma_f64 v[60:61], -v[124:125], v[196:197], v[60:61]
	;; [unrolled: 3-line block ×16, first 2 shown]
.LBB120_16:
	s_or_b32 exec_lo, exec_lo, s1
	v_lshl_add_u32 v0, v137, 3, v134
	s_barrier
	buffer_gl0_inv
	v_mov_b32_e32 v128, 1
	ds_write_b64 v0, v[122:123]
	s_waitcnt lgkmcnt(0)
	s_barrier
	buffer_gl0_inv
	ds_read_b64 v[0:1], v134 offset:8
	s_cmp_lt_i32 s7, 3
	s_cbranch_scc1 .LBB120_19
; %bb.17:
	v_add3_u32 v129, v135, 0, 16
	v_mov_b32_e32 v128, 1
	s_mov_b32 s1, 2
.LBB120_18:                             ; =>This Inner Loop Header: Depth=1
	ds_read_b64 v[130:131], v129
	v_add_nc_u32_e32 v129, 8, v129
	s_waitcnt lgkmcnt(0)
	v_cmp_lt_f64_e64 vcc_lo, |v[0:1]|, |v[130:131]|
	v_cndmask_b32_e32 v1, v1, v131, vcc_lo
	v_cndmask_b32_e32 v0, v0, v130, vcc_lo
	v_cndmask_b32_e64 v128, v128, s1, vcc_lo
	s_add_i32 s1, s1, 1
	s_cmp_lg_u32 s7, s1
	s_cbranch_scc1 .LBB120_18
.LBB120_19:
	s_mov_b32 s1, exec_lo
	v_cmpx_ne_u32_e64 v137, v128
	s_xor_b32 s1, exec_lo, s1
	s_cbranch_execz .LBB120_25
; %bb.20:
	s_mov_b32 s2, exec_lo
	v_cmpx_eq_u32_e32 1, v137
	s_cbranch_execz .LBB120_24
; %bb.21:
	v_cmp_ne_u32_e32 vcc_lo, 1, v128
	s_xor_b32 s3, s6, -1
	s_and_b32 s9, s3, vcc_lo
	s_and_saveexec_b32 s3, s9
	s_cbranch_execz .LBB120_23
; %bb.22:
	v_ashrrev_i32_e32 v129, 31, v128
	v_lshlrev_b64 v[129:130], 2, v[128:129]
	v_add_co_u32 v129, vcc_lo, v4, v129
	v_add_co_ci_u32_e64 v130, null, v5, v130, vcc_lo
	s_clause 0x1
	global_load_dword v131, v[129:130], off
	global_load_dword v136, v[4:5], off offset:4
	s_waitcnt vmcnt(1)
	global_store_dword v[4:5], v131, off offset:4
	s_waitcnt vmcnt(0)
	global_store_dword v[129:130], v136, off
.LBB120_23:
	s_or_b32 exec_lo, exec_lo, s3
	v_mov_b32_e32 v136, v128
	v_mov_b32_e32 v137, v128
.LBB120_24:
	s_or_b32 exec_lo, exec_lo, s2
.LBB120_25:
	s_andn2_saveexec_b32 s1, s1
	s_cbranch_execz .LBB120_27
; %bb.26:
	v_mov_b32_e32 v128, v120
	v_mov_b32_e32 v129, v121
	v_mov_b32_e32 v130, v118
	v_mov_b32_e32 v131, v119
	v_mov_b32_e32 v137, v116
	v_mov_b32_e32 v138, v117
	v_mov_b32_e32 v139, v114
	v_mov_b32_e32 v140, v115
	v_mov_b32_e32 v141, v112
	v_mov_b32_e32 v142, v113
	v_mov_b32_e32 v143, v108
	v_mov_b32_e32 v144, v109
	v_mov_b32_e32 v145, v110
	v_mov_b32_e32 v146, v111
	v_mov_b32_e32 v147, v104
	v_mov_b32_e32 v148, v105
	v_mov_b32_e32 v149, v106
	v_mov_b32_e32 v150, v107
	v_mov_b32_e32 v151, v102
	v_mov_b32_e32 v152, v103
	ds_write2_b64 v134, v[128:129], v[130:131] offset0:2 offset1:3
	ds_write2_b64 v134, v[137:138], v[139:140] offset0:4 offset1:5
	ds_write2_b64 v134, v[141:142], v[143:144] offset0:6 offset1:7
	ds_write2_b64 v134, v[145:146], v[147:148] offset0:8 offset1:9
	ds_write2_b64 v134, v[149:150], v[151:152] offset0:10 offset1:11
	v_mov_b32_e32 v128, v100
	v_mov_b32_e32 v129, v101
	v_mov_b32_e32 v130, v98
	v_mov_b32_e32 v131, v99
	v_mov_b32_e32 v137, v96
	v_mov_b32_e32 v138, v97
	v_mov_b32_e32 v139, v94
	v_mov_b32_e32 v140, v95
	v_mov_b32_e32 v141, v92
	v_mov_b32_e32 v142, v93
	v_mov_b32_e32 v143, v88
	v_mov_b32_e32 v144, v89
	v_mov_b32_e32 v145, v90
	v_mov_b32_e32 v146, v91
	v_mov_b32_e32 v147, v84
	v_mov_b32_e32 v148, v85
	v_mov_b32_e32 v149, v86
	v_mov_b32_e32 v150, v87
	v_mov_b32_e32 v151, v82
	v_mov_b32_e32 v152, v83
	ds_write2_b64 v134, v[128:129], v[130:131] offset0:12 offset1:13
	ds_write2_b64 v134, v[137:138], v[139:140] offset0:14 offset1:15
	ds_write2_b64 v134, v[141:142], v[143:144] offset0:16 offset1:17
	ds_write2_b64 v134, v[145:146], v[147:148] offset0:18 offset1:19
	ds_write2_b64 v134, v[149:150], v[151:152] offset0:20 offset1:21
	;; [unrolled: 25-line block ×5, first 2 shown]
	v_mov_b32_e32 v128, v20
	v_mov_b32_e32 v129, v21
	;; [unrolled: 1-line block ×17, first 2 shown]
	ds_write2_b64 v134, v[128:129], v[130:131] offset0:52 offset1:53
	ds_write2_b64 v134, v[138:139], v[140:141] offset0:54 offset1:55
	;; [unrolled: 1-line block ×4, first 2 shown]
	ds_write_b64 v134, v[126:127] offset:480
.LBB120_27:
	s_or_b32 exec_lo, exec_lo, s1
	s_waitcnt lgkmcnt(0)
	v_cmp_neq_f64_e64 s1, 0, v[0:1]
	s_mov_b32 s2, exec_lo
	s_waitcnt_vscnt null, 0x0
	s_barrier
	buffer_gl0_inv
	v_cmpx_lt_i32_e32 1, v137
	s_cbranch_execz .LBB120_29
; %bb.28:
	v_div_scale_f64 v[128:129], null, v[0:1], v[0:1], 1.0
	v_div_scale_f64 v[140:141], vcc_lo, 1.0, v[0:1], 1.0
	v_rcp_f64_e32 v[130:131], v[128:129]
	v_fma_f64 v[138:139], -v[128:129], v[130:131], 1.0
	v_fma_f64 v[130:131], v[130:131], v[138:139], v[130:131]
	v_fma_f64 v[138:139], -v[128:129], v[130:131], 1.0
	v_fma_f64 v[130:131], v[130:131], v[138:139], v[130:131]
	v_mul_f64 v[138:139], v[140:141], v[130:131]
	v_fma_f64 v[128:129], -v[128:129], v[138:139], v[140:141]
	v_div_fmas_f64 v[128:129], v[128:129], v[130:131], v[138:139]
	v_div_fixup_f64 v[150:151], v[128:129], v[0:1], 1.0
	ds_read2_b64 v[128:131], v134 offset0:2 offset1:3
	ds_read2_b64 v[138:141], v134 offset0:4 offset1:5
	;; [unrolled: 1-line block ×4, first 2 shown]
	v_cndmask_b32_e64 v1, v1, v151, s1
	v_cndmask_b32_e64 v0, v0, v150, s1
	ds_read2_b64 v[150:153], v134 offset0:10 offset1:11
	ds_read2_b64 v[154:157], v134 offset0:12 offset1:13
	;; [unrolled: 1-line block ×4, first 2 shown]
	v_mul_f64 v[122:123], v[0:1], v[122:123]
	ds_read2_b64 v[166:169], v134 offset0:18 offset1:19
	ds_read2_b64 v[170:173], v134 offset0:20 offset1:21
	;; [unrolled: 1-line block ×21, first 2 shown]
	ds_read_b64 v[0:1], v134 offset:480
	s_waitcnt lgkmcnt(29)
	v_fma_f64 v[120:121], -v[122:123], v[128:129], v[120:121]
	v_fma_f64 v[118:119], -v[122:123], v[130:131], v[118:119]
	s_waitcnt lgkmcnt(28)
	v_fma_f64 v[116:117], -v[122:123], v[138:139], v[116:117]
	v_fma_f64 v[114:115], -v[122:123], v[140:141], v[114:115]
	;; [unrolled: 3-line block ×29, first 2 shown]
	s_waitcnt lgkmcnt(0)
	v_fma_f64 v[126:127], -v[122:123], v[0:1], v[126:127]
.LBB120_29:
	s_or_b32 exec_lo, exec_lo, s2
	v_lshl_add_u32 v0, v137, 3, v134
	s_barrier
	buffer_gl0_inv
	v_mov_b32_e32 v128, 2
	ds_write_b64 v0, v[120:121]
	s_waitcnt lgkmcnt(0)
	s_barrier
	buffer_gl0_inv
	ds_read_b64 v[0:1], v134 offset:16
	s_cmp_lt_i32 s7, 4
	s_mov_b32 s2, 3
	s_cbranch_scc1 .LBB120_32
; %bb.30:
	v_add3_u32 v129, v135, 0, 24
	v_mov_b32_e32 v128, 2
.LBB120_31:                             ; =>This Inner Loop Header: Depth=1
	ds_read_b64 v[130:131], v129
	v_add_nc_u32_e32 v129, 8, v129
	s_waitcnt lgkmcnt(0)
	v_cmp_lt_f64_e64 vcc_lo, |v[0:1]|, |v[130:131]|
	v_cndmask_b32_e32 v1, v1, v131, vcc_lo
	v_cndmask_b32_e32 v0, v0, v130, vcc_lo
	v_cndmask_b32_e64 v128, v128, s2, vcc_lo
	s_add_i32 s2, s2, 1
	s_cmp_lg_u32 s7, s2
	s_cbranch_scc1 .LBB120_31
.LBB120_32:
	v_cndmask_b32_e64 v129, 2, 1, s0
	v_cndmask_b32_e64 v130, 0, 1, s0
	s_mov_b32 s0, exec_lo
	v_cndmask_b32_e64 v131, v129, v130, s1
	s_waitcnt lgkmcnt(0)
	v_cmpx_eq_f64_e32 0, v[0:1]
	s_xor_b32 s0, exec_lo, s0
; %bb.33:
	v_cmp_ne_u32_e32 vcc_lo, 0, v131
	v_cndmask_b32_e32 v131, 3, v131, vcc_lo
; %bb.34:
	s_andn2_saveexec_b32 s0, s0
	s_cbranch_execz .LBB120_36
; %bb.35:
	v_div_scale_f64 v[129:130], null, v[0:1], v[0:1], 1.0
	v_rcp_f64_e32 v[138:139], v[129:130]
	v_fma_f64 v[140:141], -v[129:130], v[138:139], 1.0
	v_fma_f64 v[138:139], v[138:139], v[140:141], v[138:139]
	v_fma_f64 v[140:141], -v[129:130], v[138:139], 1.0
	v_fma_f64 v[138:139], v[138:139], v[140:141], v[138:139]
	v_div_scale_f64 v[140:141], vcc_lo, 1.0, v[0:1], 1.0
	v_mul_f64 v[142:143], v[140:141], v[138:139]
	v_fma_f64 v[129:130], -v[129:130], v[142:143], v[140:141]
	v_div_fmas_f64 v[129:130], v[129:130], v[138:139], v[142:143]
	v_div_fixup_f64 v[0:1], v[129:130], v[0:1], 1.0
.LBB120_36:
	s_or_b32 exec_lo, exec_lo, s0
	s_mov_b32 s0, exec_lo
	v_cmpx_ne_u32_e64 v137, v128
	s_xor_b32 s0, exec_lo, s0
	s_cbranch_execz .LBB120_42
; %bb.37:
	s_mov_b32 s1, exec_lo
	v_cmpx_eq_u32_e32 2, v137
	s_cbranch_execz .LBB120_41
; %bb.38:
	v_cmp_ne_u32_e32 vcc_lo, 2, v128
	s_xor_b32 s2, s6, -1
	s_and_b32 s3, s2, vcc_lo
	s_and_saveexec_b32 s2, s3
	s_cbranch_execz .LBB120_40
; %bb.39:
	v_ashrrev_i32_e32 v129, 31, v128
	v_lshlrev_b64 v[129:130], 2, v[128:129]
	v_add_co_u32 v129, vcc_lo, v4, v129
	v_add_co_ci_u32_e64 v130, null, v5, v130, vcc_lo
	s_clause 0x1
	global_load_dword v136, v[129:130], off
	global_load_dword v137, v[4:5], off offset:8
	s_waitcnt vmcnt(1)
	global_store_dword v[4:5], v136, off offset:8
	s_waitcnt vmcnt(0)
	global_store_dword v[129:130], v137, off
.LBB120_40:
	s_or_b32 exec_lo, exec_lo, s2
	v_mov_b32_e32 v136, v128
	v_mov_b32_e32 v137, v128
.LBB120_41:
	s_or_b32 exec_lo, exec_lo, s1
.LBB120_42:
	s_andn2_saveexec_b32 s0, s0
	s_cbranch_execz .LBB120_44
; %bb.43:
	v_mov_b32_e32 v137, 2
	ds_write2_b64 v134, v[118:119], v[116:117] offset0:3 offset1:4
	ds_write2_b64 v134, v[114:115], v[112:113] offset0:5 offset1:6
	;; [unrolled: 1-line block ×29, first 2 shown]
.LBB120_44:
	s_or_b32 exec_lo, exec_lo, s0
	s_mov_b32 s0, exec_lo
	s_waitcnt lgkmcnt(0)
	s_waitcnt_vscnt null, 0x0
	s_barrier
	buffer_gl0_inv
	v_cmpx_lt_i32_e32 2, v137
	s_cbranch_execz .LBB120_46
; %bb.45:
	v_mul_f64 v[120:121], v[0:1], v[120:121]
	ds_read2_b64 v[138:141], v134 offset0:3 offset1:4
	ds_read2_b64 v[142:145], v134 offset0:5 offset1:6
	ds_read2_b64 v[146:149], v134 offset0:7 offset1:8
	ds_read2_b64 v[150:153], v134 offset0:9 offset1:10
	ds_read2_b64 v[154:157], v134 offset0:11 offset1:12
	ds_read2_b64 v[158:161], v134 offset0:13 offset1:14
	ds_read2_b64 v[162:165], v134 offset0:15 offset1:16
	ds_read2_b64 v[166:169], v134 offset0:17 offset1:18
	ds_read2_b64 v[170:173], v134 offset0:19 offset1:20
	ds_read2_b64 v[174:177], v134 offset0:21 offset1:22
	ds_read2_b64 v[178:181], v134 offset0:23 offset1:24
	ds_read2_b64 v[182:185], v134 offset0:25 offset1:26
	s_waitcnt lgkmcnt(11)
	v_fma_f64 v[118:119], -v[120:121], v[138:139], v[118:119]
	v_fma_f64 v[116:117], -v[120:121], v[140:141], v[116:117]
	s_waitcnt lgkmcnt(10)
	v_fma_f64 v[114:115], -v[120:121], v[142:143], v[114:115]
	v_fma_f64 v[112:113], -v[120:121], v[144:145], v[112:113]
	;; [unrolled: 3-line block ×5, first 2 shown]
	ds_read2_b64 v[138:141], v134 offset0:27 offset1:28
	ds_read2_b64 v[142:145], v134 offset0:29 offset1:30
	s_waitcnt lgkmcnt(8)
	v_fma_f64 v[98:99], -v[120:121], v[158:159], v[98:99]
	v_fma_f64 v[96:97], -v[120:121], v[160:161], v[96:97]
	ds_read2_b64 v[146:149], v134 offset0:31 offset1:32
	ds_read2_b64 v[150:153], v134 offset0:33 offset1:34
	;; [unrolled: 1-line block ×4, first 2 shown]
	s_waitcnt lgkmcnt(11)
	v_fma_f64 v[94:95], -v[120:121], v[162:163], v[94:95]
	v_fma_f64 v[92:93], -v[120:121], v[164:165], v[92:93]
	s_waitcnt lgkmcnt(10)
	v_fma_f64 v[88:89], -v[120:121], v[166:167], v[88:89]
	v_fma_f64 v[90:91], -v[120:121], v[168:169], v[90:91]
	;; [unrolled: 3-line block ×5, first 2 shown]
	ds_read2_b64 v[162:165], v134 offset0:43 offset1:44
	ds_read2_b64 v[166:169], v134 offset0:47 offset1:48
	s_waitcnt lgkmcnt(7)
	v_fma_f64 v[68:69], -v[120:121], v[138:139], v[68:69]
	v_fma_f64 v[70:71], -v[120:121], v[140:141], v[70:71]
	ds_read2_b64 v[138:141], v134 offset0:39 offset1:40
	s_waitcnt lgkmcnt(7)
	v_fma_f64 v[64:65], -v[120:121], v[142:143], v[64:65]
	v_fma_f64 v[66:67], -v[120:121], v[144:145], v[66:67]
	;; [unrolled: 4-line block ×4, first 2 shown]
	ds_read2_b64 v[150:153], v134 offset0:49 offset1:50
	s_waitcnt lgkmcnt(7)
	v_fma_f64 v[54:55], -v[120:121], v[154:155], v[54:55]
	ds_read2_b64 v[170:173], v134 offset0:51 offset1:52
	v_fma_f64 v[52:53], -v[120:121], v[156:157], v[52:53]
	ds_read2_b64 v[154:157], v134 offset0:53 offset1:54
	s_waitcnt lgkmcnt(8)
	v_fma_f64 v[48:49], -v[120:121], v[158:159], v[48:49]
	ds_read2_b64 v[174:177], v134 offset0:55 offset1:56
	v_fma_f64 v[50:51], -v[120:121], v[160:161], v[50:51]
	ds_read2_b64 v[158:161], v134 offset0:57 offset1:58
	ds_read2_b64 v[178:181], v134 offset0:59 offset1:60
	v_fma_f64 v[74:75], -v[120:121], v[182:183], v[74:75]
	v_fma_f64 v[72:73], -v[120:121], v[184:185], v[72:73]
	s_waitcnt lgkmcnt(8)
	v_fma_f64 v[44:45], -v[120:121], v[138:139], v[44:45]
	v_fma_f64 v[46:47], -v[120:121], v[140:141], v[46:47]
	s_waitcnt lgkmcnt(7)
	v_fma_f64 v[42:43], -v[120:121], v[142:143], v[42:43]
	v_fma_f64 v[40:41], -v[120:121], v[144:145], v[40:41]
	v_fma_f64 v[38:39], -v[120:121], v[162:163], v[38:39]
	v_fma_f64 v[36:37], -v[120:121], v[164:165], v[36:37]
	s_waitcnt lgkmcnt(6)
	v_fma_f64 v[34:35], -v[120:121], v[146:147], v[34:35]
	v_fma_f64 v[32:33], -v[120:121], v[148:149], v[32:33]
	;; [unrolled: 5-line block ×3, first 2 shown]
	s_waitcnt lgkmcnt(4)
	v_fma_f64 v[22:23], -v[120:121], v[170:171], v[22:23]
	v_fma_f64 v[20:21], -v[120:121], v[172:173], v[20:21]
	s_waitcnt lgkmcnt(3)
	v_fma_f64 v[18:19], -v[120:121], v[154:155], v[18:19]
	v_fma_f64 v[16:17], -v[120:121], v[156:157], v[16:17]
	;; [unrolled: 3-line block ×5, first 2 shown]
.LBB120_46:
	s_or_b32 exec_lo, exec_lo, s0
	v_lshl_add_u32 v0, v137, 3, v134
	s_barrier
	buffer_gl0_inv
	v_mov_b32_e32 v128, 3
	ds_write_b64 v0, v[118:119]
	s_waitcnt lgkmcnt(0)
	s_barrier
	buffer_gl0_inv
	ds_read_b64 v[0:1], v134 offset:24
	s_cmp_lt_i32 s7, 5
	s_cbranch_scc1 .LBB120_49
; %bb.47:
	v_mov_b32_e32 v128, 3
	v_add3_u32 v129, v135, 0, 32
	s_mov_b32 s0, 4
.LBB120_48:                             ; =>This Inner Loop Header: Depth=1
	ds_read_b64 v[138:139], v129
	v_add_nc_u32_e32 v129, 8, v129
	s_waitcnt lgkmcnt(0)
	v_cmp_lt_f64_e64 vcc_lo, |v[0:1]|, |v[138:139]|
	v_cndmask_b32_e32 v1, v1, v139, vcc_lo
	v_cndmask_b32_e32 v0, v0, v138, vcc_lo
	v_cndmask_b32_e64 v128, v128, s0, vcc_lo
	s_add_i32 s0, s0, 1
	s_cmp_lg_u32 s7, s0
	s_cbranch_scc1 .LBB120_48
.LBB120_49:
	s_mov_b32 s0, exec_lo
	s_waitcnt lgkmcnt(0)
	v_cmpx_eq_f64_e32 0, v[0:1]
	s_xor_b32 s0, exec_lo, s0
; %bb.50:
	v_cmp_ne_u32_e32 vcc_lo, 0, v131
	v_cndmask_b32_e32 v131, 4, v131, vcc_lo
; %bb.51:
	s_andn2_saveexec_b32 s0, s0
	s_cbranch_execz .LBB120_53
; %bb.52:
	v_div_scale_f64 v[129:130], null, v[0:1], v[0:1], 1.0
	v_rcp_f64_e32 v[138:139], v[129:130]
	v_fma_f64 v[140:141], -v[129:130], v[138:139], 1.0
	v_fma_f64 v[138:139], v[138:139], v[140:141], v[138:139]
	v_fma_f64 v[140:141], -v[129:130], v[138:139], 1.0
	v_fma_f64 v[138:139], v[138:139], v[140:141], v[138:139]
	v_div_scale_f64 v[140:141], vcc_lo, 1.0, v[0:1], 1.0
	v_mul_f64 v[142:143], v[140:141], v[138:139]
	v_fma_f64 v[129:130], -v[129:130], v[142:143], v[140:141]
	v_div_fmas_f64 v[129:130], v[129:130], v[138:139], v[142:143]
	v_div_fixup_f64 v[0:1], v[129:130], v[0:1], 1.0
.LBB120_53:
	s_or_b32 exec_lo, exec_lo, s0
	s_mov_b32 s0, exec_lo
	v_cmpx_ne_u32_e64 v137, v128
	s_xor_b32 s0, exec_lo, s0
	s_cbranch_execz .LBB120_59
; %bb.54:
	s_mov_b32 s1, exec_lo
	v_cmpx_eq_u32_e32 3, v137
	s_cbranch_execz .LBB120_58
; %bb.55:
	v_cmp_ne_u32_e32 vcc_lo, 3, v128
	s_xor_b32 s2, s6, -1
	s_and_b32 s3, s2, vcc_lo
	s_and_saveexec_b32 s2, s3
	s_cbranch_execz .LBB120_57
; %bb.56:
	v_ashrrev_i32_e32 v129, 31, v128
	v_lshlrev_b64 v[129:130], 2, v[128:129]
	v_add_co_u32 v129, vcc_lo, v4, v129
	v_add_co_ci_u32_e64 v130, null, v5, v130, vcc_lo
	s_clause 0x1
	global_load_dword v136, v[129:130], off
	global_load_dword v137, v[4:5], off offset:12
	s_waitcnt vmcnt(1)
	global_store_dword v[4:5], v136, off offset:12
	s_waitcnt vmcnt(0)
	global_store_dword v[129:130], v137, off
.LBB120_57:
	s_or_b32 exec_lo, exec_lo, s2
	v_mov_b32_e32 v136, v128
	v_mov_b32_e32 v137, v128
.LBB120_58:
	s_or_b32 exec_lo, exec_lo, s1
.LBB120_59:
	s_andn2_saveexec_b32 s0, s0
	s_cbranch_execz .LBB120_61
; %bb.60:
	v_mov_b32_e32 v128, v116
	v_mov_b32_e32 v129, v117
	;; [unrolled: 1-line block ×16, first 2 shown]
	ds_write2_b64 v134, v[128:129], v[137:138] offset0:4 offset1:5
	ds_write2_b64 v134, v[139:140], v[141:142] offset0:6 offset1:7
	ds_write2_b64 v134, v[143:144], v[145:146] offset0:8 offset1:9
	ds_write2_b64 v134, v[147:148], v[149:150] offset0:10 offset1:11
	v_mov_b32_e32 v128, v100
	v_mov_b32_e32 v129, v101
	v_mov_b32_e32 v137, v98
	v_mov_b32_e32 v138, v99
	v_mov_b32_e32 v139, v96
	v_mov_b32_e32 v140, v97
	v_mov_b32_e32 v141, v94
	v_mov_b32_e32 v142, v95
	v_mov_b32_e32 v143, v92
	v_mov_b32_e32 v144, v93
	v_mov_b32_e32 v145, v88
	v_mov_b32_e32 v146, v89
	v_mov_b32_e32 v147, v90
	v_mov_b32_e32 v148, v91
	v_mov_b32_e32 v149, v84
	v_mov_b32_e32 v150, v85
	v_mov_b32_e32 v151, v86
	v_mov_b32_e32 v152, v87
	v_mov_b32_e32 v153, v82
	v_mov_b32_e32 v154, v83
	ds_write2_b64 v134, v[128:129], v[137:138] offset0:12 offset1:13
	ds_write2_b64 v134, v[139:140], v[141:142] offset0:14 offset1:15
	ds_write2_b64 v134, v[143:144], v[145:146] offset0:16 offset1:17
	ds_write2_b64 v134, v[147:148], v[149:150] offset0:18 offset1:19
	ds_write2_b64 v134, v[151:152], v[153:154] offset0:20 offset1:21
	v_mov_b32_e32 v128, v80
	v_mov_b32_e32 v129, v81
	v_mov_b32_e32 v137, v78
	v_mov_b32_e32 v138, v79
	v_mov_b32_e32 v139, v76
	v_mov_b32_e32 v140, v77
	v_mov_b32_e32 v141, v74
	v_mov_b32_e32 v142, v75
	v_mov_b32_e32 v143, v72
	v_mov_b32_e32 v144, v73
	v_mov_b32_e32 v145, v68
	v_mov_b32_e32 v146, v69
	v_mov_b32_e32 v147, v70
	v_mov_b32_e32 v148, v71
	v_mov_b32_e32 v149, v64
	v_mov_b32_e32 v150, v65
	v_mov_b32_e32 v151, v66
	v_mov_b32_e32 v152, v67
	v_mov_b32_e32 v153, v62
	v_mov_b32_e32 v154, v63
	ds_write2_b64 v134, v[128:129], v[137:138] offset0:22 offset1:23
	ds_write2_b64 v134, v[139:140], v[141:142] offset0:24 offset1:25
	ds_write2_b64 v134, v[143:144], v[145:146] offset0:26 offset1:27
	ds_write2_b64 v134, v[147:148], v[149:150] offset0:28 offset1:29
	ds_write2_b64 v134, v[151:152], v[153:154] offset0:30 offset1:31
	v_mov_b32_e32 v128, v60
	v_mov_b32_e32 v129, v61
	v_mov_b32_e32 v137, v58
	v_mov_b32_e32 v138, v59
	v_mov_b32_e32 v139, v56
	v_mov_b32_e32 v140, v57
	v_mov_b32_e32 v141, v54
	v_mov_b32_e32 v142, v55
	v_mov_b32_e32 v143, v52
	v_mov_b32_e32 v144, v53
	v_mov_b32_e32 v145, v48
	v_mov_b32_e32 v146, v49
	v_mov_b32_e32 v147, v50
	v_mov_b32_e32 v148, v51
	v_mov_b32_e32 v149, v44
	v_mov_b32_e32 v150, v45
	v_mov_b32_e32 v151, v46
	v_mov_b32_e32 v152, v47
	v_mov_b32_e32 v153, v42
	v_mov_b32_e32 v154, v43
	ds_write2_b64 v134, v[128:129], v[137:138] offset0:32 offset1:33
	ds_write2_b64 v134, v[139:140], v[141:142] offset0:34 offset1:35
	ds_write2_b64 v134, v[143:144], v[145:146] offset0:36 offset1:37
	ds_write2_b64 v134, v[147:148], v[149:150] offset0:38 offset1:39
	ds_write2_b64 v134, v[151:152], v[153:154] offset0:40 offset1:41
	v_mov_b32_e32 v128, v40
	v_mov_b32_e32 v129, v41
	v_mov_b32_e32 v137, v38
	v_mov_b32_e32 v138, v39
	v_mov_b32_e32 v139, v36
	v_mov_b32_e32 v140, v37
	v_mov_b32_e32 v141, v34
	v_mov_b32_e32 v142, v35
	v_mov_b32_e32 v143, v32
	v_mov_b32_e32 v144, v33
	v_mov_b32_e32 v145, v28
	v_mov_b32_e32 v146, v29
	v_mov_b32_e32 v147, v30
	v_mov_b32_e32 v148, v31
	v_mov_b32_e32 v149, v24
	v_mov_b32_e32 v150, v25
	v_mov_b32_e32 v151, v26
	v_mov_b32_e32 v152, v27
	v_mov_b32_e32 v153, v22
	v_mov_b32_e32 v154, v23
	ds_write2_b64 v134, v[128:129], v[137:138] offset0:42 offset1:43
	ds_write2_b64 v134, v[139:140], v[141:142] offset0:44 offset1:45
	ds_write2_b64 v134, v[143:144], v[145:146] offset0:46 offset1:47
	;; [unrolled: 1-line block ×4, first 2 shown]
	v_mov_b32_e32 v128, v20
	v_mov_b32_e32 v129, v21
	;; [unrolled: 1-line block ×8, first 2 shown]
	ds_write2_b64 v134, v[128:129], v[137:138] offset0:52 offset1:53
	v_mov_b32_e32 v137, 3
	v_mov_b32_e32 v143, v12
	;; [unrolled: 1-line block ×9, first 2 shown]
	ds_write2_b64 v134, v[139:140], v[141:142] offset0:54 offset1:55
	ds_write2_b64 v134, v[143:144], v[145:146] offset0:56 offset1:57
	;; [unrolled: 1-line block ×3, first 2 shown]
	ds_write_b64 v134, v[126:127] offset:480
.LBB120_61:
	s_or_b32 exec_lo, exec_lo, s0
	s_mov_b32 s0, exec_lo
	s_waitcnt lgkmcnt(0)
	s_waitcnt_vscnt null, 0x0
	s_barrier
	buffer_gl0_inv
	v_cmpx_lt_i32_e32 3, v137
	s_cbranch_execz .LBB120_63
; %bb.62:
	v_mul_f64 v[118:119], v[0:1], v[118:119]
	ds_read2_b64 v[138:141], v134 offset0:4 offset1:5
	ds_read2_b64 v[142:145], v134 offset0:6 offset1:7
	;; [unrolled: 1-line block ×12, first 2 shown]
	ds_read_b64 v[0:1], v134 offset:480
	s_waitcnt lgkmcnt(12)
	v_fma_f64 v[116:117], -v[118:119], v[138:139], v[116:117]
	v_fma_f64 v[114:115], -v[118:119], v[140:141], v[114:115]
	s_waitcnt lgkmcnt(11)
	v_fma_f64 v[112:113], -v[118:119], v[142:143], v[112:113]
	v_fma_f64 v[108:109], -v[118:119], v[144:145], v[108:109]
	;; [unrolled: 3-line block ×5, first 2 shown]
	ds_read2_b64 v[138:141], v134 offset0:28 offset1:29
	ds_read2_b64 v[142:145], v134 offset0:30 offset1:31
	s_waitcnt lgkmcnt(9)
	v_fma_f64 v[96:97], -v[118:119], v[158:159], v[96:97]
	v_fma_f64 v[94:95], -v[118:119], v[160:161], v[94:95]
	ds_read2_b64 v[146:149], v134 offset0:32 offset1:33
	ds_read2_b64 v[150:153], v134 offset0:34 offset1:35
	;; [unrolled: 1-line block ×4, first 2 shown]
	s_waitcnt lgkmcnt(12)
	v_fma_f64 v[92:93], -v[118:119], v[162:163], v[92:93]
	v_fma_f64 v[88:89], -v[118:119], v[164:165], v[88:89]
	s_waitcnt lgkmcnt(11)
	v_fma_f64 v[90:91], -v[118:119], v[166:167], v[90:91]
	v_fma_f64 v[84:85], -v[118:119], v[168:169], v[84:85]
	;; [unrolled: 3-line block ×4, first 2 shown]
	ds_read2_b64 v[162:165], v134 offset0:44 offset1:45
	ds_read2_b64 v[166:169], v134 offset0:48 offset1:49
	;; [unrolled: 1-line block ×4, first 2 shown]
	s_waitcnt lgkmcnt(9)
	v_fma_f64 v[70:71], -v[118:119], v[138:139], v[70:71]
	v_fma_f64 v[64:65], -v[118:119], v[140:141], v[64:65]
	ds_read2_b64 v[138:141], v134 offset0:40 offset1:41
	s_waitcnt lgkmcnt(9)
	v_fma_f64 v[66:67], -v[118:119], v[142:143], v[66:67]
	v_fma_f64 v[62:63], -v[118:119], v[144:145], v[62:63]
	ds_read2_b64 v[142:145], v134 offset0:42 offset1:43
	;; [unrolled: 4-line block ×6, first 2 shown]
	v_fma_f64 v[76:77], -v[118:119], v[178:179], v[76:77]
	v_fma_f64 v[74:75], -v[118:119], v[180:181], v[74:75]
	;; [unrolled: 1-line block ×4, first 2 shown]
	s_waitcnt lgkmcnt(5)
	v_fma_f64 v[46:47], -v[118:119], v[138:139], v[46:47]
	v_fma_f64 v[42:43], -v[118:119], v[140:141], v[42:43]
	v_fma_f64 v[36:37], -v[118:119], v[162:163], v[36:37]
	s_waitcnt lgkmcnt(4)
	v_fma_f64 v[40:41], -v[118:119], v[142:143], v[40:41]
	v_fma_f64 v[38:39], -v[118:119], v[144:145], v[38:39]
	v_fma_f64 v[34:35], -v[118:119], v[164:165], v[34:35]
	;; [unrolled: 4-line block ×3, first 2 shown]
	v_fma_f64 v[24:25], -v[118:119], v[168:169], v[24:25]
	s_waitcnt lgkmcnt(2)
	v_fma_f64 v[26:27], -v[118:119], v[150:151], v[26:27]
	v_fma_f64 v[22:23], -v[118:119], v[152:153], v[22:23]
	v_fma_f64 v[20:21], -v[118:119], v[170:171], v[20:21]
	v_fma_f64 v[18:19], -v[118:119], v[172:173], v[18:19]
	s_waitcnt lgkmcnt(1)
	v_fma_f64 v[16:17], -v[118:119], v[154:155], v[16:17]
	v_fma_f64 v[14:15], -v[118:119], v[156:157], v[14:15]
	v_fma_f64 v[12:13], -v[118:119], v[174:175], v[12:13]
	;; [unrolled: 5-line block ×3, first 2 shown]
.LBB120_63:
	s_or_b32 exec_lo, exec_lo, s0
	v_lshl_add_u32 v0, v137, 3, v134
	s_barrier
	buffer_gl0_inv
	v_mov_b32_e32 v128, 4
	ds_write_b64 v0, v[116:117]
	s_waitcnt lgkmcnt(0)
	s_barrier
	buffer_gl0_inv
	ds_read_b64 v[0:1], v134 offset:32
	s_cmp_lt_i32 s7, 6
	s_cbranch_scc1 .LBB120_66
; %bb.64:
	v_add3_u32 v129, v135, 0, 40
	v_mov_b32_e32 v128, 4
	s_mov_b32 s0, 5
.LBB120_65:                             ; =>This Inner Loop Header: Depth=1
	ds_read_b64 v[138:139], v129
	v_add_nc_u32_e32 v129, 8, v129
	s_waitcnt lgkmcnt(0)
	v_cmp_lt_f64_e64 vcc_lo, |v[0:1]|, |v[138:139]|
	v_cndmask_b32_e32 v1, v1, v139, vcc_lo
	v_cndmask_b32_e32 v0, v0, v138, vcc_lo
	v_cndmask_b32_e64 v128, v128, s0, vcc_lo
	s_add_i32 s0, s0, 1
	s_cmp_lg_u32 s7, s0
	s_cbranch_scc1 .LBB120_65
.LBB120_66:
	s_mov_b32 s0, exec_lo
	s_waitcnt lgkmcnt(0)
	v_cmpx_eq_f64_e32 0, v[0:1]
	s_xor_b32 s0, exec_lo, s0
; %bb.67:
	v_cmp_ne_u32_e32 vcc_lo, 0, v131
	v_cndmask_b32_e32 v131, 5, v131, vcc_lo
; %bb.68:
	s_andn2_saveexec_b32 s0, s0
	s_cbranch_execz .LBB120_70
; %bb.69:
	v_div_scale_f64 v[129:130], null, v[0:1], v[0:1], 1.0
	v_rcp_f64_e32 v[138:139], v[129:130]
	v_fma_f64 v[140:141], -v[129:130], v[138:139], 1.0
	v_fma_f64 v[138:139], v[138:139], v[140:141], v[138:139]
	v_fma_f64 v[140:141], -v[129:130], v[138:139], 1.0
	v_fma_f64 v[138:139], v[138:139], v[140:141], v[138:139]
	v_div_scale_f64 v[140:141], vcc_lo, 1.0, v[0:1], 1.0
	v_mul_f64 v[142:143], v[140:141], v[138:139]
	v_fma_f64 v[129:130], -v[129:130], v[142:143], v[140:141]
	v_div_fmas_f64 v[129:130], v[129:130], v[138:139], v[142:143]
	v_div_fixup_f64 v[0:1], v[129:130], v[0:1], 1.0
.LBB120_70:
	s_or_b32 exec_lo, exec_lo, s0
	s_mov_b32 s0, exec_lo
	v_cmpx_ne_u32_e64 v137, v128
	s_xor_b32 s0, exec_lo, s0
	s_cbranch_execz .LBB120_76
; %bb.71:
	s_mov_b32 s1, exec_lo
	v_cmpx_eq_u32_e32 4, v137
	s_cbranch_execz .LBB120_75
; %bb.72:
	v_cmp_ne_u32_e32 vcc_lo, 4, v128
	s_xor_b32 s2, s6, -1
	s_and_b32 s3, s2, vcc_lo
	s_and_saveexec_b32 s2, s3
	s_cbranch_execz .LBB120_74
; %bb.73:
	v_ashrrev_i32_e32 v129, 31, v128
	v_lshlrev_b64 v[129:130], 2, v[128:129]
	v_add_co_u32 v129, vcc_lo, v4, v129
	v_add_co_ci_u32_e64 v130, null, v5, v130, vcc_lo
	s_clause 0x1
	global_load_dword v136, v[129:130], off
	global_load_dword v137, v[4:5], off offset:16
	s_waitcnt vmcnt(1)
	global_store_dword v[4:5], v136, off offset:16
	s_waitcnt vmcnt(0)
	global_store_dword v[129:130], v137, off
.LBB120_74:
	s_or_b32 exec_lo, exec_lo, s2
	v_mov_b32_e32 v136, v128
	v_mov_b32_e32 v137, v128
.LBB120_75:
	s_or_b32 exec_lo, exec_lo, s1
.LBB120_76:
	s_andn2_saveexec_b32 s0, s0
	s_cbranch_execz .LBB120_78
; %bb.77:
	v_mov_b32_e32 v137, 4
	ds_write2_b64 v134, v[114:115], v[112:113] offset0:5 offset1:6
	ds_write2_b64 v134, v[108:109], v[110:111] offset0:7 offset1:8
	;; [unrolled: 1-line block ×28, first 2 shown]
.LBB120_78:
	s_or_b32 exec_lo, exec_lo, s0
	s_mov_b32 s0, exec_lo
	s_waitcnt lgkmcnt(0)
	s_waitcnt_vscnt null, 0x0
	s_barrier
	buffer_gl0_inv
	v_cmpx_lt_i32_e32 4, v137
	s_cbranch_execz .LBB120_80
; %bb.79:
	v_mul_f64 v[116:117], v[0:1], v[116:117]
	ds_read2_b64 v[138:141], v134 offset0:5 offset1:6
	ds_read2_b64 v[142:145], v134 offset0:7 offset1:8
	;; [unrolled: 1-line block ×12, first 2 shown]
	s_waitcnt lgkmcnt(11)
	v_fma_f64 v[114:115], -v[116:117], v[138:139], v[114:115]
	v_fma_f64 v[112:113], -v[116:117], v[140:141], v[112:113]
	s_waitcnt lgkmcnt(10)
	v_fma_f64 v[108:109], -v[116:117], v[142:143], v[108:109]
	v_fma_f64 v[110:111], -v[116:117], v[144:145], v[110:111]
	;; [unrolled: 3-line block ×5, first 2 shown]
	ds_read2_b64 v[138:141], v134 offset0:29 offset1:30
	ds_read2_b64 v[142:145], v134 offset0:31 offset1:32
	;; [unrolled: 1-line block ×5, first 2 shown]
	s_waitcnt lgkmcnt(11)
	v_fma_f64 v[94:95], -v[116:117], v[158:159], v[94:95]
	v_fma_f64 v[92:93], -v[116:117], v[160:161], v[92:93]
	s_waitcnt lgkmcnt(10)
	v_fma_f64 v[88:89], -v[116:117], v[162:163], v[88:89]
	v_fma_f64 v[90:91], -v[116:117], v[164:165], v[90:91]
	;; [unrolled: 3-line block ×6, first 2 shown]
	ds_read2_b64 v[158:161], v134 offset0:39 offset1:40
	ds_read2_b64 v[162:165], v134 offset0:43 offset1:44
	;; [unrolled: 1-line block ×3, first 2 shown]
	s_waitcnt lgkmcnt(7)
	v_fma_f64 v[64:65], -v[116:117], v[138:139], v[64:65]
	v_fma_f64 v[66:67], -v[116:117], v[140:141], v[66:67]
	ds_read2_b64 v[138:141], v134 offset0:41 offset1:42
	s_waitcnt lgkmcnt(7)
	v_fma_f64 v[62:63], -v[116:117], v[142:143], v[62:63]
	v_fma_f64 v[60:61], -v[116:117], v[144:145], v[60:61]
	ds_read2_b64 v[142:145], v134 offset0:45 offset1:46
	;; [unrolled: 4-line block ×3, first 2 shown]
	ds_read2_b64 v[170:173], v134 offset0:51 offset1:52
	s_waitcnt lgkmcnt(8)
	v_fma_f64 v[54:55], -v[116:117], v[150:151], v[54:55]
	v_fma_f64 v[52:53], -v[116:117], v[152:153], v[52:53]
	ds_read2_b64 v[150:153], v134 offset0:53 offset1:54
	ds_read2_b64 v[174:177], v134 offset0:55 offset1:56
	s_waitcnt lgkmcnt(9)
	v_fma_f64 v[48:49], -v[116:117], v[154:155], v[48:49]
	v_fma_f64 v[50:51], -v[116:117], v[156:157], v[50:51]
	ds_read2_b64 v[154:157], v134 offset0:57 offset1:58
	ds_read2_b64 v[178:181], v134 offset0:59 offset1:60
	v_fma_f64 v[68:69], -v[116:117], v[182:183], v[68:69]
	v_fma_f64 v[70:71], -v[116:117], v[184:185], v[70:71]
	s_waitcnt lgkmcnt(10)
	v_fma_f64 v[44:45], -v[116:117], v[158:159], v[44:45]
	v_fma_f64 v[46:47], -v[116:117], v[160:161], v[46:47]
	s_waitcnt lgkmcnt(7)
	v_fma_f64 v[42:43], -v[116:117], v[138:139], v[42:43]
	v_fma_f64 v[40:41], -v[116:117], v[140:141], v[40:41]
	v_fma_f64 v[38:39], -v[116:117], v[162:163], v[38:39]
	v_fma_f64 v[36:37], -v[116:117], v[164:165], v[36:37]
	s_waitcnt lgkmcnt(6)
	v_fma_f64 v[34:35], -v[116:117], v[142:143], v[34:35]
	v_fma_f64 v[32:33], -v[116:117], v[144:145], v[32:33]
	;; [unrolled: 5-line block ×3, first 2 shown]
	s_waitcnt lgkmcnt(4)
	v_fma_f64 v[22:23], -v[116:117], v[170:171], v[22:23]
	v_fma_f64 v[20:21], -v[116:117], v[172:173], v[20:21]
	s_waitcnt lgkmcnt(3)
	v_fma_f64 v[18:19], -v[116:117], v[150:151], v[18:19]
	v_fma_f64 v[16:17], -v[116:117], v[152:153], v[16:17]
	s_waitcnt lgkmcnt(2)
	v_fma_f64 v[14:15], -v[116:117], v[174:175], v[14:15]
	v_fma_f64 v[12:13], -v[116:117], v[176:177], v[12:13]
	s_waitcnt lgkmcnt(1)
	v_fma_f64 v[8:9], -v[116:117], v[154:155], v[8:9]
	v_fma_f64 v[10:11], -v[116:117], v[156:157], v[10:11]
	s_waitcnt lgkmcnt(0)
	v_fma_f64 v[6:7], -v[116:117], v[178:179], v[6:7]
	v_fma_f64 v[126:127], -v[116:117], v[180:181], v[126:127]
.LBB120_80:
	s_or_b32 exec_lo, exec_lo, s0
	v_lshl_add_u32 v0, v137, 3, v134
	s_barrier
	buffer_gl0_inv
	v_mov_b32_e32 v128, 5
	ds_write_b64 v0, v[114:115]
	s_waitcnt lgkmcnt(0)
	s_barrier
	buffer_gl0_inv
	ds_read_b64 v[0:1], v134 offset:40
	s_cmp_lt_i32 s7, 7
	s_cbranch_scc1 .LBB120_83
; %bb.81:
	v_add3_u32 v129, v135, 0, 48
	v_mov_b32_e32 v128, 5
	s_mov_b32 s0, 6
.LBB120_82:                             ; =>This Inner Loop Header: Depth=1
	ds_read_b64 v[138:139], v129
	v_add_nc_u32_e32 v129, 8, v129
	s_waitcnt lgkmcnt(0)
	v_cmp_lt_f64_e64 vcc_lo, |v[0:1]|, |v[138:139]|
	v_cndmask_b32_e32 v1, v1, v139, vcc_lo
	v_cndmask_b32_e32 v0, v0, v138, vcc_lo
	v_cndmask_b32_e64 v128, v128, s0, vcc_lo
	s_add_i32 s0, s0, 1
	s_cmp_lg_u32 s7, s0
	s_cbranch_scc1 .LBB120_82
.LBB120_83:
	s_mov_b32 s0, exec_lo
	s_waitcnt lgkmcnt(0)
	v_cmpx_eq_f64_e32 0, v[0:1]
	s_xor_b32 s0, exec_lo, s0
; %bb.84:
	v_cmp_ne_u32_e32 vcc_lo, 0, v131
	v_cndmask_b32_e32 v131, 6, v131, vcc_lo
; %bb.85:
	s_andn2_saveexec_b32 s0, s0
	s_cbranch_execz .LBB120_87
; %bb.86:
	v_div_scale_f64 v[129:130], null, v[0:1], v[0:1], 1.0
	v_rcp_f64_e32 v[138:139], v[129:130]
	v_fma_f64 v[140:141], -v[129:130], v[138:139], 1.0
	v_fma_f64 v[138:139], v[138:139], v[140:141], v[138:139]
	v_fma_f64 v[140:141], -v[129:130], v[138:139], 1.0
	v_fma_f64 v[138:139], v[138:139], v[140:141], v[138:139]
	v_div_scale_f64 v[140:141], vcc_lo, 1.0, v[0:1], 1.0
	v_mul_f64 v[142:143], v[140:141], v[138:139]
	v_fma_f64 v[129:130], -v[129:130], v[142:143], v[140:141]
	v_div_fmas_f64 v[129:130], v[129:130], v[138:139], v[142:143]
	v_div_fixup_f64 v[0:1], v[129:130], v[0:1], 1.0
.LBB120_87:
	s_or_b32 exec_lo, exec_lo, s0
	s_mov_b32 s0, exec_lo
	v_cmpx_ne_u32_e64 v137, v128
	s_xor_b32 s0, exec_lo, s0
	s_cbranch_execz .LBB120_93
; %bb.88:
	s_mov_b32 s1, exec_lo
	v_cmpx_eq_u32_e32 5, v137
	s_cbranch_execz .LBB120_92
; %bb.89:
	v_cmp_ne_u32_e32 vcc_lo, 5, v128
	s_xor_b32 s2, s6, -1
	s_and_b32 s3, s2, vcc_lo
	s_and_saveexec_b32 s2, s3
	s_cbranch_execz .LBB120_91
; %bb.90:
	v_ashrrev_i32_e32 v129, 31, v128
	v_lshlrev_b64 v[129:130], 2, v[128:129]
	v_add_co_u32 v129, vcc_lo, v4, v129
	v_add_co_ci_u32_e64 v130, null, v5, v130, vcc_lo
	s_clause 0x1
	global_load_dword v136, v[129:130], off
	global_load_dword v137, v[4:5], off offset:20
	s_waitcnt vmcnt(1)
	global_store_dword v[4:5], v136, off offset:20
	s_waitcnt vmcnt(0)
	global_store_dword v[129:130], v137, off
.LBB120_91:
	s_or_b32 exec_lo, exec_lo, s2
	v_mov_b32_e32 v136, v128
	v_mov_b32_e32 v137, v128
.LBB120_92:
	s_or_b32 exec_lo, exec_lo, s1
.LBB120_93:
	s_andn2_saveexec_b32 s0, s0
	s_cbranch_execz .LBB120_95
; %bb.94:
	v_mov_b32_e32 v128, v112
	v_mov_b32_e32 v129, v113
	;; [unrolled: 1-line block ×12, first 2 shown]
	ds_write2_b64 v134, v[128:129], v[137:138] offset0:6 offset1:7
	ds_write2_b64 v134, v[139:140], v[141:142] offset0:8 offset1:9
	ds_write2_b64 v134, v[143:144], v[145:146] offset0:10 offset1:11
	v_mov_b32_e32 v128, v100
	v_mov_b32_e32 v129, v101
	v_mov_b32_e32 v137, v98
	v_mov_b32_e32 v138, v99
	v_mov_b32_e32 v139, v96
	v_mov_b32_e32 v140, v97
	v_mov_b32_e32 v141, v94
	v_mov_b32_e32 v142, v95
	v_mov_b32_e32 v143, v92
	v_mov_b32_e32 v144, v93
	v_mov_b32_e32 v145, v88
	v_mov_b32_e32 v146, v89
	v_mov_b32_e32 v147, v90
	v_mov_b32_e32 v148, v91
	v_mov_b32_e32 v149, v84
	v_mov_b32_e32 v150, v85
	v_mov_b32_e32 v151, v86
	v_mov_b32_e32 v152, v87
	v_mov_b32_e32 v153, v82
	v_mov_b32_e32 v154, v83
	ds_write2_b64 v134, v[128:129], v[137:138] offset0:12 offset1:13
	ds_write2_b64 v134, v[139:140], v[141:142] offset0:14 offset1:15
	ds_write2_b64 v134, v[143:144], v[145:146] offset0:16 offset1:17
	ds_write2_b64 v134, v[147:148], v[149:150] offset0:18 offset1:19
	ds_write2_b64 v134, v[151:152], v[153:154] offset0:20 offset1:21
	v_mov_b32_e32 v128, v80
	v_mov_b32_e32 v129, v81
	v_mov_b32_e32 v137, v78
	v_mov_b32_e32 v138, v79
	v_mov_b32_e32 v139, v76
	v_mov_b32_e32 v140, v77
	v_mov_b32_e32 v141, v74
	v_mov_b32_e32 v142, v75
	v_mov_b32_e32 v143, v72
	v_mov_b32_e32 v144, v73
	v_mov_b32_e32 v145, v68
	v_mov_b32_e32 v146, v69
	v_mov_b32_e32 v147, v70
	v_mov_b32_e32 v148, v71
	v_mov_b32_e32 v149, v64
	v_mov_b32_e32 v150, v65
	v_mov_b32_e32 v151, v66
	v_mov_b32_e32 v152, v67
	v_mov_b32_e32 v153, v62
	v_mov_b32_e32 v154, v63
	ds_write2_b64 v134, v[128:129], v[137:138] offset0:22 offset1:23
	ds_write2_b64 v134, v[139:140], v[141:142] offset0:24 offset1:25
	;; [unrolled: 25-line block ×4, first 2 shown]
	ds_write2_b64 v134, v[143:144], v[145:146] offset0:46 offset1:47
	ds_write2_b64 v134, v[147:148], v[149:150] offset0:48 offset1:49
	;; [unrolled: 1-line block ×3, first 2 shown]
	v_mov_b32_e32 v128, v20
	v_mov_b32_e32 v129, v21
	;; [unrolled: 1-line block ×8, first 2 shown]
	ds_write2_b64 v134, v[128:129], v[137:138] offset0:52 offset1:53
	v_mov_b32_e32 v137, 5
	v_mov_b32_e32 v143, v12
	;; [unrolled: 1-line block ×9, first 2 shown]
	ds_write2_b64 v134, v[139:140], v[141:142] offset0:54 offset1:55
	ds_write2_b64 v134, v[143:144], v[145:146] offset0:56 offset1:57
	;; [unrolled: 1-line block ×3, first 2 shown]
	ds_write_b64 v134, v[126:127] offset:480
.LBB120_95:
	s_or_b32 exec_lo, exec_lo, s0
	s_mov_b32 s0, exec_lo
	s_waitcnt lgkmcnt(0)
	s_waitcnt_vscnt null, 0x0
	s_barrier
	buffer_gl0_inv
	v_cmpx_lt_i32_e32 5, v137
	s_cbranch_execz .LBB120_97
; %bb.96:
	v_mul_f64 v[114:115], v[0:1], v[114:115]
	ds_read2_b64 v[138:141], v134 offset0:6 offset1:7
	ds_read2_b64 v[142:145], v134 offset0:8 offset1:9
	;; [unrolled: 1-line block ×12, first 2 shown]
	ds_read_b64 v[0:1], v134 offset:480
	s_waitcnt lgkmcnt(12)
	v_fma_f64 v[112:113], -v[114:115], v[138:139], v[112:113]
	v_fma_f64 v[108:109], -v[114:115], v[140:141], v[108:109]
	s_waitcnt lgkmcnt(11)
	v_fma_f64 v[110:111], -v[114:115], v[142:143], v[110:111]
	v_fma_f64 v[104:105], -v[114:115], v[144:145], v[104:105]
	;; [unrolled: 3-line block ×5, first 2 shown]
	ds_read2_b64 v[138:141], v134 offset0:30 offset1:31
	ds_read2_b64 v[142:145], v134 offset0:32 offset1:33
	;; [unrolled: 1-line block ×5, first 2 shown]
	s_waitcnt lgkmcnt(12)
	v_fma_f64 v[92:93], -v[114:115], v[158:159], v[92:93]
	v_fma_f64 v[88:89], -v[114:115], v[160:161], v[88:89]
	s_waitcnt lgkmcnt(11)
	v_fma_f64 v[90:91], -v[114:115], v[162:163], v[90:91]
	v_fma_f64 v[84:85], -v[114:115], v[164:165], v[84:85]
	;; [unrolled: 3-line block ×5, first 2 shown]
	ds_read2_b64 v[158:161], v134 offset0:40 offset1:41
	ds_read2_b64 v[162:165], v134 offset0:44 offset1:45
	;; [unrolled: 1-line block ×5, first 2 shown]
	s_waitcnt lgkmcnt(9)
	v_fma_f64 v[66:67], -v[114:115], v[138:139], v[66:67]
	v_fma_f64 v[62:63], -v[114:115], v[140:141], v[62:63]
	ds_read2_b64 v[138:141], v134 offset0:42 offset1:43
	s_waitcnt lgkmcnt(9)
	v_fma_f64 v[60:61], -v[114:115], v[142:143], v[60:61]
	v_fma_f64 v[58:59], -v[114:115], v[144:145], v[58:59]
	ds_read2_b64 v[142:145], v134 offset0:46 offset1:47
	;; [unrolled: 4-line block ×5, first 2 shown]
	v_fma_f64 v[72:73], -v[114:115], v[178:179], v[72:73]
	v_fma_f64 v[68:69], -v[114:115], v[180:181], v[68:69]
	;; [unrolled: 1-line block ×4, first 2 shown]
	s_waitcnt lgkmcnt(9)
	v_fma_f64 v[46:47], -v[114:115], v[158:159], v[46:47]
	v_fma_f64 v[42:43], -v[114:115], v[160:161], v[42:43]
	s_waitcnt lgkmcnt(8)
	v_fma_f64 v[36:37], -v[114:115], v[162:163], v[36:37]
	s_waitcnt lgkmcnt(4)
	v_fma_f64 v[40:41], -v[114:115], v[138:139], v[40:41]
	v_fma_f64 v[38:39], -v[114:115], v[140:141], v[38:39]
	v_fma_f64 v[34:35], -v[114:115], v[164:165], v[34:35]
	s_waitcnt lgkmcnt(3)
	v_fma_f64 v[32:33], -v[114:115], v[142:143], v[32:33]
	v_fma_f64 v[28:29], -v[114:115], v[144:145], v[28:29]
	v_fma_f64 v[30:31], -v[114:115], v[166:167], v[30:31]
	v_fma_f64 v[24:25], -v[114:115], v[168:169], v[24:25]
	s_waitcnt lgkmcnt(2)
	v_fma_f64 v[26:27], -v[114:115], v[146:147], v[26:27]
	v_fma_f64 v[22:23], -v[114:115], v[148:149], v[22:23]
	v_fma_f64 v[20:21], -v[114:115], v[170:171], v[20:21]
	v_fma_f64 v[18:19], -v[114:115], v[172:173], v[18:19]
	s_waitcnt lgkmcnt(1)
	v_fma_f64 v[16:17], -v[114:115], v[150:151], v[16:17]
	v_fma_f64 v[14:15], -v[114:115], v[152:153], v[14:15]
	v_fma_f64 v[12:13], -v[114:115], v[174:175], v[12:13]
	v_fma_f64 v[8:9], -v[114:115], v[176:177], v[8:9]
	s_waitcnt lgkmcnt(0)
	v_fma_f64 v[10:11], -v[114:115], v[154:155], v[10:11]
	v_fma_f64 v[6:7], -v[114:115], v[156:157], v[6:7]
	v_fma_f64 v[126:127], -v[114:115], v[0:1], v[126:127]
.LBB120_97:
	s_or_b32 exec_lo, exec_lo, s0
	v_lshl_add_u32 v0, v137, 3, v134
	s_barrier
	buffer_gl0_inv
	v_mov_b32_e32 v128, 6
	ds_write_b64 v0, v[112:113]
	s_waitcnt lgkmcnt(0)
	s_barrier
	buffer_gl0_inv
	ds_read_b64 v[0:1], v134 offset:48
	s_cmp_lt_i32 s7, 8
	s_cbranch_scc1 .LBB120_100
; %bb.98:
	v_add3_u32 v129, v135, 0, 56
	v_mov_b32_e32 v128, 6
	s_mov_b32 s0, 7
.LBB120_99:                             ; =>This Inner Loop Header: Depth=1
	ds_read_b64 v[138:139], v129
	v_add_nc_u32_e32 v129, 8, v129
	s_waitcnt lgkmcnt(0)
	v_cmp_lt_f64_e64 vcc_lo, |v[0:1]|, |v[138:139]|
	v_cndmask_b32_e32 v1, v1, v139, vcc_lo
	v_cndmask_b32_e32 v0, v0, v138, vcc_lo
	v_cndmask_b32_e64 v128, v128, s0, vcc_lo
	s_add_i32 s0, s0, 1
	s_cmp_lg_u32 s7, s0
	s_cbranch_scc1 .LBB120_99
.LBB120_100:
	s_mov_b32 s0, exec_lo
	s_waitcnt lgkmcnt(0)
	v_cmpx_eq_f64_e32 0, v[0:1]
	s_xor_b32 s0, exec_lo, s0
; %bb.101:
	v_cmp_ne_u32_e32 vcc_lo, 0, v131
	v_cndmask_b32_e32 v131, 7, v131, vcc_lo
; %bb.102:
	s_andn2_saveexec_b32 s0, s0
	s_cbranch_execz .LBB120_104
; %bb.103:
	v_div_scale_f64 v[129:130], null, v[0:1], v[0:1], 1.0
	v_rcp_f64_e32 v[138:139], v[129:130]
	v_fma_f64 v[140:141], -v[129:130], v[138:139], 1.0
	v_fma_f64 v[138:139], v[138:139], v[140:141], v[138:139]
	v_fma_f64 v[140:141], -v[129:130], v[138:139], 1.0
	v_fma_f64 v[138:139], v[138:139], v[140:141], v[138:139]
	v_div_scale_f64 v[140:141], vcc_lo, 1.0, v[0:1], 1.0
	v_mul_f64 v[142:143], v[140:141], v[138:139]
	v_fma_f64 v[129:130], -v[129:130], v[142:143], v[140:141]
	v_div_fmas_f64 v[129:130], v[129:130], v[138:139], v[142:143]
	v_div_fixup_f64 v[0:1], v[129:130], v[0:1], 1.0
.LBB120_104:
	s_or_b32 exec_lo, exec_lo, s0
	s_mov_b32 s0, exec_lo
	v_cmpx_ne_u32_e64 v137, v128
	s_xor_b32 s0, exec_lo, s0
	s_cbranch_execz .LBB120_110
; %bb.105:
	s_mov_b32 s1, exec_lo
	v_cmpx_eq_u32_e32 6, v137
	s_cbranch_execz .LBB120_109
; %bb.106:
	v_cmp_ne_u32_e32 vcc_lo, 6, v128
	s_xor_b32 s2, s6, -1
	s_and_b32 s3, s2, vcc_lo
	s_and_saveexec_b32 s2, s3
	s_cbranch_execz .LBB120_108
; %bb.107:
	v_ashrrev_i32_e32 v129, 31, v128
	v_lshlrev_b64 v[129:130], 2, v[128:129]
	v_add_co_u32 v129, vcc_lo, v4, v129
	v_add_co_ci_u32_e64 v130, null, v5, v130, vcc_lo
	s_clause 0x1
	global_load_dword v136, v[129:130], off
	global_load_dword v137, v[4:5], off offset:24
	s_waitcnt vmcnt(1)
	global_store_dword v[4:5], v136, off offset:24
	s_waitcnt vmcnt(0)
	global_store_dword v[129:130], v137, off
.LBB120_108:
	s_or_b32 exec_lo, exec_lo, s2
	v_mov_b32_e32 v136, v128
	v_mov_b32_e32 v137, v128
.LBB120_109:
	s_or_b32 exec_lo, exec_lo, s1
.LBB120_110:
	s_andn2_saveexec_b32 s0, s0
	s_cbranch_execz .LBB120_112
; %bb.111:
	v_mov_b32_e32 v137, 6
	ds_write2_b64 v134, v[108:109], v[110:111] offset0:7 offset1:8
	ds_write2_b64 v134, v[104:105], v[106:107] offset0:9 offset1:10
	;; [unrolled: 1-line block ×27, first 2 shown]
.LBB120_112:
	s_or_b32 exec_lo, exec_lo, s0
	s_mov_b32 s0, exec_lo
	s_waitcnt lgkmcnt(0)
	s_waitcnt_vscnt null, 0x0
	s_barrier
	buffer_gl0_inv
	v_cmpx_lt_i32_e32 6, v137
	s_cbranch_execz .LBB120_114
; %bb.113:
	v_mul_f64 v[112:113], v[0:1], v[112:113]
	ds_read2_b64 v[138:141], v134 offset0:7 offset1:8
	ds_read2_b64 v[142:145], v134 offset0:9 offset1:10
	;; [unrolled: 1-line block ×12, first 2 shown]
	s_waitcnt lgkmcnt(11)
	v_fma_f64 v[108:109], -v[112:113], v[138:139], v[108:109]
	v_fma_f64 v[110:111], -v[112:113], v[140:141], v[110:111]
	s_waitcnt lgkmcnt(10)
	v_fma_f64 v[104:105], -v[112:113], v[142:143], v[104:105]
	v_fma_f64 v[106:107], -v[112:113], v[144:145], v[106:107]
	;; [unrolled: 3-line block ×4, first 2 shown]
	ds_read2_b64 v[138:141], v134 offset0:31 offset1:32
	ds_read2_b64 v[142:145], v134 offset0:33 offset1:34
	;; [unrolled: 1-line block ×4, first 2 shown]
	s_waitcnt lgkmcnt(11)
	v_fma_f64 v[94:95], -v[112:113], v[154:155], v[94:95]
	v_fma_f64 v[92:93], -v[112:113], v[156:157], v[92:93]
	s_waitcnt lgkmcnt(10)
	v_fma_f64 v[88:89], -v[112:113], v[158:159], v[88:89]
	v_fma_f64 v[90:91], -v[112:113], v[160:161], v[90:91]
	;; [unrolled: 3-line block ×7, first 2 shown]
	ds_read2_b64 v[154:157], v134 offset0:39 offset1:40
	ds_read2_b64 v[158:161], v134 offset0:41 offset1:42
	s_waitcnt lgkmcnt(5)
	v_fma_f64 v[62:63], -v[112:113], v[138:139], v[62:63]
	ds_read2_b64 v[162:165], v134 offset0:43 offset1:44
	v_fma_f64 v[60:61], -v[112:113], v[140:141], v[60:61]
	ds_read2_b64 v[138:141], v134 offset0:45 offset1:46
	s_waitcnt lgkmcnt(6)
	v_fma_f64 v[58:59], -v[112:113], v[142:143], v[58:59]
	ds_read2_b64 v[166:169], v134 offset0:47 offset1:48
	v_fma_f64 v[56:57], -v[112:113], v[144:145], v[56:57]
	;; [unrolled: 5-line block ×4, first 2 shown]
	ds_read2_b64 v[150:153], v134 offset0:57 offset1:58
	ds_read2_b64 v[178:181], v134 offset0:59 offset1:60
	v_fma_f64 v[64:65], -v[112:113], v[182:183], v[64:65]
	v_fma_f64 v[66:67], -v[112:113], v[184:185], v[66:67]
	s_waitcnt lgkmcnt(10)
	v_fma_f64 v[44:45], -v[112:113], v[154:155], v[44:45]
	v_fma_f64 v[46:47], -v[112:113], v[156:157], v[46:47]
	s_waitcnt lgkmcnt(9)
	;; [unrolled: 3-line block ×11, first 2 shown]
	v_fma_f64 v[6:7], -v[112:113], v[178:179], v[6:7]
	v_fma_f64 v[126:127], -v[112:113], v[180:181], v[126:127]
.LBB120_114:
	s_or_b32 exec_lo, exec_lo, s0
	v_lshl_add_u32 v0, v137, 3, v134
	s_barrier
	buffer_gl0_inv
	v_mov_b32_e32 v128, 7
	ds_write_b64 v0, v[108:109]
	s_waitcnt lgkmcnt(0)
	s_barrier
	buffer_gl0_inv
	ds_read_b64 v[0:1], v134 offset:56
	s_cmp_lt_i32 s7, 9
	s_cbranch_scc1 .LBB120_117
; %bb.115:
	v_add3_u32 v129, v135, 0, 64
	v_mov_b32_e32 v128, 7
	s_mov_b32 s0, 8
.LBB120_116:                            ; =>This Inner Loop Header: Depth=1
	ds_read_b64 v[138:139], v129
	v_add_nc_u32_e32 v129, 8, v129
	s_waitcnt lgkmcnt(0)
	v_cmp_lt_f64_e64 vcc_lo, |v[0:1]|, |v[138:139]|
	v_cndmask_b32_e32 v1, v1, v139, vcc_lo
	v_cndmask_b32_e32 v0, v0, v138, vcc_lo
	v_cndmask_b32_e64 v128, v128, s0, vcc_lo
	s_add_i32 s0, s0, 1
	s_cmp_lg_u32 s7, s0
	s_cbranch_scc1 .LBB120_116
.LBB120_117:
	s_mov_b32 s0, exec_lo
	s_waitcnt lgkmcnt(0)
	v_cmpx_eq_f64_e32 0, v[0:1]
	s_xor_b32 s0, exec_lo, s0
; %bb.118:
	v_cmp_ne_u32_e32 vcc_lo, 0, v131
	v_cndmask_b32_e32 v131, 8, v131, vcc_lo
; %bb.119:
	s_andn2_saveexec_b32 s0, s0
	s_cbranch_execz .LBB120_121
; %bb.120:
	v_div_scale_f64 v[129:130], null, v[0:1], v[0:1], 1.0
	v_rcp_f64_e32 v[138:139], v[129:130]
	v_fma_f64 v[140:141], -v[129:130], v[138:139], 1.0
	v_fma_f64 v[138:139], v[138:139], v[140:141], v[138:139]
	v_fma_f64 v[140:141], -v[129:130], v[138:139], 1.0
	v_fma_f64 v[138:139], v[138:139], v[140:141], v[138:139]
	v_div_scale_f64 v[140:141], vcc_lo, 1.0, v[0:1], 1.0
	v_mul_f64 v[142:143], v[140:141], v[138:139]
	v_fma_f64 v[129:130], -v[129:130], v[142:143], v[140:141]
	v_div_fmas_f64 v[129:130], v[129:130], v[138:139], v[142:143]
	v_div_fixup_f64 v[0:1], v[129:130], v[0:1], 1.0
.LBB120_121:
	s_or_b32 exec_lo, exec_lo, s0
	s_mov_b32 s0, exec_lo
	v_cmpx_ne_u32_e64 v137, v128
	s_xor_b32 s0, exec_lo, s0
	s_cbranch_execz .LBB120_127
; %bb.122:
	s_mov_b32 s1, exec_lo
	v_cmpx_eq_u32_e32 7, v137
	s_cbranch_execz .LBB120_126
; %bb.123:
	v_cmp_ne_u32_e32 vcc_lo, 7, v128
	s_xor_b32 s2, s6, -1
	s_and_b32 s3, s2, vcc_lo
	s_and_saveexec_b32 s2, s3
	s_cbranch_execz .LBB120_125
; %bb.124:
	v_ashrrev_i32_e32 v129, 31, v128
	v_lshlrev_b64 v[129:130], 2, v[128:129]
	v_add_co_u32 v129, vcc_lo, v4, v129
	v_add_co_ci_u32_e64 v130, null, v5, v130, vcc_lo
	s_clause 0x1
	global_load_dword v136, v[129:130], off
	global_load_dword v137, v[4:5], off offset:28
	s_waitcnt vmcnt(1)
	global_store_dword v[4:5], v136, off offset:28
	s_waitcnt vmcnt(0)
	global_store_dword v[129:130], v137, off
.LBB120_125:
	s_or_b32 exec_lo, exec_lo, s2
	v_mov_b32_e32 v136, v128
	v_mov_b32_e32 v137, v128
.LBB120_126:
	s_or_b32 exec_lo, exec_lo, s1
.LBB120_127:
	s_andn2_saveexec_b32 s0, s0
	s_cbranch_execz .LBB120_129
; %bb.128:
	v_mov_b32_e32 v128, v110
	v_mov_b32_e32 v129, v111
	;; [unrolled: 1-line block ×8, first 2 shown]
	ds_write2_b64 v134, v[128:129], v[137:138] offset0:8 offset1:9
	ds_write2_b64 v134, v[139:140], v[141:142] offset0:10 offset1:11
	v_mov_b32_e32 v128, v100
	v_mov_b32_e32 v129, v101
	v_mov_b32_e32 v137, v98
	v_mov_b32_e32 v138, v99
	v_mov_b32_e32 v139, v96
	v_mov_b32_e32 v140, v97
	v_mov_b32_e32 v141, v94
	v_mov_b32_e32 v142, v95
	v_mov_b32_e32 v143, v92
	v_mov_b32_e32 v144, v93
	v_mov_b32_e32 v145, v88
	v_mov_b32_e32 v146, v89
	v_mov_b32_e32 v147, v90
	v_mov_b32_e32 v148, v91
	v_mov_b32_e32 v149, v84
	v_mov_b32_e32 v150, v85
	v_mov_b32_e32 v151, v86
	v_mov_b32_e32 v152, v87
	v_mov_b32_e32 v153, v82
	v_mov_b32_e32 v154, v83
	ds_write2_b64 v134, v[128:129], v[137:138] offset0:12 offset1:13
	ds_write2_b64 v134, v[139:140], v[141:142] offset0:14 offset1:15
	ds_write2_b64 v134, v[143:144], v[145:146] offset0:16 offset1:17
	ds_write2_b64 v134, v[147:148], v[149:150] offset0:18 offset1:19
	ds_write2_b64 v134, v[151:152], v[153:154] offset0:20 offset1:21
	v_mov_b32_e32 v128, v80
	v_mov_b32_e32 v129, v81
	v_mov_b32_e32 v137, v78
	v_mov_b32_e32 v138, v79
	v_mov_b32_e32 v139, v76
	v_mov_b32_e32 v140, v77
	v_mov_b32_e32 v141, v74
	v_mov_b32_e32 v142, v75
	v_mov_b32_e32 v143, v72
	v_mov_b32_e32 v144, v73
	v_mov_b32_e32 v145, v68
	v_mov_b32_e32 v146, v69
	v_mov_b32_e32 v147, v70
	v_mov_b32_e32 v148, v71
	v_mov_b32_e32 v149, v64
	v_mov_b32_e32 v150, v65
	v_mov_b32_e32 v151, v66
	v_mov_b32_e32 v152, v67
	v_mov_b32_e32 v153, v62
	v_mov_b32_e32 v154, v63
	ds_write2_b64 v134, v[128:129], v[137:138] offset0:22 offset1:23
	ds_write2_b64 v134, v[139:140], v[141:142] offset0:24 offset1:25
	ds_write2_b64 v134, v[143:144], v[145:146] offset0:26 offset1:27
	;; [unrolled: 25-line block ×4, first 2 shown]
	ds_write2_b64 v134, v[147:148], v[149:150] offset0:48 offset1:49
	ds_write2_b64 v134, v[151:152], v[153:154] offset0:50 offset1:51
	v_mov_b32_e32 v128, v20
	v_mov_b32_e32 v129, v21
	;; [unrolled: 1-line block ×8, first 2 shown]
	ds_write2_b64 v134, v[128:129], v[137:138] offset0:52 offset1:53
	v_mov_b32_e32 v137, 7
	v_mov_b32_e32 v143, v12
	;; [unrolled: 1-line block ×9, first 2 shown]
	ds_write2_b64 v134, v[139:140], v[141:142] offset0:54 offset1:55
	ds_write2_b64 v134, v[143:144], v[145:146] offset0:56 offset1:57
	;; [unrolled: 1-line block ×3, first 2 shown]
	ds_write_b64 v134, v[126:127] offset:480
.LBB120_129:
	s_or_b32 exec_lo, exec_lo, s0
	s_mov_b32 s0, exec_lo
	s_waitcnt lgkmcnt(0)
	s_waitcnt_vscnt null, 0x0
	s_barrier
	buffer_gl0_inv
	v_cmpx_lt_i32_e32 7, v137
	s_cbranch_execz .LBB120_131
; %bb.130:
	v_mul_f64 v[108:109], v[0:1], v[108:109]
	ds_read2_b64 v[138:141], v134 offset0:8 offset1:9
	ds_read2_b64 v[142:145], v134 offset0:10 offset1:11
	;; [unrolled: 1-line block ×12, first 2 shown]
	ds_read_b64 v[0:1], v134 offset:480
	s_waitcnt lgkmcnt(12)
	v_fma_f64 v[110:111], -v[108:109], v[138:139], v[110:111]
	v_fma_f64 v[104:105], -v[108:109], v[140:141], v[104:105]
	s_waitcnt lgkmcnt(11)
	v_fma_f64 v[106:107], -v[108:109], v[142:143], v[106:107]
	v_fma_f64 v[102:103], -v[108:109], v[144:145], v[102:103]
	;; [unrolled: 3-line block ×4, first 2 shown]
	ds_read2_b64 v[138:141], v134 offset0:32 offset1:33
	ds_read2_b64 v[142:145], v134 offset0:34 offset1:35
	;; [unrolled: 1-line block ×4, first 2 shown]
	s_waitcnt lgkmcnt(12)
	v_fma_f64 v[92:93], -v[108:109], v[154:155], v[92:93]
	v_fma_f64 v[88:89], -v[108:109], v[156:157], v[88:89]
	s_waitcnt lgkmcnt(11)
	v_fma_f64 v[90:91], -v[108:109], v[158:159], v[90:91]
	v_fma_f64 v[84:85], -v[108:109], v[160:161], v[84:85]
	;; [unrolled: 3-line block ×6, first 2 shown]
	ds_read2_b64 v[154:157], v134 offset0:40 offset1:41
	ds_read2_b64 v[158:161], v134 offset0:42 offset1:43
	;; [unrolled: 1-line block ×4, first 2 shown]
	s_waitcnt lgkmcnt(7)
	v_fma_f64 v[60:61], -v[108:109], v[138:139], v[60:61]
	v_fma_f64 v[58:59], -v[108:109], v[140:141], v[58:59]
	ds_read2_b64 v[138:141], v134 offset0:46 offset1:47
	s_waitcnt lgkmcnt(7)
	v_fma_f64 v[56:57], -v[108:109], v[142:143], v[56:57]
	v_fma_f64 v[54:55], -v[108:109], v[144:145], v[54:55]
	ds_read2_b64 v[142:145], v134 offset0:50 offset1:51
	s_waitcnt lgkmcnt(7)
	v_fma_f64 v[52:53], -v[108:109], v[146:147], v[52:53]
	ds_read2_b64 v[170:173], v134 offset0:52 offset1:53
	v_fma_f64 v[48:49], -v[108:109], v[148:149], v[48:49]
	ds_read2_b64 v[146:149], v134 offset0:54 offset1:55
	s_waitcnt lgkmcnt(8)
	v_fma_f64 v[50:51], -v[108:109], v[150:151], v[50:51]
	ds_read2_b64 v[174:177], v134 offset0:56 offset1:57
	v_fma_f64 v[44:45], -v[108:109], v[152:153], v[44:45]
	ds_read2_b64 v[150:153], v134 offset0:58 offset1:59
	v_fma_f64 v[70:71], -v[108:109], v[178:179], v[70:71]
	v_fma_f64 v[64:65], -v[108:109], v[180:181], v[64:65]
	;; [unrolled: 1-line block ×4, first 2 shown]
	s_waitcnt lgkmcnt(9)
	v_fma_f64 v[46:47], -v[108:109], v[154:155], v[46:47]
	v_fma_f64 v[42:43], -v[108:109], v[156:157], v[42:43]
	s_waitcnt lgkmcnt(8)
	v_fma_f64 v[40:41], -v[108:109], v[158:159], v[40:41]
	v_fma_f64 v[38:39], -v[108:109], v[160:161], v[38:39]
	;; [unrolled: 3-line block ×4, first 2 shown]
	v_fma_f64 v[30:31], -v[108:109], v[166:167], v[30:31]
	v_fma_f64 v[24:25], -v[108:109], v[168:169], v[24:25]
	s_waitcnt lgkmcnt(4)
	v_fma_f64 v[26:27], -v[108:109], v[142:143], v[26:27]
	v_fma_f64 v[22:23], -v[108:109], v[144:145], v[22:23]
	s_waitcnt lgkmcnt(3)
	;; [unrolled: 3-line block ×5, first 2 shown]
	v_fma_f64 v[10:11], -v[108:109], v[150:151], v[10:11]
	v_fma_f64 v[6:7], -v[108:109], v[152:153], v[6:7]
	;; [unrolled: 1-line block ×3, first 2 shown]
.LBB120_131:
	s_or_b32 exec_lo, exec_lo, s0
	v_lshl_add_u32 v0, v137, 3, v134
	s_barrier
	buffer_gl0_inv
	v_mov_b32_e32 v128, 8
	ds_write_b64 v0, v[110:111]
	s_waitcnt lgkmcnt(0)
	s_barrier
	buffer_gl0_inv
	ds_read_b64 v[0:1], v134 offset:64
	s_cmp_lt_i32 s7, 10
	s_cbranch_scc1 .LBB120_134
; %bb.132:
	v_add3_u32 v129, v135, 0, 0x48
	v_mov_b32_e32 v128, 8
	s_mov_b32 s0, 9
.LBB120_133:                            ; =>This Inner Loop Header: Depth=1
	ds_read_b64 v[138:139], v129
	v_add_nc_u32_e32 v129, 8, v129
	s_waitcnt lgkmcnt(0)
	v_cmp_lt_f64_e64 vcc_lo, |v[0:1]|, |v[138:139]|
	v_cndmask_b32_e32 v1, v1, v139, vcc_lo
	v_cndmask_b32_e32 v0, v0, v138, vcc_lo
	v_cndmask_b32_e64 v128, v128, s0, vcc_lo
	s_add_i32 s0, s0, 1
	s_cmp_lg_u32 s7, s0
	s_cbranch_scc1 .LBB120_133
.LBB120_134:
	s_mov_b32 s0, exec_lo
	s_waitcnt lgkmcnt(0)
	v_cmpx_eq_f64_e32 0, v[0:1]
	s_xor_b32 s0, exec_lo, s0
; %bb.135:
	v_cmp_ne_u32_e32 vcc_lo, 0, v131
	v_cndmask_b32_e32 v131, 9, v131, vcc_lo
; %bb.136:
	s_andn2_saveexec_b32 s0, s0
	s_cbranch_execz .LBB120_138
; %bb.137:
	v_div_scale_f64 v[129:130], null, v[0:1], v[0:1], 1.0
	v_rcp_f64_e32 v[138:139], v[129:130]
	v_fma_f64 v[140:141], -v[129:130], v[138:139], 1.0
	v_fma_f64 v[138:139], v[138:139], v[140:141], v[138:139]
	v_fma_f64 v[140:141], -v[129:130], v[138:139], 1.0
	v_fma_f64 v[138:139], v[138:139], v[140:141], v[138:139]
	v_div_scale_f64 v[140:141], vcc_lo, 1.0, v[0:1], 1.0
	v_mul_f64 v[142:143], v[140:141], v[138:139]
	v_fma_f64 v[129:130], -v[129:130], v[142:143], v[140:141]
	v_div_fmas_f64 v[129:130], v[129:130], v[138:139], v[142:143]
	v_div_fixup_f64 v[0:1], v[129:130], v[0:1], 1.0
.LBB120_138:
	s_or_b32 exec_lo, exec_lo, s0
	s_mov_b32 s0, exec_lo
	v_cmpx_ne_u32_e64 v137, v128
	s_xor_b32 s0, exec_lo, s0
	s_cbranch_execz .LBB120_144
; %bb.139:
	s_mov_b32 s1, exec_lo
	v_cmpx_eq_u32_e32 8, v137
	s_cbranch_execz .LBB120_143
; %bb.140:
	v_cmp_ne_u32_e32 vcc_lo, 8, v128
	s_xor_b32 s2, s6, -1
	s_and_b32 s3, s2, vcc_lo
	s_and_saveexec_b32 s2, s3
	s_cbranch_execz .LBB120_142
; %bb.141:
	v_ashrrev_i32_e32 v129, 31, v128
	v_lshlrev_b64 v[129:130], 2, v[128:129]
	v_add_co_u32 v129, vcc_lo, v4, v129
	v_add_co_ci_u32_e64 v130, null, v5, v130, vcc_lo
	s_clause 0x1
	global_load_dword v136, v[129:130], off
	global_load_dword v137, v[4:5], off offset:32
	s_waitcnt vmcnt(1)
	global_store_dword v[4:5], v136, off offset:32
	s_waitcnt vmcnt(0)
	global_store_dword v[129:130], v137, off
.LBB120_142:
	s_or_b32 exec_lo, exec_lo, s2
	v_mov_b32_e32 v136, v128
	v_mov_b32_e32 v137, v128
.LBB120_143:
	s_or_b32 exec_lo, exec_lo, s1
.LBB120_144:
	s_andn2_saveexec_b32 s0, s0
	s_cbranch_execz .LBB120_146
; %bb.145:
	v_mov_b32_e32 v137, 8
	ds_write2_b64 v134, v[104:105], v[106:107] offset0:9 offset1:10
	ds_write2_b64 v134, v[102:103], v[100:101] offset0:11 offset1:12
	;; [unrolled: 1-line block ×26, first 2 shown]
.LBB120_146:
	s_or_b32 exec_lo, exec_lo, s0
	s_mov_b32 s0, exec_lo
	s_waitcnt lgkmcnt(0)
	s_waitcnt_vscnt null, 0x0
	s_barrier
	buffer_gl0_inv
	v_cmpx_lt_i32_e32 8, v137
	s_cbranch_execz .LBB120_148
; %bb.147:
	v_mul_f64 v[110:111], v[0:1], v[110:111]
	ds_read2_b64 v[138:141], v134 offset0:9 offset1:10
	ds_read2_b64 v[142:145], v134 offset0:11 offset1:12
	;; [unrolled: 1-line block ×12, first 2 shown]
	s_waitcnt lgkmcnt(11)
	v_fma_f64 v[104:105], -v[110:111], v[138:139], v[104:105]
	v_fma_f64 v[106:107], -v[110:111], v[140:141], v[106:107]
	s_waitcnt lgkmcnt(10)
	v_fma_f64 v[102:103], -v[110:111], v[142:143], v[102:103]
	v_fma_f64 v[100:101], -v[110:111], v[144:145], v[100:101]
	;; [unrolled: 3-line block ×3, first 2 shown]
	ds_read2_b64 v[138:141], v134 offset0:33 offset1:34
	ds_read2_b64 v[142:145], v134 offset0:35 offset1:36
	;; [unrolled: 1-line block ×3, first 2 shown]
	s_waitcnt lgkmcnt(11)
	v_fma_f64 v[94:95], -v[110:111], v[150:151], v[94:95]
	v_fma_f64 v[92:93], -v[110:111], v[152:153], v[92:93]
	s_waitcnt lgkmcnt(10)
	v_fma_f64 v[88:89], -v[110:111], v[154:155], v[88:89]
	v_fma_f64 v[90:91], -v[110:111], v[156:157], v[90:91]
	;; [unrolled: 3-line block ×7, first 2 shown]
	ds_read2_b64 v[150:153], v134 offset0:39 offset1:40
	s_waitcnt lgkmcnt(5)
	v_fma_f64 v[64:65], -v[110:111], v[178:179], v[64:65]
	v_fma_f64 v[66:67], -v[110:111], v[180:181], v[66:67]
	ds_read2_b64 v[154:157], v134 offset0:41 offset1:42
	ds_read2_b64 v[158:161], v134 offset0:43 offset1:44
	;; [unrolled: 1-line block ×4, first 2 shown]
	s_waitcnt lgkmcnt(7)
	v_fma_f64 v[58:59], -v[110:111], v[138:139], v[58:59]
	v_fma_f64 v[56:57], -v[110:111], v[140:141], v[56:57]
	ds_read2_b64 v[138:141], v134 offset0:49 offset1:50
	ds_read2_b64 v[170:173], v134 offset0:51 offset1:52
	s_waitcnt lgkmcnt(8)
	v_fma_f64 v[54:55], -v[110:111], v[142:143], v[54:55]
	v_fma_f64 v[52:53], -v[110:111], v[144:145], v[52:53]
	ds_read2_b64 v[142:145], v134 offset0:53 offset1:54
	ds_read2_b64 v[174:177], v134 offset0:55 offset1:56
	;; [unrolled: 5-line block ×3, first 2 shown]
	v_fma_f64 v[62:63], -v[110:111], v[182:183], v[62:63]
	v_fma_f64 v[60:61], -v[110:111], v[184:185], v[60:61]
	s_waitcnt lgkmcnt(10)
	v_fma_f64 v[44:45], -v[110:111], v[150:151], v[44:45]
	v_fma_f64 v[46:47], -v[110:111], v[152:153], v[46:47]
	s_waitcnt lgkmcnt(9)
	;; [unrolled: 3-line block ×11, first 2 shown]
	v_fma_f64 v[6:7], -v[110:111], v[178:179], v[6:7]
	v_fma_f64 v[126:127], -v[110:111], v[180:181], v[126:127]
.LBB120_148:
	s_or_b32 exec_lo, exec_lo, s0
	v_lshl_add_u32 v0, v137, 3, v134
	s_barrier
	buffer_gl0_inv
	v_mov_b32_e32 v128, 9
	ds_write_b64 v0, v[104:105]
	s_waitcnt lgkmcnt(0)
	s_barrier
	buffer_gl0_inv
	ds_read_b64 v[0:1], v134 offset:72
	s_cmp_lt_i32 s7, 11
	s_cbranch_scc1 .LBB120_151
; %bb.149:
	v_add3_u32 v129, v135, 0, 0x50
	v_mov_b32_e32 v128, 9
	s_mov_b32 s0, 10
.LBB120_150:                            ; =>This Inner Loop Header: Depth=1
	ds_read_b64 v[138:139], v129
	v_add_nc_u32_e32 v129, 8, v129
	s_waitcnt lgkmcnt(0)
	v_cmp_lt_f64_e64 vcc_lo, |v[0:1]|, |v[138:139]|
	v_cndmask_b32_e32 v1, v1, v139, vcc_lo
	v_cndmask_b32_e32 v0, v0, v138, vcc_lo
	v_cndmask_b32_e64 v128, v128, s0, vcc_lo
	s_add_i32 s0, s0, 1
	s_cmp_lg_u32 s7, s0
	s_cbranch_scc1 .LBB120_150
.LBB120_151:
	s_mov_b32 s0, exec_lo
	s_waitcnt lgkmcnt(0)
	v_cmpx_eq_f64_e32 0, v[0:1]
	s_xor_b32 s0, exec_lo, s0
; %bb.152:
	v_cmp_ne_u32_e32 vcc_lo, 0, v131
	v_cndmask_b32_e32 v131, 10, v131, vcc_lo
; %bb.153:
	s_andn2_saveexec_b32 s0, s0
	s_cbranch_execz .LBB120_155
; %bb.154:
	v_div_scale_f64 v[129:130], null, v[0:1], v[0:1], 1.0
	v_rcp_f64_e32 v[138:139], v[129:130]
	v_fma_f64 v[140:141], -v[129:130], v[138:139], 1.0
	v_fma_f64 v[138:139], v[138:139], v[140:141], v[138:139]
	v_fma_f64 v[140:141], -v[129:130], v[138:139], 1.0
	v_fma_f64 v[138:139], v[138:139], v[140:141], v[138:139]
	v_div_scale_f64 v[140:141], vcc_lo, 1.0, v[0:1], 1.0
	v_mul_f64 v[142:143], v[140:141], v[138:139]
	v_fma_f64 v[129:130], -v[129:130], v[142:143], v[140:141]
	v_div_fmas_f64 v[129:130], v[129:130], v[138:139], v[142:143]
	v_div_fixup_f64 v[0:1], v[129:130], v[0:1], 1.0
.LBB120_155:
	s_or_b32 exec_lo, exec_lo, s0
	s_mov_b32 s0, exec_lo
	v_cmpx_ne_u32_e64 v137, v128
	s_xor_b32 s0, exec_lo, s0
	s_cbranch_execz .LBB120_161
; %bb.156:
	s_mov_b32 s1, exec_lo
	v_cmpx_eq_u32_e32 9, v137
	s_cbranch_execz .LBB120_160
; %bb.157:
	v_cmp_ne_u32_e32 vcc_lo, 9, v128
	s_xor_b32 s2, s6, -1
	s_and_b32 s3, s2, vcc_lo
	s_and_saveexec_b32 s2, s3
	s_cbranch_execz .LBB120_159
; %bb.158:
	v_ashrrev_i32_e32 v129, 31, v128
	v_lshlrev_b64 v[129:130], 2, v[128:129]
	v_add_co_u32 v129, vcc_lo, v4, v129
	v_add_co_ci_u32_e64 v130, null, v5, v130, vcc_lo
	s_clause 0x1
	global_load_dword v136, v[129:130], off
	global_load_dword v137, v[4:5], off offset:36
	s_waitcnt vmcnt(1)
	global_store_dword v[4:5], v136, off offset:36
	s_waitcnt vmcnt(0)
	global_store_dword v[129:130], v137, off
.LBB120_159:
	s_or_b32 exec_lo, exec_lo, s2
	v_mov_b32_e32 v136, v128
	v_mov_b32_e32 v137, v128
.LBB120_160:
	s_or_b32 exec_lo, exec_lo, s1
.LBB120_161:
	s_andn2_saveexec_b32 s0, s0
	s_cbranch_execz .LBB120_163
; %bb.162:
	v_mov_b32_e32 v128, v106
	v_mov_b32_e32 v129, v107
	;; [unrolled: 1-line block ×8, first 2 shown]
	ds_write2_b64 v134, v[128:129], v[137:138] offset0:10 offset1:11
	v_mov_b32_e32 v128, v98
	v_mov_b32_e32 v129, v99
	v_mov_b32_e32 v137, v96
	v_mov_b32_e32 v138, v97
	v_mov_b32_e32 v143, v92
	v_mov_b32_e32 v144, v93
	v_mov_b32_e32 v145, v88
	v_mov_b32_e32 v146, v89
	v_mov_b32_e32 v147, v90
	v_mov_b32_e32 v148, v91
	v_mov_b32_e32 v149, v84
	v_mov_b32_e32 v150, v85
	v_mov_b32_e32 v151, v86
	v_mov_b32_e32 v152, v87
	v_mov_b32_e32 v153, v82
	v_mov_b32_e32 v154, v83
	ds_write2_b64 v134, v[139:140], v[128:129] offset0:12 offset1:13
	ds_write2_b64 v134, v[137:138], v[141:142] offset0:14 offset1:15
	ds_write2_b64 v134, v[143:144], v[145:146] offset0:16 offset1:17
	ds_write2_b64 v134, v[147:148], v[149:150] offset0:18 offset1:19
	ds_write2_b64 v134, v[151:152], v[153:154] offset0:20 offset1:21
	v_mov_b32_e32 v128, v80
	v_mov_b32_e32 v129, v81
	v_mov_b32_e32 v137, v78
	v_mov_b32_e32 v138, v79
	v_mov_b32_e32 v139, v76
	v_mov_b32_e32 v140, v77
	v_mov_b32_e32 v141, v74
	v_mov_b32_e32 v142, v75
	v_mov_b32_e32 v143, v72
	v_mov_b32_e32 v144, v73
	v_mov_b32_e32 v145, v68
	v_mov_b32_e32 v146, v69
	v_mov_b32_e32 v147, v70
	v_mov_b32_e32 v148, v71
	v_mov_b32_e32 v149, v64
	v_mov_b32_e32 v150, v65
	v_mov_b32_e32 v151, v66
	v_mov_b32_e32 v152, v67
	v_mov_b32_e32 v153, v62
	v_mov_b32_e32 v154, v63
	ds_write2_b64 v134, v[128:129], v[137:138] offset0:22 offset1:23
	ds_write2_b64 v134, v[139:140], v[141:142] offset0:24 offset1:25
	ds_write2_b64 v134, v[143:144], v[145:146] offset0:26 offset1:27
	ds_write2_b64 v134, v[147:148], v[149:150] offset0:28 offset1:29
	ds_write2_b64 v134, v[151:152], v[153:154] offset0:30 offset1:31
	v_mov_b32_e32 v128, v60
	v_mov_b32_e32 v129, v61
	v_mov_b32_e32 v137, v58
	v_mov_b32_e32 v138, v59
	;; [unrolled: 25-line block ×4, first 2 shown]
	v_mov_b32_e32 v139, v16
	v_mov_b32_e32 v140, v17
	;; [unrolled: 1-line block ×4, first 2 shown]
	ds_write2_b64 v134, v[128:129], v[137:138] offset0:52 offset1:53
	v_mov_b32_e32 v137, 9
	v_mov_b32_e32 v143, v12
	;; [unrolled: 1-line block ×9, first 2 shown]
	ds_write2_b64 v134, v[139:140], v[141:142] offset0:54 offset1:55
	ds_write2_b64 v134, v[143:144], v[145:146] offset0:56 offset1:57
	ds_write2_b64 v134, v[147:148], v[149:150] offset0:58 offset1:59
	ds_write_b64 v134, v[126:127] offset:480
.LBB120_163:
	s_or_b32 exec_lo, exec_lo, s0
	s_mov_b32 s0, exec_lo
	s_waitcnt lgkmcnt(0)
	s_waitcnt_vscnt null, 0x0
	s_barrier
	buffer_gl0_inv
	v_cmpx_lt_i32_e32 9, v137
	s_cbranch_execz .LBB120_165
; %bb.164:
	v_mul_f64 v[104:105], v[0:1], v[104:105]
	ds_read2_b64 v[138:141], v134 offset0:10 offset1:11
	ds_read2_b64 v[142:145], v134 offset0:12 offset1:13
	;; [unrolled: 1-line block ×12, first 2 shown]
	ds_read_b64 v[0:1], v134 offset:480
	s_waitcnt lgkmcnt(12)
	v_fma_f64 v[106:107], -v[104:105], v[138:139], v[106:107]
	v_fma_f64 v[102:103], -v[104:105], v[140:141], v[102:103]
	s_waitcnt lgkmcnt(11)
	v_fma_f64 v[100:101], -v[104:105], v[142:143], v[100:101]
	v_fma_f64 v[98:99], -v[104:105], v[144:145], v[98:99]
	s_waitcnt lgkmcnt(10)
	v_fma_f64 v[96:97], -v[104:105], v[146:147], v[96:97]
	v_fma_f64 v[94:95], -v[104:105], v[148:149], v[94:95]
	ds_read2_b64 v[138:141], v134 offset0:34 offset1:35
	ds_read2_b64 v[142:145], v134 offset0:36 offset1:37
	;; [unrolled: 1-line block ×3, first 2 shown]
	s_waitcnt lgkmcnt(12)
	v_fma_f64 v[92:93], -v[104:105], v[150:151], v[92:93]
	v_fma_f64 v[88:89], -v[104:105], v[152:153], v[88:89]
	s_waitcnt lgkmcnt(11)
	v_fma_f64 v[90:91], -v[104:105], v[154:155], v[90:91]
	v_fma_f64 v[84:85], -v[104:105], v[156:157], v[84:85]
	;; [unrolled: 3-line block ×7, first 2 shown]
	ds_read2_b64 v[150:153], v134 offset0:40 offset1:41
	ds_read2_b64 v[154:157], v134 offset0:42 offset1:43
	;; [unrolled: 1-line block ×5, first 2 shown]
	s_waitcnt lgkmcnt(7)
	v_fma_f64 v[56:57], -v[104:105], v[138:139], v[56:57]
	v_fma_f64 v[54:55], -v[104:105], v[140:141], v[54:55]
	ds_read2_b64 v[138:141], v134 offset0:50 offset1:51
	ds_read2_b64 v[170:173], v134 offset0:52 offset1:53
	s_waitcnt lgkmcnt(8)
	v_fma_f64 v[52:53], -v[104:105], v[142:143], v[52:53]
	v_fma_f64 v[48:49], -v[104:105], v[144:145], v[48:49]
	ds_read2_b64 v[142:145], v134 offset0:54 offset1:55
	ds_read2_b64 v[174:177], v134 offset0:56 offset1:57
	s_waitcnt lgkmcnt(9)
	v_fma_f64 v[50:51], -v[104:105], v[146:147], v[50:51]
	v_fma_f64 v[44:45], -v[104:105], v[148:149], v[44:45]
	ds_read2_b64 v[146:149], v134 offset0:58 offset1:59
	v_fma_f64 v[66:67], -v[104:105], v[178:179], v[66:67]
	v_fma_f64 v[62:63], -v[104:105], v[180:181], v[62:63]
	;; [unrolled: 1-line block ×4, first 2 shown]
	s_waitcnt lgkmcnt(9)
	v_fma_f64 v[46:47], -v[104:105], v[150:151], v[46:47]
	v_fma_f64 v[42:43], -v[104:105], v[152:153], v[42:43]
	s_waitcnt lgkmcnt(8)
	v_fma_f64 v[40:41], -v[104:105], v[154:155], v[40:41]
	v_fma_f64 v[38:39], -v[104:105], v[156:157], v[38:39]
	;; [unrolled: 3-line block ×10, first 2 shown]
	v_fma_f64 v[126:127], -v[104:105], v[0:1], v[126:127]
.LBB120_165:
	s_or_b32 exec_lo, exec_lo, s0
	v_lshl_add_u32 v0, v137, 3, v134
	s_barrier
	buffer_gl0_inv
	v_mov_b32_e32 v128, 10
	ds_write_b64 v0, v[106:107]
	s_waitcnt lgkmcnt(0)
	s_barrier
	buffer_gl0_inv
	ds_read_b64 v[0:1], v134 offset:80
	s_cmp_lt_i32 s7, 12
	s_cbranch_scc1 .LBB120_168
; %bb.166:
	v_add3_u32 v129, v135, 0, 0x58
	v_mov_b32_e32 v128, 10
	s_mov_b32 s0, 11
.LBB120_167:                            ; =>This Inner Loop Header: Depth=1
	ds_read_b64 v[138:139], v129
	v_add_nc_u32_e32 v129, 8, v129
	s_waitcnt lgkmcnt(0)
	v_cmp_lt_f64_e64 vcc_lo, |v[0:1]|, |v[138:139]|
	v_cndmask_b32_e32 v1, v1, v139, vcc_lo
	v_cndmask_b32_e32 v0, v0, v138, vcc_lo
	v_cndmask_b32_e64 v128, v128, s0, vcc_lo
	s_add_i32 s0, s0, 1
	s_cmp_lg_u32 s7, s0
	s_cbranch_scc1 .LBB120_167
.LBB120_168:
	s_mov_b32 s0, exec_lo
	s_waitcnt lgkmcnt(0)
	v_cmpx_eq_f64_e32 0, v[0:1]
	s_xor_b32 s0, exec_lo, s0
; %bb.169:
	v_cmp_ne_u32_e32 vcc_lo, 0, v131
	v_cndmask_b32_e32 v131, 11, v131, vcc_lo
; %bb.170:
	s_andn2_saveexec_b32 s0, s0
	s_cbranch_execz .LBB120_172
; %bb.171:
	v_div_scale_f64 v[129:130], null, v[0:1], v[0:1], 1.0
	v_rcp_f64_e32 v[138:139], v[129:130]
	v_fma_f64 v[140:141], -v[129:130], v[138:139], 1.0
	v_fma_f64 v[138:139], v[138:139], v[140:141], v[138:139]
	v_fma_f64 v[140:141], -v[129:130], v[138:139], 1.0
	v_fma_f64 v[138:139], v[138:139], v[140:141], v[138:139]
	v_div_scale_f64 v[140:141], vcc_lo, 1.0, v[0:1], 1.0
	v_mul_f64 v[142:143], v[140:141], v[138:139]
	v_fma_f64 v[129:130], -v[129:130], v[142:143], v[140:141]
	v_div_fmas_f64 v[129:130], v[129:130], v[138:139], v[142:143]
	v_div_fixup_f64 v[0:1], v[129:130], v[0:1], 1.0
.LBB120_172:
	s_or_b32 exec_lo, exec_lo, s0
	s_mov_b32 s0, exec_lo
	v_cmpx_ne_u32_e64 v137, v128
	s_xor_b32 s0, exec_lo, s0
	s_cbranch_execz .LBB120_178
; %bb.173:
	s_mov_b32 s1, exec_lo
	v_cmpx_eq_u32_e32 10, v137
	s_cbranch_execz .LBB120_177
; %bb.174:
	v_cmp_ne_u32_e32 vcc_lo, 10, v128
	s_xor_b32 s2, s6, -1
	s_and_b32 s3, s2, vcc_lo
	s_and_saveexec_b32 s2, s3
	s_cbranch_execz .LBB120_176
; %bb.175:
	v_ashrrev_i32_e32 v129, 31, v128
	v_lshlrev_b64 v[129:130], 2, v[128:129]
	v_add_co_u32 v129, vcc_lo, v4, v129
	v_add_co_ci_u32_e64 v130, null, v5, v130, vcc_lo
	s_clause 0x1
	global_load_dword v136, v[129:130], off
	global_load_dword v137, v[4:5], off offset:40
	s_waitcnt vmcnt(1)
	global_store_dword v[4:5], v136, off offset:40
	s_waitcnt vmcnt(0)
	global_store_dword v[129:130], v137, off
.LBB120_176:
	s_or_b32 exec_lo, exec_lo, s2
	v_mov_b32_e32 v136, v128
	v_mov_b32_e32 v137, v128
.LBB120_177:
	s_or_b32 exec_lo, exec_lo, s1
.LBB120_178:
	s_andn2_saveexec_b32 s0, s0
	s_cbranch_execz .LBB120_180
; %bb.179:
	v_mov_b32_e32 v137, 10
	ds_write2_b64 v134, v[102:103], v[100:101] offset0:11 offset1:12
	ds_write2_b64 v134, v[98:99], v[96:97] offset0:13 offset1:14
	;; [unrolled: 1-line block ×25, first 2 shown]
.LBB120_180:
	s_or_b32 exec_lo, exec_lo, s0
	s_mov_b32 s0, exec_lo
	s_waitcnt lgkmcnt(0)
	s_waitcnt_vscnt null, 0x0
	s_barrier
	buffer_gl0_inv
	v_cmpx_lt_i32_e32 10, v137
	s_cbranch_execz .LBB120_182
; %bb.181:
	v_mul_f64 v[106:107], v[0:1], v[106:107]
	ds_read2_b64 v[138:141], v134 offset0:11 offset1:12
	ds_read2_b64 v[142:145], v134 offset0:13 offset1:14
	;; [unrolled: 1-line block ×12, first 2 shown]
	s_waitcnt lgkmcnt(11)
	v_fma_f64 v[102:103], -v[106:107], v[138:139], v[102:103]
	v_fma_f64 v[100:101], -v[106:107], v[140:141], v[100:101]
	s_waitcnt lgkmcnt(10)
	v_fma_f64 v[98:99], -v[106:107], v[142:143], v[98:99]
	v_fma_f64 v[96:97], -v[106:107], v[144:145], v[96:97]
	ds_read2_b64 v[138:141], v134 offset0:35 offset1:36
	ds_read2_b64 v[142:145], v134 offset0:37 offset1:38
	s_waitcnt lgkmcnt(11)
	v_fma_f64 v[94:95], -v[106:107], v[146:147], v[94:95]
	v_fma_f64 v[92:93], -v[106:107], v[148:149], v[92:93]
	s_waitcnt lgkmcnt(10)
	v_fma_f64 v[88:89], -v[106:107], v[150:151], v[88:89]
	v_fma_f64 v[90:91], -v[106:107], v[152:153], v[90:91]
	;; [unrolled: 3-line block ×7, first 2 shown]
	ds_read2_b64 v[146:149], v134 offset0:39 offset1:40
	ds_read2_b64 v[150:153], v134 offset0:41 offset1:42
	s_waitcnt lgkmcnt(6)
	v_fma_f64 v[64:65], -v[106:107], v[174:175], v[64:65]
	v_fma_f64 v[66:67], -v[106:107], v[176:177], v[66:67]
	s_waitcnt lgkmcnt(5)
	v_fma_f64 v[62:63], -v[106:107], v[178:179], v[62:63]
	ds_read2_b64 v[154:157], v134 offset0:43 offset1:44
	ds_read2_b64 v[158:161], v134 offset0:45 offset1:46
	v_fma_f64 v[60:61], -v[106:107], v[180:181], v[60:61]
	ds_read2_b64 v[162:165], v134 offset0:47 offset1:48
	ds_read2_b64 v[166:169], v134 offset0:49 offset1:50
	s_waitcnt lgkmcnt(7)
	v_fma_f64 v[54:55], -v[106:107], v[138:139], v[54:55]
	ds_read2_b64 v[170:173], v134 offset0:51 offset1:52
	v_fma_f64 v[52:53], -v[106:107], v[140:141], v[52:53]
	ds_read2_b64 v[138:141], v134 offset0:53 offset1:54
	s_waitcnt lgkmcnt(8)
	v_fma_f64 v[48:49], -v[106:107], v[142:143], v[48:49]
	ds_read2_b64 v[174:177], v134 offset0:55 offset1:56
	v_fma_f64 v[50:51], -v[106:107], v[144:145], v[50:51]
	ds_read2_b64 v[142:145], v134 offset0:57 offset1:58
	ds_read2_b64 v[178:181], v134 offset0:59 offset1:60
	v_fma_f64 v[58:59], -v[106:107], v[182:183], v[58:59]
	v_fma_f64 v[56:57], -v[106:107], v[184:185], v[56:57]
	s_waitcnt lgkmcnt(10)
	v_fma_f64 v[44:45], -v[106:107], v[146:147], v[44:45]
	v_fma_f64 v[46:47], -v[106:107], v[148:149], v[46:47]
	s_waitcnt lgkmcnt(9)
	;; [unrolled: 3-line block ×11, first 2 shown]
	v_fma_f64 v[6:7], -v[106:107], v[178:179], v[6:7]
	v_fma_f64 v[126:127], -v[106:107], v[180:181], v[126:127]
.LBB120_182:
	s_or_b32 exec_lo, exec_lo, s0
	v_lshl_add_u32 v0, v137, 3, v134
	s_barrier
	buffer_gl0_inv
	v_mov_b32_e32 v128, 11
	ds_write_b64 v0, v[102:103]
	s_waitcnt lgkmcnt(0)
	s_barrier
	buffer_gl0_inv
	ds_read_b64 v[0:1], v134 offset:88
	s_cmp_lt_i32 s7, 13
	s_cbranch_scc1 .LBB120_185
; %bb.183:
	v_add3_u32 v129, v135, 0, 0x60
	v_mov_b32_e32 v128, 11
	s_mov_b32 s0, 12
.LBB120_184:                            ; =>This Inner Loop Header: Depth=1
	ds_read_b64 v[138:139], v129
	v_add_nc_u32_e32 v129, 8, v129
	s_waitcnt lgkmcnt(0)
	v_cmp_lt_f64_e64 vcc_lo, |v[0:1]|, |v[138:139]|
	v_cndmask_b32_e32 v1, v1, v139, vcc_lo
	v_cndmask_b32_e32 v0, v0, v138, vcc_lo
	v_cndmask_b32_e64 v128, v128, s0, vcc_lo
	s_add_i32 s0, s0, 1
	s_cmp_lg_u32 s7, s0
	s_cbranch_scc1 .LBB120_184
.LBB120_185:
	s_mov_b32 s0, exec_lo
	s_waitcnt lgkmcnt(0)
	v_cmpx_eq_f64_e32 0, v[0:1]
	s_xor_b32 s0, exec_lo, s0
; %bb.186:
	v_cmp_ne_u32_e32 vcc_lo, 0, v131
	v_cndmask_b32_e32 v131, 12, v131, vcc_lo
; %bb.187:
	s_andn2_saveexec_b32 s0, s0
	s_cbranch_execz .LBB120_189
; %bb.188:
	v_div_scale_f64 v[129:130], null, v[0:1], v[0:1], 1.0
	v_rcp_f64_e32 v[138:139], v[129:130]
	v_fma_f64 v[140:141], -v[129:130], v[138:139], 1.0
	v_fma_f64 v[138:139], v[138:139], v[140:141], v[138:139]
	v_fma_f64 v[140:141], -v[129:130], v[138:139], 1.0
	v_fma_f64 v[138:139], v[138:139], v[140:141], v[138:139]
	v_div_scale_f64 v[140:141], vcc_lo, 1.0, v[0:1], 1.0
	v_mul_f64 v[142:143], v[140:141], v[138:139]
	v_fma_f64 v[129:130], -v[129:130], v[142:143], v[140:141]
	v_div_fmas_f64 v[129:130], v[129:130], v[138:139], v[142:143]
	v_div_fixup_f64 v[0:1], v[129:130], v[0:1], 1.0
.LBB120_189:
	s_or_b32 exec_lo, exec_lo, s0
	s_mov_b32 s0, exec_lo
	v_cmpx_ne_u32_e64 v137, v128
	s_xor_b32 s0, exec_lo, s0
	s_cbranch_execz .LBB120_195
; %bb.190:
	s_mov_b32 s1, exec_lo
	v_cmpx_eq_u32_e32 11, v137
	s_cbranch_execz .LBB120_194
; %bb.191:
	v_cmp_ne_u32_e32 vcc_lo, 11, v128
	s_xor_b32 s2, s6, -1
	s_and_b32 s3, s2, vcc_lo
	s_and_saveexec_b32 s2, s3
	s_cbranch_execz .LBB120_193
; %bb.192:
	v_ashrrev_i32_e32 v129, 31, v128
	v_lshlrev_b64 v[129:130], 2, v[128:129]
	v_add_co_u32 v129, vcc_lo, v4, v129
	v_add_co_ci_u32_e64 v130, null, v5, v130, vcc_lo
	s_clause 0x1
	global_load_dword v136, v[129:130], off
	global_load_dword v137, v[4:5], off offset:44
	s_waitcnt vmcnt(1)
	global_store_dword v[4:5], v136, off offset:44
	s_waitcnt vmcnt(0)
	global_store_dword v[129:130], v137, off
.LBB120_193:
	s_or_b32 exec_lo, exec_lo, s2
	v_mov_b32_e32 v136, v128
	v_mov_b32_e32 v137, v128
.LBB120_194:
	s_or_b32 exec_lo, exec_lo, s1
.LBB120_195:
	s_andn2_saveexec_b32 s0, s0
	s_cbranch_execz .LBB120_197
; %bb.196:
	v_mov_b32_e32 v128, v100
	v_mov_b32_e32 v129, v101
	v_mov_b32_e32 v137, v98
	v_mov_b32_e32 v138, v99
	v_mov_b32_e32 v139, v96
	v_mov_b32_e32 v140, v97
	v_mov_b32_e32 v141, v94
	v_mov_b32_e32 v142, v95
	v_mov_b32_e32 v143, v92
	v_mov_b32_e32 v144, v93
	v_mov_b32_e32 v145, v88
	v_mov_b32_e32 v146, v89
	v_mov_b32_e32 v147, v90
	v_mov_b32_e32 v148, v91
	v_mov_b32_e32 v149, v84
	v_mov_b32_e32 v150, v85
	v_mov_b32_e32 v151, v86
	v_mov_b32_e32 v152, v87
	v_mov_b32_e32 v153, v82
	v_mov_b32_e32 v154, v83
	ds_write2_b64 v134, v[128:129], v[137:138] offset0:12 offset1:13
	ds_write2_b64 v134, v[139:140], v[141:142] offset0:14 offset1:15
	ds_write2_b64 v134, v[143:144], v[145:146] offset0:16 offset1:17
	ds_write2_b64 v134, v[147:148], v[149:150] offset0:18 offset1:19
	ds_write2_b64 v134, v[151:152], v[153:154] offset0:20 offset1:21
	v_mov_b32_e32 v128, v80
	v_mov_b32_e32 v129, v81
	v_mov_b32_e32 v137, v78
	v_mov_b32_e32 v138, v79
	v_mov_b32_e32 v139, v76
	v_mov_b32_e32 v140, v77
	v_mov_b32_e32 v141, v74
	v_mov_b32_e32 v142, v75
	v_mov_b32_e32 v143, v72
	v_mov_b32_e32 v144, v73
	v_mov_b32_e32 v145, v68
	v_mov_b32_e32 v146, v69
	v_mov_b32_e32 v147, v70
	v_mov_b32_e32 v148, v71
	v_mov_b32_e32 v149, v64
	v_mov_b32_e32 v150, v65
	v_mov_b32_e32 v151, v66
	v_mov_b32_e32 v152, v67
	v_mov_b32_e32 v153, v62
	v_mov_b32_e32 v154, v63
	ds_write2_b64 v134, v[128:129], v[137:138] offset0:22 offset1:23
	ds_write2_b64 v134, v[139:140], v[141:142] offset0:24 offset1:25
	ds_write2_b64 v134, v[143:144], v[145:146] offset0:26 offset1:27
	ds_write2_b64 v134, v[147:148], v[149:150] offset0:28 offset1:29
	ds_write2_b64 v134, v[151:152], v[153:154] offset0:30 offset1:31
	;; [unrolled: 25-line block ×4, first 2 shown]
	v_mov_b32_e32 v128, v20
	v_mov_b32_e32 v129, v21
	;; [unrolled: 1-line block ×8, first 2 shown]
	ds_write2_b64 v134, v[128:129], v[137:138] offset0:52 offset1:53
	v_mov_b32_e32 v137, 11
	v_mov_b32_e32 v143, v12
	;; [unrolled: 1-line block ×9, first 2 shown]
	ds_write2_b64 v134, v[139:140], v[141:142] offset0:54 offset1:55
	ds_write2_b64 v134, v[143:144], v[145:146] offset0:56 offset1:57
	;; [unrolled: 1-line block ×3, first 2 shown]
	ds_write_b64 v134, v[126:127] offset:480
.LBB120_197:
	s_or_b32 exec_lo, exec_lo, s0
	s_mov_b32 s0, exec_lo
	s_waitcnt lgkmcnt(0)
	s_waitcnt_vscnt null, 0x0
	s_barrier
	buffer_gl0_inv
	v_cmpx_lt_i32_e32 11, v137
	s_cbranch_execz .LBB120_199
; %bb.198:
	v_mul_f64 v[102:103], v[0:1], v[102:103]
	ds_read2_b64 v[138:141], v134 offset0:12 offset1:13
	ds_read2_b64 v[142:145], v134 offset0:14 offset1:15
	;; [unrolled: 1-line block ×12, first 2 shown]
	ds_read_b64 v[0:1], v134 offset:480
	s_waitcnt lgkmcnt(12)
	v_fma_f64 v[100:101], -v[102:103], v[138:139], v[100:101]
	v_fma_f64 v[98:99], -v[102:103], v[140:141], v[98:99]
	s_waitcnt lgkmcnt(11)
	v_fma_f64 v[96:97], -v[102:103], v[142:143], v[96:97]
	v_fma_f64 v[94:95], -v[102:103], v[144:145], v[94:95]
	ds_read2_b64 v[138:141], v134 offset0:36 offset1:37
	ds_read2_b64 v[142:145], v134 offset0:38 offset1:39
	s_waitcnt lgkmcnt(12)
	v_fma_f64 v[92:93], -v[102:103], v[146:147], v[92:93]
	v_fma_f64 v[88:89], -v[102:103], v[148:149], v[88:89]
	s_waitcnt lgkmcnt(11)
	v_fma_f64 v[90:91], -v[102:103], v[150:151], v[90:91]
	v_fma_f64 v[84:85], -v[102:103], v[152:153], v[84:85]
	;; [unrolled: 3-line block ×7, first 2 shown]
	ds_read2_b64 v[146:149], v134 offset0:40 offset1:41
	ds_read2_b64 v[150:153], v134 offset0:42 offset1:43
	s_waitcnt lgkmcnt(7)
	v_fma_f64 v[66:67], -v[102:103], v[174:175], v[66:67]
	v_fma_f64 v[62:63], -v[102:103], v[176:177], v[62:63]
	ds_read2_b64 v[154:157], v134 offset0:44 offset1:45
	ds_read2_b64 v[158:161], v134 offset0:46 offset1:47
	;; [unrolled: 1-line block ×4, first 2 shown]
	s_waitcnt lgkmcnt(7)
	v_fma_f64 v[52:53], -v[102:103], v[138:139], v[52:53]
	ds_read2_b64 v[170:173], v134 offset0:52 offset1:53
	v_fma_f64 v[48:49], -v[102:103], v[140:141], v[48:49]
	ds_read2_b64 v[138:141], v134 offset0:54 offset1:55
	s_waitcnt lgkmcnt(8)
	v_fma_f64 v[50:51], -v[102:103], v[142:143], v[50:51]
	ds_read2_b64 v[174:177], v134 offset0:56 offset1:57
	v_fma_f64 v[44:45], -v[102:103], v[144:145], v[44:45]
	ds_read2_b64 v[142:145], v134 offset0:58 offset1:59
	v_fma_f64 v[60:61], -v[102:103], v[178:179], v[60:61]
	v_fma_f64 v[58:59], -v[102:103], v[180:181], v[58:59]
	;; [unrolled: 1-line block ×4, first 2 shown]
	s_waitcnt lgkmcnt(9)
	v_fma_f64 v[46:47], -v[102:103], v[146:147], v[46:47]
	v_fma_f64 v[42:43], -v[102:103], v[148:149], v[42:43]
	s_waitcnt lgkmcnt(8)
	v_fma_f64 v[40:41], -v[102:103], v[150:151], v[40:41]
	v_fma_f64 v[38:39], -v[102:103], v[152:153], v[38:39]
	;; [unrolled: 3-line block ×10, first 2 shown]
	v_fma_f64 v[126:127], -v[102:103], v[0:1], v[126:127]
.LBB120_199:
	s_or_b32 exec_lo, exec_lo, s0
	v_lshl_add_u32 v0, v137, 3, v134
	s_barrier
	buffer_gl0_inv
	v_mov_b32_e32 v128, 12
	ds_write_b64 v0, v[100:101]
	s_waitcnt lgkmcnt(0)
	s_barrier
	buffer_gl0_inv
	ds_read_b64 v[0:1], v134 offset:96
	s_cmp_lt_i32 s7, 14
	s_cbranch_scc1 .LBB120_202
; %bb.200:
	v_add3_u32 v129, v135, 0, 0x68
	v_mov_b32_e32 v128, 12
	s_mov_b32 s0, 13
.LBB120_201:                            ; =>This Inner Loop Header: Depth=1
	ds_read_b64 v[138:139], v129
	v_add_nc_u32_e32 v129, 8, v129
	s_waitcnt lgkmcnt(0)
	v_cmp_lt_f64_e64 vcc_lo, |v[0:1]|, |v[138:139]|
	v_cndmask_b32_e32 v1, v1, v139, vcc_lo
	v_cndmask_b32_e32 v0, v0, v138, vcc_lo
	v_cndmask_b32_e64 v128, v128, s0, vcc_lo
	s_add_i32 s0, s0, 1
	s_cmp_lg_u32 s7, s0
	s_cbranch_scc1 .LBB120_201
.LBB120_202:
	s_mov_b32 s0, exec_lo
	s_waitcnt lgkmcnt(0)
	v_cmpx_eq_f64_e32 0, v[0:1]
	s_xor_b32 s0, exec_lo, s0
; %bb.203:
	v_cmp_ne_u32_e32 vcc_lo, 0, v131
	v_cndmask_b32_e32 v131, 13, v131, vcc_lo
; %bb.204:
	s_andn2_saveexec_b32 s0, s0
	s_cbranch_execz .LBB120_206
; %bb.205:
	v_div_scale_f64 v[129:130], null, v[0:1], v[0:1], 1.0
	v_rcp_f64_e32 v[138:139], v[129:130]
	v_fma_f64 v[140:141], -v[129:130], v[138:139], 1.0
	v_fma_f64 v[138:139], v[138:139], v[140:141], v[138:139]
	v_fma_f64 v[140:141], -v[129:130], v[138:139], 1.0
	v_fma_f64 v[138:139], v[138:139], v[140:141], v[138:139]
	v_div_scale_f64 v[140:141], vcc_lo, 1.0, v[0:1], 1.0
	v_mul_f64 v[142:143], v[140:141], v[138:139]
	v_fma_f64 v[129:130], -v[129:130], v[142:143], v[140:141]
	v_div_fmas_f64 v[129:130], v[129:130], v[138:139], v[142:143]
	v_div_fixup_f64 v[0:1], v[129:130], v[0:1], 1.0
.LBB120_206:
	s_or_b32 exec_lo, exec_lo, s0
	s_mov_b32 s0, exec_lo
	v_cmpx_ne_u32_e64 v137, v128
	s_xor_b32 s0, exec_lo, s0
	s_cbranch_execz .LBB120_212
; %bb.207:
	s_mov_b32 s1, exec_lo
	v_cmpx_eq_u32_e32 12, v137
	s_cbranch_execz .LBB120_211
; %bb.208:
	v_cmp_ne_u32_e32 vcc_lo, 12, v128
	s_xor_b32 s2, s6, -1
	s_and_b32 s3, s2, vcc_lo
	s_and_saveexec_b32 s2, s3
	s_cbranch_execz .LBB120_210
; %bb.209:
	v_ashrrev_i32_e32 v129, 31, v128
	v_lshlrev_b64 v[129:130], 2, v[128:129]
	v_add_co_u32 v129, vcc_lo, v4, v129
	v_add_co_ci_u32_e64 v130, null, v5, v130, vcc_lo
	s_clause 0x1
	global_load_dword v136, v[129:130], off
	global_load_dword v137, v[4:5], off offset:48
	s_waitcnt vmcnt(1)
	global_store_dword v[4:5], v136, off offset:48
	s_waitcnt vmcnt(0)
	global_store_dword v[129:130], v137, off
.LBB120_210:
	s_or_b32 exec_lo, exec_lo, s2
	v_mov_b32_e32 v136, v128
	v_mov_b32_e32 v137, v128
.LBB120_211:
	s_or_b32 exec_lo, exec_lo, s1
.LBB120_212:
	s_andn2_saveexec_b32 s0, s0
	s_cbranch_execz .LBB120_214
; %bb.213:
	v_mov_b32_e32 v137, 12
	ds_write2_b64 v134, v[98:99], v[96:97] offset0:13 offset1:14
	ds_write2_b64 v134, v[94:95], v[92:93] offset0:15 offset1:16
	;; [unrolled: 1-line block ×24, first 2 shown]
.LBB120_214:
	s_or_b32 exec_lo, exec_lo, s0
	s_mov_b32 s0, exec_lo
	s_waitcnt lgkmcnt(0)
	s_waitcnt_vscnt null, 0x0
	s_barrier
	buffer_gl0_inv
	v_cmpx_lt_i32_e32 12, v137
	s_cbranch_execz .LBB120_216
; %bb.215:
	v_mul_f64 v[100:101], v[0:1], v[100:101]
	ds_read2_b64 v[138:141], v134 offset0:13 offset1:14
	ds_read2_b64 v[142:145], v134 offset0:15 offset1:16
	;; [unrolled: 1-line block ×12, first 2 shown]
	s_waitcnt lgkmcnt(11)
	v_fma_f64 v[98:99], -v[100:101], v[138:139], v[98:99]
	v_fma_f64 v[96:97], -v[100:101], v[140:141], v[96:97]
	ds_read2_b64 v[138:141], v134 offset0:37 offset1:38
	s_waitcnt lgkmcnt(11)
	v_fma_f64 v[94:95], -v[100:101], v[142:143], v[94:95]
	v_fma_f64 v[92:93], -v[100:101], v[144:145], v[92:93]
	s_waitcnt lgkmcnt(10)
	v_fma_f64 v[88:89], -v[100:101], v[146:147], v[88:89]
	v_fma_f64 v[90:91], -v[100:101], v[148:149], v[90:91]
	;; [unrolled: 3-line block ×7, first 2 shown]
	ds_read2_b64 v[142:145], v134 offset0:39 offset1:40
	s_waitcnt lgkmcnt(5)
	v_fma_f64 v[64:65], -v[100:101], v[170:171], v[64:65]
	v_fma_f64 v[66:67], -v[100:101], v[172:173], v[66:67]
	ds_read2_b64 v[146:149], v134 offset0:41 offset1:42
	ds_read2_b64 v[150:153], v134 offset0:43 offset1:44
	s_waitcnt lgkmcnt(6)
	v_fma_f64 v[62:63], -v[100:101], v[174:175], v[62:63]
	v_fma_f64 v[60:61], -v[100:101], v[176:177], v[60:61]
	ds_read2_b64 v[154:157], v134 offset0:45 offset1:46
	;; [unrolled: 5-line block ×3, first 2 shown]
	ds_read2_b64 v[166:169], v134 offset0:51 offset1:52
	ds_read2_b64 v[170:173], v134 offset0:53 offset1:54
	;; [unrolled: 1-line block ×3, first 2 shown]
	s_waitcnt lgkmcnt(9)
	v_fma_f64 v[48:49], -v[100:101], v[138:139], v[48:49]
	v_fma_f64 v[50:51], -v[100:101], v[140:141], v[50:51]
	ds_read2_b64 v[138:141], v134 offset0:57 offset1:58
	ds_read2_b64 v[178:181], v134 offset0:59 offset1:60
	v_fma_f64 v[54:55], -v[100:101], v[182:183], v[54:55]
	v_fma_f64 v[52:53], -v[100:101], v[184:185], v[52:53]
	s_waitcnt lgkmcnt(10)
	v_fma_f64 v[44:45], -v[100:101], v[142:143], v[44:45]
	v_fma_f64 v[46:47], -v[100:101], v[144:145], v[46:47]
	s_waitcnt lgkmcnt(9)
	;; [unrolled: 3-line block ×11, first 2 shown]
	v_fma_f64 v[6:7], -v[100:101], v[178:179], v[6:7]
	v_fma_f64 v[126:127], -v[100:101], v[180:181], v[126:127]
.LBB120_216:
	s_or_b32 exec_lo, exec_lo, s0
	v_lshl_add_u32 v0, v137, 3, v134
	s_barrier
	buffer_gl0_inv
	v_mov_b32_e32 v128, 13
	ds_write_b64 v0, v[98:99]
	s_waitcnt lgkmcnt(0)
	s_barrier
	buffer_gl0_inv
	ds_read_b64 v[0:1], v134 offset:104
	s_cmp_lt_i32 s7, 15
	s_cbranch_scc1 .LBB120_219
; %bb.217:
	v_add3_u32 v129, v135, 0, 0x70
	v_mov_b32_e32 v128, 13
	s_mov_b32 s0, 14
.LBB120_218:                            ; =>This Inner Loop Header: Depth=1
	ds_read_b64 v[138:139], v129
	v_add_nc_u32_e32 v129, 8, v129
	s_waitcnt lgkmcnt(0)
	v_cmp_lt_f64_e64 vcc_lo, |v[0:1]|, |v[138:139]|
	v_cndmask_b32_e32 v1, v1, v139, vcc_lo
	v_cndmask_b32_e32 v0, v0, v138, vcc_lo
	v_cndmask_b32_e64 v128, v128, s0, vcc_lo
	s_add_i32 s0, s0, 1
	s_cmp_lg_u32 s7, s0
	s_cbranch_scc1 .LBB120_218
.LBB120_219:
	s_mov_b32 s0, exec_lo
	s_waitcnt lgkmcnt(0)
	v_cmpx_eq_f64_e32 0, v[0:1]
	s_xor_b32 s0, exec_lo, s0
; %bb.220:
	v_cmp_ne_u32_e32 vcc_lo, 0, v131
	v_cndmask_b32_e32 v131, 14, v131, vcc_lo
; %bb.221:
	s_andn2_saveexec_b32 s0, s0
	s_cbranch_execz .LBB120_223
; %bb.222:
	v_div_scale_f64 v[129:130], null, v[0:1], v[0:1], 1.0
	v_rcp_f64_e32 v[138:139], v[129:130]
	v_fma_f64 v[140:141], -v[129:130], v[138:139], 1.0
	v_fma_f64 v[138:139], v[138:139], v[140:141], v[138:139]
	v_fma_f64 v[140:141], -v[129:130], v[138:139], 1.0
	v_fma_f64 v[138:139], v[138:139], v[140:141], v[138:139]
	v_div_scale_f64 v[140:141], vcc_lo, 1.0, v[0:1], 1.0
	v_mul_f64 v[142:143], v[140:141], v[138:139]
	v_fma_f64 v[129:130], -v[129:130], v[142:143], v[140:141]
	v_div_fmas_f64 v[129:130], v[129:130], v[138:139], v[142:143]
	v_div_fixup_f64 v[0:1], v[129:130], v[0:1], 1.0
.LBB120_223:
	s_or_b32 exec_lo, exec_lo, s0
	s_mov_b32 s0, exec_lo
	v_cmpx_ne_u32_e64 v137, v128
	s_xor_b32 s0, exec_lo, s0
	s_cbranch_execz .LBB120_229
; %bb.224:
	s_mov_b32 s1, exec_lo
	v_cmpx_eq_u32_e32 13, v137
	s_cbranch_execz .LBB120_228
; %bb.225:
	v_cmp_ne_u32_e32 vcc_lo, 13, v128
	s_xor_b32 s2, s6, -1
	s_and_b32 s3, s2, vcc_lo
	s_and_saveexec_b32 s2, s3
	s_cbranch_execz .LBB120_227
; %bb.226:
	v_ashrrev_i32_e32 v129, 31, v128
	v_lshlrev_b64 v[129:130], 2, v[128:129]
	v_add_co_u32 v129, vcc_lo, v4, v129
	v_add_co_ci_u32_e64 v130, null, v5, v130, vcc_lo
	s_clause 0x1
	global_load_dword v136, v[129:130], off
	global_load_dword v137, v[4:5], off offset:52
	s_waitcnt vmcnt(1)
	global_store_dword v[4:5], v136, off offset:52
	s_waitcnt vmcnt(0)
	global_store_dword v[129:130], v137, off
.LBB120_227:
	s_or_b32 exec_lo, exec_lo, s2
	v_mov_b32_e32 v136, v128
	v_mov_b32_e32 v137, v128
.LBB120_228:
	s_or_b32 exec_lo, exec_lo, s1
.LBB120_229:
	s_andn2_saveexec_b32 s0, s0
	s_cbranch_execz .LBB120_231
; %bb.230:
	v_mov_b32_e32 v128, v96
	v_mov_b32_e32 v129, v97
	;; [unrolled: 1-line block ×16, first 2 shown]
	ds_write2_b64 v134, v[128:129], v[137:138] offset0:14 offset1:15
	ds_write2_b64 v134, v[139:140], v[141:142] offset0:16 offset1:17
	ds_write2_b64 v134, v[143:144], v[145:146] offset0:18 offset1:19
	ds_write2_b64 v134, v[147:148], v[149:150] offset0:20 offset1:21
	v_mov_b32_e32 v128, v80
	v_mov_b32_e32 v129, v81
	v_mov_b32_e32 v137, v78
	v_mov_b32_e32 v138, v79
	v_mov_b32_e32 v139, v76
	v_mov_b32_e32 v140, v77
	v_mov_b32_e32 v141, v74
	v_mov_b32_e32 v142, v75
	v_mov_b32_e32 v143, v72
	v_mov_b32_e32 v144, v73
	v_mov_b32_e32 v145, v68
	v_mov_b32_e32 v146, v69
	v_mov_b32_e32 v147, v70
	v_mov_b32_e32 v148, v71
	v_mov_b32_e32 v149, v64
	v_mov_b32_e32 v150, v65
	v_mov_b32_e32 v151, v66
	v_mov_b32_e32 v152, v67
	v_mov_b32_e32 v153, v62
	v_mov_b32_e32 v154, v63
	ds_write2_b64 v134, v[128:129], v[137:138] offset0:22 offset1:23
	ds_write2_b64 v134, v[139:140], v[141:142] offset0:24 offset1:25
	ds_write2_b64 v134, v[143:144], v[145:146] offset0:26 offset1:27
	ds_write2_b64 v134, v[147:148], v[149:150] offset0:28 offset1:29
	ds_write2_b64 v134, v[151:152], v[153:154] offset0:30 offset1:31
	v_mov_b32_e32 v128, v60
	v_mov_b32_e32 v129, v61
	v_mov_b32_e32 v137, v58
	v_mov_b32_e32 v138, v59
	v_mov_b32_e32 v139, v56
	v_mov_b32_e32 v140, v57
	v_mov_b32_e32 v141, v54
	v_mov_b32_e32 v142, v55
	v_mov_b32_e32 v143, v52
	v_mov_b32_e32 v144, v53
	v_mov_b32_e32 v145, v48
	v_mov_b32_e32 v146, v49
	v_mov_b32_e32 v147, v50
	v_mov_b32_e32 v148, v51
	v_mov_b32_e32 v149, v44
	v_mov_b32_e32 v150, v45
	v_mov_b32_e32 v151, v46
	v_mov_b32_e32 v152, v47
	v_mov_b32_e32 v153, v42
	v_mov_b32_e32 v154, v43
	ds_write2_b64 v134, v[128:129], v[137:138] offset0:32 offset1:33
	;; [unrolled: 25-line block ×3, first 2 shown]
	ds_write2_b64 v134, v[139:140], v[141:142] offset0:44 offset1:45
	ds_write2_b64 v134, v[143:144], v[145:146] offset0:46 offset1:47
	;; [unrolled: 1-line block ×4, first 2 shown]
	v_mov_b32_e32 v128, v20
	v_mov_b32_e32 v129, v21
	;; [unrolled: 1-line block ×8, first 2 shown]
	ds_write2_b64 v134, v[128:129], v[137:138] offset0:52 offset1:53
	v_mov_b32_e32 v137, 13
	v_mov_b32_e32 v143, v12
	;; [unrolled: 1-line block ×9, first 2 shown]
	ds_write2_b64 v134, v[139:140], v[141:142] offset0:54 offset1:55
	ds_write2_b64 v134, v[143:144], v[145:146] offset0:56 offset1:57
	;; [unrolled: 1-line block ×3, first 2 shown]
	ds_write_b64 v134, v[126:127] offset:480
.LBB120_231:
	s_or_b32 exec_lo, exec_lo, s0
	s_mov_b32 s0, exec_lo
	s_waitcnt lgkmcnt(0)
	s_waitcnt_vscnt null, 0x0
	s_barrier
	buffer_gl0_inv
	v_cmpx_lt_i32_e32 13, v137
	s_cbranch_execz .LBB120_233
; %bb.232:
	v_mul_f64 v[98:99], v[0:1], v[98:99]
	ds_read2_b64 v[138:141], v134 offset0:14 offset1:15
	ds_read2_b64 v[142:145], v134 offset0:16 offset1:17
	;; [unrolled: 1-line block ×12, first 2 shown]
	ds_read_b64 v[0:1], v134 offset:480
	s_waitcnt lgkmcnt(12)
	v_fma_f64 v[96:97], -v[98:99], v[138:139], v[96:97]
	v_fma_f64 v[94:95], -v[98:99], v[140:141], v[94:95]
	ds_read2_b64 v[138:141], v134 offset0:38 offset1:39
	s_waitcnt lgkmcnt(12)
	v_fma_f64 v[92:93], -v[98:99], v[142:143], v[92:93]
	v_fma_f64 v[88:89], -v[98:99], v[144:145], v[88:89]
	s_waitcnt lgkmcnt(11)
	v_fma_f64 v[90:91], -v[98:99], v[146:147], v[90:91]
	v_fma_f64 v[84:85], -v[98:99], v[148:149], v[84:85]
	;; [unrolled: 3-line block ×7, first 2 shown]
	ds_read2_b64 v[142:145], v134 offset0:40 offset1:41
	s_waitcnt lgkmcnt(6)
	v_fma_f64 v[66:67], -v[98:99], v[170:171], v[66:67]
	v_fma_f64 v[62:63], -v[98:99], v[172:173], v[62:63]
	ds_read2_b64 v[146:149], v134 offset0:42 offset1:43
	ds_read2_b64 v[150:153], v134 offset0:44 offset1:45
	s_waitcnt lgkmcnt(7)
	v_fma_f64 v[60:61], -v[98:99], v[174:175], v[60:61]
	v_fma_f64 v[58:59], -v[98:99], v[176:177], v[58:59]
	ds_read2_b64 v[154:157], v134 offset0:46 offset1:47
	ds_read2_b64 v[158:161], v134 offset0:48 offset1:49
	;; [unrolled: 1-line block ×6, first 2 shown]
	s_waitcnt lgkmcnt(9)
	v_fma_f64 v[50:51], -v[98:99], v[138:139], v[50:51]
	v_fma_f64 v[44:45], -v[98:99], v[140:141], v[44:45]
	ds_read2_b64 v[138:141], v134 offset0:58 offset1:59
	v_fma_f64 v[56:57], -v[98:99], v[178:179], v[56:57]
	v_fma_f64 v[54:55], -v[98:99], v[180:181], v[54:55]
	;; [unrolled: 1-line block ×4, first 2 shown]
	s_waitcnt lgkmcnt(9)
	v_fma_f64 v[46:47], -v[98:99], v[142:143], v[46:47]
	v_fma_f64 v[42:43], -v[98:99], v[144:145], v[42:43]
	;; [unrolled: 1-line block ×3, first 2 shown]
	s_waitcnt lgkmcnt(8)
	v_fma_f64 v[40:41], -v[98:99], v[146:147], v[40:41]
	v_fma_f64 v[38:39], -v[98:99], v[148:149], v[38:39]
	s_waitcnt lgkmcnt(7)
	v_fma_f64 v[36:37], -v[98:99], v[150:151], v[36:37]
	v_fma_f64 v[34:35], -v[98:99], v[152:153], v[34:35]
	;; [unrolled: 3-line block ×9, first 2 shown]
.LBB120_233:
	s_or_b32 exec_lo, exec_lo, s0
	v_lshl_add_u32 v0, v137, 3, v134
	s_barrier
	buffer_gl0_inv
	v_mov_b32_e32 v128, 14
	ds_write_b64 v0, v[96:97]
	s_waitcnt lgkmcnt(0)
	s_barrier
	buffer_gl0_inv
	ds_read_b64 v[0:1], v134 offset:112
	s_cmp_lt_i32 s7, 16
	s_cbranch_scc1 .LBB120_236
; %bb.234:
	v_add3_u32 v129, v135, 0, 0x78
	v_mov_b32_e32 v128, 14
	s_mov_b32 s0, 15
.LBB120_235:                            ; =>This Inner Loop Header: Depth=1
	ds_read_b64 v[138:139], v129
	v_add_nc_u32_e32 v129, 8, v129
	s_waitcnt lgkmcnt(0)
	v_cmp_lt_f64_e64 vcc_lo, |v[0:1]|, |v[138:139]|
	v_cndmask_b32_e32 v1, v1, v139, vcc_lo
	v_cndmask_b32_e32 v0, v0, v138, vcc_lo
	v_cndmask_b32_e64 v128, v128, s0, vcc_lo
	s_add_i32 s0, s0, 1
	s_cmp_lg_u32 s7, s0
	s_cbranch_scc1 .LBB120_235
.LBB120_236:
	s_mov_b32 s0, exec_lo
	s_waitcnt lgkmcnt(0)
	v_cmpx_eq_f64_e32 0, v[0:1]
	s_xor_b32 s0, exec_lo, s0
; %bb.237:
	v_cmp_ne_u32_e32 vcc_lo, 0, v131
	v_cndmask_b32_e32 v131, 15, v131, vcc_lo
; %bb.238:
	s_andn2_saveexec_b32 s0, s0
	s_cbranch_execz .LBB120_240
; %bb.239:
	v_div_scale_f64 v[129:130], null, v[0:1], v[0:1], 1.0
	v_rcp_f64_e32 v[138:139], v[129:130]
	v_fma_f64 v[140:141], -v[129:130], v[138:139], 1.0
	v_fma_f64 v[138:139], v[138:139], v[140:141], v[138:139]
	v_fma_f64 v[140:141], -v[129:130], v[138:139], 1.0
	v_fma_f64 v[138:139], v[138:139], v[140:141], v[138:139]
	v_div_scale_f64 v[140:141], vcc_lo, 1.0, v[0:1], 1.0
	v_mul_f64 v[142:143], v[140:141], v[138:139]
	v_fma_f64 v[129:130], -v[129:130], v[142:143], v[140:141]
	v_div_fmas_f64 v[129:130], v[129:130], v[138:139], v[142:143]
	v_div_fixup_f64 v[0:1], v[129:130], v[0:1], 1.0
.LBB120_240:
	s_or_b32 exec_lo, exec_lo, s0
	s_mov_b32 s0, exec_lo
	v_cmpx_ne_u32_e64 v137, v128
	s_xor_b32 s0, exec_lo, s0
	s_cbranch_execz .LBB120_246
; %bb.241:
	s_mov_b32 s1, exec_lo
	v_cmpx_eq_u32_e32 14, v137
	s_cbranch_execz .LBB120_245
; %bb.242:
	v_cmp_ne_u32_e32 vcc_lo, 14, v128
	s_xor_b32 s2, s6, -1
	s_and_b32 s3, s2, vcc_lo
	s_and_saveexec_b32 s2, s3
	s_cbranch_execz .LBB120_244
; %bb.243:
	v_ashrrev_i32_e32 v129, 31, v128
	v_lshlrev_b64 v[129:130], 2, v[128:129]
	v_add_co_u32 v129, vcc_lo, v4, v129
	v_add_co_ci_u32_e64 v130, null, v5, v130, vcc_lo
	s_clause 0x1
	global_load_dword v136, v[129:130], off
	global_load_dword v137, v[4:5], off offset:56
	s_waitcnt vmcnt(1)
	global_store_dword v[4:5], v136, off offset:56
	s_waitcnt vmcnt(0)
	global_store_dword v[129:130], v137, off
.LBB120_244:
	s_or_b32 exec_lo, exec_lo, s2
	v_mov_b32_e32 v136, v128
	v_mov_b32_e32 v137, v128
.LBB120_245:
	s_or_b32 exec_lo, exec_lo, s1
.LBB120_246:
	s_andn2_saveexec_b32 s0, s0
	s_cbranch_execz .LBB120_248
; %bb.247:
	v_mov_b32_e32 v137, 14
	ds_write2_b64 v134, v[94:95], v[92:93] offset0:15 offset1:16
	ds_write2_b64 v134, v[88:89], v[90:91] offset0:17 offset1:18
	;; [unrolled: 1-line block ×23, first 2 shown]
.LBB120_248:
	s_or_b32 exec_lo, exec_lo, s0
	s_mov_b32 s0, exec_lo
	s_waitcnt lgkmcnt(0)
	s_waitcnt_vscnt null, 0x0
	s_barrier
	buffer_gl0_inv
	v_cmpx_lt_i32_e32 14, v137
	s_cbranch_execz .LBB120_250
; %bb.249:
	v_mul_f64 v[96:97], v[0:1], v[96:97]
	ds_read2_b64 v[138:141], v134 offset0:15 offset1:16
	ds_read2_b64 v[142:145], v134 offset0:17 offset1:18
	;; [unrolled: 1-line block ×11, first 2 shown]
	s_waitcnt lgkmcnt(10)
	v_fma_f64 v[94:95], -v[96:97], v[138:139], v[94:95]
	v_fma_f64 v[92:93], -v[96:97], v[140:141], v[92:93]
	ds_read2_b64 v[138:141], v134 offset0:37 offset1:38
	s_waitcnt lgkmcnt(10)
	v_fma_f64 v[88:89], -v[96:97], v[142:143], v[88:89]
	v_fma_f64 v[90:91], -v[96:97], v[144:145], v[90:91]
	s_waitcnt lgkmcnt(9)
	v_fma_f64 v[84:85], -v[96:97], v[146:147], v[84:85]
	v_fma_f64 v[86:87], -v[96:97], v[148:149], v[86:87]
	;; [unrolled: 3-line block ×6, first 2 shown]
	ds_read2_b64 v[142:145], v134 offset0:39 offset1:40
	s_waitcnt lgkmcnt(5)
	v_fma_f64 v[64:65], -v[96:97], v[166:167], v[64:65]
	v_fma_f64 v[66:67], -v[96:97], v[168:169], v[66:67]
	ds_read2_b64 v[146:149], v134 offset0:41 offset1:42
	ds_read2_b64 v[150:153], v134 offset0:43 offset1:44
	s_waitcnt lgkmcnt(6)
	v_fma_f64 v[62:63], -v[96:97], v[170:171], v[62:63]
	v_fma_f64 v[60:61], -v[96:97], v[172:173], v[60:61]
	ds_read2_b64 v[154:157], v134 offset0:45 offset1:46
	;; [unrolled: 5-line block ×5, first 2 shown]
	ds_read2_b64 v[178:181], v134 offset0:59 offset1:60
	s_waitcnt lgkmcnt(10)
	v_fma_f64 v[44:45], -v[96:97], v[142:143], v[44:45]
	v_fma_f64 v[46:47], -v[96:97], v[144:145], v[46:47]
	s_waitcnt lgkmcnt(9)
	v_fma_f64 v[42:43], -v[96:97], v[146:147], v[42:43]
	v_fma_f64 v[40:41], -v[96:97], v[148:149], v[40:41]
	;; [unrolled: 3-line block ×11, first 2 shown]
.LBB120_250:
	s_or_b32 exec_lo, exec_lo, s0
	v_lshl_add_u32 v0, v137, 3, v134
	s_barrier
	buffer_gl0_inv
	v_mov_b32_e32 v128, 15
	ds_write_b64 v0, v[94:95]
	s_waitcnt lgkmcnt(0)
	s_barrier
	buffer_gl0_inv
	ds_read_b64 v[0:1], v134 offset:120
	s_cmp_lt_i32 s7, 17
	s_cbranch_scc1 .LBB120_253
; %bb.251:
	v_add3_u32 v129, v135, 0, 0x80
	v_mov_b32_e32 v128, 15
	s_mov_b32 s0, 16
.LBB120_252:                            ; =>This Inner Loop Header: Depth=1
	ds_read_b64 v[138:139], v129
	v_add_nc_u32_e32 v129, 8, v129
	s_waitcnt lgkmcnt(0)
	v_cmp_lt_f64_e64 vcc_lo, |v[0:1]|, |v[138:139]|
	v_cndmask_b32_e32 v1, v1, v139, vcc_lo
	v_cndmask_b32_e32 v0, v0, v138, vcc_lo
	v_cndmask_b32_e64 v128, v128, s0, vcc_lo
	s_add_i32 s0, s0, 1
	s_cmp_lg_u32 s7, s0
	s_cbranch_scc1 .LBB120_252
.LBB120_253:
	s_mov_b32 s0, exec_lo
	s_waitcnt lgkmcnt(0)
	v_cmpx_eq_f64_e32 0, v[0:1]
	s_xor_b32 s0, exec_lo, s0
; %bb.254:
	v_cmp_ne_u32_e32 vcc_lo, 0, v131
	v_cndmask_b32_e32 v131, 16, v131, vcc_lo
; %bb.255:
	s_andn2_saveexec_b32 s0, s0
	s_cbranch_execz .LBB120_257
; %bb.256:
	v_div_scale_f64 v[129:130], null, v[0:1], v[0:1], 1.0
	v_rcp_f64_e32 v[138:139], v[129:130]
	v_fma_f64 v[140:141], -v[129:130], v[138:139], 1.0
	v_fma_f64 v[138:139], v[138:139], v[140:141], v[138:139]
	v_fma_f64 v[140:141], -v[129:130], v[138:139], 1.0
	v_fma_f64 v[138:139], v[138:139], v[140:141], v[138:139]
	v_div_scale_f64 v[140:141], vcc_lo, 1.0, v[0:1], 1.0
	v_mul_f64 v[142:143], v[140:141], v[138:139]
	v_fma_f64 v[129:130], -v[129:130], v[142:143], v[140:141]
	v_div_fmas_f64 v[129:130], v[129:130], v[138:139], v[142:143]
	v_div_fixup_f64 v[0:1], v[129:130], v[0:1], 1.0
.LBB120_257:
	s_or_b32 exec_lo, exec_lo, s0
	s_mov_b32 s0, exec_lo
	v_cmpx_ne_u32_e64 v137, v128
	s_xor_b32 s0, exec_lo, s0
	s_cbranch_execz .LBB120_263
; %bb.258:
	s_mov_b32 s1, exec_lo
	v_cmpx_eq_u32_e32 15, v137
	s_cbranch_execz .LBB120_262
; %bb.259:
	v_cmp_ne_u32_e32 vcc_lo, 15, v128
	s_xor_b32 s2, s6, -1
	s_and_b32 s3, s2, vcc_lo
	s_and_saveexec_b32 s2, s3
	s_cbranch_execz .LBB120_261
; %bb.260:
	v_ashrrev_i32_e32 v129, 31, v128
	v_lshlrev_b64 v[129:130], 2, v[128:129]
	v_add_co_u32 v129, vcc_lo, v4, v129
	v_add_co_ci_u32_e64 v130, null, v5, v130, vcc_lo
	s_clause 0x1
	global_load_dword v136, v[129:130], off
	global_load_dword v137, v[4:5], off offset:60
	s_waitcnt vmcnt(1)
	global_store_dword v[4:5], v136, off offset:60
	s_waitcnt vmcnt(0)
	global_store_dword v[129:130], v137, off
.LBB120_261:
	s_or_b32 exec_lo, exec_lo, s2
	v_mov_b32_e32 v136, v128
	v_mov_b32_e32 v137, v128
.LBB120_262:
	s_or_b32 exec_lo, exec_lo, s1
.LBB120_263:
	s_andn2_saveexec_b32 s0, s0
	s_cbranch_execz .LBB120_265
; %bb.264:
	v_mov_b32_e32 v128, v92
	v_mov_b32_e32 v129, v93
	;; [unrolled: 1-line block ×12, first 2 shown]
	ds_write2_b64 v134, v[128:129], v[137:138] offset0:16 offset1:17
	ds_write2_b64 v134, v[139:140], v[141:142] offset0:18 offset1:19
	ds_write2_b64 v134, v[143:144], v[145:146] offset0:20 offset1:21
	v_mov_b32_e32 v128, v80
	v_mov_b32_e32 v129, v81
	v_mov_b32_e32 v137, v78
	v_mov_b32_e32 v138, v79
	v_mov_b32_e32 v139, v76
	v_mov_b32_e32 v140, v77
	v_mov_b32_e32 v141, v74
	v_mov_b32_e32 v142, v75
	v_mov_b32_e32 v143, v72
	v_mov_b32_e32 v144, v73
	v_mov_b32_e32 v145, v68
	v_mov_b32_e32 v146, v69
	v_mov_b32_e32 v147, v70
	v_mov_b32_e32 v148, v71
	v_mov_b32_e32 v149, v64
	v_mov_b32_e32 v150, v65
	v_mov_b32_e32 v151, v66
	v_mov_b32_e32 v152, v67
	v_mov_b32_e32 v153, v62
	v_mov_b32_e32 v154, v63
	ds_write2_b64 v134, v[128:129], v[137:138] offset0:22 offset1:23
	ds_write2_b64 v134, v[139:140], v[141:142] offset0:24 offset1:25
	ds_write2_b64 v134, v[143:144], v[145:146] offset0:26 offset1:27
	ds_write2_b64 v134, v[147:148], v[149:150] offset0:28 offset1:29
	ds_write2_b64 v134, v[151:152], v[153:154] offset0:30 offset1:31
	v_mov_b32_e32 v128, v60
	v_mov_b32_e32 v129, v61
	v_mov_b32_e32 v137, v58
	v_mov_b32_e32 v138, v59
	v_mov_b32_e32 v139, v56
	v_mov_b32_e32 v140, v57
	v_mov_b32_e32 v141, v54
	v_mov_b32_e32 v142, v55
	v_mov_b32_e32 v143, v52
	v_mov_b32_e32 v144, v53
	v_mov_b32_e32 v145, v48
	v_mov_b32_e32 v146, v49
	v_mov_b32_e32 v147, v50
	v_mov_b32_e32 v148, v51
	v_mov_b32_e32 v149, v44
	v_mov_b32_e32 v150, v45
	v_mov_b32_e32 v151, v46
	v_mov_b32_e32 v152, v47
	v_mov_b32_e32 v153, v42
	v_mov_b32_e32 v154, v43
	ds_write2_b64 v134, v[128:129], v[137:138] offset0:32 offset1:33
	ds_write2_b64 v134, v[139:140], v[141:142] offset0:34 offset1:35
	;; [unrolled: 25-line block ×3, first 2 shown]
	ds_write2_b64 v134, v[143:144], v[145:146] offset0:46 offset1:47
	ds_write2_b64 v134, v[147:148], v[149:150] offset0:48 offset1:49
	;; [unrolled: 1-line block ×3, first 2 shown]
	v_mov_b32_e32 v128, v20
	v_mov_b32_e32 v129, v21
	;; [unrolled: 1-line block ×8, first 2 shown]
	ds_write2_b64 v134, v[128:129], v[137:138] offset0:52 offset1:53
	v_mov_b32_e32 v137, 15
	v_mov_b32_e32 v143, v12
	;; [unrolled: 1-line block ×9, first 2 shown]
	ds_write2_b64 v134, v[139:140], v[141:142] offset0:54 offset1:55
	ds_write2_b64 v134, v[143:144], v[145:146] offset0:56 offset1:57
	;; [unrolled: 1-line block ×3, first 2 shown]
	ds_write_b64 v134, v[126:127] offset:480
.LBB120_265:
	s_or_b32 exec_lo, exec_lo, s0
	s_mov_b32 s0, exec_lo
	s_waitcnt lgkmcnt(0)
	s_waitcnt_vscnt null, 0x0
	s_barrier
	buffer_gl0_inv
	v_cmpx_lt_i32_e32 15, v137
	s_cbranch_execz .LBB120_267
; %bb.266:
	v_mul_f64 v[94:95], v[0:1], v[94:95]
	ds_read2_b64 v[138:141], v134 offset0:16 offset1:17
	ds_read2_b64 v[142:145], v134 offset0:18 offset1:19
	;; [unrolled: 1-line block ×11, first 2 shown]
	ds_read_b64 v[0:1], v134 offset:480
	s_waitcnt lgkmcnt(11)
	v_fma_f64 v[92:93], -v[94:95], v[138:139], v[92:93]
	v_fma_f64 v[88:89], -v[94:95], v[140:141], v[88:89]
	ds_read2_b64 v[138:141], v134 offset0:38 offset1:39
	s_waitcnt lgkmcnt(11)
	v_fma_f64 v[90:91], -v[94:95], v[142:143], v[90:91]
	v_fma_f64 v[84:85], -v[94:95], v[144:145], v[84:85]
	s_waitcnt lgkmcnt(10)
	v_fma_f64 v[86:87], -v[94:95], v[146:147], v[86:87]
	v_fma_f64 v[82:83], -v[94:95], v[148:149], v[82:83]
	;; [unrolled: 3-line block ×6, first 2 shown]
	ds_read2_b64 v[142:145], v134 offset0:40 offset1:41
	s_waitcnt lgkmcnt(6)
	v_fma_f64 v[66:67], -v[94:95], v[166:167], v[66:67]
	v_fma_f64 v[62:63], -v[94:95], v[168:169], v[62:63]
	ds_read2_b64 v[146:149], v134 offset0:42 offset1:43
	ds_read2_b64 v[150:153], v134 offset0:44 offset1:45
	s_waitcnt lgkmcnt(7)
	v_fma_f64 v[60:61], -v[94:95], v[170:171], v[60:61]
	v_fma_f64 v[58:59], -v[94:95], v[172:173], v[58:59]
	ds_read2_b64 v[154:157], v134 offset0:46 offset1:47
	;; [unrolled: 5-line block ×3, first 2 shown]
	ds_read2_b64 v[166:169], v134 offset0:52 offset1:53
	ds_read2_b64 v[170:173], v134 offset0:54 offset1:55
	;; [unrolled: 1-line block ×3, first 2 shown]
	s_waitcnt lgkmcnt(9)
	v_fma_f64 v[50:51], -v[94:95], v[138:139], v[50:51]
	v_fma_f64 v[44:45], -v[94:95], v[140:141], v[44:45]
	ds_read2_b64 v[138:141], v134 offset0:58 offset1:59
	v_fma_f64 v[52:53], -v[94:95], v[178:179], v[52:53]
	v_fma_f64 v[48:49], -v[94:95], v[180:181], v[48:49]
	s_waitcnt lgkmcnt(9)
	v_fma_f64 v[46:47], -v[94:95], v[142:143], v[46:47]
	v_fma_f64 v[42:43], -v[94:95], v[144:145], v[42:43]
	;; [unrolled: 1-line block ×3, first 2 shown]
	s_waitcnt lgkmcnt(8)
	v_fma_f64 v[40:41], -v[94:95], v[146:147], v[40:41]
	v_fma_f64 v[38:39], -v[94:95], v[148:149], v[38:39]
	s_waitcnt lgkmcnt(7)
	v_fma_f64 v[36:37], -v[94:95], v[150:151], v[36:37]
	v_fma_f64 v[34:35], -v[94:95], v[152:153], v[34:35]
	;; [unrolled: 3-line block ×9, first 2 shown]
.LBB120_267:
	s_or_b32 exec_lo, exec_lo, s0
	v_lshl_add_u32 v0, v137, 3, v134
	s_barrier
	buffer_gl0_inv
	v_mov_b32_e32 v128, 16
	ds_write_b64 v0, v[92:93]
	s_waitcnt lgkmcnt(0)
	s_barrier
	buffer_gl0_inv
	ds_read_b64 v[0:1], v134 offset:128
	s_cmp_lt_i32 s7, 18
	s_cbranch_scc1 .LBB120_270
; %bb.268:
	v_add3_u32 v129, v135, 0, 0x88
	v_mov_b32_e32 v128, 16
	s_mov_b32 s0, 17
.LBB120_269:                            ; =>This Inner Loop Header: Depth=1
	ds_read_b64 v[138:139], v129
	v_add_nc_u32_e32 v129, 8, v129
	s_waitcnt lgkmcnt(0)
	v_cmp_lt_f64_e64 vcc_lo, |v[0:1]|, |v[138:139]|
	v_cndmask_b32_e32 v1, v1, v139, vcc_lo
	v_cndmask_b32_e32 v0, v0, v138, vcc_lo
	v_cndmask_b32_e64 v128, v128, s0, vcc_lo
	s_add_i32 s0, s0, 1
	s_cmp_lg_u32 s7, s0
	s_cbranch_scc1 .LBB120_269
.LBB120_270:
	s_mov_b32 s0, exec_lo
	s_waitcnt lgkmcnt(0)
	v_cmpx_eq_f64_e32 0, v[0:1]
	s_xor_b32 s0, exec_lo, s0
; %bb.271:
	v_cmp_ne_u32_e32 vcc_lo, 0, v131
	v_cndmask_b32_e32 v131, 17, v131, vcc_lo
; %bb.272:
	s_andn2_saveexec_b32 s0, s0
	s_cbranch_execz .LBB120_274
; %bb.273:
	v_div_scale_f64 v[129:130], null, v[0:1], v[0:1], 1.0
	v_rcp_f64_e32 v[138:139], v[129:130]
	v_fma_f64 v[140:141], -v[129:130], v[138:139], 1.0
	v_fma_f64 v[138:139], v[138:139], v[140:141], v[138:139]
	v_fma_f64 v[140:141], -v[129:130], v[138:139], 1.0
	v_fma_f64 v[138:139], v[138:139], v[140:141], v[138:139]
	v_div_scale_f64 v[140:141], vcc_lo, 1.0, v[0:1], 1.0
	v_mul_f64 v[142:143], v[140:141], v[138:139]
	v_fma_f64 v[129:130], -v[129:130], v[142:143], v[140:141]
	v_div_fmas_f64 v[129:130], v[129:130], v[138:139], v[142:143]
	v_div_fixup_f64 v[0:1], v[129:130], v[0:1], 1.0
.LBB120_274:
	s_or_b32 exec_lo, exec_lo, s0
	s_mov_b32 s0, exec_lo
	v_cmpx_ne_u32_e64 v137, v128
	s_xor_b32 s0, exec_lo, s0
	s_cbranch_execz .LBB120_280
; %bb.275:
	s_mov_b32 s1, exec_lo
	v_cmpx_eq_u32_e32 16, v137
	s_cbranch_execz .LBB120_279
; %bb.276:
	v_cmp_ne_u32_e32 vcc_lo, 16, v128
	s_xor_b32 s2, s6, -1
	s_and_b32 s3, s2, vcc_lo
	s_and_saveexec_b32 s2, s3
	s_cbranch_execz .LBB120_278
; %bb.277:
	v_ashrrev_i32_e32 v129, 31, v128
	v_lshlrev_b64 v[129:130], 2, v[128:129]
	v_add_co_u32 v129, vcc_lo, v4, v129
	v_add_co_ci_u32_e64 v130, null, v5, v130, vcc_lo
	s_clause 0x1
	global_load_dword v136, v[129:130], off
	global_load_dword v137, v[4:5], off offset:64
	s_waitcnt vmcnt(1)
	global_store_dword v[4:5], v136, off offset:64
	s_waitcnt vmcnt(0)
	global_store_dword v[129:130], v137, off
.LBB120_278:
	s_or_b32 exec_lo, exec_lo, s2
	v_mov_b32_e32 v136, v128
	v_mov_b32_e32 v137, v128
.LBB120_279:
	s_or_b32 exec_lo, exec_lo, s1
.LBB120_280:
	s_andn2_saveexec_b32 s0, s0
	s_cbranch_execz .LBB120_282
; %bb.281:
	v_mov_b32_e32 v137, 16
	ds_write2_b64 v134, v[88:89], v[90:91] offset0:17 offset1:18
	ds_write2_b64 v134, v[84:85], v[86:87] offset0:19 offset1:20
	;; [unrolled: 1-line block ×22, first 2 shown]
.LBB120_282:
	s_or_b32 exec_lo, exec_lo, s0
	s_mov_b32 s0, exec_lo
	s_waitcnt lgkmcnt(0)
	s_waitcnt_vscnt null, 0x0
	s_barrier
	buffer_gl0_inv
	v_cmpx_lt_i32_e32 16, v137
	s_cbranch_execz .LBB120_284
; %bb.283:
	v_mul_f64 v[92:93], v[0:1], v[92:93]
	ds_read2_b64 v[138:141], v134 offset0:17 offset1:18
	ds_read2_b64 v[142:145], v134 offset0:19 offset1:20
	ds_read2_b64 v[146:149], v134 offset0:21 offset1:22
	ds_read2_b64 v[150:153], v134 offset0:23 offset1:24
	ds_read2_b64 v[154:157], v134 offset0:25 offset1:26
	ds_read2_b64 v[158:161], v134 offset0:27 offset1:28
	ds_read2_b64 v[162:165], v134 offset0:29 offset1:30
	ds_read2_b64 v[166:169], v134 offset0:31 offset1:32
	ds_read2_b64 v[170:173], v134 offset0:33 offset1:34
	ds_read2_b64 v[174:177], v134 offset0:35 offset1:36
	ds_read2_b64 v[178:181], v134 offset0:37 offset1:38
	s_waitcnt lgkmcnt(10)
	v_fma_f64 v[88:89], -v[92:93], v[138:139], v[88:89]
	v_fma_f64 v[90:91], -v[92:93], v[140:141], v[90:91]
	s_waitcnt lgkmcnt(9)
	v_fma_f64 v[84:85], -v[92:93], v[142:143], v[84:85]
	v_fma_f64 v[86:87], -v[92:93], v[144:145], v[86:87]
	;; [unrolled: 3-line block ×6, first 2 shown]
	ds_read2_b64 v[138:141], v134 offset0:39 offset1:40
	ds_read2_b64 v[142:145], v134 offset0:41 offset1:42
	s_waitcnt lgkmcnt(6)
	v_fma_f64 v[64:65], -v[92:93], v[162:163], v[64:65]
	v_fma_f64 v[66:67], -v[92:93], v[164:165], v[66:67]
	s_waitcnt lgkmcnt(5)
	v_fma_f64 v[62:63], -v[92:93], v[166:167], v[62:63]
	ds_read2_b64 v[146:149], v134 offset0:43 offset1:44
	ds_read2_b64 v[150:153], v134 offset0:45 offset1:46
	v_fma_f64 v[60:61], -v[92:93], v[168:169], v[60:61]
	s_waitcnt lgkmcnt(6)
	v_fma_f64 v[58:59], -v[92:93], v[170:171], v[58:59]
	ds_read2_b64 v[154:157], v134 offset0:47 offset1:48
	ds_read2_b64 v[158:161], v134 offset0:49 offset1:50
	;; [unrolled: 5-line block ×4, first 2 shown]
	v_fma_f64 v[50:51], -v[92:93], v[180:181], v[50:51]
	ds_read2_b64 v[178:181], v134 offset0:59 offset1:60
	s_waitcnt lgkmcnt(10)
	v_fma_f64 v[44:45], -v[92:93], v[138:139], v[44:45]
	v_fma_f64 v[46:47], -v[92:93], v[140:141], v[46:47]
	s_waitcnt lgkmcnt(9)
	v_fma_f64 v[42:43], -v[92:93], v[142:143], v[42:43]
	v_fma_f64 v[40:41], -v[92:93], v[144:145], v[40:41]
	;; [unrolled: 3-line block ×11, first 2 shown]
.LBB120_284:
	s_or_b32 exec_lo, exec_lo, s0
	v_lshl_add_u32 v0, v137, 3, v134
	s_barrier
	buffer_gl0_inv
	v_mov_b32_e32 v128, 17
	ds_write_b64 v0, v[88:89]
	s_waitcnt lgkmcnt(0)
	s_barrier
	buffer_gl0_inv
	ds_read_b64 v[0:1], v134 offset:136
	s_cmp_lt_i32 s7, 19
	s_cbranch_scc1 .LBB120_287
; %bb.285:
	v_add3_u32 v129, v135, 0, 0x90
	v_mov_b32_e32 v128, 17
	s_mov_b32 s0, 18
.LBB120_286:                            ; =>This Inner Loop Header: Depth=1
	ds_read_b64 v[138:139], v129
	v_add_nc_u32_e32 v129, 8, v129
	s_waitcnt lgkmcnt(0)
	v_cmp_lt_f64_e64 vcc_lo, |v[0:1]|, |v[138:139]|
	v_cndmask_b32_e32 v1, v1, v139, vcc_lo
	v_cndmask_b32_e32 v0, v0, v138, vcc_lo
	v_cndmask_b32_e64 v128, v128, s0, vcc_lo
	s_add_i32 s0, s0, 1
	s_cmp_lg_u32 s7, s0
	s_cbranch_scc1 .LBB120_286
.LBB120_287:
	s_mov_b32 s0, exec_lo
	s_waitcnt lgkmcnt(0)
	v_cmpx_eq_f64_e32 0, v[0:1]
	s_xor_b32 s0, exec_lo, s0
; %bb.288:
	v_cmp_ne_u32_e32 vcc_lo, 0, v131
	v_cndmask_b32_e32 v131, 18, v131, vcc_lo
; %bb.289:
	s_andn2_saveexec_b32 s0, s0
	s_cbranch_execz .LBB120_291
; %bb.290:
	v_div_scale_f64 v[129:130], null, v[0:1], v[0:1], 1.0
	v_rcp_f64_e32 v[138:139], v[129:130]
	v_fma_f64 v[140:141], -v[129:130], v[138:139], 1.0
	v_fma_f64 v[138:139], v[138:139], v[140:141], v[138:139]
	v_fma_f64 v[140:141], -v[129:130], v[138:139], 1.0
	v_fma_f64 v[138:139], v[138:139], v[140:141], v[138:139]
	v_div_scale_f64 v[140:141], vcc_lo, 1.0, v[0:1], 1.0
	v_mul_f64 v[142:143], v[140:141], v[138:139]
	v_fma_f64 v[129:130], -v[129:130], v[142:143], v[140:141]
	v_div_fmas_f64 v[129:130], v[129:130], v[138:139], v[142:143]
	v_div_fixup_f64 v[0:1], v[129:130], v[0:1], 1.0
.LBB120_291:
	s_or_b32 exec_lo, exec_lo, s0
	s_mov_b32 s0, exec_lo
	v_cmpx_ne_u32_e64 v137, v128
	s_xor_b32 s0, exec_lo, s0
	s_cbranch_execz .LBB120_297
; %bb.292:
	s_mov_b32 s1, exec_lo
	v_cmpx_eq_u32_e32 17, v137
	s_cbranch_execz .LBB120_296
; %bb.293:
	v_cmp_ne_u32_e32 vcc_lo, 17, v128
	s_xor_b32 s2, s6, -1
	s_and_b32 s3, s2, vcc_lo
	s_and_saveexec_b32 s2, s3
	s_cbranch_execz .LBB120_295
; %bb.294:
	v_ashrrev_i32_e32 v129, 31, v128
	v_lshlrev_b64 v[129:130], 2, v[128:129]
	v_add_co_u32 v129, vcc_lo, v4, v129
	v_add_co_ci_u32_e64 v130, null, v5, v130, vcc_lo
	s_clause 0x1
	global_load_dword v136, v[129:130], off
	global_load_dword v137, v[4:5], off offset:68
	s_waitcnt vmcnt(1)
	global_store_dword v[4:5], v136, off offset:68
	s_waitcnt vmcnt(0)
	global_store_dword v[129:130], v137, off
.LBB120_295:
	s_or_b32 exec_lo, exec_lo, s2
	v_mov_b32_e32 v136, v128
	v_mov_b32_e32 v137, v128
.LBB120_296:
	s_or_b32 exec_lo, exec_lo, s1
.LBB120_297:
	s_andn2_saveexec_b32 s0, s0
	s_cbranch_execz .LBB120_299
; %bb.298:
	v_mov_b32_e32 v128, v90
	v_mov_b32_e32 v129, v91
	;; [unrolled: 1-line block ×8, first 2 shown]
	ds_write2_b64 v134, v[128:129], v[137:138] offset0:18 offset1:19
	ds_write2_b64 v134, v[139:140], v[141:142] offset0:20 offset1:21
	v_mov_b32_e32 v128, v80
	v_mov_b32_e32 v129, v81
	v_mov_b32_e32 v137, v78
	v_mov_b32_e32 v138, v79
	v_mov_b32_e32 v139, v76
	v_mov_b32_e32 v140, v77
	v_mov_b32_e32 v141, v74
	v_mov_b32_e32 v142, v75
	v_mov_b32_e32 v143, v72
	v_mov_b32_e32 v144, v73
	v_mov_b32_e32 v145, v68
	v_mov_b32_e32 v146, v69
	v_mov_b32_e32 v147, v70
	v_mov_b32_e32 v148, v71
	v_mov_b32_e32 v149, v64
	v_mov_b32_e32 v150, v65
	v_mov_b32_e32 v151, v66
	v_mov_b32_e32 v152, v67
	v_mov_b32_e32 v153, v62
	v_mov_b32_e32 v154, v63
	ds_write2_b64 v134, v[128:129], v[137:138] offset0:22 offset1:23
	ds_write2_b64 v134, v[139:140], v[141:142] offset0:24 offset1:25
	ds_write2_b64 v134, v[143:144], v[145:146] offset0:26 offset1:27
	ds_write2_b64 v134, v[147:148], v[149:150] offset0:28 offset1:29
	ds_write2_b64 v134, v[151:152], v[153:154] offset0:30 offset1:31
	v_mov_b32_e32 v128, v60
	v_mov_b32_e32 v129, v61
	v_mov_b32_e32 v137, v58
	v_mov_b32_e32 v138, v59
	v_mov_b32_e32 v139, v56
	v_mov_b32_e32 v140, v57
	v_mov_b32_e32 v141, v54
	v_mov_b32_e32 v142, v55
	v_mov_b32_e32 v143, v52
	v_mov_b32_e32 v144, v53
	v_mov_b32_e32 v145, v48
	v_mov_b32_e32 v146, v49
	v_mov_b32_e32 v147, v50
	v_mov_b32_e32 v148, v51
	v_mov_b32_e32 v149, v44
	v_mov_b32_e32 v150, v45
	v_mov_b32_e32 v151, v46
	v_mov_b32_e32 v152, v47
	v_mov_b32_e32 v153, v42
	v_mov_b32_e32 v154, v43
	ds_write2_b64 v134, v[128:129], v[137:138] offset0:32 offset1:33
	ds_write2_b64 v134, v[139:140], v[141:142] offset0:34 offset1:35
	ds_write2_b64 v134, v[143:144], v[145:146] offset0:36 offset1:37
	;; [unrolled: 25-line block ×3, first 2 shown]
	ds_write2_b64 v134, v[147:148], v[149:150] offset0:48 offset1:49
	ds_write2_b64 v134, v[151:152], v[153:154] offset0:50 offset1:51
	v_mov_b32_e32 v128, v20
	v_mov_b32_e32 v129, v21
	v_mov_b32_e32 v137, v18
	v_mov_b32_e32 v138, v19
	v_mov_b32_e32 v139, v16
	v_mov_b32_e32 v140, v17
	v_mov_b32_e32 v141, v14
	v_mov_b32_e32 v142, v15
	ds_write2_b64 v134, v[128:129], v[137:138] offset0:52 offset1:53
	v_mov_b32_e32 v137, 17
	v_mov_b32_e32 v143, v12
	;; [unrolled: 1-line block ×9, first 2 shown]
	ds_write2_b64 v134, v[139:140], v[141:142] offset0:54 offset1:55
	ds_write2_b64 v134, v[143:144], v[145:146] offset0:56 offset1:57
	;; [unrolled: 1-line block ×3, first 2 shown]
	ds_write_b64 v134, v[126:127] offset:480
.LBB120_299:
	s_or_b32 exec_lo, exec_lo, s0
	s_mov_b32 s0, exec_lo
	s_waitcnt lgkmcnt(0)
	s_waitcnt_vscnt null, 0x0
	s_barrier
	buffer_gl0_inv
	v_cmpx_lt_i32_e32 17, v137
	s_cbranch_execz .LBB120_301
; %bb.300:
	v_mul_f64 v[88:89], v[0:1], v[88:89]
	ds_read2_b64 v[138:141], v134 offset0:18 offset1:19
	ds_read2_b64 v[142:145], v134 offset0:20 offset1:21
	;; [unrolled: 1-line block ×11, first 2 shown]
	ds_read_b64 v[0:1], v134 offset:480
	s_waitcnt lgkmcnt(11)
	v_fma_f64 v[90:91], -v[88:89], v[138:139], v[90:91]
	v_fma_f64 v[84:85], -v[88:89], v[140:141], v[84:85]
	s_waitcnt lgkmcnt(10)
	v_fma_f64 v[86:87], -v[88:89], v[142:143], v[86:87]
	v_fma_f64 v[82:83], -v[88:89], v[144:145], v[82:83]
	;; [unrolled: 3-line block ×6, first 2 shown]
	ds_read2_b64 v[138:141], v134 offset0:40 offset1:41
	ds_read2_b64 v[142:145], v134 offset0:42 offset1:43
	s_waitcnt lgkmcnt(7)
	v_fma_f64 v[66:67], -v[88:89], v[162:163], v[66:67]
	v_fma_f64 v[62:63], -v[88:89], v[164:165], v[62:63]
	s_waitcnt lgkmcnt(6)
	v_fma_f64 v[60:61], -v[88:89], v[166:167], v[60:61]
	ds_read2_b64 v[146:149], v134 offset0:44 offset1:45
	ds_read2_b64 v[150:153], v134 offset0:46 offset1:47
	v_fma_f64 v[58:59], -v[88:89], v[168:169], v[58:59]
	s_waitcnt lgkmcnt(7)
	v_fma_f64 v[56:57], -v[88:89], v[170:171], v[56:57]
	ds_read2_b64 v[154:157], v134 offset0:48 offset1:49
	ds_read2_b64 v[158:161], v134 offset0:50 offset1:51
	;; [unrolled: 5-line block ×3, first 2 shown]
	v_fma_f64 v[48:49], -v[88:89], v[176:177], v[48:49]
	ds_read2_b64 v[170:173], v134 offset0:56 offset1:57
	ds_read2_b64 v[174:177], v134 offset0:58 offset1:59
	s_waitcnt lgkmcnt(11)
	v_fma_f64 v[50:51], -v[88:89], v[178:179], v[50:51]
	v_fma_f64 v[44:45], -v[88:89], v[180:181], v[44:45]
	s_waitcnt lgkmcnt(9)
	v_fma_f64 v[46:47], -v[88:89], v[138:139], v[46:47]
	v_fma_f64 v[42:43], -v[88:89], v[140:141], v[42:43]
	;; [unrolled: 3-line block ×3, first 2 shown]
	v_fma_f64 v[126:127], -v[88:89], v[0:1], v[126:127]
	s_waitcnt lgkmcnt(7)
	v_fma_f64 v[36:37], -v[88:89], v[146:147], v[36:37]
	v_fma_f64 v[34:35], -v[88:89], v[148:149], v[34:35]
	s_waitcnt lgkmcnt(6)
	v_fma_f64 v[32:33], -v[88:89], v[150:151], v[32:33]
	;; [unrolled: 3-line block ×8, first 2 shown]
	v_fma_f64 v[6:7], -v[88:89], v[176:177], v[6:7]
.LBB120_301:
	s_or_b32 exec_lo, exec_lo, s0
	v_lshl_add_u32 v0, v137, 3, v134
	s_barrier
	buffer_gl0_inv
	v_mov_b32_e32 v128, 18
	ds_write_b64 v0, v[90:91]
	s_waitcnt lgkmcnt(0)
	s_barrier
	buffer_gl0_inv
	ds_read_b64 v[0:1], v134 offset:144
	s_cmp_lt_i32 s7, 20
	s_cbranch_scc1 .LBB120_304
; %bb.302:
	v_add3_u32 v129, v135, 0, 0x98
	v_mov_b32_e32 v128, 18
	s_mov_b32 s0, 19
.LBB120_303:                            ; =>This Inner Loop Header: Depth=1
	ds_read_b64 v[138:139], v129
	v_add_nc_u32_e32 v129, 8, v129
	s_waitcnt lgkmcnt(0)
	v_cmp_lt_f64_e64 vcc_lo, |v[0:1]|, |v[138:139]|
	v_cndmask_b32_e32 v1, v1, v139, vcc_lo
	v_cndmask_b32_e32 v0, v0, v138, vcc_lo
	v_cndmask_b32_e64 v128, v128, s0, vcc_lo
	s_add_i32 s0, s0, 1
	s_cmp_lg_u32 s7, s0
	s_cbranch_scc1 .LBB120_303
.LBB120_304:
	s_mov_b32 s0, exec_lo
	s_waitcnt lgkmcnt(0)
	v_cmpx_eq_f64_e32 0, v[0:1]
	s_xor_b32 s0, exec_lo, s0
; %bb.305:
	v_cmp_ne_u32_e32 vcc_lo, 0, v131
	v_cndmask_b32_e32 v131, 19, v131, vcc_lo
; %bb.306:
	s_andn2_saveexec_b32 s0, s0
	s_cbranch_execz .LBB120_308
; %bb.307:
	v_div_scale_f64 v[129:130], null, v[0:1], v[0:1], 1.0
	v_rcp_f64_e32 v[138:139], v[129:130]
	v_fma_f64 v[140:141], -v[129:130], v[138:139], 1.0
	v_fma_f64 v[138:139], v[138:139], v[140:141], v[138:139]
	v_fma_f64 v[140:141], -v[129:130], v[138:139], 1.0
	v_fma_f64 v[138:139], v[138:139], v[140:141], v[138:139]
	v_div_scale_f64 v[140:141], vcc_lo, 1.0, v[0:1], 1.0
	v_mul_f64 v[142:143], v[140:141], v[138:139]
	v_fma_f64 v[129:130], -v[129:130], v[142:143], v[140:141]
	v_div_fmas_f64 v[129:130], v[129:130], v[138:139], v[142:143]
	v_div_fixup_f64 v[0:1], v[129:130], v[0:1], 1.0
.LBB120_308:
	s_or_b32 exec_lo, exec_lo, s0
	s_mov_b32 s0, exec_lo
	v_cmpx_ne_u32_e64 v137, v128
	s_xor_b32 s0, exec_lo, s0
	s_cbranch_execz .LBB120_314
; %bb.309:
	s_mov_b32 s1, exec_lo
	v_cmpx_eq_u32_e32 18, v137
	s_cbranch_execz .LBB120_313
; %bb.310:
	v_cmp_ne_u32_e32 vcc_lo, 18, v128
	s_xor_b32 s2, s6, -1
	s_and_b32 s3, s2, vcc_lo
	s_and_saveexec_b32 s2, s3
	s_cbranch_execz .LBB120_312
; %bb.311:
	v_ashrrev_i32_e32 v129, 31, v128
	v_lshlrev_b64 v[129:130], 2, v[128:129]
	v_add_co_u32 v129, vcc_lo, v4, v129
	v_add_co_ci_u32_e64 v130, null, v5, v130, vcc_lo
	s_clause 0x1
	global_load_dword v136, v[129:130], off
	global_load_dword v137, v[4:5], off offset:72
	s_waitcnt vmcnt(1)
	global_store_dword v[4:5], v136, off offset:72
	s_waitcnt vmcnt(0)
	global_store_dword v[129:130], v137, off
.LBB120_312:
	s_or_b32 exec_lo, exec_lo, s2
	v_mov_b32_e32 v136, v128
	v_mov_b32_e32 v137, v128
.LBB120_313:
	s_or_b32 exec_lo, exec_lo, s1
.LBB120_314:
	s_andn2_saveexec_b32 s0, s0
	s_cbranch_execz .LBB120_316
; %bb.315:
	v_mov_b32_e32 v137, 18
	ds_write2_b64 v134, v[84:85], v[86:87] offset0:19 offset1:20
	ds_write2_b64 v134, v[82:83], v[80:81] offset0:21 offset1:22
	;; [unrolled: 1-line block ×21, first 2 shown]
.LBB120_316:
	s_or_b32 exec_lo, exec_lo, s0
	s_mov_b32 s0, exec_lo
	s_waitcnt lgkmcnt(0)
	s_waitcnt_vscnt null, 0x0
	s_barrier
	buffer_gl0_inv
	v_cmpx_lt_i32_e32 18, v137
	s_cbranch_execz .LBB120_318
; %bb.317:
	v_mul_f64 v[90:91], v[0:1], v[90:91]
	ds_read2_b64 v[138:141], v134 offset0:19 offset1:20
	ds_read2_b64 v[142:145], v134 offset0:21 offset1:22
	;; [unrolled: 1-line block ×11, first 2 shown]
	s_waitcnt lgkmcnt(10)
	v_fma_f64 v[84:85], -v[90:91], v[138:139], v[84:85]
	v_fma_f64 v[86:87], -v[90:91], v[140:141], v[86:87]
	s_waitcnt lgkmcnt(9)
	v_fma_f64 v[82:83], -v[90:91], v[142:143], v[82:83]
	v_fma_f64 v[80:81], -v[90:91], v[144:145], v[80:81]
	;; [unrolled: 3-line block ×6, first 2 shown]
	ds_read2_b64 v[138:141], v134 offset0:41 offset1:42
	ds_read2_b64 v[142:145], v134 offset0:43 offset1:44
	s_waitcnt lgkmcnt(6)
	v_fma_f64 v[62:63], -v[90:91], v[162:163], v[62:63]
	v_fma_f64 v[60:61], -v[90:91], v[164:165], v[60:61]
	ds_read2_b64 v[146:149], v134 offset0:45 offset1:46
	ds_read2_b64 v[150:153], v134 offset0:47 offset1:48
	s_waitcnt lgkmcnt(7)
	v_fma_f64 v[58:59], -v[90:91], v[166:167], v[58:59]
	v_fma_f64 v[56:57], -v[90:91], v[168:169], v[56:57]
	;; [unrolled: 5-line block ×5, first 2 shown]
	s_waitcnt lgkmcnt(9)
	v_fma_f64 v[42:43], -v[90:91], v[138:139], v[42:43]
	v_fma_f64 v[40:41], -v[90:91], v[140:141], v[40:41]
	s_waitcnt lgkmcnt(8)
	v_fma_f64 v[38:39], -v[90:91], v[142:143], v[38:39]
	v_fma_f64 v[36:37], -v[90:91], v[144:145], v[36:37]
	;; [unrolled: 3-line block ×10, first 2 shown]
.LBB120_318:
	s_or_b32 exec_lo, exec_lo, s0
	v_lshl_add_u32 v0, v137, 3, v134
	s_barrier
	buffer_gl0_inv
	v_mov_b32_e32 v128, 19
	ds_write_b64 v0, v[84:85]
	s_waitcnt lgkmcnt(0)
	s_barrier
	buffer_gl0_inv
	ds_read_b64 v[0:1], v134 offset:152
	s_cmp_lt_i32 s7, 21
	s_cbranch_scc1 .LBB120_321
; %bb.319:
	v_add3_u32 v129, v135, 0, 0xa0
	v_mov_b32_e32 v128, 19
	s_mov_b32 s0, 20
.LBB120_320:                            ; =>This Inner Loop Header: Depth=1
	ds_read_b64 v[138:139], v129
	v_add_nc_u32_e32 v129, 8, v129
	s_waitcnt lgkmcnt(0)
	v_cmp_lt_f64_e64 vcc_lo, |v[0:1]|, |v[138:139]|
	v_cndmask_b32_e32 v1, v1, v139, vcc_lo
	v_cndmask_b32_e32 v0, v0, v138, vcc_lo
	v_cndmask_b32_e64 v128, v128, s0, vcc_lo
	s_add_i32 s0, s0, 1
	s_cmp_lg_u32 s7, s0
	s_cbranch_scc1 .LBB120_320
.LBB120_321:
	s_mov_b32 s0, exec_lo
	s_waitcnt lgkmcnt(0)
	v_cmpx_eq_f64_e32 0, v[0:1]
	s_xor_b32 s0, exec_lo, s0
; %bb.322:
	v_cmp_ne_u32_e32 vcc_lo, 0, v131
	v_cndmask_b32_e32 v131, 20, v131, vcc_lo
; %bb.323:
	s_andn2_saveexec_b32 s0, s0
	s_cbranch_execz .LBB120_325
; %bb.324:
	v_div_scale_f64 v[129:130], null, v[0:1], v[0:1], 1.0
	v_rcp_f64_e32 v[138:139], v[129:130]
	v_fma_f64 v[140:141], -v[129:130], v[138:139], 1.0
	v_fma_f64 v[138:139], v[138:139], v[140:141], v[138:139]
	v_fma_f64 v[140:141], -v[129:130], v[138:139], 1.0
	v_fma_f64 v[138:139], v[138:139], v[140:141], v[138:139]
	v_div_scale_f64 v[140:141], vcc_lo, 1.0, v[0:1], 1.0
	v_mul_f64 v[142:143], v[140:141], v[138:139]
	v_fma_f64 v[129:130], -v[129:130], v[142:143], v[140:141]
	v_div_fmas_f64 v[129:130], v[129:130], v[138:139], v[142:143]
	v_div_fixup_f64 v[0:1], v[129:130], v[0:1], 1.0
.LBB120_325:
	s_or_b32 exec_lo, exec_lo, s0
	s_mov_b32 s0, exec_lo
	v_cmpx_ne_u32_e64 v137, v128
	s_xor_b32 s0, exec_lo, s0
	s_cbranch_execz .LBB120_331
; %bb.326:
	s_mov_b32 s1, exec_lo
	v_cmpx_eq_u32_e32 19, v137
	s_cbranch_execz .LBB120_330
; %bb.327:
	v_cmp_ne_u32_e32 vcc_lo, 19, v128
	s_xor_b32 s2, s6, -1
	s_and_b32 s3, s2, vcc_lo
	s_and_saveexec_b32 s2, s3
	s_cbranch_execz .LBB120_329
; %bb.328:
	v_ashrrev_i32_e32 v129, 31, v128
	v_lshlrev_b64 v[129:130], 2, v[128:129]
	v_add_co_u32 v129, vcc_lo, v4, v129
	v_add_co_ci_u32_e64 v130, null, v5, v130, vcc_lo
	s_clause 0x1
	global_load_dword v136, v[129:130], off
	global_load_dword v137, v[4:5], off offset:76
	s_waitcnt vmcnt(1)
	global_store_dword v[4:5], v136, off offset:76
	s_waitcnt vmcnt(0)
	global_store_dword v[129:130], v137, off
.LBB120_329:
	s_or_b32 exec_lo, exec_lo, s2
	v_mov_b32_e32 v136, v128
	v_mov_b32_e32 v137, v128
.LBB120_330:
	s_or_b32 exec_lo, exec_lo, s1
.LBB120_331:
	s_andn2_saveexec_b32 s0, s0
	s_cbranch_execz .LBB120_333
; %bb.332:
	v_mov_b32_e32 v128, v86
	v_mov_b32_e32 v129, v87
	;; [unrolled: 1-line block ×8, first 2 shown]
	ds_write2_b64 v134, v[128:129], v[137:138] offset0:20 offset1:21
	v_mov_b32_e32 v128, v78
	v_mov_b32_e32 v129, v79
	v_mov_b32_e32 v137, v76
	v_mov_b32_e32 v138, v77
	v_mov_b32_e32 v143, v72
	v_mov_b32_e32 v144, v73
	v_mov_b32_e32 v145, v68
	v_mov_b32_e32 v146, v69
	v_mov_b32_e32 v147, v70
	v_mov_b32_e32 v148, v71
	v_mov_b32_e32 v149, v64
	v_mov_b32_e32 v150, v65
	v_mov_b32_e32 v151, v66
	v_mov_b32_e32 v152, v67
	v_mov_b32_e32 v153, v62
	v_mov_b32_e32 v154, v63
	ds_write2_b64 v134, v[139:140], v[128:129] offset0:22 offset1:23
	ds_write2_b64 v134, v[137:138], v[141:142] offset0:24 offset1:25
	ds_write2_b64 v134, v[143:144], v[145:146] offset0:26 offset1:27
	ds_write2_b64 v134, v[147:148], v[149:150] offset0:28 offset1:29
	ds_write2_b64 v134, v[151:152], v[153:154] offset0:30 offset1:31
	v_mov_b32_e32 v128, v60
	v_mov_b32_e32 v129, v61
	v_mov_b32_e32 v137, v58
	v_mov_b32_e32 v138, v59
	v_mov_b32_e32 v139, v56
	v_mov_b32_e32 v140, v57
	v_mov_b32_e32 v141, v54
	v_mov_b32_e32 v142, v55
	v_mov_b32_e32 v143, v52
	v_mov_b32_e32 v144, v53
	v_mov_b32_e32 v145, v48
	v_mov_b32_e32 v146, v49
	v_mov_b32_e32 v147, v50
	v_mov_b32_e32 v148, v51
	v_mov_b32_e32 v149, v44
	v_mov_b32_e32 v150, v45
	v_mov_b32_e32 v151, v46
	v_mov_b32_e32 v152, v47
	v_mov_b32_e32 v153, v42
	v_mov_b32_e32 v154, v43
	ds_write2_b64 v134, v[128:129], v[137:138] offset0:32 offset1:33
	ds_write2_b64 v134, v[139:140], v[141:142] offset0:34 offset1:35
	ds_write2_b64 v134, v[143:144], v[145:146] offset0:36 offset1:37
	ds_write2_b64 v134, v[147:148], v[149:150] offset0:38 offset1:39
	ds_write2_b64 v134, v[151:152], v[153:154] offset0:40 offset1:41
	v_mov_b32_e32 v128, v40
	v_mov_b32_e32 v129, v41
	v_mov_b32_e32 v137, v38
	v_mov_b32_e32 v138, v39
	;; [unrolled: 25-line block ×3, first 2 shown]
	v_mov_b32_e32 v139, v16
	v_mov_b32_e32 v140, v17
	;; [unrolled: 1-line block ×4, first 2 shown]
	ds_write2_b64 v134, v[128:129], v[137:138] offset0:52 offset1:53
	v_mov_b32_e32 v137, 19
	v_mov_b32_e32 v143, v12
	;; [unrolled: 1-line block ×9, first 2 shown]
	ds_write2_b64 v134, v[139:140], v[141:142] offset0:54 offset1:55
	ds_write2_b64 v134, v[143:144], v[145:146] offset0:56 offset1:57
	;; [unrolled: 1-line block ×3, first 2 shown]
	ds_write_b64 v134, v[126:127] offset:480
.LBB120_333:
	s_or_b32 exec_lo, exec_lo, s0
	s_mov_b32 s0, exec_lo
	s_waitcnt lgkmcnt(0)
	s_waitcnt_vscnt null, 0x0
	s_barrier
	buffer_gl0_inv
	v_cmpx_lt_i32_e32 19, v137
	s_cbranch_execz .LBB120_335
; %bb.334:
	v_mul_f64 v[84:85], v[0:1], v[84:85]
	ds_read2_b64 v[138:141], v134 offset0:20 offset1:21
	ds_read2_b64 v[142:145], v134 offset0:22 offset1:23
	;; [unrolled: 1-line block ×11, first 2 shown]
	ds_read_b64 v[0:1], v134 offset:480
	s_waitcnt lgkmcnt(11)
	v_fma_f64 v[86:87], -v[84:85], v[138:139], v[86:87]
	v_fma_f64 v[82:83], -v[84:85], v[140:141], v[82:83]
	s_waitcnt lgkmcnt(10)
	v_fma_f64 v[80:81], -v[84:85], v[142:143], v[80:81]
	v_fma_f64 v[78:79], -v[84:85], v[144:145], v[78:79]
	;; [unrolled: 3-line block ×6, first 2 shown]
	ds_read2_b64 v[138:141], v134 offset0:42 offset1:43
	ds_read2_b64 v[142:145], v134 offset0:44 offset1:45
	s_waitcnt lgkmcnt(7)
	v_fma_f64 v[60:61], -v[84:85], v[162:163], v[60:61]
	v_fma_f64 v[58:59], -v[84:85], v[164:165], v[58:59]
	ds_read2_b64 v[146:149], v134 offset0:46 offset1:47
	ds_read2_b64 v[150:153], v134 offset0:48 offset1:49
	s_waitcnt lgkmcnt(8)
	v_fma_f64 v[56:57], -v[84:85], v[166:167], v[56:57]
	v_fma_f64 v[54:55], -v[84:85], v[168:169], v[54:55]
	;; [unrolled: 5-line block ×3, first 2 shown]
	ds_read2_b64 v[162:165], v134 offset0:54 offset1:55
	ds_read2_b64 v[166:169], v134 offset0:56 offset1:57
	;; [unrolled: 1-line block ×3, first 2 shown]
	s_waitcnt lgkmcnt(11)
	v_fma_f64 v[50:51], -v[84:85], v[174:175], v[50:51]
	v_fma_f64 v[44:45], -v[84:85], v[176:177], v[44:45]
	s_waitcnt lgkmcnt(10)
	v_fma_f64 v[46:47], -v[84:85], v[178:179], v[46:47]
	v_fma_f64 v[42:43], -v[84:85], v[180:181], v[42:43]
	s_waitcnt lgkmcnt(9)
	v_fma_f64 v[126:127], -v[84:85], v[0:1], v[126:127]
	s_waitcnt lgkmcnt(8)
	v_fma_f64 v[40:41], -v[84:85], v[138:139], v[40:41]
	v_fma_f64 v[38:39], -v[84:85], v[140:141], v[38:39]
	s_waitcnt lgkmcnt(7)
	v_fma_f64 v[36:37], -v[84:85], v[142:143], v[36:37]
	;; [unrolled: 3-line block ×9, first 2 shown]
	v_fma_f64 v[6:7], -v[84:85], v[172:173], v[6:7]
.LBB120_335:
	s_or_b32 exec_lo, exec_lo, s0
	v_lshl_add_u32 v0, v137, 3, v134
	s_barrier
	buffer_gl0_inv
	v_mov_b32_e32 v128, 20
	ds_write_b64 v0, v[86:87]
	s_waitcnt lgkmcnt(0)
	s_barrier
	buffer_gl0_inv
	ds_read_b64 v[0:1], v134 offset:160
	s_cmp_lt_i32 s7, 22
	s_cbranch_scc1 .LBB120_338
; %bb.336:
	v_add3_u32 v129, v135, 0, 0xa8
	v_mov_b32_e32 v128, 20
	s_mov_b32 s0, 21
.LBB120_337:                            ; =>This Inner Loop Header: Depth=1
	ds_read_b64 v[138:139], v129
	v_add_nc_u32_e32 v129, 8, v129
	s_waitcnt lgkmcnt(0)
	v_cmp_lt_f64_e64 vcc_lo, |v[0:1]|, |v[138:139]|
	v_cndmask_b32_e32 v1, v1, v139, vcc_lo
	v_cndmask_b32_e32 v0, v0, v138, vcc_lo
	v_cndmask_b32_e64 v128, v128, s0, vcc_lo
	s_add_i32 s0, s0, 1
	s_cmp_lg_u32 s7, s0
	s_cbranch_scc1 .LBB120_337
.LBB120_338:
	s_mov_b32 s0, exec_lo
	s_waitcnt lgkmcnt(0)
	v_cmpx_eq_f64_e32 0, v[0:1]
	s_xor_b32 s0, exec_lo, s0
; %bb.339:
	v_cmp_ne_u32_e32 vcc_lo, 0, v131
	v_cndmask_b32_e32 v131, 21, v131, vcc_lo
; %bb.340:
	s_andn2_saveexec_b32 s0, s0
	s_cbranch_execz .LBB120_342
; %bb.341:
	v_div_scale_f64 v[129:130], null, v[0:1], v[0:1], 1.0
	v_rcp_f64_e32 v[138:139], v[129:130]
	v_fma_f64 v[140:141], -v[129:130], v[138:139], 1.0
	v_fma_f64 v[138:139], v[138:139], v[140:141], v[138:139]
	v_fma_f64 v[140:141], -v[129:130], v[138:139], 1.0
	v_fma_f64 v[138:139], v[138:139], v[140:141], v[138:139]
	v_div_scale_f64 v[140:141], vcc_lo, 1.0, v[0:1], 1.0
	v_mul_f64 v[142:143], v[140:141], v[138:139]
	v_fma_f64 v[129:130], -v[129:130], v[142:143], v[140:141]
	v_div_fmas_f64 v[129:130], v[129:130], v[138:139], v[142:143]
	v_div_fixup_f64 v[0:1], v[129:130], v[0:1], 1.0
.LBB120_342:
	s_or_b32 exec_lo, exec_lo, s0
	s_mov_b32 s0, exec_lo
	v_cmpx_ne_u32_e64 v137, v128
	s_xor_b32 s0, exec_lo, s0
	s_cbranch_execz .LBB120_348
; %bb.343:
	s_mov_b32 s1, exec_lo
	v_cmpx_eq_u32_e32 20, v137
	s_cbranch_execz .LBB120_347
; %bb.344:
	v_cmp_ne_u32_e32 vcc_lo, 20, v128
	s_xor_b32 s2, s6, -1
	s_and_b32 s3, s2, vcc_lo
	s_and_saveexec_b32 s2, s3
	s_cbranch_execz .LBB120_346
; %bb.345:
	v_ashrrev_i32_e32 v129, 31, v128
	v_lshlrev_b64 v[129:130], 2, v[128:129]
	v_add_co_u32 v129, vcc_lo, v4, v129
	v_add_co_ci_u32_e64 v130, null, v5, v130, vcc_lo
	s_clause 0x1
	global_load_dword v136, v[129:130], off
	global_load_dword v137, v[4:5], off offset:80
	s_waitcnt vmcnt(1)
	global_store_dword v[4:5], v136, off offset:80
	s_waitcnt vmcnt(0)
	global_store_dword v[129:130], v137, off
.LBB120_346:
	s_or_b32 exec_lo, exec_lo, s2
	v_mov_b32_e32 v136, v128
	v_mov_b32_e32 v137, v128
.LBB120_347:
	s_or_b32 exec_lo, exec_lo, s1
.LBB120_348:
	s_andn2_saveexec_b32 s0, s0
	s_cbranch_execz .LBB120_350
; %bb.349:
	v_mov_b32_e32 v137, 20
	ds_write2_b64 v134, v[82:83], v[80:81] offset0:21 offset1:22
	ds_write2_b64 v134, v[78:79], v[76:77] offset0:23 offset1:24
	;; [unrolled: 1-line block ×20, first 2 shown]
.LBB120_350:
	s_or_b32 exec_lo, exec_lo, s0
	s_mov_b32 s0, exec_lo
	s_waitcnt lgkmcnt(0)
	s_waitcnt_vscnt null, 0x0
	s_barrier
	buffer_gl0_inv
	v_cmpx_lt_i32_e32 20, v137
	s_cbranch_execz .LBB120_352
; %bb.351:
	v_mul_f64 v[86:87], v[0:1], v[86:87]
	ds_read2_b64 v[138:141], v134 offset0:21 offset1:22
	ds_read2_b64 v[142:145], v134 offset0:23 offset1:24
	;; [unrolled: 1-line block ×11, first 2 shown]
	s_waitcnt lgkmcnt(10)
	v_fma_f64 v[82:83], -v[86:87], v[138:139], v[82:83]
	v_fma_f64 v[80:81], -v[86:87], v[140:141], v[80:81]
	s_waitcnt lgkmcnt(9)
	v_fma_f64 v[78:79], -v[86:87], v[142:143], v[78:79]
	v_fma_f64 v[76:77], -v[86:87], v[144:145], v[76:77]
	;; [unrolled: 3-line block ×5, first 2 shown]
	s_waitcnt lgkmcnt(5)
	v_fma_f64 v[62:63], -v[86:87], v[158:159], v[62:63]
	ds_read2_b64 v[138:141], v134 offset0:43 offset1:44
	ds_read2_b64 v[142:145], v134 offset0:45 offset1:46
	v_fma_f64 v[60:61], -v[86:87], v[160:161], v[60:61]
	s_waitcnt lgkmcnt(6)
	v_fma_f64 v[58:59], -v[86:87], v[162:163], v[58:59]
	ds_read2_b64 v[146:149], v134 offset0:47 offset1:48
	ds_read2_b64 v[150:153], v134 offset0:49 offset1:50
	v_fma_f64 v[56:57], -v[86:87], v[164:165], v[56:57]
	;; [unrolled: 5-line block ×4, first 2 shown]
	ds_read2_b64 v[170:173], v134 offset0:59 offset1:60
	s_waitcnt lgkmcnt(10)
	v_fma_f64 v[44:45], -v[86:87], v[174:175], v[44:45]
	v_fma_f64 v[46:47], -v[86:87], v[176:177], v[46:47]
	s_waitcnt lgkmcnt(9)
	v_fma_f64 v[42:43], -v[86:87], v[178:179], v[42:43]
	v_fma_f64 v[40:41], -v[86:87], v[180:181], v[40:41]
	s_waitcnt lgkmcnt(8)
	v_fma_f64 v[38:39], -v[86:87], v[138:139], v[38:39]
	v_fma_f64 v[36:37], -v[86:87], v[140:141], v[36:37]
	s_waitcnt lgkmcnt(7)
	v_fma_f64 v[34:35], -v[86:87], v[142:143], v[34:35]
	v_fma_f64 v[32:33], -v[86:87], v[144:145], v[32:33]
	s_waitcnt lgkmcnt(6)
	v_fma_f64 v[28:29], -v[86:87], v[146:147], v[28:29]
	v_fma_f64 v[30:31], -v[86:87], v[148:149], v[30:31]
	s_waitcnt lgkmcnt(5)
	v_fma_f64 v[24:25], -v[86:87], v[150:151], v[24:25]
	v_fma_f64 v[26:27], -v[86:87], v[152:153], v[26:27]
	s_waitcnt lgkmcnt(4)
	v_fma_f64 v[22:23], -v[86:87], v[154:155], v[22:23]
	v_fma_f64 v[20:21], -v[86:87], v[156:157], v[20:21]
	s_waitcnt lgkmcnt(3)
	v_fma_f64 v[18:19], -v[86:87], v[158:159], v[18:19]
	v_fma_f64 v[16:17], -v[86:87], v[160:161], v[16:17]
	s_waitcnt lgkmcnt(2)
	v_fma_f64 v[14:15], -v[86:87], v[162:163], v[14:15]
	v_fma_f64 v[12:13], -v[86:87], v[164:165], v[12:13]
	s_waitcnt lgkmcnt(1)
	v_fma_f64 v[8:9], -v[86:87], v[166:167], v[8:9]
	v_fma_f64 v[10:11], -v[86:87], v[168:169], v[10:11]
	s_waitcnt lgkmcnt(0)
	v_fma_f64 v[6:7], -v[86:87], v[170:171], v[6:7]
	v_fma_f64 v[126:127], -v[86:87], v[172:173], v[126:127]
.LBB120_352:
	s_or_b32 exec_lo, exec_lo, s0
	v_lshl_add_u32 v0, v137, 3, v134
	s_barrier
	buffer_gl0_inv
	v_mov_b32_e32 v128, 21
	ds_write_b64 v0, v[82:83]
	s_waitcnt lgkmcnt(0)
	s_barrier
	buffer_gl0_inv
	ds_read_b64 v[0:1], v134 offset:168
	s_cmp_lt_i32 s7, 23
	s_cbranch_scc1 .LBB120_355
; %bb.353:
	v_add3_u32 v129, v135, 0, 0xb0
	v_mov_b32_e32 v128, 21
	s_mov_b32 s0, 22
.LBB120_354:                            ; =>This Inner Loop Header: Depth=1
	ds_read_b64 v[138:139], v129
	v_add_nc_u32_e32 v129, 8, v129
	s_waitcnt lgkmcnt(0)
	v_cmp_lt_f64_e64 vcc_lo, |v[0:1]|, |v[138:139]|
	v_cndmask_b32_e32 v1, v1, v139, vcc_lo
	v_cndmask_b32_e32 v0, v0, v138, vcc_lo
	v_cndmask_b32_e64 v128, v128, s0, vcc_lo
	s_add_i32 s0, s0, 1
	s_cmp_lg_u32 s7, s0
	s_cbranch_scc1 .LBB120_354
.LBB120_355:
	s_mov_b32 s0, exec_lo
	s_waitcnt lgkmcnt(0)
	v_cmpx_eq_f64_e32 0, v[0:1]
	s_xor_b32 s0, exec_lo, s0
; %bb.356:
	v_cmp_ne_u32_e32 vcc_lo, 0, v131
	v_cndmask_b32_e32 v131, 22, v131, vcc_lo
; %bb.357:
	s_andn2_saveexec_b32 s0, s0
	s_cbranch_execz .LBB120_359
; %bb.358:
	v_div_scale_f64 v[129:130], null, v[0:1], v[0:1], 1.0
	v_rcp_f64_e32 v[138:139], v[129:130]
	v_fma_f64 v[140:141], -v[129:130], v[138:139], 1.0
	v_fma_f64 v[138:139], v[138:139], v[140:141], v[138:139]
	v_fma_f64 v[140:141], -v[129:130], v[138:139], 1.0
	v_fma_f64 v[138:139], v[138:139], v[140:141], v[138:139]
	v_div_scale_f64 v[140:141], vcc_lo, 1.0, v[0:1], 1.0
	v_mul_f64 v[142:143], v[140:141], v[138:139]
	v_fma_f64 v[129:130], -v[129:130], v[142:143], v[140:141]
	v_div_fmas_f64 v[129:130], v[129:130], v[138:139], v[142:143]
	v_div_fixup_f64 v[0:1], v[129:130], v[0:1], 1.0
.LBB120_359:
	s_or_b32 exec_lo, exec_lo, s0
	s_mov_b32 s0, exec_lo
	v_cmpx_ne_u32_e64 v137, v128
	s_xor_b32 s0, exec_lo, s0
	s_cbranch_execz .LBB120_365
; %bb.360:
	s_mov_b32 s1, exec_lo
	v_cmpx_eq_u32_e32 21, v137
	s_cbranch_execz .LBB120_364
; %bb.361:
	v_cmp_ne_u32_e32 vcc_lo, 21, v128
	s_xor_b32 s2, s6, -1
	s_and_b32 s3, s2, vcc_lo
	s_and_saveexec_b32 s2, s3
	s_cbranch_execz .LBB120_363
; %bb.362:
	v_ashrrev_i32_e32 v129, 31, v128
	v_lshlrev_b64 v[129:130], 2, v[128:129]
	v_add_co_u32 v129, vcc_lo, v4, v129
	v_add_co_ci_u32_e64 v130, null, v5, v130, vcc_lo
	s_clause 0x1
	global_load_dword v136, v[129:130], off
	global_load_dword v137, v[4:5], off offset:84
	s_waitcnt vmcnt(1)
	global_store_dword v[4:5], v136, off offset:84
	s_waitcnt vmcnt(0)
	global_store_dword v[129:130], v137, off
.LBB120_363:
	s_or_b32 exec_lo, exec_lo, s2
	v_mov_b32_e32 v136, v128
	v_mov_b32_e32 v137, v128
.LBB120_364:
	s_or_b32 exec_lo, exec_lo, s1
.LBB120_365:
	s_andn2_saveexec_b32 s0, s0
	s_cbranch_execz .LBB120_367
; %bb.366:
	v_mov_b32_e32 v128, v80
	v_mov_b32_e32 v129, v81
	v_mov_b32_e32 v137, v78
	v_mov_b32_e32 v138, v79
	v_mov_b32_e32 v139, v76
	v_mov_b32_e32 v140, v77
	v_mov_b32_e32 v141, v74
	v_mov_b32_e32 v142, v75
	v_mov_b32_e32 v143, v72
	v_mov_b32_e32 v144, v73
	v_mov_b32_e32 v145, v68
	v_mov_b32_e32 v146, v69
	v_mov_b32_e32 v147, v70
	v_mov_b32_e32 v148, v71
	v_mov_b32_e32 v149, v64
	v_mov_b32_e32 v150, v65
	v_mov_b32_e32 v151, v66
	v_mov_b32_e32 v152, v67
	v_mov_b32_e32 v153, v62
	v_mov_b32_e32 v154, v63
	ds_write2_b64 v134, v[128:129], v[137:138] offset0:22 offset1:23
	ds_write2_b64 v134, v[139:140], v[141:142] offset0:24 offset1:25
	ds_write2_b64 v134, v[143:144], v[145:146] offset0:26 offset1:27
	ds_write2_b64 v134, v[147:148], v[149:150] offset0:28 offset1:29
	ds_write2_b64 v134, v[151:152], v[153:154] offset0:30 offset1:31
	v_mov_b32_e32 v128, v60
	v_mov_b32_e32 v129, v61
	v_mov_b32_e32 v137, v58
	v_mov_b32_e32 v138, v59
	v_mov_b32_e32 v139, v56
	v_mov_b32_e32 v140, v57
	v_mov_b32_e32 v141, v54
	v_mov_b32_e32 v142, v55
	v_mov_b32_e32 v143, v52
	v_mov_b32_e32 v144, v53
	v_mov_b32_e32 v145, v48
	v_mov_b32_e32 v146, v49
	v_mov_b32_e32 v147, v50
	v_mov_b32_e32 v148, v51
	v_mov_b32_e32 v149, v44
	v_mov_b32_e32 v150, v45
	v_mov_b32_e32 v151, v46
	v_mov_b32_e32 v152, v47
	v_mov_b32_e32 v153, v42
	v_mov_b32_e32 v154, v43
	ds_write2_b64 v134, v[128:129], v[137:138] offset0:32 offset1:33
	ds_write2_b64 v134, v[139:140], v[141:142] offset0:34 offset1:35
	ds_write2_b64 v134, v[143:144], v[145:146] offset0:36 offset1:37
	ds_write2_b64 v134, v[147:148], v[149:150] offset0:38 offset1:39
	ds_write2_b64 v134, v[151:152], v[153:154] offset0:40 offset1:41
	;; [unrolled: 25-line block ×3, first 2 shown]
	v_mov_b32_e32 v128, v20
	v_mov_b32_e32 v129, v21
	;; [unrolled: 1-line block ×8, first 2 shown]
	ds_write2_b64 v134, v[128:129], v[137:138] offset0:52 offset1:53
	v_mov_b32_e32 v137, 21
	v_mov_b32_e32 v143, v12
	;; [unrolled: 1-line block ×9, first 2 shown]
	ds_write2_b64 v134, v[139:140], v[141:142] offset0:54 offset1:55
	ds_write2_b64 v134, v[143:144], v[145:146] offset0:56 offset1:57
	ds_write2_b64 v134, v[147:148], v[149:150] offset0:58 offset1:59
	ds_write_b64 v134, v[126:127] offset:480
.LBB120_367:
	s_or_b32 exec_lo, exec_lo, s0
	s_mov_b32 s0, exec_lo
	s_waitcnt lgkmcnt(0)
	s_waitcnt_vscnt null, 0x0
	s_barrier
	buffer_gl0_inv
	v_cmpx_lt_i32_e32 21, v137
	s_cbranch_execz .LBB120_369
; %bb.368:
	v_mul_f64 v[82:83], v[0:1], v[82:83]
	ds_read2_b64 v[138:141], v134 offset0:22 offset1:23
	ds_read2_b64 v[142:145], v134 offset0:24 offset1:25
	;; [unrolled: 1-line block ×11, first 2 shown]
	ds_read_b64 v[0:1], v134 offset:480
	s_waitcnt lgkmcnt(11)
	v_fma_f64 v[80:81], -v[82:83], v[138:139], v[80:81]
	v_fma_f64 v[78:79], -v[82:83], v[140:141], v[78:79]
	s_waitcnt lgkmcnt(10)
	v_fma_f64 v[76:77], -v[82:83], v[142:143], v[76:77]
	v_fma_f64 v[74:75], -v[82:83], v[144:145], v[74:75]
	;; [unrolled: 3-line block ×5, first 2 shown]
	s_waitcnt lgkmcnt(6)
	v_fma_f64 v[60:61], -v[82:83], v[158:159], v[60:61]
	ds_read2_b64 v[138:141], v134 offset0:44 offset1:45
	ds_read2_b64 v[142:145], v134 offset0:46 offset1:47
	v_fma_f64 v[58:59], -v[82:83], v[160:161], v[58:59]
	s_waitcnt lgkmcnt(7)
	v_fma_f64 v[56:57], -v[82:83], v[162:163], v[56:57]
	ds_read2_b64 v[146:149], v134 offset0:48 offset1:49
	ds_read2_b64 v[150:153], v134 offset0:50 offset1:51
	v_fma_f64 v[54:55], -v[82:83], v[164:165], v[54:55]
	;; [unrolled: 5-line block ×3, first 2 shown]
	ds_read2_b64 v[162:165], v134 offset0:56 offset1:57
	ds_read2_b64 v[166:169], v134 offset0:58 offset1:59
	s_waitcnt lgkmcnt(11)
	v_fma_f64 v[50:51], -v[82:83], v[170:171], v[50:51]
	v_fma_f64 v[44:45], -v[82:83], v[172:173], v[44:45]
	s_waitcnt lgkmcnt(10)
	v_fma_f64 v[46:47], -v[82:83], v[174:175], v[46:47]
	v_fma_f64 v[42:43], -v[82:83], v[176:177], v[42:43]
	;; [unrolled: 3-line block ×3, first 2 shown]
	s_waitcnt lgkmcnt(8)
	v_fma_f64 v[126:127], -v[82:83], v[0:1], v[126:127]
	s_waitcnt lgkmcnt(7)
	v_fma_f64 v[36:37], -v[82:83], v[138:139], v[36:37]
	v_fma_f64 v[34:35], -v[82:83], v[140:141], v[34:35]
	s_waitcnt lgkmcnt(6)
	v_fma_f64 v[32:33], -v[82:83], v[142:143], v[32:33]
	;; [unrolled: 3-line block ×8, first 2 shown]
	v_fma_f64 v[6:7], -v[82:83], v[168:169], v[6:7]
.LBB120_369:
	s_or_b32 exec_lo, exec_lo, s0
	v_lshl_add_u32 v0, v137, 3, v134
	s_barrier
	buffer_gl0_inv
	v_mov_b32_e32 v128, 22
	ds_write_b64 v0, v[80:81]
	s_waitcnt lgkmcnt(0)
	s_barrier
	buffer_gl0_inv
	ds_read_b64 v[0:1], v134 offset:176
	s_cmp_lt_i32 s7, 24
	s_cbranch_scc1 .LBB120_372
; %bb.370:
	v_add3_u32 v129, v135, 0, 0xb8
	v_mov_b32_e32 v128, 22
	s_mov_b32 s0, 23
.LBB120_371:                            ; =>This Inner Loop Header: Depth=1
	ds_read_b64 v[138:139], v129
	v_add_nc_u32_e32 v129, 8, v129
	s_waitcnt lgkmcnt(0)
	v_cmp_lt_f64_e64 vcc_lo, |v[0:1]|, |v[138:139]|
	v_cndmask_b32_e32 v1, v1, v139, vcc_lo
	v_cndmask_b32_e32 v0, v0, v138, vcc_lo
	v_cndmask_b32_e64 v128, v128, s0, vcc_lo
	s_add_i32 s0, s0, 1
	s_cmp_lg_u32 s7, s0
	s_cbranch_scc1 .LBB120_371
.LBB120_372:
	s_mov_b32 s0, exec_lo
	s_waitcnt lgkmcnt(0)
	v_cmpx_eq_f64_e32 0, v[0:1]
	s_xor_b32 s0, exec_lo, s0
; %bb.373:
	v_cmp_ne_u32_e32 vcc_lo, 0, v131
	v_cndmask_b32_e32 v131, 23, v131, vcc_lo
; %bb.374:
	s_andn2_saveexec_b32 s0, s0
	s_cbranch_execz .LBB120_376
; %bb.375:
	v_div_scale_f64 v[129:130], null, v[0:1], v[0:1], 1.0
	v_rcp_f64_e32 v[138:139], v[129:130]
	v_fma_f64 v[140:141], -v[129:130], v[138:139], 1.0
	v_fma_f64 v[138:139], v[138:139], v[140:141], v[138:139]
	v_fma_f64 v[140:141], -v[129:130], v[138:139], 1.0
	v_fma_f64 v[138:139], v[138:139], v[140:141], v[138:139]
	v_div_scale_f64 v[140:141], vcc_lo, 1.0, v[0:1], 1.0
	v_mul_f64 v[142:143], v[140:141], v[138:139]
	v_fma_f64 v[129:130], -v[129:130], v[142:143], v[140:141]
	v_div_fmas_f64 v[129:130], v[129:130], v[138:139], v[142:143]
	v_div_fixup_f64 v[0:1], v[129:130], v[0:1], 1.0
.LBB120_376:
	s_or_b32 exec_lo, exec_lo, s0
	s_mov_b32 s0, exec_lo
	v_cmpx_ne_u32_e64 v137, v128
	s_xor_b32 s0, exec_lo, s0
	s_cbranch_execz .LBB120_382
; %bb.377:
	s_mov_b32 s1, exec_lo
	v_cmpx_eq_u32_e32 22, v137
	s_cbranch_execz .LBB120_381
; %bb.378:
	v_cmp_ne_u32_e32 vcc_lo, 22, v128
	s_xor_b32 s2, s6, -1
	s_and_b32 s3, s2, vcc_lo
	s_and_saveexec_b32 s2, s3
	s_cbranch_execz .LBB120_380
; %bb.379:
	v_ashrrev_i32_e32 v129, 31, v128
	v_lshlrev_b64 v[129:130], 2, v[128:129]
	v_add_co_u32 v129, vcc_lo, v4, v129
	v_add_co_ci_u32_e64 v130, null, v5, v130, vcc_lo
	s_clause 0x1
	global_load_dword v136, v[129:130], off
	global_load_dword v137, v[4:5], off offset:88
	s_waitcnt vmcnt(1)
	global_store_dword v[4:5], v136, off offset:88
	s_waitcnt vmcnt(0)
	global_store_dword v[129:130], v137, off
.LBB120_380:
	s_or_b32 exec_lo, exec_lo, s2
	v_mov_b32_e32 v136, v128
	v_mov_b32_e32 v137, v128
.LBB120_381:
	s_or_b32 exec_lo, exec_lo, s1
.LBB120_382:
	s_andn2_saveexec_b32 s0, s0
	s_cbranch_execz .LBB120_384
; %bb.383:
	v_mov_b32_e32 v137, 22
	ds_write2_b64 v134, v[78:79], v[76:77] offset0:23 offset1:24
	ds_write2_b64 v134, v[74:75], v[72:73] offset0:25 offset1:26
	;; [unrolled: 1-line block ×19, first 2 shown]
.LBB120_384:
	s_or_b32 exec_lo, exec_lo, s0
	s_mov_b32 s0, exec_lo
	s_waitcnt lgkmcnt(0)
	s_waitcnt_vscnt null, 0x0
	s_barrier
	buffer_gl0_inv
	v_cmpx_lt_i32_e32 22, v137
	s_cbranch_execz .LBB120_386
; %bb.385:
	v_mul_f64 v[80:81], v[0:1], v[80:81]
	ds_read2_b64 v[138:141], v134 offset0:23 offset1:24
	ds_read2_b64 v[142:145], v134 offset0:25 offset1:26
	;; [unrolled: 1-line block ×12, first 2 shown]
	s_waitcnt lgkmcnt(11)
	v_fma_f64 v[78:79], -v[80:81], v[138:139], v[78:79]
	v_fma_f64 v[76:77], -v[80:81], v[140:141], v[76:77]
	s_waitcnt lgkmcnt(10)
	v_fma_f64 v[74:75], -v[80:81], v[142:143], v[74:75]
	v_fma_f64 v[72:73], -v[80:81], v[144:145], v[72:73]
	;; [unrolled: 3-line block ×5, first 2 shown]
	s_waitcnt lgkmcnt(6)
	v_fma_f64 v[58:59], -v[80:81], v[158:159], v[58:59]
	ds_read2_b64 v[138:141], v134 offset0:47 offset1:48
	ds_read2_b64 v[142:145], v134 offset0:49 offset1:50
	v_fma_f64 v[56:57], -v[80:81], v[160:161], v[56:57]
	s_waitcnt lgkmcnt(7)
	v_fma_f64 v[54:55], -v[80:81], v[162:163], v[54:55]
	ds_read2_b64 v[146:149], v134 offset0:51 offset1:52
	ds_read2_b64 v[150:153], v134 offset0:53 offset1:54
	v_fma_f64 v[52:53], -v[80:81], v[164:165], v[52:53]
	ds_read2_b64 v[154:157], v134 offset0:55 offset1:56
	ds_read2_b64 v[158:161], v134 offset0:57 offset1:58
	;; [unrolled: 1-line block ×3, first 2 shown]
	s_waitcnt lgkmcnt(11)
	v_fma_f64 v[48:49], -v[80:81], v[166:167], v[48:49]
	v_fma_f64 v[50:51], -v[80:81], v[168:169], v[50:51]
	s_waitcnt lgkmcnt(10)
	v_fma_f64 v[44:45], -v[80:81], v[170:171], v[44:45]
	v_fma_f64 v[46:47], -v[80:81], v[172:173], v[46:47]
	;; [unrolled: 3-line block ×12, first 2 shown]
.LBB120_386:
	s_or_b32 exec_lo, exec_lo, s0
	v_lshl_add_u32 v0, v137, 3, v134
	s_barrier
	buffer_gl0_inv
	v_mov_b32_e32 v128, 23
	ds_write_b64 v0, v[78:79]
	s_waitcnt lgkmcnt(0)
	s_barrier
	buffer_gl0_inv
	ds_read_b64 v[0:1], v134 offset:184
	s_cmp_lt_i32 s7, 25
	s_cbranch_scc1 .LBB120_389
; %bb.387:
	v_add3_u32 v129, v135, 0, 0xc0
	v_mov_b32_e32 v128, 23
	s_mov_b32 s0, 24
.LBB120_388:                            ; =>This Inner Loop Header: Depth=1
	ds_read_b64 v[138:139], v129
	v_add_nc_u32_e32 v129, 8, v129
	s_waitcnt lgkmcnt(0)
	v_cmp_lt_f64_e64 vcc_lo, |v[0:1]|, |v[138:139]|
	v_cndmask_b32_e32 v1, v1, v139, vcc_lo
	v_cndmask_b32_e32 v0, v0, v138, vcc_lo
	v_cndmask_b32_e64 v128, v128, s0, vcc_lo
	s_add_i32 s0, s0, 1
	s_cmp_lg_u32 s7, s0
	s_cbranch_scc1 .LBB120_388
.LBB120_389:
	s_mov_b32 s0, exec_lo
	s_waitcnt lgkmcnt(0)
	v_cmpx_eq_f64_e32 0, v[0:1]
	s_xor_b32 s0, exec_lo, s0
; %bb.390:
	v_cmp_ne_u32_e32 vcc_lo, 0, v131
	v_cndmask_b32_e32 v131, 24, v131, vcc_lo
; %bb.391:
	s_andn2_saveexec_b32 s0, s0
	s_cbranch_execz .LBB120_393
; %bb.392:
	v_div_scale_f64 v[129:130], null, v[0:1], v[0:1], 1.0
	v_rcp_f64_e32 v[138:139], v[129:130]
	v_fma_f64 v[140:141], -v[129:130], v[138:139], 1.0
	v_fma_f64 v[138:139], v[138:139], v[140:141], v[138:139]
	v_fma_f64 v[140:141], -v[129:130], v[138:139], 1.0
	v_fma_f64 v[138:139], v[138:139], v[140:141], v[138:139]
	v_div_scale_f64 v[140:141], vcc_lo, 1.0, v[0:1], 1.0
	v_mul_f64 v[142:143], v[140:141], v[138:139]
	v_fma_f64 v[129:130], -v[129:130], v[142:143], v[140:141]
	v_div_fmas_f64 v[129:130], v[129:130], v[138:139], v[142:143]
	v_div_fixup_f64 v[0:1], v[129:130], v[0:1], 1.0
.LBB120_393:
	s_or_b32 exec_lo, exec_lo, s0
	s_mov_b32 s0, exec_lo
	v_cmpx_ne_u32_e64 v137, v128
	s_xor_b32 s0, exec_lo, s0
	s_cbranch_execz .LBB120_399
; %bb.394:
	s_mov_b32 s1, exec_lo
	v_cmpx_eq_u32_e32 23, v137
	s_cbranch_execz .LBB120_398
; %bb.395:
	v_cmp_ne_u32_e32 vcc_lo, 23, v128
	s_xor_b32 s2, s6, -1
	s_and_b32 s3, s2, vcc_lo
	s_and_saveexec_b32 s2, s3
	s_cbranch_execz .LBB120_397
; %bb.396:
	v_ashrrev_i32_e32 v129, 31, v128
	v_lshlrev_b64 v[129:130], 2, v[128:129]
	v_add_co_u32 v129, vcc_lo, v4, v129
	v_add_co_ci_u32_e64 v130, null, v5, v130, vcc_lo
	s_clause 0x1
	global_load_dword v136, v[129:130], off
	global_load_dword v137, v[4:5], off offset:92
	s_waitcnt vmcnt(1)
	global_store_dword v[4:5], v136, off offset:92
	s_waitcnt vmcnt(0)
	global_store_dword v[129:130], v137, off
.LBB120_397:
	s_or_b32 exec_lo, exec_lo, s2
	v_mov_b32_e32 v136, v128
	v_mov_b32_e32 v137, v128
.LBB120_398:
	s_or_b32 exec_lo, exec_lo, s1
.LBB120_399:
	s_andn2_saveexec_b32 s0, s0
	s_cbranch_execz .LBB120_401
; %bb.400:
	v_mov_b32_e32 v128, v76
	v_mov_b32_e32 v129, v77
	;; [unrolled: 1-line block ×16, first 2 shown]
	ds_write2_b64 v134, v[128:129], v[137:138] offset0:24 offset1:25
	ds_write2_b64 v134, v[139:140], v[141:142] offset0:26 offset1:27
	;; [unrolled: 1-line block ×4, first 2 shown]
	v_mov_b32_e32 v128, v60
	v_mov_b32_e32 v129, v61
	v_mov_b32_e32 v137, v58
	v_mov_b32_e32 v138, v59
	v_mov_b32_e32 v139, v56
	v_mov_b32_e32 v140, v57
	v_mov_b32_e32 v141, v54
	v_mov_b32_e32 v142, v55
	v_mov_b32_e32 v143, v52
	v_mov_b32_e32 v144, v53
	v_mov_b32_e32 v145, v48
	v_mov_b32_e32 v146, v49
	v_mov_b32_e32 v147, v50
	v_mov_b32_e32 v148, v51
	v_mov_b32_e32 v149, v44
	v_mov_b32_e32 v150, v45
	v_mov_b32_e32 v151, v46
	v_mov_b32_e32 v152, v47
	v_mov_b32_e32 v153, v42
	v_mov_b32_e32 v154, v43
	ds_write2_b64 v134, v[128:129], v[137:138] offset0:32 offset1:33
	ds_write2_b64 v134, v[139:140], v[141:142] offset0:34 offset1:35
	;; [unrolled: 1-line block ×5, first 2 shown]
	v_mov_b32_e32 v128, v40
	v_mov_b32_e32 v129, v41
	;; [unrolled: 1-line block ×20, first 2 shown]
	ds_write2_b64 v134, v[128:129], v[137:138] offset0:42 offset1:43
	ds_write2_b64 v134, v[139:140], v[141:142] offset0:44 offset1:45
	;; [unrolled: 1-line block ×5, first 2 shown]
	v_mov_b32_e32 v128, v20
	v_mov_b32_e32 v129, v21
	;; [unrolled: 1-line block ×8, first 2 shown]
	ds_write2_b64 v134, v[128:129], v[137:138] offset0:52 offset1:53
	v_mov_b32_e32 v137, 23
	v_mov_b32_e32 v143, v12
	;; [unrolled: 1-line block ×9, first 2 shown]
	ds_write2_b64 v134, v[139:140], v[141:142] offset0:54 offset1:55
	ds_write2_b64 v134, v[143:144], v[145:146] offset0:56 offset1:57
	;; [unrolled: 1-line block ×3, first 2 shown]
	ds_write_b64 v134, v[126:127] offset:480
.LBB120_401:
	s_or_b32 exec_lo, exec_lo, s0
	s_mov_b32 s0, exec_lo
	s_waitcnt lgkmcnt(0)
	s_waitcnt_vscnt null, 0x0
	s_barrier
	buffer_gl0_inv
	v_cmpx_lt_i32_e32 23, v137
	s_cbranch_execz .LBB120_403
; %bb.402:
	v_mul_f64 v[78:79], v[0:1], v[78:79]
	ds_read2_b64 v[138:141], v134 offset0:24 offset1:25
	ds_read2_b64 v[142:145], v134 offset0:26 offset1:27
	;; [unrolled: 1-line block ×12, first 2 shown]
	ds_read_b64 v[0:1], v134 offset:480
	s_waitcnt lgkmcnt(12)
	v_fma_f64 v[76:77], -v[78:79], v[138:139], v[76:77]
	v_fma_f64 v[74:75], -v[78:79], v[140:141], v[74:75]
	s_waitcnt lgkmcnt(11)
	v_fma_f64 v[72:73], -v[78:79], v[142:143], v[72:73]
	v_fma_f64 v[68:69], -v[78:79], v[144:145], v[68:69]
	;; [unrolled: 3-line block ×5, first 2 shown]
	s_waitcnt lgkmcnt(7)
	v_fma_f64 v[56:57], -v[78:79], v[158:159], v[56:57]
	ds_read2_b64 v[138:141], v134 offset0:48 offset1:49
	ds_read2_b64 v[142:145], v134 offset0:50 offset1:51
	v_fma_f64 v[54:55], -v[78:79], v[160:161], v[54:55]
	ds_read2_b64 v[146:149], v134 offset0:52 offset1:53
	ds_read2_b64 v[150:153], v134 offset0:54 offset1:55
	;; [unrolled: 1-line block ×4, first 2 shown]
	s_waitcnt lgkmcnt(12)
	v_fma_f64 v[52:53], -v[78:79], v[162:163], v[52:53]
	v_fma_f64 v[48:49], -v[78:79], v[164:165], v[48:49]
	s_waitcnt lgkmcnt(11)
	v_fma_f64 v[50:51], -v[78:79], v[166:167], v[50:51]
	v_fma_f64 v[44:45], -v[78:79], v[168:169], v[44:45]
	;; [unrolled: 3-line block ×6, first 2 shown]
	s_waitcnt lgkmcnt(6)
	v_fma_f64 v[126:127], -v[78:79], v[0:1], v[126:127]
	s_waitcnt lgkmcnt(5)
	v_fma_f64 v[30:31], -v[78:79], v[138:139], v[30:31]
	v_fma_f64 v[24:25], -v[78:79], v[140:141], v[24:25]
	s_waitcnt lgkmcnt(4)
	v_fma_f64 v[26:27], -v[78:79], v[142:143], v[26:27]
	;; [unrolled: 3-line block ×6, first 2 shown]
	v_fma_f64 v[6:7], -v[78:79], v[160:161], v[6:7]
.LBB120_403:
	s_or_b32 exec_lo, exec_lo, s0
	v_lshl_add_u32 v0, v137, 3, v134
	s_barrier
	buffer_gl0_inv
	v_mov_b32_e32 v128, 24
	ds_write_b64 v0, v[76:77]
	s_waitcnt lgkmcnt(0)
	s_barrier
	buffer_gl0_inv
	ds_read_b64 v[0:1], v134 offset:192
	s_cmp_lt_i32 s7, 26
	s_cbranch_scc1 .LBB120_406
; %bb.404:
	v_add3_u32 v129, v135, 0, 0xc8
	v_mov_b32_e32 v128, 24
	s_mov_b32 s0, 25
.LBB120_405:                            ; =>This Inner Loop Header: Depth=1
	ds_read_b64 v[138:139], v129
	v_add_nc_u32_e32 v129, 8, v129
	s_waitcnt lgkmcnt(0)
	v_cmp_lt_f64_e64 vcc_lo, |v[0:1]|, |v[138:139]|
	v_cndmask_b32_e32 v1, v1, v139, vcc_lo
	v_cndmask_b32_e32 v0, v0, v138, vcc_lo
	v_cndmask_b32_e64 v128, v128, s0, vcc_lo
	s_add_i32 s0, s0, 1
	s_cmp_lg_u32 s7, s0
	s_cbranch_scc1 .LBB120_405
.LBB120_406:
	s_mov_b32 s0, exec_lo
	s_waitcnt lgkmcnt(0)
	v_cmpx_eq_f64_e32 0, v[0:1]
	s_xor_b32 s0, exec_lo, s0
; %bb.407:
	v_cmp_ne_u32_e32 vcc_lo, 0, v131
	v_cndmask_b32_e32 v131, 25, v131, vcc_lo
; %bb.408:
	s_andn2_saveexec_b32 s0, s0
	s_cbranch_execz .LBB120_410
; %bb.409:
	v_div_scale_f64 v[129:130], null, v[0:1], v[0:1], 1.0
	v_rcp_f64_e32 v[138:139], v[129:130]
	v_fma_f64 v[140:141], -v[129:130], v[138:139], 1.0
	v_fma_f64 v[138:139], v[138:139], v[140:141], v[138:139]
	v_fma_f64 v[140:141], -v[129:130], v[138:139], 1.0
	v_fma_f64 v[138:139], v[138:139], v[140:141], v[138:139]
	v_div_scale_f64 v[140:141], vcc_lo, 1.0, v[0:1], 1.0
	v_mul_f64 v[142:143], v[140:141], v[138:139]
	v_fma_f64 v[129:130], -v[129:130], v[142:143], v[140:141]
	v_div_fmas_f64 v[129:130], v[129:130], v[138:139], v[142:143]
	v_div_fixup_f64 v[0:1], v[129:130], v[0:1], 1.0
.LBB120_410:
	s_or_b32 exec_lo, exec_lo, s0
	s_mov_b32 s0, exec_lo
	v_cmpx_ne_u32_e64 v137, v128
	s_xor_b32 s0, exec_lo, s0
	s_cbranch_execz .LBB120_416
; %bb.411:
	s_mov_b32 s1, exec_lo
	v_cmpx_eq_u32_e32 24, v137
	s_cbranch_execz .LBB120_415
; %bb.412:
	v_cmp_ne_u32_e32 vcc_lo, 24, v128
	s_xor_b32 s2, s6, -1
	s_and_b32 s3, s2, vcc_lo
	s_and_saveexec_b32 s2, s3
	s_cbranch_execz .LBB120_414
; %bb.413:
	v_ashrrev_i32_e32 v129, 31, v128
	v_lshlrev_b64 v[129:130], 2, v[128:129]
	v_add_co_u32 v129, vcc_lo, v4, v129
	v_add_co_ci_u32_e64 v130, null, v5, v130, vcc_lo
	s_clause 0x1
	global_load_dword v136, v[129:130], off
	global_load_dword v137, v[4:5], off offset:96
	s_waitcnt vmcnt(1)
	global_store_dword v[4:5], v136, off offset:96
	s_waitcnt vmcnt(0)
	global_store_dword v[129:130], v137, off
.LBB120_414:
	s_or_b32 exec_lo, exec_lo, s2
	v_mov_b32_e32 v136, v128
	v_mov_b32_e32 v137, v128
.LBB120_415:
	s_or_b32 exec_lo, exec_lo, s1
.LBB120_416:
	s_andn2_saveexec_b32 s0, s0
	s_cbranch_execz .LBB120_418
; %bb.417:
	v_mov_b32_e32 v137, 24
	ds_write2_b64 v134, v[74:75], v[72:73] offset0:25 offset1:26
	ds_write2_b64 v134, v[68:69], v[70:71] offset0:27 offset1:28
	;; [unrolled: 1-line block ×18, first 2 shown]
.LBB120_418:
	s_or_b32 exec_lo, exec_lo, s0
	s_mov_b32 s0, exec_lo
	s_waitcnt lgkmcnt(0)
	s_waitcnt_vscnt null, 0x0
	s_barrier
	buffer_gl0_inv
	v_cmpx_lt_i32_e32 24, v137
	s_cbranch_execz .LBB120_420
; %bb.419:
	v_mul_f64 v[76:77], v[0:1], v[76:77]
	ds_read2_b64 v[138:141], v134 offset0:25 offset1:26
	ds_read2_b64 v[142:145], v134 offset0:27 offset1:28
	;; [unrolled: 1-line block ×12, first 2 shown]
	s_waitcnt lgkmcnt(11)
	v_fma_f64 v[74:75], -v[76:77], v[138:139], v[74:75]
	v_fma_f64 v[72:73], -v[76:77], v[140:141], v[72:73]
	s_waitcnt lgkmcnt(10)
	v_fma_f64 v[68:69], -v[76:77], v[142:143], v[68:69]
	v_fma_f64 v[70:71], -v[76:77], v[144:145], v[70:71]
	;; [unrolled: 3-line block ×5, first 2 shown]
	ds_read2_b64 v[138:141], v134 offset0:49 offset1:50
	ds_read2_b64 v[142:145], v134 offset0:51 offset1:52
	s_waitcnt lgkmcnt(8)
	v_fma_f64 v[54:55], -v[76:77], v[158:159], v[54:55]
	v_fma_f64 v[52:53], -v[76:77], v[160:161], v[52:53]
	ds_read2_b64 v[146:149], v134 offset0:53 offset1:54
	ds_read2_b64 v[150:153], v134 offset0:55 offset1:56
	;; [unrolled: 1-line block ×4, first 2 shown]
	s_waitcnt lgkmcnt(11)
	v_fma_f64 v[48:49], -v[76:77], v[162:163], v[48:49]
	v_fma_f64 v[50:51], -v[76:77], v[164:165], v[50:51]
	s_waitcnt lgkmcnt(10)
	v_fma_f64 v[44:45], -v[76:77], v[166:167], v[44:45]
	v_fma_f64 v[46:47], -v[76:77], v[168:169], v[46:47]
	;; [unrolled: 3-line block ×12, first 2 shown]
.LBB120_420:
	s_or_b32 exec_lo, exec_lo, s0
	v_lshl_add_u32 v0, v137, 3, v134
	s_barrier
	buffer_gl0_inv
	v_mov_b32_e32 v128, 25
	ds_write_b64 v0, v[74:75]
	s_waitcnt lgkmcnt(0)
	s_barrier
	buffer_gl0_inv
	ds_read_b64 v[0:1], v134 offset:200
	s_cmp_lt_i32 s7, 27
	s_cbranch_scc1 .LBB120_423
; %bb.421:
	v_add3_u32 v129, v135, 0, 0xd0
	v_mov_b32_e32 v128, 25
	s_mov_b32 s0, 26
.LBB120_422:                            ; =>This Inner Loop Header: Depth=1
	ds_read_b64 v[138:139], v129
	v_add_nc_u32_e32 v129, 8, v129
	s_waitcnt lgkmcnt(0)
	v_cmp_lt_f64_e64 vcc_lo, |v[0:1]|, |v[138:139]|
	v_cndmask_b32_e32 v1, v1, v139, vcc_lo
	v_cndmask_b32_e32 v0, v0, v138, vcc_lo
	v_cndmask_b32_e64 v128, v128, s0, vcc_lo
	s_add_i32 s0, s0, 1
	s_cmp_lg_u32 s7, s0
	s_cbranch_scc1 .LBB120_422
.LBB120_423:
	s_mov_b32 s0, exec_lo
	s_waitcnt lgkmcnt(0)
	v_cmpx_eq_f64_e32 0, v[0:1]
	s_xor_b32 s0, exec_lo, s0
; %bb.424:
	v_cmp_ne_u32_e32 vcc_lo, 0, v131
	v_cndmask_b32_e32 v131, 26, v131, vcc_lo
; %bb.425:
	s_andn2_saveexec_b32 s0, s0
	s_cbranch_execz .LBB120_427
; %bb.426:
	v_div_scale_f64 v[129:130], null, v[0:1], v[0:1], 1.0
	v_rcp_f64_e32 v[138:139], v[129:130]
	v_fma_f64 v[140:141], -v[129:130], v[138:139], 1.0
	v_fma_f64 v[138:139], v[138:139], v[140:141], v[138:139]
	v_fma_f64 v[140:141], -v[129:130], v[138:139], 1.0
	v_fma_f64 v[138:139], v[138:139], v[140:141], v[138:139]
	v_div_scale_f64 v[140:141], vcc_lo, 1.0, v[0:1], 1.0
	v_mul_f64 v[142:143], v[140:141], v[138:139]
	v_fma_f64 v[129:130], -v[129:130], v[142:143], v[140:141]
	v_div_fmas_f64 v[129:130], v[129:130], v[138:139], v[142:143]
	v_div_fixup_f64 v[0:1], v[129:130], v[0:1], 1.0
.LBB120_427:
	s_or_b32 exec_lo, exec_lo, s0
	s_mov_b32 s0, exec_lo
	v_cmpx_ne_u32_e64 v137, v128
	s_xor_b32 s0, exec_lo, s0
	s_cbranch_execz .LBB120_433
; %bb.428:
	s_mov_b32 s1, exec_lo
	v_cmpx_eq_u32_e32 25, v137
	s_cbranch_execz .LBB120_432
; %bb.429:
	v_cmp_ne_u32_e32 vcc_lo, 25, v128
	s_xor_b32 s2, s6, -1
	s_and_b32 s3, s2, vcc_lo
	s_and_saveexec_b32 s2, s3
	s_cbranch_execz .LBB120_431
; %bb.430:
	v_ashrrev_i32_e32 v129, 31, v128
	v_lshlrev_b64 v[129:130], 2, v[128:129]
	v_add_co_u32 v129, vcc_lo, v4, v129
	v_add_co_ci_u32_e64 v130, null, v5, v130, vcc_lo
	s_clause 0x1
	global_load_dword v136, v[129:130], off
	global_load_dword v137, v[4:5], off offset:100
	s_waitcnt vmcnt(1)
	global_store_dword v[4:5], v136, off offset:100
	s_waitcnt vmcnt(0)
	global_store_dword v[129:130], v137, off
.LBB120_431:
	s_or_b32 exec_lo, exec_lo, s2
	v_mov_b32_e32 v136, v128
	v_mov_b32_e32 v137, v128
.LBB120_432:
	s_or_b32 exec_lo, exec_lo, s1
.LBB120_433:
	s_andn2_saveexec_b32 s0, s0
	s_cbranch_execz .LBB120_435
; %bb.434:
	v_mov_b32_e32 v128, v72
	v_mov_b32_e32 v129, v73
	;; [unrolled: 1-line block ×12, first 2 shown]
	ds_write2_b64 v134, v[128:129], v[137:138] offset0:26 offset1:27
	ds_write2_b64 v134, v[139:140], v[141:142] offset0:28 offset1:29
	ds_write2_b64 v134, v[143:144], v[145:146] offset0:30 offset1:31
	v_mov_b32_e32 v128, v60
	v_mov_b32_e32 v129, v61
	;; [unrolled: 1-line block ×20, first 2 shown]
	ds_write2_b64 v134, v[128:129], v[137:138] offset0:32 offset1:33
	ds_write2_b64 v134, v[139:140], v[141:142] offset0:34 offset1:35
	;; [unrolled: 1-line block ×5, first 2 shown]
	v_mov_b32_e32 v128, v40
	v_mov_b32_e32 v129, v41
	;; [unrolled: 1-line block ×20, first 2 shown]
	ds_write2_b64 v134, v[128:129], v[137:138] offset0:42 offset1:43
	ds_write2_b64 v134, v[139:140], v[141:142] offset0:44 offset1:45
	;; [unrolled: 1-line block ×5, first 2 shown]
	v_mov_b32_e32 v128, v20
	v_mov_b32_e32 v129, v21
	;; [unrolled: 1-line block ×8, first 2 shown]
	ds_write2_b64 v134, v[128:129], v[137:138] offset0:52 offset1:53
	v_mov_b32_e32 v137, 25
	v_mov_b32_e32 v143, v12
	;; [unrolled: 1-line block ×9, first 2 shown]
	ds_write2_b64 v134, v[139:140], v[141:142] offset0:54 offset1:55
	ds_write2_b64 v134, v[143:144], v[145:146] offset0:56 offset1:57
	;; [unrolled: 1-line block ×3, first 2 shown]
	ds_write_b64 v134, v[126:127] offset:480
.LBB120_435:
	s_or_b32 exec_lo, exec_lo, s0
	s_mov_b32 s0, exec_lo
	s_waitcnt lgkmcnt(0)
	s_waitcnt_vscnt null, 0x0
	s_barrier
	buffer_gl0_inv
	v_cmpx_lt_i32_e32 25, v137
	s_cbranch_execz .LBB120_437
; %bb.436:
	v_mul_f64 v[74:75], v[0:1], v[74:75]
	ds_read2_b64 v[138:141], v134 offset0:26 offset1:27
	ds_read2_b64 v[142:145], v134 offset0:28 offset1:29
	;; [unrolled: 1-line block ×12, first 2 shown]
	ds_read_b64 v[0:1], v134 offset:480
	s_waitcnt lgkmcnt(12)
	v_fma_f64 v[72:73], -v[74:75], v[138:139], v[72:73]
	v_fma_f64 v[68:69], -v[74:75], v[140:141], v[68:69]
	s_waitcnt lgkmcnt(11)
	v_fma_f64 v[70:71], -v[74:75], v[142:143], v[70:71]
	v_fma_f64 v[64:65], -v[74:75], v[144:145], v[64:65]
	;; [unrolled: 3-line block ×5, first 2 shown]
	ds_read2_b64 v[138:141], v134 offset0:50 offset1:51
	ds_read2_b64 v[142:145], v134 offset0:52 offset1:53
	ds_read2_b64 v[146:149], v134 offset0:54 offset1:55
	ds_read2_b64 v[150:153], v134 offset0:56 offset1:57
	ds_read2_b64 v[154:157], v134 offset0:58 offset1:59
	s_waitcnt lgkmcnt(12)
	v_fma_f64 v[52:53], -v[74:75], v[158:159], v[52:53]
	v_fma_f64 v[48:49], -v[74:75], v[160:161], v[48:49]
	s_waitcnt lgkmcnt(11)
	v_fma_f64 v[50:51], -v[74:75], v[162:163], v[50:51]
	v_fma_f64 v[44:45], -v[74:75], v[164:165], v[44:45]
	s_waitcnt lgkmcnt(10)
	v_fma_f64 v[46:47], -v[74:75], v[166:167], v[46:47]
	v_fma_f64 v[42:43], -v[74:75], v[168:169], v[42:43]
	s_waitcnt lgkmcnt(9)
	v_fma_f64 v[40:41], -v[74:75], v[170:171], v[40:41]
	v_fma_f64 v[38:39], -v[74:75], v[172:173], v[38:39]
	s_waitcnt lgkmcnt(8)
	v_fma_f64 v[36:37], -v[74:75], v[174:175], v[36:37]
	v_fma_f64 v[34:35], -v[74:75], v[176:177], v[34:35]
	s_waitcnt lgkmcnt(7)
	v_fma_f64 v[32:33], -v[74:75], v[178:179], v[32:33]
	v_fma_f64 v[28:29], -v[74:75], v[180:181], v[28:29]
	s_waitcnt lgkmcnt(6)
	v_fma_f64 v[30:31], -v[74:75], v[182:183], v[30:31]
	v_fma_f64 v[24:25], -v[74:75], v[184:185], v[24:25]
	s_waitcnt lgkmcnt(5)
	v_fma_f64 v[126:127], -v[74:75], v[0:1], v[126:127]
	s_waitcnt lgkmcnt(4)
	v_fma_f64 v[26:27], -v[74:75], v[138:139], v[26:27]
	v_fma_f64 v[22:23], -v[74:75], v[140:141], v[22:23]
	s_waitcnt lgkmcnt(3)
	v_fma_f64 v[20:21], -v[74:75], v[142:143], v[20:21]
	;; [unrolled: 3-line block ×5, first 2 shown]
	v_fma_f64 v[6:7], -v[74:75], v[156:157], v[6:7]
.LBB120_437:
	s_or_b32 exec_lo, exec_lo, s0
	v_lshl_add_u32 v0, v137, 3, v134
	s_barrier
	buffer_gl0_inv
	v_mov_b32_e32 v128, 26
	ds_write_b64 v0, v[72:73]
	s_waitcnt lgkmcnt(0)
	s_barrier
	buffer_gl0_inv
	ds_read_b64 v[0:1], v134 offset:208
	s_cmp_lt_i32 s7, 28
	s_cbranch_scc1 .LBB120_440
; %bb.438:
	v_add3_u32 v129, v135, 0, 0xd8
	v_mov_b32_e32 v128, 26
	s_mov_b32 s0, 27
.LBB120_439:                            ; =>This Inner Loop Header: Depth=1
	ds_read_b64 v[138:139], v129
	v_add_nc_u32_e32 v129, 8, v129
	s_waitcnt lgkmcnt(0)
	v_cmp_lt_f64_e64 vcc_lo, |v[0:1]|, |v[138:139]|
	v_cndmask_b32_e32 v1, v1, v139, vcc_lo
	v_cndmask_b32_e32 v0, v0, v138, vcc_lo
	v_cndmask_b32_e64 v128, v128, s0, vcc_lo
	s_add_i32 s0, s0, 1
	s_cmp_lg_u32 s7, s0
	s_cbranch_scc1 .LBB120_439
.LBB120_440:
	s_mov_b32 s0, exec_lo
	s_waitcnt lgkmcnt(0)
	v_cmpx_eq_f64_e32 0, v[0:1]
	s_xor_b32 s0, exec_lo, s0
; %bb.441:
	v_cmp_ne_u32_e32 vcc_lo, 0, v131
	v_cndmask_b32_e32 v131, 27, v131, vcc_lo
; %bb.442:
	s_andn2_saveexec_b32 s0, s0
	s_cbranch_execz .LBB120_444
; %bb.443:
	v_div_scale_f64 v[129:130], null, v[0:1], v[0:1], 1.0
	v_rcp_f64_e32 v[138:139], v[129:130]
	v_fma_f64 v[140:141], -v[129:130], v[138:139], 1.0
	v_fma_f64 v[138:139], v[138:139], v[140:141], v[138:139]
	v_fma_f64 v[140:141], -v[129:130], v[138:139], 1.0
	v_fma_f64 v[138:139], v[138:139], v[140:141], v[138:139]
	v_div_scale_f64 v[140:141], vcc_lo, 1.0, v[0:1], 1.0
	v_mul_f64 v[142:143], v[140:141], v[138:139]
	v_fma_f64 v[129:130], -v[129:130], v[142:143], v[140:141]
	v_div_fmas_f64 v[129:130], v[129:130], v[138:139], v[142:143]
	v_div_fixup_f64 v[0:1], v[129:130], v[0:1], 1.0
.LBB120_444:
	s_or_b32 exec_lo, exec_lo, s0
	s_mov_b32 s0, exec_lo
	v_cmpx_ne_u32_e64 v137, v128
	s_xor_b32 s0, exec_lo, s0
	s_cbranch_execz .LBB120_450
; %bb.445:
	s_mov_b32 s1, exec_lo
	v_cmpx_eq_u32_e32 26, v137
	s_cbranch_execz .LBB120_449
; %bb.446:
	v_cmp_ne_u32_e32 vcc_lo, 26, v128
	s_xor_b32 s2, s6, -1
	s_and_b32 s3, s2, vcc_lo
	s_and_saveexec_b32 s2, s3
	s_cbranch_execz .LBB120_448
; %bb.447:
	v_ashrrev_i32_e32 v129, 31, v128
	v_lshlrev_b64 v[129:130], 2, v[128:129]
	v_add_co_u32 v129, vcc_lo, v4, v129
	v_add_co_ci_u32_e64 v130, null, v5, v130, vcc_lo
	s_clause 0x1
	global_load_dword v136, v[129:130], off
	global_load_dword v137, v[4:5], off offset:104
	s_waitcnt vmcnt(1)
	global_store_dword v[4:5], v136, off offset:104
	s_waitcnt vmcnt(0)
	global_store_dword v[129:130], v137, off
.LBB120_448:
	s_or_b32 exec_lo, exec_lo, s2
	v_mov_b32_e32 v136, v128
	v_mov_b32_e32 v137, v128
.LBB120_449:
	s_or_b32 exec_lo, exec_lo, s1
.LBB120_450:
	s_andn2_saveexec_b32 s0, s0
	s_cbranch_execz .LBB120_452
; %bb.451:
	v_mov_b32_e32 v137, 26
	ds_write2_b64 v134, v[68:69], v[70:71] offset0:27 offset1:28
	ds_write2_b64 v134, v[64:65], v[66:67] offset0:29 offset1:30
	;; [unrolled: 1-line block ×17, first 2 shown]
.LBB120_452:
	s_or_b32 exec_lo, exec_lo, s0
	s_mov_b32 s0, exec_lo
	s_waitcnt lgkmcnt(0)
	s_waitcnt_vscnt null, 0x0
	s_barrier
	buffer_gl0_inv
	v_cmpx_lt_i32_e32 26, v137
	s_cbranch_execz .LBB120_454
; %bb.453:
	v_mul_f64 v[72:73], v[0:1], v[72:73]
	ds_read2_b64 v[138:141], v134 offset0:27 offset1:28
	ds_read2_b64 v[142:145], v134 offset0:29 offset1:30
	;; [unrolled: 1-line block ×13, first 2 shown]
	s_waitcnt lgkmcnt(12)
	v_fma_f64 v[68:69], -v[72:73], v[138:139], v[68:69]
	v_fma_f64 v[70:71], -v[72:73], v[140:141], v[70:71]
	s_waitcnt lgkmcnt(11)
	v_fma_f64 v[64:65], -v[72:73], v[142:143], v[64:65]
	v_fma_f64 v[66:67], -v[72:73], v[144:145], v[66:67]
	;; [unrolled: 3-line block ×4, first 2 shown]
	ds_read2_b64 v[138:141], v134 offset0:53 offset1:54
	ds_read2_b64 v[142:145], v134 offset0:55 offset1:56
	;; [unrolled: 1-line block ×4, first 2 shown]
	s_waitcnt lgkmcnt(12)
	v_fma_f64 v[54:55], -v[72:73], v[154:155], v[54:55]
	v_fma_f64 v[52:53], -v[72:73], v[156:157], v[52:53]
	s_waitcnt lgkmcnt(11)
	v_fma_f64 v[48:49], -v[72:73], v[158:159], v[48:49]
	v_fma_f64 v[50:51], -v[72:73], v[160:161], v[50:51]
	;; [unrolled: 3-line block ×13, first 2 shown]
.LBB120_454:
	s_or_b32 exec_lo, exec_lo, s0
	v_lshl_add_u32 v0, v137, 3, v134
	s_barrier
	buffer_gl0_inv
	v_mov_b32_e32 v128, 27
	ds_write_b64 v0, v[68:69]
	s_waitcnt lgkmcnt(0)
	s_barrier
	buffer_gl0_inv
	ds_read_b64 v[0:1], v134 offset:216
	s_cmp_lt_i32 s7, 29
	s_cbranch_scc1 .LBB120_457
; %bb.455:
	v_add3_u32 v129, v135, 0, 0xe0
	v_mov_b32_e32 v128, 27
	s_mov_b32 s0, 28
.LBB120_456:                            ; =>This Inner Loop Header: Depth=1
	ds_read_b64 v[138:139], v129
	v_add_nc_u32_e32 v129, 8, v129
	s_waitcnt lgkmcnt(0)
	v_cmp_lt_f64_e64 vcc_lo, |v[0:1]|, |v[138:139]|
	v_cndmask_b32_e32 v1, v1, v139, vcc_lo
	v_cndmask_b32_e32 v0, v0, v138, vcc_lo
	v_cndmask_b32_e64 v128, v128, s0, vcc_lo
	s_add_i32 s0, s0, 1
	s_cmp_lg_u32 s7, s0
	s_cbranch_scc1 .LBB120_456
.LBB120_457:
	s_mov_b32 s0, exec_lo
	s_waitcnt lgkmcnt(0)
	v_cmpx_eq_f64_e32 0, v[0:1]
	s_xor_b32 s0, exec_lo, s0
; %bb.458:
	v_cmp_ne_u32_e32 vcc_lo, 0, v131
	v_cndmask_b32_e32 v131, 28, v131, vcc_lo
; %bb.459:
	s_andn2_saveexec_b32 s0, s0
	s_cbranch_execz .LBB120_461
; %bb.460:
	v_div_scale_f64 v[129:130], null, v[0:1], v[0:1], 1.0
	v_rcp_f64_e32 v[138:139], v[129:130]
	v_fma_f64 v[140:141], -v[129:130], v[138:139], 1.0
	v_fma_f64 v[138:139], v[138:139], v[140:141], v[138:139]
	v_fma_f64 v[140:141], -v[129:130], v[138:139], 1.0
	v_fma_f64 v[138:139], v[138:139], v[140:141], v[138:139]
	v_div_scale_f64 v[140:141], vcc_lo, 1.0, v[0:1], 1.0
	v_mul_f64 v[142:143], v[140:141], v[138:139]
	v_fma_f64 v[129:130], -v[129:130], v[142:143], v[140:141]
	v_div_fmas_f64 v[129:130], v[129:130], v[138:139], v[142:143]
	v_div_fixup_f64 v[0:1], v[129:130], v[0:1], 1.0
.LBB120_461:
	s_or_b32 exec_lo, exec_lo, s0
	s_mov_b32 s0, exec_lo
	v_cmpx_ne_u32_e64 v137, v128
	s_xor_b32 s0, exec_lo, s0
	s_cbranch_execz .LBB120_467
; %bb.462:
	s_mov_b32 s1, exec_lo
	v_cmpx_eq_u32_e32 27, v137
	s_cbranch_execz .LBB120_466
; %bb.463:
	v_cmp_ne_u32_e32 vcc_lo, 27, v128
	s_xor_b32 s2, s6, -1
	s_and_b32 s3, s2, vcc_lo
	s_and_saveexec_b32 s2, s3
	s_cbranch_execz .LBB120_465
; %bb.464:
	v_ashrrev_i32_e32 v129, 31, v128
	v_lshlrev_b64 v[129:130], 2, v[128:129]
	v_add_co_u32 v129, vcc_lo, v4, v129
	v_add_co_ci_u32_e64 v130, null, v5, v130, vcc_lo
	s_clause 0x1
	global_load_dword v136, v[129:130], off
	global_load_dword v137, v[4:5], off offset:108
	s_waitcnt vmcnt(1)
	global_store_dword v[4:5], v136, off offset:108
	s_waitcnt vmcnt(0)
	global_store_dword v[129:130], v137, off
.LBB120_465:
	s_or_b32 exec_lo, exec_lo, s2
	v_mov_b32_e32 v136, v128
	v_mov_b32_e32 v137, v128
.LBB120_466:
	s_or_b32 exec_lo, exec_lo, s1
.LBB120_467:
	s_andn2_saveexec_b32 s0, s0
	s_cbranch_execz .LBB120_469
; %bb.468:
	v_mov_b32_e32 v128, v70
	v_mov_b32_e32 v129, v71
	;; [unrolled: 1-line block ×8, first 2 shown]
	ds_write2_b64 v134, v[128:129], v[137:138] offset0:28 offset1:29
	ds_write2_b64 v134, v[139:140], v[141:142] offset0:30 offset1:31
	v_mov_b32_e32 v128, v60
	v_mov_b32_e32 v129, v61
	;; [unrolled: 1-line block ×20, first 2 shown]
	ds_write2_b64 v134, v[128:129], v[137:138] offset0:32 offset1:33
	ds_write2_b64 v134, v[139:140], v[141:142] offset0:34 offset1:35
	;; [unrolled: 1-line block ×5, first 2 shown]
	v_mov_b32_e32 v128, v40
	v_mov_b32_e32 v129, v41
	;; [unrolled: 1-line block ×20, first 2 shown]
	ds_write2_b64 v134, v[128:129], v[137:138] offset0:42 offset1:43
	ds_write2_b64 v134, v[139:140], v[141:142] offset0:44 offset1:45
	;; [unrolled: 1-line block ×5, first 2 shown]
	v_mov_b32_e32 v128, v20
	v_mov_b32_e32 v129, v21
	;; [unrolled: 1-line block ×8, first 2 shown]
	ds_write2_b64 v134, v[128:129], v[137:138] offset0:52 offset1:53
	v_mov_b32_e32 v137, 27
	v_mov_b32_e32 v143, v12
	;; [unrolled: 1-line block ×9, first 2 shown]
	ds_write2_b64 v134, v[139:140], v[141:142] offset0:54 offset1:55
	ds_write2_b64 v134, v[143:144], v[145:146] offset0:56 offset1:57
	;; [unrolled: 1-line block ×3, first 2 shown]
	ds_write_b64 v134, v[126:127] offset:480
.LBB120_469:
	s_or_b32 exec_lo, exec_lo, s0
	s_mov_b32 s0, exec_lo
	s_waitcnt lgkmcnt(0)
	s_waitcnt_vscnt null, 0x0
	s_barrier
	buffer_gl0_inv
	v_cmpx_lt_i32_e32 27, v137
	s_cbranch_execz .LBB120_471
; %bb.470:
	v_mul_f64 v[68:69], v[0:1], v[68:69]
	ds_read2_b64 v[138:141], v134 offset0:28 offset1:29
	ds_read2_b64 v[142:145], v134 offset0:30 offset1:31
	;; [unrolled: 1-line block ×13, first 2 shown]
	ds_read_b64 v[0:1], v134 offset:480
	s_waitcnt lgkmcnt(13)
	v_fma_f64 v[70:71], -v[68:69], v[138:139], v[70:71]
	v_fma_f64 v[64:65], -v[68:69], v[140:141], v[64:65]
	s_waitcnt lgkmcnt(12)
	v_fma_f64 v[66:67], -v[68:69], v[142:143], v[66:67]
	v_fma_f64 v[62:63], -v[68:69], v[144:145], v[62:63]
	;; [unrolled: 3-line block ×3, first 2 shown]
	ds_read2_b64 v[138:141], v134 offset0:54 offset1:55
	ds_read2_b64 v[142:145], v134 offset0:56 offset1:57
	;; [unrolled: 1-line block ×3, first 2 shown]
	s_waitcnt lgkmcnt(13)
	v_fma_f64 v[56:57], -v[68:69], v[150:151], v[56:57]
	v_fma_f64 v[54:55], -v[68:69], v[152:153], v[54:55]
	s_waitcnt lgkmcnt(12)
	v_fma_f64 v[52:53], -v[68:69], v[154:155], v[52:53]
	v_fma_f64 v[48:49], -v[68:69], v[156:157], v[48:49]
	s_waitcnt lgkmcnt(11)
	v_fma_f64 v[50:51], -v[68:69], v[158:159], v[50:51]
	v_fma_f64 v[44:45], -v[68:69], v[160:161], v[44:45]
	s_waitcnt lgkmcnt(10)
	v_fma_f64 v[46:47], -v[68:69], v[162:163], v[46:47]
	v_fma_f64 v[42:43], -v[68:69], v[164:165], v[42:43]
	s_waitcnt lgkmcnt(9)
	v_fma_f64 v[40:41], -v[68:69], v[166:167], v[40:41]
	v_fma_f64 v[38:39], -v[68:69], v[168:169], v[38:39]
	s_waitcnt lgkmcnt(8)
	v_fma_f64 v[36:37], -v[68:69], v[170:171], v[36:37]
	v_fma_f64 v[34:35], -v[68:69], v[172:173], v[34:35]
	s_waitcnt lgkmcnt(7)
	v_fma_f64 v[32:33], -v[68:69], v[174:175], v[32:33]
	v_fma_f64 v[28:29], -v[68:69], v[176:177], v[28:29]
	s_waitcnt lgkmcnt(6)
	v_fma_f64 v[30:31], -v[68:69], v[178:179], v[30:31]
	v_fma_f64 v[24:25], -v[68:69], v[180:181], v[24:25]
	s_waitcnt lgkmcnt(5)
	v_fma_f64 v[26:27], -v[68:69], v[182:183], v[26:27]
	v_fma_f64 v[22:23], -v[68:69], v[184:185], v[22:23]
	s_waitcnt lgkmcnt(4)
	v_fma_f64 v[20:21], -v[68:69], v[186:187], v[20:21]
	v_fma_f64 v[18:19], -v[68:69], v[188:189], v[18:19]
	s_waitcnt lgkmcnt(2)
	v_fma_f64 v[16:17], -v[68:69], v[138:139], v[16:17]
	v_fma_f64 v[14:15], -v[68:69], v[140:141], v[14:15]
	s_waitcnt lgkmcnt(1)
	v_fma_f64 v[12:13], -v[68:69], v[142:143], v[12:13]
	v_fma_f64 v[8:9], -v[68:69], v[144:145], v[8:9]
	s_waitcnt lgkmcnt(0)
	v_fma_f64 v[10:11], -v[68:69], v[146:147], v[10:11]
	v_fma_f64 v[6:7], -v[68:69], v[148:149], v[6:7]
	v_fma_f64 v[126:127], -v[68:69], v[0:1], v[126:127]
.LBB120_471:
	s_or_b32 exec_lo, exec_lo, s0
	v_lshl_add_u32 v0, v137, 3, v134
	s_barrier
	buffer_gl0_inv
	v_mov_b32_e32 v128, 28
	ds_write_b64 v0, v[70:71]
	s_waitcnt lgkmcnt(0)
	s_barrier
	buffer_gl0_inv
	ds_read_b64 v[0:1], v134 offset:224
	s_cmp_lt_i32 s7, 30
	s_cbranch_scc1 .LBB120_474
; %bb.472:
	v_add3_u32 v129, v135, 0, 0xe8
	v_mov_b32_e32 v128, 28
	s_mov_b32 s0, 29
.LBB120_473:                            ; =>This Inner Loop Header: Depth=1
	ds_read_b64 v[138:139], v129
	v_add_nc_u32_e32 v129, 8, v129
	s_waitcnt lgkmcnt(0)
	v_cmp_lt_f64_e64 vcc_lo, |v[0:1]|, |v[138:139]|
	v_cndmask_b32_e32 v1, v1, v139, vcc_lo
	v_cndmask_b32_e32 v0, v0, v138, vcc_lo
	v_cndmask_b32_e64 v128, v128, s0, vcc_lo
	s_add_i32 s0, s0, 1
	s_cmp_lg_u32 s7, s0
	s_cbranch_scc1 .LBB120_473
.LBB120_474:
	s_mov_b32 s0, exec_lo
	s_waitcnt lgkmcnt(0)
	v_cmpx_eq_f64_e32 0, v[0:1]
	s_xor_b32 s0, exec_lo, s0
; %bb.475:
	v_cmp_ne_u32_e32 vcc_lo, 0, v131
	v_cndmask_b32_e32 v131, 29, v131, vcc_lo
; %bb.476:
	s_andn2_saveexec_b32 s0, s0
	s_cbranch_execz .LBB120_478
; %bb.477:
	v_div_scale_f64 v[129:130], null, v[0:1], v[0:1], 1.0
	v_rcp_f64_e32 v[138:139], v[129:130]
	v_fma_f64 v[140:141], -v[129:130], v[138:139], 1.0
	v_fma_f64 v[138:139], v[138:139], v[140:141], v[138:139]
	v_fma_f64 v[140:141], -v[129:130], v[138:139], 1.0
	v_fma_f64 v[138:139], v[138:139], v[140:141], v[138:139]
	v_div_scale_f64 v[140:141], vcc_lo, 1.0, v[0:1], 1.0
	v_mul_f64 v[142:143], v[140:141], v[138:139]
	v_fma_f64 v[129:130], -v[129:130], v[142:143], v[140:141]
	v_div_fmas_f64 v[129:130], v[129:130], v[138:139], v[142:143]
	v_div_fixup_f64 v[0:1], v[129:130], v[0:1], 1.0
.LBB120_478:
	s_or_b32 exec_lo, exec_lo, s0
	s_mov_b32 s0, exec_lo
	v_cmpx_ne_u32_e64 v137, v128
	s_xor_b32 s0, exec_lo, s0
	s_cbranch_execz .LBB120_484
; %bb.479:
	s_mov_b32 s1, exec_lo
	v_cmpx_eq_u32_e32 28, v137
	s_cbranch_execz .LBB120_483
; %bb.480:
	v_cmp_ne_u32_e32 vcc_lo, 28, v128
	s_xor_b32 s2, s6, -1
	s_and_b32 s3, s2, vcc_lo
	s_and_saveexec_b32 s2, s3
	s_cbranch_execz .LBB120_482
; %bb.481:
	v_ashrrev_i32_e32 v129, 31, v128
	v_lshlrev_b64 v[129:130], 2, v[128:129]
	v_add_co_u32 v129, vcc_lo, v4, v129
	v_add_co_ci_u32_e64 v130, null, v5, v130, vcc_lo
	s_clause 0x1
	global_load_dword v136, v[129:130], off
	global_load_dword v137, v[4:5], off offset:112
	s_waitcnt vmcnt(1)
	global_store_dword v[4:5], v136, off offset:112
	s_waitcnt vmcnt(0)
	global_store_dword v[129:130], v137, off
.LBB120_482:
	s_or_b32 exec_lo, exec_lo, s2
	v_mov_b32_e32 v136, v128
	v_mov_b32_e32 v137, v128
.LBB120_483:
	s_or_b32 exec_lo, exec_lo, s1
.LBB120_484:
	s_andn2_saveexec_b32 s0, s0
	s_cbranch_execz .LBB120_486
; %bb.485:
	v_mov_b32_e32 v137, 28
	ds_write2_b64 v134, v[64:65], v[66:67] offset0:29 offset1:30
	ds_write2_b64 v134, v[62:63], v[60:61] offset0:31 offset1:32
	;; [unrolled: 1-line block ×16, first 2 shown]
.LBB120_486:
	s_or_b32 exec_lo, exec_lo, s0
	s_mov_b32 s0, exec_lo
	s_waitcnt lgkmcnt(0)
	s_waitcnt_vscnt null, 0x0
	s_barrier
	buffer_gl0_inv
	v_cmpx_lt_i32_e32 28, v137
	s_cbranch_execz .LBB120_488
; %bb.487:
	v_mul_f64 v[70:71], v[0:1], v[70:71]
	ds_read2_b64 v[138:141], v134 offset0:29 offset1:30
	ds_read2_b64 v[142:145], v134 offset0:31 offset1:32
	;; [unrolled: 1-line block ×13, first 2 shown]
	s_waitcnt lgkmcnt(12)
	v_fma_f64 v[64:65], -v[70:71], v[138:139], v[64:65]
	v_fma_f64 v[66:67], -v[70:71], v[140:141], v[66:67]
	s_waitcnt lgkmcnt(11)
	v_fma_f64 v[62:63], -v[70:71], v[142:143], v[62:63]
	v_fma_f64 v[60:61], -v[70:71], v[144:145], v[60:61]
	;; [unrolled: 3-line block ×3, first 2 shown]
	ds_read2_b64 v[138:141], v134 offset0:55 offset1:56
	ds_read2_b64 v[142:145], v134 offset0:57 offset1:58
	;; [unrolled: 1-line block ×3, first 2 shown]
	s_waitcnt lgkmcnt(12)
	v_fma_f64 v[54:55], -v[70:71], v[150:151], v[54:55]
	v_fma_f64 v[52:53], -v[70:71], v[152:153], v[52:53]
	s_waitcnt lgkmcnt(11)
	v_fma_f64 v[48:49], -v[70:71], v[154:155], v[48:49]
	v_fma_f64 v[50:51], -v[70:71], v[156:157], v[50:51]
	;; [unrolled: 3-line block ×13, first 2 shown]
.LBB120_488:
	s_or_b32 exec_lo, exec_lo, s0
	v_lshl_add_u32 v0, v137, 3, v134
	s_barrier
	buffer_gl0_inv
	v_mov_b32_e32 v128, 29
	ds_write_b64 v0, v[64:65]
	s_waitcnt lgkmcnt(0)
	s_barrier
	buffer_gl0_inv
	ds_read_b64 v[0:1], v134 offset:232
	s_cmp_lt_i32 s7, 31
	s_cbranch_scc1 .LBB120_491
; %bb.489:
	v_add3_u32 v129, v135, 0, 0xf0
	v_mov_b32_e32 v128, 29
	s_mov_b32 s0, 30
.LBB120_490:                            ; =>This Inner Loop Header: Depth=1
	ds_read_b64 v[138:139], v129
	v_add_nc_u32_e32 v129, 8, v129
	s_waitcnt lgkmcnt(0)
	v_cmp_lt_f64_e64 vcc_lo, |v[0:1]|, |v[138:139]|
	v_cndmask_b32_e32 v1, v1, v139, vcc_lo
	v_cndmask_b32_e32 v0, v0, v138, vcc_lo
	v_cndmask_b32_e64 v128, v128, s0, vcc_lo
	s_add_i32 s0, s0, 1
	s_cmp_lg_u32 s7, s0
	s_cbranch_scc1 .LBB120_490
.LBB120_491:
	s_mov_b32 s0, exec_lo
	s_waitcnt lgkmcnt(0)
	v_cmpx_eq_f64_e32 0, v[0:1]
	s_xor_b32 s0, exec_lo, s0
; %bb.492:
	v_cmp_ne_u32_e32 vcc_lo, 0, v131
	v_cndmask_b32_e32 v131, 30, v131, vcc_lo
; %bb.493:
	s_andn2_saveexec_b32 s0, s0
	s_cbranch_execz .LBB120_495
; %bb.494:
	v_div_scale_f64 v[129:130], null, v[0:1], v[0:1], 1.0
	v_rcp_f64_e32 v[138:139], v[129:130]
	v_fma_f64 v[140:141], -v[129:130], v[138:139], 1.0
	v_fma_f64 v[138:139], v[138:139], v[140:141], v[138:139]
	v_fma_f64 v[140:141], -v[129:130], v[138:139], 1.0
	v_fma_f64 v[138:139], v[138:139], v[140:141], v[138:139]
	v_div_scale_f64 v[140:141], vcc_lo, 1.0, v[0:1], 1.0
	v_mul_f64 v[142:143], v[140:141], v[138:139]
	v_fma_f64 v[129:130], -v[129:130], v[142:143], v[140:141]
	v_div_fmas_f64 v[129:130], v[129:130], v[138:139], v[142:143]
	v_div_fixup_f64 v[0:1], v[129:130], v[0:1], 1.0
.LBB120_495:
	s_or_b32 exec_lo, exec_lo, s0
	s_mov_b32 s0, exec_lo
	v_cmpx_ne_u32_e64 v137, v128
	s_xor_b32 s0, exec_lo, s0
	s_cbranch_execz .LBB120_501
; %bb.496:
	s_mov_b32 s1, exec_lo
	v_cmpx_eq_u32_e32 29, v137
	s_cbranch_execz .LBB120_500
; %bb.497:
	v_cmp_ne_u32_e32 vcc_lo, 29, v128
	s_xor_b32 s2, s6, -1
	s_and_b32 s3, s2, vcc_lo
	s_and_saveexec_b32 s2, s3
	s_cbranch_execz .LBB120_499
; %bb.498:
	v_ashrrev_i32_e32 v129, 31, v128
	v_lshlrev_b64 v[129:130], 2, v[128:129]
	v_add_co_u32 v129, vcc_lo, v4, v129
	v_add_co_ci_u32_e64 v130, null, v5, v130, vcc_lo
	s_clause 0x1
	global_load_dword v136, v[129:130], off
	global_load_dword v137, v[4:5], off offset:116
	s_waitcnt vmcnt(1)
	global_store_dword v[4:5], v136, off offset:116
	s_waitcnt vmcnt(0)
	global_store_dword v[129:130], v137, off
.LBB120_499:
	s_or_b32 exec_lo, exec_lo, s2
	v_mov_b32_e32 v136, v128
	v_mov_b32_e32 v137, v128
.LBB120_500:
	s_or_b32 exec_lo, exec_lo, s1
.LBB120_501:
	s_andn2_saveexec_b32 s0, s0
	s_cbranch_execz .LBB120_503
; %bb.502:
	v_mov_b32_e32 v128, v66
	v_mov_b32_e32 v129, v67
	;; [unrolled: 1-line block ×8, first 2 shown]
	ds_write2_b64 v134, v[128:129], v[137:138] offset0:30 offset1:31
	v_mov_b32_e32 v128, v58
	v_mov_b32_e32 v129, v59
	;; [unrolled: 1-line block ×16, first 2 shown]
	ds_write2_b64 v134, v[139:140], v[128:129] offset0:32 offset1:33
	ds_write2_b64 v134, v[137:138], v[141:142] offset0:34 offset1:35
	ds_write2_b64 v134, v[143:144], v[145:146] offset0:36 offset1:37
	ds_write2_b64 v134, v[147:148], v[149:150] offset0:38 offset1:39
	ds_write2_b64 v134, v[151:152], v[153:154] offset0:40 offset1:41
	v_mov_b32_e32 v128, v40
	v_mov_b32_e32 v129, v41
	;; [unrolled: 1-line block ×20, first 2 shown]
	ds_write2_b64 v134, v[128:129], v[137:138] offset0:42 offset1:43
	ds_write2_b64 v134, v[139:140], v[141:142] offset0:44 offset1:45
	;; [unrolled: 1-line block ×5, first 2 shown]
	v_mov_b32_e32 v128, v20
	v_mov_b32_e32 v129, v21
	;; [unrolled: 1-line block ×8, first 2 shown]
	ds_write2_b64 v134, v[128:129], v[137:138] offset0:52 offset1:53
	v_mov_b32_e32 v137, 29
	v_mov_b32_e32 v143, v12
	;; [unrolled: 1-line block ×9, first 2 shown]
	ds_write2_b64 v134, v[139:140], v[141:142] offset0:54 offset1:55
	ds_write2_b64 v134, v[143:144], v[145:146] offset0:56 offset1:57
	;; [unrolled: 1-line block ×3, first 2 shown]
	ds_write_b64 v134, v[126:127] offset:480
.LBB120_503:
	s_or_b32 exec_lo, exec_lo, s0
	s_mov_b32 s0, exec_lo
	s_waitcnt lgkmcnt(0)
	s_waitcnt_vscnt null, 0x0
	s_barrier
	buffer_gl0_inv
	v_cmpx_lt_i32_e32 29, v137
	s_cbranch_execz .LBB120_505
; %bb.504:
	v_mul_f64 v[64:65], v[0:1], v[64:65]
	ds_read2_b64 v[138:141], v134 offset0:30 offset1:31
	ds_read2_b64 v[142:145], v134 offset0:32 offset1:33
	;; [unrolled: 1-line block ×13, first 2 shown]
	ds_read_b64 v[0:1], v134 offset:480
	s_waitcnt lgkmcnt(13)
	v_fma_f64 v[66:67], -v[64:65], v[138:139], v[66:67]
	v_fma_f64 v[62:63], -v[64:65], v[140:141], v[62:63]
	s_waitcnt lgkmcnt(12)
	v_fma_f64 v[60:61], -v[64:65], v[142:143], v[60:61]
	v_fma_f64 v[58:59], -v[64:65], v[144:145], v[58:59]
	ds_read2_b64 v[138:141], v134 offset0:56 offset1:57
	ds_read2_b64 v[142:145], v134 offset0:58 offset1:59
	s_waitcnt lgkmcnt(13)
	v_fma_f64 v[56:57], -v[64:65], v[146:147], v[56:57]
	v_fma_f64 v[54:55], -v[64:65], v[148:149], v[54:55]
	s_waitcnt lgkmcnt(12)
	v_fma_f64 v[52:53], -v[64:65], v[150:151], v[52:53]
	v_fma_f64 v[48:49], -v[64:65], v[152:153], v[48:49]
	;; [unrolled: 3-line block ×13, first 2 shown]
	v_fma_f64 v[126:127], -v[64:65], v[0:1], v[126:127]
.LBB120_505:
	s_or_b32 exec_lo, exec_lo, s0
	v_lshl_add_u32 v0, v137, 3, v134
	s_barrier
	buffer_gl0_inv
	v_mov_b32_e32 v128, 30
	ds_write_b64 v0, v[66:67]
	s_waitcnt lgkmcnt(0)
	s_barrier
	buffer_gl0_inv
	ds_read_b64 v[0:1], v134 offset:240
	s_cmp_lt_i32 s7, 32
	s_cbranch_scc1 .LBB120_508
; %bb.506:
	v_add3_u32 v129, v135, 0, 0xf8
	v_mov_b32_e32 v128, 30
	s_mov_b32 s0, 31
.LBB120_507:                            ; =>This Inner Loop Header: Depth=1
	ds_read_b64 v[138:139], v129
	v_add_nc_u32_e32 v129, 8, v129
	s_waitcnt lgkmcnt(0)
	v_cmp_lt_f64_e64 vcc_lo, |v[0:1]|, |v[138:139]|
	v_cndmask_b32_e32 v1, v1, v139, vcc_lo
	v_cndmask_b32_e32 v0, v0, v138, vcc_lo
	v_cndmask_b32_e64 v128, v128, s0, vcc_lo
	s_add_i32 s0, s0, 1
	s_cmp_lg_u32 s7, s0
	s_cbranch_scc1 .LBB120_507
.LBB120_508:
	s_mov_b32 s0, exec_lo
	s_waitcnt lgkmcnt(0)
	v_cmpx_eq_f64_e32 0, v[0:1]
	s_xor_b32 s0, exec_lo, s0
; %bb.509:
	v_cmp_ne_u32_e32 vcc_lo, 0, v131
	v_cndmask_b32_e32 v131, 31, v131, vcc_lo
; %bb.510:
	s_andn2_saveexec_b32 s0, s0
	s_cbranch_execz .LBB120_512
; %bb.511:
	v_div_scale_f64 v[129:130], null, v[0:1], v[0:1], 1.0
	v_rcp_f64_e32 v[138:139], v[129:130]
	v_fma_f64 v[140:141], -v[129:130], v[138:139], 1.0
	v_fma_f64 v[138:139], v[138:139], v[140:141], v[138:139]
	v_fma_f64 v[140:141], -v[129:130], v[138:139], 1.0
	v_fma_f64 v[138:139], v[138:139], v[140:141], v[138:139]
	v_div_scale_f64 v[140:141], vcc_lo, 1.0, v[0:1], 1.0
	v_mul_f64 v[142:143], v[140:141], v[138:139]
	v_fma_f64 v[129:130], -v[129:130], v[142:143], v[140:141]
	v_div_fmas_f64 v[129:130], v[129:130], v[138:139], v[142:143]
	v_div_fixup_f64 v[0:1], v[129:130], v[0:1], 1.0
.LBB120_512:
	s_or_b32 exec_lo, exec_lo, s0
	s_mov_b32 s0, exec_lo
	v_cmpx_ne_u32_e64 v137, v128
	s_xor_b32 s0, exec_lo, s0
	s_cbranch_execz .LBB120_518
; %bb.513:
	s_mov_b32 s1, exec_lo
	v_cmpx_eq_u32_e32 30, v137
	s_cbranch_execz .LBB120_517
; %bb.514:
	v_cmp_ne_u32_e32 vcc_lo, 30, v128
	s_xor_b32 s2, s6, -1
	s_and_b32 s3, s2, vcc_lo
	s_and_saveexec_b32 s2, s3
	s_cbranch_execz .LBB120_516
; %bb.515:
	v_ashrrev_i32_e32 v129, 31, v128
	v_lshlrev_b64 v[129:130], 2, v[128:129]
	v_add_co_u32 v129, vcc_lo, v4, v129
	v_add_co_ci_u32_e64 v130, null, v5, v130, vcc_lo
	s_clause 0x1
	global_load_dword v136, v[129:130], off
	global_load_dword v137, v[4:5], off offset:120
	s_waitcnt vmcnt(1)
	global_store_dword v[4:5], v136, off offset:120
	s_waitcnt vmcnt(0)
	global_store_dword v[129:130], v137, off
.LBB120_516:
	s_or_b32 exec_lo, exec_lo, s2
	v_mov_b32_e32 v136, v128
	v_mov_b32_e32 v137, v128
.LBB120_517:
	s_or_b32 exec_lo, exec_lo, s1
.LBB120_518:
	s_andn2_saveexec_b32 s0, s0
	s_cbranch_execz .LBB120_520
; %bb.519:
	v_mov_b32_e32 v137, 30
	ds_write2_b64 v134, v[62:63], v[60:61] offset0:31 offset1:32
	ds_write2_b64 v134, v[58:59], v[56:57] offset0:33 offset1:34
	;; [unrolled: 1-line block ×15, first 2 shown]
.LBB120_520:
	s_or_b32 exec_lo, exec_lo, s0
	s_mov_b32 s0, exec_lo
	s_waitcnt lgkmcnt(0)
	s_waitcnt_vscnt null, 0x0
	s_barrier
	buffer_gl0_inv
	v_cmpx_lt_i32_e32 30, v137
	s_cbranch_execz .LBB120_522
; %bb.521:
	v_mul_f64 v[66:67], v[0:1], v[66:67]
	ds_read2_b64 v[138:141], v134 offset0:31 offset1:32
	ds_read2_b64 v[142:145], v134 offset0:33 offset1:34
	;; [unrolled: 1-line block ×14, first 2 shown]
	s_waitcnt lgkmcnt(13)
	v_fma_f64 v[62:63], -v[66:67], v[138:139], v[62:63]
	v_fma_f64 v[60:61], -v[66:67], v[140:141], v[60:61]
	ds_read2_b64 v[138:141], v134 offset0:59 offset1:60
	s_waitcnt lgkmcnt(13)
	v_fma_f64 v[58:59], -v[66:67], v[142:143], v[58:59]
	v_fma_f64 v[56:57], -v[66:67], v[144:145], v[56:57]
	s_waitcnt lgkmcnt(12)
	v_fma_f64 v[54:55], -v[66:67], v[146:147], v[54:55]
	v_fma_f64 v[52:53], -v[66:67], v[148:149], v[52:53]
	;; [unrolled: 3-line block ×14, first 2 shown]
.LBB120_522:
	s_or_b32 exec_lo, exec_lo, s0
	v_lshl_add_u32 v0, v137, 3, v134
	s_barrier
	buffer_gl0_inv
	v_mov_b32_e32 v128, 31
	ds_write_b64 v0, v[62:63]
	s_waitcnt lgkmcnt(0)
	s_barrier
	buffer_gl0_inv
	ds_read_b64 v[0:1], v134 offset:248
	s_cmp_lt_i32 s7, 33
	s_cbranch_scc1 .LBB120_525
; %bb.523:
	v_add3_u32 v129, v135, 0, 0x100
	v_mov_b32_e32 v128, 31
	s_mov_b32 s0, 32
.LBB120_524:                            ; =>This Inner Loop Header: Depth=1
	ds_read_b64 v[138:139], v129
	v_add_nc_u32_e32 v129, 8, v129
	s_waitcnt lgkmcnt(0)
	v_cmp_lt_f64_e64 vcc_lo, |v[0:1]|, |v[138:139]|
	v_cndmask_b32_e32 v1, v1, v139, vcc_lo
	v_cndmask_b32_e32 v0, v0, v138, vcc_lo
	v_cndmask_b32_e64 v128, v128, s0, vcc_lo
	s_add_i32 s0, s0, 1
	s_cmp_lg_u32 s7, s0
	s_cbranch_scc1 .LBB120_524
.LBB120_525:
	s_mov_b32 s0, exec_lo
	s_waitcnt lgkmcnt(0)
	v_cmpx_eq_f64_e32 0, v[0:1]
	s_xor_b32 s0, exec_lo, s0
; %bb.526:
	v_cmp_ne_u32_e32 vcc_lo, 0, v131
	v_cndmask_b32_e32 v131, 32, v131, vcc_lo
; %bb.527:
	s_andn2_saveexec_b32 s0, s0
	s_cbranch_execz .LBB120_529
; %bb.528:
	v_div_scale_f64 v[129:130], null, v[0:1], v[0:1], 1.0
	v_rcp_f64_e32 v[138:139], v[129:130]
	v_fma_f64 v[140:141], -v[129:130], v[138:139], 1.0
	v_fma_f64 v[138:139], v[138:139], v[140:141], v[138:139]
	v_fma_f64 v[140:141], -v[129:130], v[138:139], 1.0
	v_fma_f64 v[138:139], v[138:139], v[140:141], v[138:139]
	v_div_scale_f64 v[140:141], vcc_lo, 1.0, v[0:1], 1.0
	v_mul_f64 v[142:143], v[140:141], v[138:139]
	v_fma_f64 v[129:130], -v[129:130], v[142:143], v[140:141]
	v_div_fmas_f64 v[129:130], v[129:130], v[138:139], v[142:143]
	v_div_fixup_f64 v[0:1], v[129:130], v[0:1], 1.0
.LBB120_529:
	s_or_b32 exec_lo, exec_lo, s0
	s_mov_b32 s0, exec_lo
	v_cmpx_ne_u32_e64 v137, v128
	s_xor_b32 s0, exec_lo, s0
	s_cbranch_execz .LBB120_535
; %bb.530:
	s_mov_b32 s1, exec_lo
	v_cmpx_eq_u32_e32 31, v137
	s_cbranch_execz .LBB120_534
; %bb.531:
	v_cmp_ne_u32_e32 vcc_lo, 31, v128
	s_xor_b32 s2, s6, -1
	s_and_b32 s3, s2, vcc_lo
	s_and_saveexec_b32 s2, s3
	s_cbranch_execz .LBB120_533
; %bb.532:
	v_ashrrev_i32_e32 v129, 31, v128
	v_lshlrev_b64 v[129:130], 2, v[128:129]
	v_add_co_u32 v129, vcc_lo, v4, v129
	v_add_co_ci_u32_e64 v130, null, v5, v130, vcc_lo
	s_clause 0x1
	global_load_dword v136, v[129:130], off
	global_load_dword v137, v[4:5], off offset:124
	s_waitcnt vmcnt(1)
	global_store_dword v[4:5], v136, off offset:124
	s_waitcnt vmcnt(0)
	global_store_dword v[129:130], v137, off
.LBB120_533:
	s_or_b32 exec_lo, exec_lo, s2
	v_mov_b32_e32 v136, v128
	v_mov_b32_e32 v137, v128
.LBB120_534:
	s_or_b32 exec_lo, exec_lo, s1
.LBB120_535:
	s_andn2_saveexec_b32 s0, s0
	s_cbranch_execz .LBB120_537
; %bb.536:
	v_mov_b32_e32 v128, v60
	v_mov_b32_e32 v129, v61
	;; [unrolled: 1-line block ×20, first 2 shown]
	ds_write2_b64 v134, v[128:129], v[137:138] offset0:32 offset1:33
	ds_write2_b64 v134, v[139:140], v[141:142] offset0:34 offset1:35
	;; [unrolled: 1-line block ×5, first 2 shown]
	v_mov_b32_e32 v128, v40
	v_mov_b32_e32 v129, v41
	;; [unrolled: 1-line block ×20, first 2 shown]
	ds_write2_b64 v134, v[128:129], v[137:138] offset0:42 offset1:43
	ds_write2_b64 v134, v[139:140], v[141:142] offset0:44 offset1:45
	;; [unrolled: 1-line block ×5, first 2 shown]
	v_mov_b32_e32 v128, v20
	v_mov_b32_e32 v129, v21
	;; [unrolled: 1-line block ×8, first 2 shown]
	ds_write2_b64 v134, v[128:129], v[137:138] offset0:52 offset1:53
	v_mov_b32_e32 v137, 31
	v_mov_b32_e32 v143, v12
	;; [unrolled: 1-line block ×9, first 2 shown]
	ds_write2_b64 v134, v[139:140], v[141:142] offset0:54 offset1:55
	ds_write2_b64 v134, v[143:144], v[145:146] offset0:56 offset1:57
	ds_write2_b64 v134, v[147:148], v[149:150] offset0:58 offset1:59
	ds_write_b64 v134, v[126:127] offset:480
.LBB120_537:
	s_or_b32 exec_lo, exec_lo, s0
	s_mov_b32 s0, exec_lo
	s_waitcnt lgkmcnt(0)
	s_waitcnt_vscnt null, 0x0
	s_barrier
	buffer_gl0_inv
	v_cmpx_lt_i32_e32 31, v137
	s_cbranch_execz .LBB120_539
; %bb.538:
	v_mul_f64 v[62:63], v[0:1], v[62:63]
	ds_read2_b64 v[138:141], v134 offset0:32 offset1:33
	ds_read2_b64 v[142:145], v134 offset0:34 offset1:35
	;; [unrolled: 1-line block ×14, first 2 shown]
	ds_read_b64 v[0:1], v134 offset:480
	s_waitcnt lgkmcnt(14)
	v_fma_f64 v[60:61], -v[62:63], v[138:139], v[60:61]
	v_fma_f64 v[58:59], -v[62:63], v[140:141], v[58:59]
	s_waitcnt lgkmcnt(13)
	v_fma_f64 v[56:57], -v[62:63], v[142:143], v[56:57]
	v_fma_f64 v[54:55], -v[62:63], v[144:145], v[54:55]
	;; [unrolled: 3-line block ×14, first 2 shown]
	s_waitcnt lgkmcnt(0)
	v_fma_f64 v[126:127], -v[62:63], v[0:1], v[126:127]
.LBB120_539:
	s_or_b32 exec_lo, exec_lo, s0
	v_lshl_add_u32 v0, v137, 3, v134
	s_barrier
	buffer_gl0_inv
	v_mov_b32_e32 v128, 32
	ds_write_b64 v0, v[60:61]
	s_waitcnt lgkmcnt(0)
	s_barrier
	buffer_gl0_inv
	ds_read_b64 v[0:1], v134 offset:256
	s_cmp_lt_i32 s7, 34
	s_cbranch_scc1 .LBB120_542
; %bb.540:
	v_add3_u32 v129, v135, 0, 0x108
	v_mov_b32_e32 v128, 32
	s_mov_b32 s0, 33
.LBB120_541:                            ; =>This Inner Loop Header: Depth=1
	ds_read_b64 v[138:139], v129
	v_add_nc_u32_e32 v129, 8, v129
	s_waitcnt lgkmcnt(0)
	v_cmp_lt_f64_e64 vcc_lo, |v[0:1]|, |v[138:139]|
	v_cndmask_b32_e32 v1, v1, v139, vcc_lo
	v_cndmask_b32_e32 v0, v0, v138, vcc_lo
	v_cndmask_b32_e64 v128, v128, s0, vcc_lo
	s_add_i32 s0, s0, 1
	s_cmp_lg_u32 s7, s0
	s_cbranch_scc1 .LBB120_541
.LBB120_542:
	s_mov_b32 s0, exec_lo
	s_waitcnt lgkmcnt(0)
	v_cmpx_eq_f64_e32 0, v[0:1]
	s_xor_b32 s0, exec_lo, s0
; %bb.543:
	v_cmp_ne_u32_e32 vcc_lo, 0, v131
	v_cndmask_b32_e32 v131, 33, v131, vcc_lo
; %bb.544:
	s_andn2_saveexec_b32 s0, s0
	s_cbranch_execz .LBB120_546
; %bb.545:
	v_div_scale_f64 v[129:130], null, v[0:1], v[0:1], 1.0
	v_rcp_f64_e32 v[138:139], v[129:130]
	v_fma_f64 v[140:141], -v[129:130], v[138:139], 1.0
	v_fma_f64 v[138:139], v[138:139], v[140:141], v[138:139]
	v_fma_f64 v[140:141], -v[129:130], v[138:139], 1.0
	v_fma_f64 v[138:139], v[138:139], v[140:141], v[138:139]
	v_div_scale_f64 v[140:141], vcc_lo, 1.0, v[0:1], 1.0
	v_mul_f64 v[142:143], v[140:141], v[138:139]
	v_fma_f64 v[129:130], -v[129:130], v[142:143], v[140:141]
	v_div_fmas_f64 v[129:130], v[129:130], v[138:139], v[142:143]
	v_div_fixup_f64 v[0:1], v[129:130], v[0:1], 1.0
.LBB120_546:
	s_or_b32 exec_lo, exec_lo, s0
	s_mov_b32 s0, exec_lo
	v_cmpx_ne_u32_e64 v137, v128
	s_xor_b32 s0, exec_lo, s0
	s_cbranch_execz .LBB120_552
; %bb.547:
	s_mov_b32 s1, exec_lo
	v_cmpx_eq_u32_e32 32, v137
	s_cbranch_execz .LBB120_551
; %bb.548:
	v_cmp_ne_u32_e32 vcc_lo, 32, v128
	s_xor_b32 s2, s6, -1
	s_and_b32 s3, s2, vcc_lo
	s_and_saveexec_b32 s2, s3
	s_cbranch_execz .LBB120_550
; %bb.549:
	v_ashrrev_i32_e32 v129, 31, v128
	v_lshlrev_b64 v[129:130], 2, v[128:129]
	v_add_co_u32 v129, vcc_lo, v4, v129
	v_add_co_ci_u32_e64 v130, null, v5, v130, vcc_lo
	s_clause 0x1
	global_load_dword v136, v[129:130], off
	global_load_dword v137, v[4:5], off offset:128
	s_waitcnt vmcnt(1)
	global_store_dword v[4:5], v136, off offset:128
	s_waitcnt vmcnt(0)
	global_store_dword v[129:130], v137, off
.LBB120_550:
	s_or_b32 exec_lo, exec_lo, s2
	v_mov_b32_e32 v136, v128
	v_mov_b32_e32 v137, v128
.LBB120_551:
	s_or_b32 exec_lo, exec_lo, s1
.LBB120_552:
	s_andn2_saveexec_b32 s0, s0
	s_cbranch_execz .LBB120_554
; %bb.553:
	v_mov_b32_e32 v137, 32
	ds_write2_b64 v134, v[58:59], v[56:57] offset0:33 offset1:34
	ds_write2_b64 v134, v[54:55], v[52:53] offset0:35 offset1:36
	;; [unrolled: 1-line block ×14, first 2 shown]
.LBB120_554:
	s_or_b32 exec_lo, exec_lo, s0
	s_mov_b32 s0, exec_lo
	s_waitcnt lgkmcnt(0)
	s_waitcnt_vscnt null, 0x0
	s_barrier
	buffer_gl0_inv
	v_cmpx_lt_i32_e32 32, v137
	s_cbranch_execz .LBB120_556
; %bb.555:
	v_mul_f64 v[60:61], v[0:1], v[60:61]
	ds_read2_b64 v[138:141], v134 offset0:33 offset1:34
	ds_read2_b64 v[142:145], v134 offset0:35 offset1:36
	;; [unrolled: 1-line block ×14, first 2 shown]
	s_waitcnt lgkmcnt(13)
	v_fma_f64 v[58:59], -v[60:61], v[138:139], v[58:59]
	v_fma_f64 v[56:57], -v[60:61], v[140:141], v[56:57]
	s_waitcnt lgkmcnt(12)
	v_fma_f64 v[54:55], -v[60:61], v[142:143], v[54:55]
	v_fma_f64 v[52:53], -v[60:61], v[144:145], v[52:53]
	s_waitcnt lgkmcnt(11)
	v_fma_f64 v[48:49], -v[60:61], v[146:147], v[48:49]
	v_fma_f64 v[50:51], -v[60:61], v[148:149], v[50:51]
	s_waitcnt lgkmcnt(10)
	v_fma_f64 v[44:45], -v[60:61], v[150:151], v[44:45]
	v_fma_f64 v[46:47], -v[60:61], v[152:153], v[46:47]
	s_waitcnt lgkmcnt(9)
	v_fma_f64 v[42:43], -v[60:61], v[154:155], v[42:43]
	v_fma_f64 v[40:41], -v[60:61], v[156:157], v[40:41]
	s_waitcnt lgkmcnt(8)
	v_fma_f64 v[38:39], -v[60:61], v[158:159], v[38:39]
	v_fma_f64 v[36:37], -v[60:61], v[160:161], v[36:37]
	s_waitcnt lgkmcnt(7)
	v_fma_f64 v[34:35], -v[60:61], v[162:163], v[34:35]
	v_fma_f64 v[32:33], -v[60:61], v[164:165], v[32:33]
	s_waitcnt lgkmcnt(6)
	v_fma_f64 v[28:29], -v[60:61], v[166:167], v[28:29]
	v_fma_f64 v[30:31], -v[60:61], v[168:169], v[30:31]
	s_waitcnt lgkmcnt(5)
	v_fma_f64 v[24:25], -v[60:61], v[170:171], v[24:25]
	v_fma_f64 v[26:27], -v[60:61], v[172:173], v[26:27]
	s_waitcnt lgkmcnt(4)
	v_fma_f64 v[22:23], -v[60:61], v[174:175], v[22:23]
	v_fma_f64 v[20:21], -v[60:61], v[176:177], v[20:21]
	s_waitcnt lgkmcnt(3)
	v_fma_f64 v[18:19], -v[60:61], v[178:179], v[18:19]
	v_fma_f64 v[16:17], -v[60:61], v[180:181], v[16:17]
	s_waitcnt lgkmcnt(2)
	v_fma_f64 v[14:15], -v[60:61], v[182:183], v[14:15]
	v_fma_f64 v[12:13], -v[60:61], v[184:185], v[12:13]
	s_waitcnt lgkmcnt(1)
	v_fma_f64 v[8:9], -v[60:61], v[186:187], v[8:9]
	v_fma_f64 v[10:11], -v[60:61], v[188:189], v[10:11]
	s_waitcnt lgkmcnt(0)
	v_fma_f64 v[6:7], -v[60:61], v[190:191], v[6:7]
	v_fma_f64 v[126:127], -v[60:61], v[192:193], v[126:127]
.LBB120_556:
	s_or_b32 exec_lo, exec_lo, s0
	v_lshl_add_u32 v0, v137, 3, v134
	s_barrier
	buffer_gl0_inv
	v_mov_b32_e32 v128, 33
	ds_write_b64 v0, v[58:59]
	s_waitcnt lgkmcnt(0)
	s_barrier
	buffer_gl0_inv
	ds_read_b64 v[0:1], v134 offset:264
	s_cmp_lt_i32 s7, 35
	s_cbranch_scc1 .LBB120_559
; %bb.557:
	v_add3_u32 v129, v135, 0, 0x110
	v_mov_b32_e32 v128, 33
	s_mov_b32 s0, 34
.LBB120_558:                            ; =>This Inner Loop Header: Depth=1
	ds_read_b64 v[138:139], v129
	v_add_nc_u32_e32 v129, 8, v129
	s_waitcnt lgkmcnt(0)
	v_cmp_lt_f64_e64 vcc_lo, |v[0:1]|, |v[138:139]|
	v_cndmask_b32_e32 v1, v1, v139, vcc_lo
	v_cndmask_b32_e32 v0, v0, v138, vcc_lo
	v_cndmask_b32_e64 v128, v128, s0, vcc_lo
	s_add_i32 s0, s0, 1
	s_cmp_lg_u32 s7, s0
	s_cbranch_scc1 .LBB120_558
.LBB120_559:
	s_mov_b32 s0, exec_lo
	s_waitcnt lgkmcnt(0)
	v_cmpx_eq_f64_e32 0, v[0:1]
	s_xor_b32 s0, exec_lo, s0
; %bb.560:
	v_cmp_ne_u32_e32 vcc_lo, 0, v131
	v_cndmask_b32_e32 v131, 34, v131, vcc_lo
; %bb.561:
	s_andn2_saveexec_b32 s0, s0
	s_cbranch_execz .LBB120_563
; %bb.562:
	v_div_scale_f64 v[129:130], null, v[0:1], v[0:1], 1.0
	v_rcp_f64_e32 v[138:139], v[129:130]
	v_fma_f64 v[140:141], -v[129:130], v[138:139], 1.0
	v_fma_f64 v[138:139], v[138:139], v[140:141], v[138:139]
	v_fma_f64 v[140:141], -v[129:130], v[138:139], 1.0
	v_fma_f64 v[138:139], v[138:139], v[140:141], v[138:139]
	v_div_scale_f64 v[140:141], vcc_lo, 1.0, v[0:1], 1.0
	v_mul_f64 v[142:143], v[140:141], v[138:139]
	v_fma_f64 v[129:130], -v[129:130], v[142:143], v[140:141]
	v_div_fmas_f64 v[129:130], v[129:130], v[138:139], v[142:143]
	v_div_fixup_f64 v[0:1], v[129:130], v[0:1], 1.0
.LBB120_563:
	s_or_b32 exec_lo, exec_lo, s0
	s_mov_b32 s0, exec_lo
	v_cmpx_ne_u32_e64 v137, v128
	s_xor_b32 s0, exec_lo, s0
	s_cbranch_execz .LBB120_569
; %bb.564:
	s_mov_b32 s1, exec_lo
	v_cmpx_eq_u32_e32 33, v137
	s_cbranch_execz .LBB120_568
; %bb.565:
	v_cmp_ne_u32_e32 vcc_lo, 33, v128
	s_xor_b32 s2, s6, -1
	s_and_b32 s3, s2, vcc_lo
	s_and_saveexec_b32 s2, s3
	s_cbranch_execz .LBB120_567
; %bb.566:
	v_ashrrev_i32_e32 v129, 31, v128
	v_lshlrev_b64 v[129:130], 2, v[128:129]
	v_add_co_u32 v129, vcc_lo, v4, v129
	v_add_co_ci_u32_e64 v130, null, v5, v130, vcc_lo
	s_clause 0x1
	global_load_dword v136, v[129:130], off
	global_load_dword v137, v[4:5], off offset:132
	s_waitcnt vmcnt(1)
	global_store_dword v[4:5], v136, off offset:132
	s_waitcnt vmcnt(0)
	global_store_dword v[129:130], v137, off
.LBB120_567:
	s_or_b32 exec_lo, exec_lo, s2
	v_mov_b32_e32 v136, v128
	v_mov_b32_e32 v137, v128
.LBB120_568:
	s_or_b32 exec_lo, exec_lo, s1
.LBB120_569:
	s_andn2_saveexec_b32 s0, s0
	s_cbranch_execz .LBB120_571
; %bb.570:
	v_mov_b32_e32 v128, v56
	v_mov_b32_e32 v129, v57
	;; [unrolled: 1-line block ×16, first 2 shown]
	ds_write2_b64 v134, v[128:129], v[137:138] offset0:34 offset1:35
	ds_write2_b64 v134, v[139:140], v[141:142] offset0:36 offset1:37
	;; [unrolled: 1-line block ×4, first 2 shown]
	v_mov_b32_e32 v128, v40
	v_mov_b32_e32 v129, v41
	;; [unrolled: 1-line block ×20, first 2 shown]
	ds_write2_b64 v134, v[128:129], v[137:138] offset0:42 offset1:43
	ds_write2_b64 v134, v[139:140], v[141:142] offset0:44 offset1:45
	;; [unrolled: 1-line block ×5, first 2 shown]
	v_mov_b32_e32 v128, v20
	v_mov_b32_e32 v129, v21
	;; [unrolled: 1-line block ×8, first 2 shown]
	ds_write2_b64 v134, v[128:129], v[137:138] offset0:52 offset1:53
	v_mov_b32_e32 v137, 33
	v_mov_b32_e32 v143, v12
	;; [unrolled: 1-line block ×9, first 2 shown]
	ds_write2_b64 v134, v[139:140], v[141:142] offset0:54 offset1:55
	ds_write2_b64 v134, v[143:144], v[145:146] offset0:56 offset1:57
	;; [unrolled: 1-line block ×3, first 2 shown]
	ds_write_b64 v134, v[126:127] offset:480
.LBB120_571:
	s_or_b32 exec_lo, exec_lo, s0
	s_mov_b32 s0, exec_lo
	s_waitcnt lgkmcnt(0)
	s_waitcnt_vscnt null, 0x0
	s_barrier
	buffer_gl0_inv
	v_cmpx_lt_i32_e32 33, v137
	s_cbranch_execz .LBB120_573
; %bb.572:
	v_mul_f64 v[58:59], v[0:1], v[58:59]
	ds_read2_b64 v[138:141], v134 offset0:34 offset1:35
	ds_read2_b64 v[142:145], v134 offset0:36 offset1:37
	;; [unrolled: 1-line block ×13, first 2 shown]
	ds_read_b64 v[0:1], v134 offset:480
	s_waitcnt lgkmcnt(13)
	v_fma_f64 v[56:57], -v[58:59], v[138:139], v[56:57]
	v_fma_f64 v[54:55], -v[58:59], v[140:141], v[54:55]
	s_waitcnt lgkmcnt(12)
	v_fma_f64 v[52:53], -v[58:59], v[142:143], v[52:53]
	v_fma_f64 v[48:49], -v[58:59], v[144:145], v[48:49]
	;; [unrolled: 3-line block ×13, first 2 shown]
	s_waitcnt lgkmcnt(0)
	v_fma_f64 v[126:127], -v[58:59], v[0:1], v[126:127]
.LBB120_573:
	s_or_b32 exec_lo, exec_lo, s0
	v_lshl_add_u32 v0, v137, 3, v134
	s_barrier
	buffer_gl0_inv
	v_mov_b32_e32 v128, 34
	ds_write_b64 v0, v[56:57]
	s_waitcnt lgkmcnt(0)
	s_barrier
	buffer_gl0_inv
	ds_read_b64 v[0:1], v134 offset:272
	s_cmp_lt_i32 s7, 36
	s_cbranch_scc1 .LBB120_576
; %bb.574:
	v_add3_u32 v129, v135, 0, 0x118
	v_mov_b32_e32 v128, 34
	s_mov_b32 s0, 35
.LBB120_575:                            ; =>This Inner Loop Header: Depth=1
	ds_read_b64 v[138:139], v129
	v_add_nc_u32_e32 v129, 8, v129
	s_waitcnt lgkmcnt(0)
	v_cmp_lt_f64_e64 vcc_lo, |v[0:1]|, |v[138:139]|
	v_cndmask_b32_e32 v1, v1, v139, vcc_lo
	v_cndmask_b32_e32 v0, v0, v138, vcc_lo
	v_cndmask_b32_e64 v128, v128, s0, vcc_lo
	s_add_i32 s0, s0, 1
	s_cmp_lg_u32 s7, s0
	s_cbranch_scc1 .LBB120_575
.LBB120_576:
	s_mov_b32 s0, exec_lo
	s_waitcnt lgkmcnt(0)
	v_cmpx_eq_f64_e32 0, v[0:1]
	s_xor_b32 s0, exec_lo, s0
; %bb.577:
	v_cmp_ne_u32_e32 vcc_lo, 0, v131
	v_cndmask_b32_e32 v131, 35, v131, vcc_lo
; %bb.578:
	s_andn2_saveexec_b32 s0, s0
	s_cbranch_execz .LBB120_580
; %bb.579:
	v_div_scale_f64 v[129:130], null, v[0:1], v[0:1], 1.0
	v_rcp_f64_e32 v[138:139], v[129:130]
	v_fma_f64 v[140:141], -v[129:130], v[138:139], 1.0
	v_fma_f64 v[138:139], v[138:139], v[140:141], v[138:139]
	v_fma_f64 v[140:141], -v[129:130], v[138:139], 1.0
	v_fma_f64 v[138:139], v[138:139], v[140:141], v[138:139]
	v_div_scale_f64 v[140:141], vcc_lo, 1.0, v[0:1], 1.0
	v_mul_f64 v[142:143], v[140:141], v[138:139]
	v_fma_f64 v[129:130], -v[129:130], v[142:143], v[140:141]
	v_div_fmas_f64 v[129:130], v[129:130], v[138:139], v[142:143]
	v_div_fixup_f64 v[0:1], v[129:130], v[0:1], 1.0
.LBB120_580:
	s_or_b32 exec_lo, exec_lo, s0
	s_mov_b32 s0, exec_lo
	v_cmpx_ne_u32_e64 v137, v128
	s_xor_b32 s0, exec_lo, s0
	s_cbranch_execz .LBB120_586
; %bb.581:
	s_mov_b32 s1, exec_lo
	v_cmpx_eq_u32_e32 34, v137
	s_cbranch_execz .LBB120_585
; %bb.582:
	v_cmp_ne_u32_e32 vcc_lo, 34, v128
	s_xor_b32 s2, s6, -1
	s_and_b32 s3, s2, vcc_lo
	s_and_saveexec_b32 s2, s3
	s_cbranch_execz .LBB120_584
; %bb.583:
	v_ashrrev_i32_e32 v129, 31, v128
	v_lshlrev_b64 v[129:130], 2, v[128:129]
	v_add_co_u32 v129, vcc_lo, v4, v129
	v_add_co_ci_u32_e64 v130, null, v5, v130, vcc_lo
	s_clause 0x1
	global_load_dword v136, v[129:130], off
	global_load_dword v137, v[4:5], off offset:136
	s_waitcnt vmcnt(1)
	global_store_dword v[4:5], v136, off offset:136
	s_waitcnt vmcnt(0)
	global_store_dword v[129:130], v137, off
.LBB120_584:
	s_or_b32 exec_lo, exec_lo, s2
	v_mov_b32_e32 v136, v128
	v_mov_b32_e32 v137, v128
.LBB120_585:
	s_or_b32 exec_lo, exec_lo, s1
.LBB120_586:
	s_andn2_saveexec_b32 s0, s0
	s_cbranch_execz .LBB120_588
; %bb.587:
	v_mov_b32_e32 v137, 34
	ds_write2_b64 v134, v[54:55], v[52:53] offset0:35 offset1:36
	ds_write2_b64 v134, v[48:49], v[50:51] offset0:37 offset1:38
	;; [unrolled: 1-line block ×13, first 2 shown]
.LBB120_588:
	s_or_b32 exec_lo, exec_lo, s0
	s_mov_b32 s0, exec_lo
	s_waitcnt lgkmcnt(0)
	s_waitcnt_vscnt null, 0x0
	s_barrier
	buffer_gl0_inv
	v_cmpx_lt_i32_e32 34, v137
	s_cbranch_execz .LBB120_590
; %bb.589:
	v_mul_f64 v[56:57], v[0:1], v[56:57]
	ds_read2_b64 v[138:141], v134 offset0:35 offset1:36
	ds_read2_b64 v[142:145], v134 offset0:37 offset1:38
	ds_read2_b64 v[146:149], v134 offset0:39 offset1:40
	ds_read2_b64 v[150:153], v134 offset0:41 offset1:42
	ds_read2_b64 v[154:157], v134 offset0:43 offset1:44
	ds_read2_b64 v[158:161], v134 offset0:45 offset1:46
	ds_read2_b64 v[162:165], v134 offset0:47 offset1:48
	ds_read2_b64 v[166:169], v134 offset0:49 offset1:50
	ds_read2_b64 v[170:173], v134 offset0:51 offset1:52
	ds_read2_b64 v[174:177], v134 offset0:53 offset1:54
	ds_read2_b64 v[178:181], v134 offset0:55 offset1:56
	ds_read2_b64 v[182:185], v134 offset0:57 offset1:58
	ds_read2_b64 v[186:189], v134 offset0:59 offset1:60
	s_waitcnt lgkmcnt(12)
	v_fma_f64 v[54:55], -v[56:57], v[138:139], v[54:55]
	v_fma_f64 v[52:53], -v[56:57], v[140:141], v[52:53]
	s_waitcnt lgkmcnt(11)
	v_fma_f64 v[48:49], -v[56:57], v[142:143], v[48:49]
	v_fma_f64 v[50:51], -v[56:57], v[144:145], v[50:51]
	s_waitcnt lgkmcnt(10)
	v_fma_f64 v[44:45], -v[56:57], v[146:147], v[44:45]
	v_fma_f64 v[46:47], -v[56:57], v[148:149], v[46:47]
	s_waitcnt lgkmcnt(9)
	v_fma_f64 v[42:43], -v[56:57], v[150:151], v[42:43]
	v_fma_f64 v[40:41], -v[56:57], v[152:153], v[40:41]
	s_waitcnt lgkmcnt(8)
	v_fma_f64 v[38:39], -v[56:57], v[154:155], v[38:39]
	v_fma_f64 v[36:37], -v[56:57], v[156:157], v[36:37]
	s_waitcnt lgkmcnt(7)
	v_fma_f64 v[34:35], -v[56:57], v[158:159], v[34:35]
	v_fma_f64 v[32:33], -v[56:57], v[160:161], v[32:33]
	s_waitcnt lgkmcnt(6)
	v_fma_f64 v[28:29], -v[56:57], v[162:163], v[28:29]
	v_fma_f64 v[30:31], -v[56:57], v[164:165], v[30:31]
	s_waitcnt lgkmcnt(5)
	v_fma_f64 v[24:25], -v[56:57], v[166:167], v[24:25]
	v_fma_f64 v[26:27], -v[56:57], v[168:169], v[26:27]
	s_waitcnt lgkmcnt(4)
	v_fma_f64 v[22:23], -v[56:57], v[170:171], v[22:23]
	v_fma_f64 v[20:21], -v[56:57], v[172:173], v[20:21]
	s_waitcnt lgkmcnt(3)
	v_fma_f64 v[18:19], -v[56:57], v[174:175], v[18:19]
	v_fma_f64 v[16:17], -v[56:57], v[176:177], v[16:17]
	s_waitcnt lgkmcnt(2)
	v_fma_f64 v[14:15], -v[56:57], v[178:179], v[14:15]
	v_fma_f64 v[12:13], -v[56:57], v[180:181], v[12:13]
	s_waitcnt lgkmcnt(1)
	v_fma_f64 v[8:9], -v[56:57], v[182:183], v[8:9]
	v_fma_f64 v[10:11], -v[56:57], v[184:185], v[10:11]
	s_waitcnt lgkmcnt(0)
	v_fma_f64 v[6:7], -v[56:57], v[186:187], v[6:7]
	v_fma_f64 v[126:127], -v[56:57], v[188:189], v[126:127]
.LBB120_590:
	s_or_b32 exec_lo, exec_lo, s0
	v_lshl_add_u32 v0, v137, 3, v134
	s_barrier
	buffer_gl0_inv
	v_mov_b32_e32 v128, 35
	ds_write_b64 v0, v[54:55]
	s_waitcnt lgkmcnt(0)
	s_barrier
	buffer_gl0_inv
	ds_read_b64 v[0:1], v134 offset:280
	s_cmp_lt_i32 s7, 37
	s_cbranch_scc1 .LBB120_593
; %bb.591:
	v_add3_u32 v129, v135, 0, 0x120
	v_mov_b32_e32 v128, 35
	s_mov_b32 s0, 36
.LBB120_592:                            ; =>This Inner Loop Header: Depth=1
	ds_read_b64 v[138:139], v129
	v_add_nc_u32_e32 v129, 8, v129
	s_waitcnt lgkmcnt(0)
	v_cmp_lt_f64_e64 vcc_lo, |v[0:1]|, |v[138:139]|
	v_cndmask_b32_e32 v1, v1, v139, vcc_lo
	v_cndmask_b32_e32 v0, v0, v138, vcc_lo
	v_cndmask_b32_e64 v128, v128, s0, vcc_lo
	s_add_i32 s0, s0, 1
	s_cmp_lg_u32 s7, s0
	s_cbranch_scc1 .LBB120_592
.LBB120_593:
	s_mov_b32 s0, exec_lo
	s_waitcnt lgkmcnt(0)
	v_cmpx_eq_f64_e32 0, v[0:1]
	s_xor_b32 s0, exec_lo, s0
; %bb.594:
	v_cmp_ne_u32_e32 vcc_lo, 0, v131
	v_cndmask_b32_e32 v131, 36, v131, vcc_lo
; %bb.595:
	s_andn2_saveexec_b32 s0, s0
	s_cbranch_execz .LBB120_597
; %bb.596:
	v_div_scale_f64 v[129:130], null, v[0:1], v[0:1], 1.0
	v_rcp_f64_e32 v[138:139], v[129:130]
	v_fma_f64 v[140:141], -v[129:130], v[138:139], 1.0
	v_fma_f64 v[138:139], v[138:139], v[140:141], v[138:139]
	v_fma_f64 v[140:141], -v[129:130], v[138:139], 1.0
	v_fma_f64 v[138:139], v[138:139], v[140:141], v[138:139]
	v_div_scale_f64 v[140:141], vcc_lo, 1.0, v[0:1], 1.0
	v_mul_f64 v[142:143], v[140:141], v[138:139]
	v_fma_f64 v[129:130], -v[129:130], v[142:143], v[140:141]
	v_div_fmas_f64 v[129:130], v[129:130], v[138:139], v[142:143]
	v_div_fixup_f64 v[0:1], v[129:130], v[0:1], 1.0
.LBB120_597:
	s_or_b32 exec_lo, exec_lo, s0
	s_mov_b32 s0, exec_lo
	v_cmpx_ne_u32_e64 v137, v128
	s_xor_b32 s0, exec_lo, s0
	s_cbranch_execz .LBB120_603
; %bb.598:
	s_mov_b32 s1, exec_lo
	v_cmpx_eq_u32_e32 35, v137
	s_cbranch_execz .LBB120_602
; %bb.599:
	v_cmp_ne_u32_e32 vcc_lo, 35, v128
	s_xor_b32 s2, s6, -1
	s_and_b32 s3, s2, vcc_lo
	s_and_saveexec_b32 s2, s3
	s_cbranch_execz .LBB120_601
; %bb.600:
	v_ashrrev_i32_e32 v129, 31, v128
	v_lshlrev_b64 v[129:130], 2, v[128:129]
	v_add_co_u32 v129, vcc_lo, v4, v129
	v_add_co_ci_u32_e64 v130, null, v5, v130, vcc_lo
	s_clause 0x1
	global_load_dword v136, v[129:130], off
	global_load_dword v137, v[4:5], off offset:140
	s_waitcnt vmcnt(1)
	global_store_dword v[4:5], v136, off offset:140
	s_waitcnt vmcnt(0)
	global_store_dword v[129:130], v137, off
.LBB120_601:
	s_or_b32 exec_lo, exec_lo, s2
	v_mov_b32_e32 v136, v128
	v_mov_b32_e32 v137, v128
.LBB120_602:
	s_or_b32 exec_lo, exec_lo, s1
.LBB120_603:
	s_andn2_saveexec_b32 s0, s0
	s_cbranch_execz .LBB120_605
; %bb.604:
	v_mov_b32_e32 v128, v52
	v_mov_b32_e32 v129, v53
	;; [unrolled: 1-line block ×12, first 2 shown]
	ds_write2_b64 v134, v[128:129], v[137:138] offset0:36 offset1:37
	ds_write2_b64 v134, v[139:140], v[141:142] offset0:38 offset1:39
	;; [unrolled: 1-line block ×3, first 2 shown]
	v_mov_b32_e32 v128, v40
	v_mov_b32_e32 v129, v41
	;; [unrolled: 1-line block ×20, first 2 shown]
	ds_write2_b64 v134, v[128:129], v[137:138] offset0:42 offset1:43
	ds_write2_b64 v134, v[139:140], v[141:142] offset0:44 offset1:45
	;; [unrolled: 1-line block ×5, first 2 shown]
	v_mov_b32_e32 v128, v20
	v_mov_b32_e32 v129, v21
	;; [unrolled: 1-line block ×8, first 2 shown]
	ds_write2_b64 v134, v[128:129], v[137:138] offset0:52 offset1:53
	v_mov_b32_e32 v137, 35
	v_mov_b32_e32 v143, v12
	;; [unrolled: 1-line block ×9, first 2 shown]
	ds_write2_b64 v134, v[139:140], v[141:142] offset0:54 offset1:55
	ds_write2_b64 v134, v[143:144], v[145:146] offset0:56 offset1:57
	;; [unrolled: 1-line block ×3, first 2 shown]
	ds_write_b64 v134, v[126:127] offset:480
.LBB120_605:
	s_or_b32 exec_lo, exec_lo, s0
	s_mov_b32 s0, exec_lo
	s_waitcnt lgkmcnt(0)
	s_waitcnt_vscnt null, 0x0
	s_barrier
	buffer_gl0_inv
	v_cmpx_lt_i32_e32 35, v137
	s_cbranch_execz .LBB120_607
; %bb.606:
	v_mul_f64 v[54:55], v[0:1], v[54:55]
	ds_read2_b64 v[138:141], v134 offset0:36 offset1:37
	ds_read2_b64 v[142:145], v134 offset0:38 offset1:39
	;; [unrolled: 1-line block ×12, first 2 shown]
	ds_read_b64 v[0:1], v134 offset:480
	s_waitcnt lgkmcnt(12)
	v_fma_f64 v[52:53], -v[54:55], v[138:139], v[52:53]
	v_fma_f64 v[48:49], -v[54:55], v[140:141], v[48:49]
	s_waitcnt lgkmcnt(11)
	v_fma_f64 v[50:51], -v[54:55], v[142:143], v[50:51]
	v_fma_f64 v[44:45], -v[54:55], v[144:145], v[44:45]
	;; [unrolled: 3-line block ×12, first 2 shown]
	s_waitcnt lgkmcnt(0)
	v_fma_f64 v[126:127], -v[54:55], v[0:1], v[126:127]
.LBB120_607:
	s_or_b32 exec_lo, exec_lo, s0
	v_lshl_add_u32 v0, v137, 3, v134
	s_barrier
	buffer_gl0_inv
	v_mov_b32_e32 v128, 36
	ds_write_b64 v0, v[52:53]
	s_waitcnt lgkmcnt(0)
	s_barrier
	buffer_gl0_inv
	ds_read_b64 v[0:1], v134 offset:288
	s_cmp_lt_i32 s7, 38
	s_cbranch_scc1 .LBB120_610
; %bb.608:
	v_add3_u32 v129, v135, 0, 0x128
	v_mov_b32_e32 v128, 36
	s_mov_b32 s0, 37
.LBB120_609:                            ; =>This Inner Loop Header: Depth=1
	ds_read_b64 v[138:139], v129
	v_add_nc_u32_e32 v129, 8, v129
	s_waitcnt lgkmcnt(0)
	v_cmp_lt_f64_e64 vcc_lo, |v[0:1]|, |v[138:139]|
	v_cndmask_b32_e32 v1, v1, v139, vcc_lo
	v_cndmask_b32_e32 v0, v0, v138, vcc_lo
	v_cndmask_b32_e64 v128, v128, s0, vcc_lo
	s_add_i32 s0, s0, 1
	s_cmp_lg_u32 s7, s0
	s_cbranch_scc1 .LBB120_609
.LBB120_610:
	s_mov_b32 s0, exec_lo
	s_waitcnt lgkmcnt(0)
	v_cmpx_eq_f64_e32 0, v[0:1]
	s_xor_b32 s0, exec_lo, s0
; %bb.611:
	v_cmp_ne_u32_e32 vcc_lo, 0, v131
	v_cndmask_b32_e32 v131, 37, v131, vcc_lo
; %bb.612:
	s_andn2_saveexec_b32 s0, s0
	s_cbranch_execz .LBB120_614
; %bb.613:
	v_div_scale_f64 v[129:130], null, v[0:1], v[0:1], 1.0
	v_rcp_f64_e32 v[138:139], v[129:130]
	v_fma_f64 v[140:141], -v[129:130], v[138:139], 1.0
	v_fma_f64 v[138:139], v[138:139], v[140:141], v[138:139]
	v_fma_f64 v[140:141], -v[129:130], v[138:139], 1.0
	v_fma_f64 v[138:139], v[138:139], v[140:141], v[138:139]
	v_div_scale_f64 v[140:141], vcc_lo, 1.0, v[0:1], 1.0
	v_mul_f64 v[142:143], v[140:141], v[138:139]
	v_fma_f64 v[129:130], -v[129:130], v[142:143], v[140:141]
	v_div_fmas_f64 v[129:130], v[129:130], v[138:139], v[142:143]
	v_div_fixup_f64 v[0:1], v[129:130], v[0:1], 1.0
.LBB120_614:
	s_or_b32 exec_lo, exec_lo, s0
	s_mov_b32 s0, exec_lo
	v_cmpx_ne_u32_e64 v137, v128
	s_xor_b32 s0, exec_lo, s0
	s_cbranch_execz .LBB120_620
; %bb.615:
	s_mov_b32 s1, exec_lo
	v_cmpx_eq_u32_e32 36, v137
	s_cbranch_execz .LBB120_619
; %bb.616:
	v_cmp_ne_u32_e32 vcc_lo, 36, v128
	s_xor_b32 s2, s6, -1
	s_and_b32 s3, s2, vcc_lo
	s_and_saveexec_b32 s2, s3
	s_cbranch_execz .LBB120_618
; %bb.617:
	v_ashrrev_i32_e32 v129, 31, v128
	v_lshlrev_b64 v[129:130], 2, v[128:129]
	v_add_co_u32 v129, vcc_lo, v4, v129
	v_add_co_ci_u32_e64 v130, null, v5, v130, vcc_lo
	s_clause 0x1
	global_load_dword v136, v[129:130], off
	global_load_dword v137, v[4:5], off offset:144
	s_waitcnt vmcnt(1)
	global_store_dword v[4:5], v136, off offset:144
	s_waitcnt vmcnt(0)
	global_store_dword v[129:130], v137, off
.LBB120_618:
	s_or_b32 exec_lo, exec_lo, s2
	v_mov_b32_e32 v136, v128
	v_mov_b32_e32 v137, v128
.LBB120_619:
	s_or_b32 exec_lo, exec_lo, s1
.LBB120_620:
	s_andn2_saveexec_b32 s0, s0
	s_cbranch_execz .LBB120_622
; %bb.621:
	v_mov_b32_e32 v137, 36
	ds_write2_b64 v134, v[48:49], v[50:51] offset0:37 offset1:38
	ds_write2_b64 v134, v[44:45], v[46:47] offset0:39 offset1:40
	;; [unrolled: 1-line block ×12, first 2 shown]
.LBB120_622:
	s_or_b32 exec_lo, exec_lo, s0
	s_mov_b32 s0, exec_lo
	s_waitcnt lgkmcnt(0)
	s_waitcnt_vscnt null, 0x0
	s_barrier
	buffer_gl0_inv
	v_cmpx_lt_i32_e32 36, v137
	s_cbranch_execz .LBB120_624
; %bb.623:
	v_mul_f64 v[52:53], v[0:1], v[52:53]
	ds_read2_b64 v[138:141], v134 offset0:37 offset1:38
	ds_read2_b64 v[142:145], v134 offset0:39 offset1:40
	;; [unrolled: 1-line block ×12, first 2 shown]
	s_waitcnt lgkmcnt(11)
	v_fma_f64 v[48:49], -v[52:53], v[138:139], v[48:49]
	v_fma_f64 v[50:51], -v[52:53], v[140:141], v[50:51]
	s_waitcnt lgkmcnt(10)
	v_fma_f64 v[44:45], -v[52:53], v[142:143], v[44:45]
	v_fma_f64 v[46:47], -v[52:53], v[144:145], v[46:47]
	s_waitcnt lgkmcnt(9)
	v_fma_f64 v[42:43], -v[52:53], v[146:147], v[42:43]
	v_fma_f64 v[40:41], -v[52:53], v[148:149], v[40:41]
	s_waitcnt lgkmcnt(8)
	v_fma_f64 v[38:39], -v[52:53], v[150:151], v[38:39]
	v_fma_f64 v[36:37], -v[52:53], v[152:153], v[36:37]
	s_waitcnt lgkmcnt(7)
	v_fma_f64 v[34:35], -v[52:53], v[154:155], v[34:35]
	v_fma_f64 v[32:33], -v[52:53], v[156:157], v[32:33]
	s_waitcnt lgkmcnt(6)
	v_fma_f64 v[28:29], -v[52:53], v[158:159], v[28:29]
	v_fma_f64 v[30:31], -v[52:53], v[160:161], v[30:31]
	s_waitcnt lgkmcnt(5)
	v_fma_f64 v[24:25], -v[52:53], v[162:163], v[24:25]
	v_fma_f64 v[26:27], -v[52:53], v[164:165], v[26:27]
	s_waitcnt lgkmcnt(4)
	v_fma_f64 v[22:23], -v[52:53], v[166:167], v[22:23]
	v_fma_f64 v[20:21], -v[52:53], v[168:169], v[20:21]
	s_waitcnt lgkmcnt(3)
	v_fma_f64 v[18:19], -v[52:53], v[170:171], v[18:19]
	v_fma_f64 v[16:17], -v[52:53], v[172:173], v[16:17]
	s_waitcnt lgkmcnt(2)
	v_fma_f64 v[14:15], -v[52:53], v[174:175], v[14:15]
	v_fma_f64 v[12:13], -v[52:53], v[176:177], v[12:13]
	s_waitcnt lgkmcnt(1)
	v_fma_f64 v[8:9], -v[52:53], v[178:179], v[8:9]
	v_fma_f64 v[10:11], -v[52:53], v[180:181], v[10:11]
	s_waitcnt lgkmcnt(0)
	v_fma_f64 v[6:7], -v[52:53], v[182:183], v[6:7]
	v_fma_f64 v[126:127], -v[52:53], v[184:185], v[126:127]
.LBB120_624:
	s_or_b32 exec_lo, exec_lo, s0
	v_lshl_add_u32 v0, v137, 3, v134
	s_barrier
	buffer_gl0_inv
	v_mov_b32_e32 v128, 37
	ds_write_b64 v0, v[48:49]
	s_waitcnt lgkmcnt(0)
	s_barrier
	buffer_gl0_inv
	ds_read_b64 v[0:1], v134 offset:296
	s_cmp_lt_i32 s7, 39
	s_cbranch_scc1 .LBB120_627
; %bb.625:
	v_add3_u32 v129, v135, 0, 0x130
	v_mov_b32_e32 v128, 37
	s_mov_b32 s0, 38
.LBB120_626:                            ; =>This Inner Loop Header: Depth=1
	ds_read_b64 v[138:139], v129
	v_add_nc_u32_e32 v129, 8, v129
	s_waitcnt lgkmcnt(0)
	v_cmp_lt_f64_e64 vcc_lo, |v[0:1]|, |v[138:139]|
	v_cndmask_b32_e32 v1, v1, v139, vcc_lo
	v_cndmask_b32_e32 v0, v0, v138, vcc_lo
	v_cndmask_b32_e64 v128, v128, s0, vcc_lo
	s_add_i32 s0, s0, 1
	s_cmp_lg_u32 s7, s0
	s_cbranch_scc1 .LBB120_626
.LBB120_627:
	s_mov_b32 s0, exec_lo
	s_waitcnt lgkmcnt(0)
	v_cmpx_eq_f64_e32 0, v[0:1]
	s_xor_b32 s0, exec_lo, s0
; %bb.628:
	v_cmp_ne_u32_e32 vcc_lo, 0, v131
	v_cndmask_b32_e32 v131, 38, v131, vcc_lo
; %bb.629:
	s_andn2_saveexec_b32 s0, s0
	s_cbranch_execz .LBB120_631
; %bb.630:
	v_div_scale_f64 v[129:130], null, v[0:1], v[0:1], 1.0
	v_rcp_f64_e32 v[138:139], v[129:130]
	v_fma_f64 v[140:141], -v[129:130], v[138:139], 1.0
	v_fma_f64 v[138:139], v[138:139], v[140:141], v[138:139]
	v_fma_f64 v[140:141], -v[129:130], v[138:139], 1.0
	v_fma_f64 v[138:139], v[138:139], v[140:141], v[138:139]
	v_div_scale_f64 v[140:141], vcc_lo, 1.0, v[0:1], 1.0
	v_mul_f64 v[142:143], v[140:141], v[138:139]
	v_fma_f64 v[129:130], -v[129:130], v[142:143], v[140:141]
	v_div_fmas_f64 v[129:130], v[129:130], v[138:139], v[142:143]
	v_div_fixup_f64 v[0:1], v[129:130], v[0:1], 1.0
.LBB120_631:
	s_or_b32 exec_lo, exec_lo, s0
	s_mov_b32 s0, exec_lo
	v_cmpx_ne_u32_e64 v137, v128
	s_xor_b32 s0, exec_lo, s0
	s_cbranch_execz .LBB120_637
; %bb.632:
	s_mov_b32 s1, exec_lo
	v_cmpx_eq_u32_e32 37, v137
	s_cbranch_execz .LBB120_636
; %bb.633:
	v_cmp_ne_u32_e32 vcc_lo, 37, v128
	s_xor_b32 s2, s6, -1
	s_and_b32 s3, s2, vcc_lo
	s_and_saveexec_b32 s2, s3
	s_cbranch_execz .LBB120_635
; %bb.634:
	v_ashrrev_i32_e32 v129, 31, v128
	v_lshlrev_b64 v[129:130], 2, v[128:129]
	v_add_co_u32 v129, vcc_lo, v4, v129
	v_add_co_ci_u32_e64 v130, null, v5, v130, vcc_lo
	s_clause 0x1
	global_load_dword v136, v[129:130], off
	global_load_dword v137, v[4:5], off offset:148
	s_waitcnt vmcnt(1)
	global_store_dword v[4:5], v136, off offset:148
	s_waitcnt vmcnt(0)
	global_store_dword v[129:130], v137, off
.LBB120_635:
	s_or_b32 exec_lo, exec_lo, s2
	v_mov_b32_e32 v136, v128
	v_mov_b32_e32 v137, v128
.LBB120_636:
	s_or_b32 exec_lo, exec_lo, s1
.LBB120_637:
	s_andn2_saveexec_b32 s0, s0
	s_cbranch_execz .LBB120_639
; %bb.638:
	v_mov_b32_e32 v128, v50
	v_mov_b32_e32 v129, v51
	;; [unrolled: 1-line block ×8, first 2 shown]
	ds_write2_b64 v134, v[128:129], v[137:138] offset0:38 offset1:39
	ds_write2_b64 v134, v[139:140], v[141:142] offset0:40 offset1:41
	v_mov_b32_e32 v128, v40
	v_mov_b32_e32 v129, v41
	;; [unrolled: 1-line block ×20, first 2 shown]
	ds_write2_b64 v134, v[128:129], v[137:138] offset0:42 offset1:43
	ds_write2_b64 v134, v[139:140], v[141:142] offset0:44 offset1:45
	;; [unrolled: 1-line block ×5, first 2 shown]
	v_mov_b32_e32 v128, v20
	v_mov_b32_e32 v129, v21
	;; [unrolled: 1-line block ×8, first 2 shown]
	ds_write2_b64 v134, v[128:129], v[137:138] offset0:52 offset1:53
	v_mov_b32_e32 v137, 37
	v_mov_b32_e32 v143, v12
	;; [unrolled: 1-line block ×9, first 2 shown]
	ds_write2_b64 v134, v[139:140], v[141:142] offset0:54 offset1:55
	ds_write2_b64 v134, v[143:144], v[145:146] offset0:56 offset1:57
	;; [unrolled: 1-line block ×3, first 2 shown]
	ds_write_b64 v134, v[126:127] offset:480
.LBB120_639:
	s_or_b32 exec_lo, exec_lo, s0
	s_mov_b32 s0, exec_lo
	s_waitcnt lgkmcnt(0)
	s_waitcnt_vscnt null, 0x0
	s_barrier
	buffer_gl0_inv
	v_cmpx_lt_i32_e32 37, v137
	s_cbranch_execz .LBB120_641
; %bb.640:
	v_mul_f64 v[48:49], v[0:1], v[48:49]
	ds_read2_b64 v[138:141], v134 offset0:38 offset1:39
	ds_read2_b64 v[142:145], v134 offset0:40 offset1:41
	;; [unrolled: 1-line block ×11, first 2 shown]
	ds_read_b64 v[0:1], v134 offset:480
	s_waitcnt lgkmcnt(11)
	v_fma_f64 v[50:51], -v[48:49], v[138:139], v[50:51]
	v_fma_f64 v[44:45], -v[48:49], v[140:141], v[44:45]
	s_waitcnt lgkmcnt(10)
	v_fma_f64 v[46:47], -v[48:49], v[142:143], v[46:47]
	v_fma_f64 v[42:43], -v[48:49], v[144:145], v[42:43]
	;; [unrolled: 3-line block ×11, first 2 shown]
	s_waitcnt lgkmcnt(0)
	v_fma_f64 v[126:127], -v[48:49], v[0:1], v[126:127]
.LBB120_641:
	s_or_b32 exec_lo, exec_lo, s0
	v_lshl_add_u32 v0, v137, 3, v134
	s_barrier
	buffer_gl0_inv
	v_mov_b32_e32 v128, 38
	ds_write_b64 v0, v[50:51]
	s_waitcnt lgkmcnt(0)
	s_barrier
	buffer_gl0_inv
	ds_read_b64 v[0:1], v134 offset:304
	s_cmp_lt_i32 s7, 40
	s_cbranch_scc1 .LBB120_644
; %bb.642:
	v_add3_u32 v129, v135, 0, 0x138
	v_mov_b32_e32 v128, 38
	s_mov_b32 s0, 39
.LBB120_643:                            ; =>This Inner Loop Header: Depth=1
	ds_read_b64 v[138:139], v129
	v_add_nc_u32_e32 v129, 8, v129
	s_waitcnt lgkmcnt(0)
	v_cmp_lt_f64_e64 vcc_lo, |v[0:1]|, |v[138:139]|
	v_cndmask_b32_e32 v1, v1, v139, vcc_lo
	v_cndmask_b32_e32 v0, v0, v138, vcc_lo
	v_cndmask_b32_e64 v128, v128, s0, vcc_lo
	s_add_i32 s0, s0, 1
	s_cmp_lg_u32 s7, s0
	s_cbranch_scc1 .LBB120_643
.LBB120_644:
	s_mov_b32 s0, exec_lo
	s_waitcnt lgkmcnt(0)
	v_cmpx_eq_f64_e32 0, v[0:1]
	s_xor_b32 s0, exec_lo, s0
; %bb.645:
	v_cmp_ne_u32_e32 vcc_lo, 0, v131
	v_cndmask_b32_e32 v131, 39, v131, vcc_lo
; %bb.646:
	s_andn2_saveexec_b32 s0, s0
	s_cbranch_execz .LBB120_648
; %bb.647:
	v_div_scale_f64 v[129:130], null, v[0:1], v[0:1], 1.0
	v_rcp_f64_e32 v[138:139], v[129:130]
	v_fma_f64 v[140:141], -v[129:130], v[138:139], 1.0
	v_fma_f64 v[138:139], v[138:139], v[140:141], v[138:139]
	v_fma_f64 v[140:141], -v[129:130], v[138:139], 1.0
	v_fma_f64 v[138:139], v[138:139], v[140:141], v[138:139]
	v_div_scale_f64 v[140:141], vcc_lo, 1.0, v[0:1], 1.0
	v_mul_f64 v[142:143], v[140:141], v[138:139]
	v_fma_f64 v[129:130], -v[129:130], v[142:143], v[140:141]
	v_div_fmas_f64 v[129:130], v[129:130], v[138:139], v[142:143]
	v_div_fixup_f64 v[0:1], v[129:130], v[0:1], 1.0
.LBB120_648:
	s_or_b32 exec_lo, exec_lo, s0
	s_mov_b32 s0, exec_lo
	v_cmpx_ne_u32_e64 v137, v128
	s_xor_b32 s0, exec_lo, s0
	s_cbranch_execz .LBB120_654
; %bb.649:
	s_mov_b32 s1, exec_lo
	v_cmpx_eq_u32_e32 38, v137
	s_cbranch_execz .LBB120_653
; %bb.650:
	v_cmp_ne_u32_e32 vcc_lo, 38, v128
	s_xor_b32 s2, s6, -1
	s_and_b32 s3, s2, vcc_lo
	s_and_saveexec_b32 s2, s3
	s_cbranch_execz .LBB120_652
; %bb.651:
	v_ashrrev_i32_e32 v129, 31, v128
	v_lshlrev_b64 v[129:130], 2, v[128:129]
	v_add_co_u32 v129, vcc_lo, v4, v129
	v_add_co_ci_u32_e64 v130, null, v5, v130, vcc_lo
	s_clause 0x1
	global_load_dword v136, v[129:130], off
	global_load_dword v137, v[4:5], off offset:152
	s_waitcnt vmcnt(1)
	global_store_dword v[4:5], v136, off offset:152
	s_waitcnt vmcnt(0)
	global_store_dword v[129:130], v137, off
.LBB120_652:
	s_or_b32 exec_lo, exec_lo, s2
	v_mov_b32_e32 v136, v128
	v_mov_b32_e32 v137, v128
.LBB120_653:
	s_or_b32 exec_lo, exec_lo, s1
.LBB120_654:
	s_andn2_saveexec_b32 s0, s0
	s_cbranch_execz .LBB120_656
; %bb.655:
	v_mov_b32_e32 v137, 38
	ds_write2_b64 v134, v[44:45], v[46:47] offset0:39 offset1:40
	ds_write2_b64 v134, v[42:43], v[40:41] offset0:41 offset1:42
	;; [unrolled: 1-line block ×11, first 2 shown]
.LBB120_656:
	s_or_b32 exec_lo, exec_lo, s0
	s_mov_b32 s0, exec_lo
	s_waitcnt lgkmcnt(0)
	s_waitcnt_vscnt null, 0x0
	s_barrier
	buffer_gl0_inv
	v_cmpx_lt_i32_e32 38, v137
	s_cbranch_execz .LBB120_658
; %bb.657:
	v_mul_f64 v[50:51], v[0:1], v[50:51]
	ds_read2_b64 v[138:141], v134 offset0:39 offset1:40
	ds_read2_b64 v[142:145], v134 offset0:41 offset1:42
	;; [unrolled: 1-line block ×11, first 2 shown]
	s_waitcnt lgkmcnt(10)
	v_fma_f64 v[44:45], -v[50:51], v[138:139], v[44:45]
	v_fma_f64 v[46:47], -v[50:51], v[140:141], v[46:47]
	s_waitcnt lgkmcnt(9)
	v_fma_f64 v[42:43], -v[50:51], v[142:143], v[42:43]
	v_fma_f64 v[40:41], -v[50:51], v[144:145], v[40:41]
	;; [unrolled: 3-line block ×11, first 2 shown]
.LBB120_658:
	s_or_b32 exec_lo, exec_lo, s0
	v_lshl_add_u32 v0, v137, 3, v134
	s_barrier
	buffer_gl0_inv
	v_mov_b32_e32 v128, 39
	ds_write_b64 v0, v[44:45]
	s_waitcnt lgkmcnt(0)
	s_barrier
	buffer_gl0_inv
	ds_read_b64 v[0:1], v134 offset:312
	s_cmp_lt_i32 s7, 41
	s_cbranch_scc1 .LBB120_661
; %bb.659:
	v_add3_u32 v129, v135, 0, 0x140
	v_mov_b32_e32 v128, 39
	s_mov_b32 s0, 40
.LBB120_660:                            ; =>This Inner Loop Header: Depth=1
	ds_read_b64 v[138:139], v129
	v_add_nc_u32_e32 v129, 8, v129
	s_waitcnt lgkmcnt(0)
	v_cmp_lt_f64_e64 vcc_lo, |v[0:1]|, |v[138:139]|
	v_cndmask_b32_e32 v1, v1, v139, vcc_lo
	v_cndmask_b32_e32 v0, v0, v138, vcc_lo
	v_cndmask_b32_e64 v128, v128, s0, vcc_lo
	s_add_i32 s0, s0, 1
	s_cmp_lg_u32 s7, s0
	s_cbranch_scc1 .LBB120_660
.LBB120_661:
	s_mov_b32 s0, exec_lo
	s_waitcnt lgkmcnt(0)
	v_cmpx_eq_f64_e32 0, v[0:1]
	s_xor_b32 s0, exec_lo, s0
; %bb.662:
	v_cmp_ne_u32_e32 vcc_lo, 0, v131
	v_cndmask_b32_e32 v131, 40, v131, vcc_lo
; %bb.663:
	s_andn2_saveexec_b32 s0, s0
	s_cbranch_execz .LBB120_665
; %bb.664:
	v_div_scale_f64 v[129:130], null, v[0:1], v[0:1], 1.0
	v_rcp_f64_e32 v[138:139], v[129:130]
	v_fma_f64 v[140:141], -v[129:130], v[138:139], 1.0
	v_fma_f64 v[138:139], v[138:139], v[140:141], v[138:139]
	v_fma_f64 v[140:141], -v[129:130], v[138:139], 1.0
	v_fma_f64 v[138:139], v[138:139], v[140:141], v[138:139]
	v_div_scale_f64 v[140:141], vcc_lo, 1.0, v[0:1], 1.0
	v_mul_f64 v[142:143], v[140:141], v[138:139]
	v_fma_f64 v[129:130], -v[129:130], v[142:143], v[140:141]
	v_div_fmas_f64 v[129:130], v[129:130], v[138:139], v[142:143]
	v_div_fixup_f64 v[0:1], v[129:130], v[0:1], 1.0
.LBB120_665:
	s_or_b32 exec_lo, exec_lo, s0
	s_mov_b32 s0, exec_lo
	v_cmpx_ne_u32_e64 v137, v128
	s_xor_b32 s0, exec_lo, s0
	s_cbranch_execz .LBB120_671
; %bb.666:
	s_mov_b32 s1, exec_lo
	v_cmpx_eq_u32_e32 39, v137
	s_cbranch_execz .LBB120_670
; %bb.667:
	v_cmp_ne_u32_e32 vcc_lo, 39, v128
	s_xor_b32 s2, s6, -1
	s_and_b32 s3, s2, vcc_lo
	s_and_saveexec_b32 s2, s3
	s_cbranch_execz .LBB120_669
; %bb.668:
	v_ashrrev_i32_e32 v129, 31, v128
	v_lshlrev_b64 v[129:130], 2, v[128:129]
	v_add_co_u32 v129, vcc_lo, v4, v129
	v_add_co_ci_u32_e64 v130, null, v5, v130, vcc_lo
	s_clause 0x1
	global_load_dword v136, v[129:130], off
	global_load_dword v137, v[4:5], off offset:156
	s_waitcnt vmcnt(1)
	global_store_dword v[4:5], v136, off offset:156
	s_waitcnt vmcnt(0)
	global_store_dword v[129:130], v137, off
.LBB120_669:
	s_or_b32 exec_lo, exec_lo, s2
	v_mov_b32_e32 v136, v128
	v_mov_b32_e32 v137, v128
.LBB120_670:
	s_or_b32 exec_lo, exec_lo, s1
.LBB120_671:
	s_andn2_saveexec_b32 s0, s0
	s_cbranch_execz .LBB120_673
; %bb.672:
	v_mov_b32_e32 v128, v46
	v_mov_b32_e32 v129, v47
	;; [unrolled: 1-line block ×8, first 2 shown]
	ds_write2_b64 v134, v[128:129], v[137:138] offset0:40 offset1:41
	v_mov_b32_e32 v128, v38
	v_mov_b32_e32 v129, v39
	;; [unrolled: 1-line block ×16, first 2 shown]
	ds_write2_b64 v134, v[139:140], v[128:129] offset0:42 offset1:43
	ds_write2_b64 v134, v[137:138], v[141:142] offset0:44 offset1:45
	ds_write2_b64 v134, v[143:144], v[145:146] offset0:46 offset1:47
	ds_write2_b64 v134, v[147:148], v[149:150] offset0:48 offset1:49
	ds_write2_b64 v134, v[151:152], v[153:154] offset0:50 offset1:51
	v_mov_b32_e32 v128, v20
	v_mov_b32_e32 v129, v21
	;; [unrolled: 1-line block ×8, first 2 shown]
	ds_write2_b64 v134, v[128:129], v[137:138] offset0:52 offset1:53
	v_mov_b32_e32 v137, 39
	v_mov_b32_e32 v143, v12
	;; [unrolled: 1-line block ×9, first 2 shown]
	ds_write2_b64 v134, v[139:140], v[141:142] offset0:54 offset1:55
	ds_write2_b64 v134, v[143:144], v[145:146] offset0:56 offset1:57
	;; [unrolled: 1-line block ×3, first 2 shown]
	ds_write_b64 v134, v[126:127] offset:480
.LBB120_673:
	s_or_b32 exec_lo, exec_lo, s0
	s_mov_b32 s0, exec_lo
	s_waitcnt lgkmcnt(0)
	s_waitcnt_vscnt null, 0x0
	s_barrier
	buffer_gl0_inv
	v_cmpx_lt_i32_e32 39, v137
	s_cbranch_execz .LBB120_675
; %bb.674:
	v_mul_f64 v[44:45], v[0:1], v[44:45]
	ds_read2_b64 v[138:141], v134 offset0:40 offset1:41
	ds_read2_b64 v[142:145], v134 offset0:42 offset1:43
	;; [unrolled: 1-line block ×10, first 2 shown]
	ds_read_b64 v[0:1], v134 offset:480
	s_waitcnt lgkmcnt(10)
	v_fma_f64 v[46:47], -v[44:45], v[138:139], v[46:47]
	v_fma_f64 v[42:43], -v[44:45], v[140:141], v[42:43]
	s_waitcnt lgkmcnt(9)
	v_fma_f64 v[40:41], -v[44:45], v[142:143], v[40:41]
	v_fma_f64 v[38:39], -v[44:45], v[144:145], v[38:39]
	;; [unrolled: 3-line block ×10, first 2 shown]
	s_waitcnt lgkmcnt(0)
	v_fma_f64 v[126:127], -v[44:45], v[0:1], v[126:127]
.LBB120_675:
	s_or_b32 exec_lo, exec_lo, s0
	v_lshl_add_u32 v0, v137, 3, v134
	s_barrier
	buffer_gl0_inv
	v_mov_b32_e32 v128, 40
	ds_write_b64 v0, v[46:47]
	s_waitcnt lgkmcnt(0)
	s_barrier
	buffer_gl0_inv
	ds_read_b64 v[0:1], v134 offset:320
	s_cmp_lt_i32 s7, 42
	s_cbranch_scc1 .LBB120_678
; %bb.676:
	v_add3_u32 v129, v135, 0, 0x148
	v_mov_b32_e32 v128, 40
	s_mov_b32 s0, 41
.LBB120_677:                            ; =>This Inner Loop Header: Depth=1
	ds_read_b64 v[138:139], v129
	v_add_nc_u32_e32 v129, 8, v129
	s_waitcnt lgkmcnt(0)
	v_cmp_lt_f64_e64 vcc_lo, |v[0:1]|, |v[138:139]|
	v_cndmask_b32_e32 v1, v1, v139, vcc_lo
	v_cndmask_b32_e32 v0, v0, v138, vcc_lo
	v_cndmask_b32_e64 v128, v128, s0, vcc_lo
	s_add_i32 s0, s0, 1
	s_cmp_lg_u32 s7, s0
	s_cbranch_scc1 .LBB120_677
.LBB120_678:
	s_mov_b32 s0, exec_lo
	s_waitcnt lgkmcnt(0)
	v_cmpx_eq_f64_e32 0, v[0:1]
	s_xor_b32 s0, exec_lo, s0
; %bb.679:
	v_cmp_ne_u32_e32 vcc_lo, 0, v131
	v_cndmask_b32_e32 v131, 41, v131, vcc_lo
; %bb.680:
	s_andn2_saveexec_b32 s0, s0
	s_cbranch_execz .LBB120_682
; %bb.681:
	v_div_scale_f64 v[129:130], null, v[0:1], v[0:1], 1.0
	v_rcp_f64_e32 v[138:139], v[129:130]
	v_fma_f64 v[140:141], -v[129:130], v[138:139], 1.0
	v_fma_f64 v[138:139], v[138:139], v[140:141], v[138:139]
	v_fma_f64 v[140:141], -v[129:130], v[138:139], 1.0
	v_fma_f64 v[138:139], v[138:139], v[140:141], v[138:139]
	v_div_scale_f64 v[140:141], vcc_lo, 1.0, v[0:1], 1.0
	v_mul_f64 v[142:143], v[140:141], v[138:139]
	v_fma_f64 v[129:130], -v[129:130], v[142:143], v[140:141]
	v_div_fmas_f64 v[129:130], v[129:130], v[138:139], v[142:143]
	v_div_fixup_f64 v[0:1], v[129:130], v[0:1], 1.0
.LBB120_682:
	s_or_b32 exec_lo, exec_lo, s0
	s_mov_b32 s0, exec_lo
	v_cmpx_ne_u32_e64 v137, v128
	s_xor_b32 s0, exec_lo, s0
	s_cbranch_execz .LBB120_688
; %bb.683:
	s_mov_b32 s1, exec_lo
	v_cmpx_eq_u32_e32 40, v137
	s_cbranch_execz .LBB120_687
; %bb.684:
	v_cmp_ne_u32_e32 vcc_lo, 40, v128
	s_xor_b32 s2, s6, -1
	s_and_b32 s3, s2, vcc_lo
	s_and_saveexec_b32 s2, s3
	s_cbranch_execz .LBB120_686
; %bb.685:
	v_ashrrev_i32_e32 v129, 31, v128
	v_lshlrev_b64 v[129:130], 2, v[128:129]
	v_add_co_u32 v129, vcc_lo, v4, v129
	v_add_co_ci_u32_e64 v130, null, v5, v130, vcc_lo
	s_clause 0x1
	global_load_dword v136, v[129:130], off
	global_load_dword v137, v[4:5], off offset:160
	s_waitcnt vmcnt(1)
	global_store_dword v[4:5], v136, off offset:160
	s_waitcnt vmcnt(0)
	global_store_dword v[129:130], v137, off
.LBB120_686:
	s_or_b32 exec_lo, exec_lo, s2
	v_mov_b32_e32 v136, v128
	v_mov_b32_e32 v137, v128
.LBB120_687:
	s_or_b32 exec_lo, exec_lo, s1
.LBB120_688:
	s_andn2_saveexec_b32 s0, s0
	s_cbranch_execz .LBB120_690
; %bb.689:
	v_mov_b32_e32 v137, 40
	ds_write2_b64 v134, v[42:43], v[40:41] offset0:41 offset1:42
	ds_write2_b64 v134, v[38:39], v[36:37] offset0:43 offset1:44
	;; [unrolled: 1-line block ×10, first 2 shown]
.LBB120_690:
	s_or_b32 exec_lo, exec_lo, s0
	s_mov_b32 s0, exec_lo
	s_waitcnt lgkmcnt(0)
	s_waitcnt_vscnt null, 0x0
	s_barrier
	buffer_gl0_inv
	v_cmpx_lt_i32_e32 40, v137
	s_cbranch_execz .LBB120_692
; %bb.691:
	v_mul_f64 v[46:47], v[0:1], v[46:47]
	ds_read2_b64 v[138:141], v134 offset0:41 offset1:42
	ds_read2_b64 v[142:145], v134 offset0:43 offset1:44
	;; [unrolled: 1-line block ×10, first 2 shown]
	s_waitcnt lgkmcnt(9)
	v_fma_f64 v[42:43], -v[46:47], v[138:139], v[42:43]
	v_fma_f64 v[40:41], -v[46:47], v[140:141], v[40:41]
	s_waitcnt lgkmcnt(8)
	v_fma_f64 v[38:39], -v[46:47], v[142:143], v[38:39]
	v_fma_f64 v[36:37], -v[46:47], v[144:145], v[36:37]
	;; [unrolled: 3-line block ×10, first 2 shown]
.LBB120_692:
	s_or_b32 exec_lo, exec_lo, s0
	v_lshl_add_u32 v0, v137, 3, v134
	s_barrier
	buffer_gl0_inv
	v_mov_b32_e32 v128, 41
	ds_write_b64 v0, v[42:43]
	s_waitcnt lgkmcnt(0)
	s_barrier
	buffer_gl0_inv
	ds_read_b64 v[0:1], v134 offset:328
	s_cmp_lt_i32 s7, 43
	s_cbranch_scc1 .LBB120_695
; %bb.693:
	v_add3_u32 v129, v135, 0, 0x150
	v_mov_b32_e32 v128, 41
	s_mov_b32 s0, 42
.LBB120_694:                            ; =>This Inner Loop Header: Depth=1
	ds_read_b64 v[138:139], v129
	v_add_nc_u32_e32 v129, 8, v129
	s_waitcnt lgkmcnt(0)
	v_cmp_lt_f64_e64 vcc_lo, |v[0:1]|, |v[138:139]|
	v_cndmask_b32_e32 v1, v1, v139, vcc_lo
	v_cndmask_b32_e32 v0, v0, v138, vcc_lo
	v_cndmask_b32_e64 v128, v128, s0, vcc_lo
	s_add_i32 s0, s0, 1
	s_cmp_lg_u32 s7, s0
	s_cbranch_scc1 .LBB120_694
.LBB120_695:
	s_mov_b32 s0, exec_lo
	s_waitcnt lgkmcnt(0)
	v_cmpx_eq_f64_e32 0, v[0:1]
	s_xor_b32 s0, exec_lo, s0
; %bb.696:
	v_cmp_ne_u32_e32 vcc_lo, 0, v131
	v_cndmask_b32_e32 v131, 42, v131, vcc_lo
; %bb.697:
	s_andn2_saveexec_b32 s0, s0
	s_cbranch_execz .LBB120_699
; %bb.698:
	v_div_scale_f64 v[129:130], null, v[0:1], v[0:1], 1.0
	v_rcp_f64_e32 v[138:139], v[129:130]
	v_fma_f64 v[140:141], -v[129:130], v[138:139], 1.0
	v_fma_f64 v[138:139], v[138:139], v[140:141], v[138:139]
	v_fma_f64 v[140:141], -v[129:130], v[138:139], 1.0
	v_fma_f64 v[138:139], v[138:139], v[140:141], v[138:139]
	v_div_scale_f64 v[140:141], vcc_lo, 1.0, v[0:1], 1.0
	v_mul_f64 v[142:143], v[140:141], v[138:139]
	v_fma_f64 v[129:130], -v[129:130], v[142:143], v[140:141]
	v_div_fmas_f64 v[129:130], v[129:130], v[138:139], v[142:143]
	v_div_fixup_f64 v[0:1], v[129:130], v[0:1], 1.0
.LBB120_699:
	s_or_b32 exec_lo, exec_lo, s0
	s_mov_b32 s0, exec_lo
	v_cmpx_ne_u32_e64 v137, v128
	s_xor_b32 s0, exec_lo, s0
	s_cbranch_execz .LBB120_705
; %bb.700:
	s_mov_b32 s1, exec_lo
	v_cmpx_eq_u32_e32 41, v137
	s_cbranch_execz .LBB120_704
; %bb.701:
	v_cmp_ne_u32_e32 vcc_lo, 41, v128
	s_xor_b32 s2, s6, -1
	s_and_b32 s3, s2, vcc_lo
	s_and_saveexec_b32 s2, s3
	s_cbranch_execz .LBB120_703
; %bb.702:
	v_ashrrev_i32_e32 v129, 31, v128
	v_lshlrev_b64 v[129:130], 2, v[128:129]
	v_add_co_u32 v129, vcc_lo, v4, v129
	v_add_co_ci_u32_e64 v130, null, v5, v130, vcc_lo
	s_clause 0x1
	global_load_dword v136, v[129:130], off
	global_load_dword v137, v[4:5], off offset:164
	s_waitcnt vmcnt(1)
	global_store_dword v[4:5], v136, off offset:164
	s_waitcnt vmcnt(0)
	global_store_dword v[129:130], v137, off
.LBB120_703:
	s_or_b32 exec_lo, exec_lo, s2
	v_mov_b32_e32 v136, v128
	v_mov_b32_e32 v137, v128
.LBB120_704:
	s_or_b32 exec_lo, exec_lo, s1
.LBB120_705:
	s_andn2_saveexec_b32 s0, s0
	s_cbranch_execz .LBB120_707
; %bb.706:
	v_mov_b32_e32 v128, v40
	v_mov_b32_e32 v129, v41
	;; [unrolled: 1-line block ×20, first 2 shown]
	ds_write2_b64 v134, v[128:129], v[137:138] offset0:42 offset1:43
	ds_write2_b64 v134, v[139:140], v[141:142] offset0:44 offset1:45
	;; [unrolled: 1-line block ×5, first 2 shown]
	v_mov_b32_e32 v128, v20
	v_mov_b32_e32 v129, v21
	;; [unrolled: 1-line block ×8, first 2 shown]
	ds_write2_b64 v134, v[128:129], v[137:138] offset0:52 offset1:53
	v_mov_b32_e32 v137, 41
	v_mov_b32_e32 v143, v12
	;; [unrolled: 1-line block ×9, first 2 shown]
	ds_write2_b64 v134, v[139:140], v[141:142] offset0:54 offset1:55
	ds_write2_b64 v134, v[143:144], v[145:146] offset0:56 offset1:57
	ds_write2_b64 v134, v[147:148], v[149:150] offset0:58 offset1:59
	ds_write_b64 v134, v[126:127] offset:480
.LBB120_707:
	s_or_b32 exec_lo, exec_lo, s0
	s_mov_b32 s0, exec_lo
	s_waitcnt lgkmcnt(0)
	s_waitcnt_vscnt null, 0x0
	s_barrier
	buffer_gl0_inv
	v_cmpx_lt_i32_e32 41, v137
	s_cbranch_execz .LBB120_709
; %bb.708:
	v_mul_f64 v[42:43], v[0:1], v[42:43]
	ds_read2_b64 v[138:141], v134 offset0:42 offset1:43
	ds_read2_b64 v[142:145], v134 offset0:44 offset1:45
	;; [unrolled: 1-line block ×9, first 2 shown]
	ds_read_b64 v[0:1], v134 offset:480
	s_waitcnt lgkmcnt(9)
	v_fma_f64 v[40:41], -v[42:43], v[138:139], v[40:41]
	v_fma_f64 v[38:39], -v[42:43], v[140:141], v[38:39]
	s_waitcnt lgkmcnt(8)
	v_fma_f64 v[36:37], -v[42:43], v[142:143], v[36:37]
	v_fma_f64 v[34:35], -v[42:43], v[144:145], v[34:35]
	;; [unrolled: 3-line block ×9, first 2 shown]
	s_waitcnt lgkmcnt(0)
	v_fma_f64 v[126:127], -v[42:43], v[0:1], v[126:127]
.LBB120_709:
	s_or_b32 exec_lo, exec_lo, s0
	v_lshl_add_u32 v0, v137, 3, v134
	s_barrier
	buffer_gl0_inv
	v_mov_b32_e32 v128, 42
	ds_write_b64 v0, v[40:41]
	s_waitcnt lgkmcnt(0)
	s_barrier
	buffer_gl0_inv
	ds_read_b64 v[0:1], v134 offset:336
	s_cmp_lt_i32 s7, 44
	s_cbranch_scc1 .LBB120_712
; %bb.710:
	v_add3_u32 v129, v135, 0, 0x158
	v_mov_b32_e32 v128, 42
	s_mov_b32 s0, 43
.LBB120_711:                            ; =>This Inner Loop Header: Depth=1
	ds_read_b64 v[138:139], v129
	v_add_nc_u32_e32 v129, 8, v129
	s_waitcnt lgkmcnt(0)
	v_cmp_lt_f64_e64 vcc_lo, |v[0:1]|, |v[138:139]|
	v_cndmask_b32_e32 v1, v1, v139, vcc_lo
	v_cndmask_b32_e32 v0, v0, v138, vcc_lo
	v_cndmask_b32_e64 v128, v128, s0, vcc_lo
	s_add_i32 s0, s0, 1
	s_cmp_lg_u32 s7, s0
	s_cbranch_scc1 .LBB120_711
.LBB120_712:
	s_mov_b32 s0, exec_lo
	s_waitcnt lgkmcnt(0)
	v_cmpx_eq_f64_e32 0, v[0:1]
	s_xor_b32 s0, exec_lo, s0
; %bb.713:
	v_cmp_ne_u32_e32 vcc_lo, 0, v131
	v_cndmask_b32_e32 v131, 43, v131, vcc_lo
; %bb.714:
	s_andn2_saveexec_b32 s0, s0
	s_cbranch_execz .LBB120_716
; %bb.715:
	v_div_scale_f64 v[129:130], null, v[0:1], v[0:1], 1.0
	v_rcp_f64_e32 v[138:139], v[129:130]
	v_fma_f64 v[140:141], -v[129:130], v[138:139], 1.0
	v_fma_f64 v[138:139], v[138:139], v[140:141], v[138:139]
	v_fma_f64 v[140:141], -v[129:130], v[138:139], 1.0
	v_fma_f64 v[138:139], v[138:139], v[140:141], v[138:139]
	v_div_scale_f64 v[140:141], vcc_lo, 1.0, v[0:1], 1.0
	v_mul_f64 v[142:143], v[140:141], v[138:139]
	v_fma_f64 v[129:130], -v[129:130], v[142:143], v[140:141]
	v_div_fmas_f64 v[129:130], v[129:130], v[138:139], v[142:143]
	v_div_fixup_f64 v[0:1], v[129:130], v[0:1], 1.0
.LBB120_716:
	s_or_b32 exec_lo, exec_lo, s0
	s_mov_b32 s0, exec_lo
	v_cmpx_ne_u32_e64 v137, v128
	s_xor_b32 s0, exec_lo, s0
	s_cbranch_execz .LBB120_722
; %bb.717:
	s_mov_b32 s1, exec_lo
	v_cmpx_eq_u32_e32 42, v137
	s_cbranch_execz .LBB120_721
; %bb.718:
	v_cmp_ne_u32_e32 vcc_lo, 42, v128
	s_xor_b32 s2, s6, -1
	s_and_b32 s3, s2, vcc_lo
	s_and_saveexec_b32 s2, s3
	s_cbranch_execz .LBB120_720
; %bb.719:
	v_ashrrev_i32_e32 v129, 31, v128
	v_lshlrev_b64 v[129:130], 2, v[128:129]
	v_add_co_u32 v129, vcc_lo, v4, v129
	v_add_co_ci_u32_e64 v130, null, v5, v130, vcc_lo
	s_clause 0x1
	global_load_dword v136, v[129:130], off
	global_load_dword v137, v[4:5], off offset:168
	s_waitcnt vmcnt(1)
	global_store_dword v[4:5], v136, off offset:168
	s_waitcnt vmcnt(0)
	global_store_dword v[129:130], v137, off
.LBB120_720:
	s_or_b32 exec_lo, exec_lo, s2
	v_mov_b32_e32 v136, v128
	v_mov_b32_e32 v137, v128
.LBB120_721:
	s_or_b32 exec_lo, exec_lo, s1
.LBB120_722:
	s_andn2_saveexec_b32 s0, s0
	s_cbranch_execz .LBB120_724
; %bb.723:
	v_mov_b32_e32 v137, 42
	ds_write2_b64 v134, v[38:39], v[36:37] offset0:43 offset1:44
	ds_write2_b64 v134, v[34:35], v[32:33] offset0:45 offset1:46
	;; [unrolled: 1-line block ×9, first 2 shown]
.LBB120_724:
	s_or_b32 exec_lo, exec_lo, s0
	s_mov_b32 s0, exec_lo
	s_waitcnt lgkmcnt(0)
	s_waitcnt_vscnt null, 0x0
	s_barrier
	buffer_gl0_inv
	v_cmpx_lt_i32_e32 42, v137
	s_cbranch_execz .LBB120_726
; %bb.725:
	v_mul_f64 v[40:41], v[0:1], v[40:41]
	ds_read2_b64 v[138:141], v134 offset0:43 offset1:44
	ds_read2_b64 v[142:145], v134 offset0:45 offset1:46
	;; [unrolled: 1-line block ×9, first 2 shown]
	s_waitcnt lgkmcnt(8)
	v_fma_f64 v[38:39], -v[40:41], v[138:139], v[38:39]
	v_fma_f64 v[36:37], -v[40:41], v[140:141], v[36:37]
	s_waitcnt lgkmcnt(7)
	v_fma_f64 v[34:35], -v[40:41], v[142:143], v[34:35]
	v_fma_f64 v[32:33], -v[40:41], v[144:145], v[32:33]
	;; [unrolled: 3-line block ×9, first 2 shown]
.LBB120_726:
	s_or_b32 exec_lo, exec_lo, s0
	v_lshl_add_u32 v0, v137, 3, v134
	s_barrier
	buffer_gl0_inv
	v_mov_b32_e32 v128, 43
	ds_write_b64 v0, v[38:39]
	s_waitcnt lgkmcnt(0)
	s_barrier
	buffer_gl0_inv
	ds_read_b64 v[0:1], v134 offset:344
	s_cmp_lt_i32 s7, 45
	s_cbranch_scc1 .LBB120_729
; %bb.727:
	v_add3_u32 v129, v135, 0, 0x160
	v_mov_b32_e32 v128, 43
	s_mov_b32 s0, 44
.LBB120_728:                            ; =>This Inner Loop Header: Depth=1
	ds_read_b64 v[138:139], v129
	v_add_nc_u32_e32 v129, 8, v129
	s_waitcnt lgkmcnt(0)
	v_cmp_lt_f64_e64 vcc_lo, |v[0:1]|, |v[138:139]|
	v_cndmask_b32_e32 v1, v1, v139, vcc_lo
	v_cndmask_b32_e32 v0, v0, v138, vcc_lo
	v_cndmask_b32_e64 v128, v128, s0, vcc_lo
	s_add_i32 s0, s0, 1
	s_cmp_lg_u32 s7, s0
	s_cbranch_scc1 .LBB120_728
.LBB120_729:
	s_mov_b32 s0, exec_lo
	s_waitcnt lgkmcnt(0)
	v_cmpx_eq_f64_e32 0, v[0:1]
	s_xor_b32 s0, exec_lo, s0
; %bb.730:
	v_cmp_ne_u32_e32 vcc_lo, 0, v131
	v_cndmask_b32_e32 v131, 44, v131, vcc_lo
; %bb.731:
	s_andn2_saveexec_b32 s0, s0
	s_cbranch_execz .LBB120_733
; %bb.732:
	v_div_scale_f64 v[129:130], null, v[0:1], v[0:1], 1.0
	v_rcp_f64_e32 v[138:139], v[129:130]
	v_fma_f64 v[140:141], -v[129:130], v[138:139], 1.0
	v_fma_f64 v[138:139], v[138:139], v[140:141], v[138:139]
	v_fma_f64 v[140:141], -v[129:130], v[138:139], 1.0
	v_fma_f64 v[138:139], v[138:139], v[140:141], v[138:139]
	v_div_scale_f64 v[140:141], vcc_lo, 1.0, v[0:1], 1.0
	v_mul_f64 v[142:143], v[140:141], v[138:139]
	v_fma_f64 v[129:130], -v[129:130], v[142:143], v[140:141]
	v_div_fmas_f64 v[129:130], v[129:130], v[138:139], v[142:143]
	v_div_fixup_f64 v[0:1], v[129:130], v[0:1], 1.0
.LBB120_733:
	s_or_b32 exec_lo, exec_lo, s0
	s_mov_b32 s0, exec_lo
	v_cmpx_ne_u32_e64 v137, v128
	s_xor_b32 s0, exec_lo, s0
	s_cbranch_execz .LBB120_739
; %bb.734:
	s_mov_b32 s1, exec_lo
	v_cmpx_eq_u32_e32 43, v137
	s_cbranch_execz .LBB120_738
; %bb.735:
	v_cmp_ne_u32_e32 vcc_lo, 43, v128
	s_xor_b32 s2, s6, -1
	s_and_b32 s3, s2, vcc_lo
	s_and_saveexec_b32 s2, s3
	s_cbranch_execz .LBB120_737
; %bb.736:
	v_ashrrev_i32_e32 v129, 31, v128
	v_lshlrev_b64 v[129:130], 2, v[128:129]
	v_add_co_u32 v129, vcc_lo, v4, v129
	v_add_co_ci_u32_e64 v130, null, v5, v130, vcc_lo
	s_clause 0x1
	global_load_dword v136, v[129:130], off
	global_load_dword v137, v[4:5], off offset:172
	s_waitcnt vmcnt(1)
	global_store_dword v[4:5], v136, off offset:172
	s_waitcnt vmcnt(0)
	global_store_dword v[129:130], v137, off
.LBB120_737:
	s_or_b32 exec_lo, exec_lo, s2
	v_mov_b32_e32 v136, v128
	v_mov_b32_e32 v137, v128
.LBB120_738:
	s_or_b32 exec_lo, exec_lo, s1
.LBB120_739:
	s_andn2_saveexec_b32 s0, s0
	s_cbranch_execz .LBB120_741
; %bb.740:
	v_mov_b32_e32 v128, v36
	v_mov_b32_e32 v129, v37
	;; [unrolled: 1-line block ×16, first 2 shown]
	ds_write2_b64 v134, v[128:129], v[137:138] offset0:44 offset1:45
	ds_write2_b64 v134, v[139:140], v[141:142] offset0:46 offset1:47
	;; [unrolled: 1-line block ×4, first 2 shown]
	v_mov_b32_e32 v128, v20
	v_mov_b32_e32 v129, v21
	;; [unrolled: 1-line block ×8, first 2 shown]
	ds_write2_b64 v134, v[128:129], v[137:138] offset0:52 offset1:53
	v_mov_b32_e32 v137, 43
	v_mov_b32_e32 v143, v12
	;; [unrolled: 1-line block ×9, first 2 shown]
	ds_write2_b64 v134, v[139:140], v[141:142] offset0:54 offset1:55
	ds_write2_b64 v134, v[143:144], v[145:146] offset0:56 offset1:57
	;; [unrolled: 1-line block ×3, first 2 shown]
	ds_write_b64 v134, v[126:127] offset:480
.LBB120_741:
	s_or_b32 exec_lo, exec_lo, s0
	s_mov_b32 s0, exec_lo
	s_waitcnt lgkmcnt(0)
	s_waitcnt_vscnt null, 0x0
	s_barrier
	buffer_gl0_inv
	v_cmpx_lt_i32_e32 43, v137
	s_cbranch_execz .LBB120_743
; %bb.742:
	v_mul_f64 v[38:39], v[0:1], v[38:39]
	ds_read2_b64 v[138:141], v134 offset0:44 offset1:45
	ds_read2_b64 v[142:145], v134 offset0:46 offset1:47
	ds_read2_b64 v[146:149], v134 offset0:48 offset1:49
	ds_read2_b64 v[150:153], v134 offset0:50 offset1:51
	ds_read2_b64 v[154:157], v134 offset0:52 offset1:53
	ds_read2_b64 v[158:161], v134 offset0:54 offset1:55
	ds_read2_b64 v[162:165], v134 offset0:56 offset1:57
	ds_read2_b64 v[166:169], v134 offset0:58 offset1:59
	ds_read_b64 v[0:1], v134 offset:480
	s_waitcnt lgkmcnt(8)
	v_fma_f64 v[36:37], -v[38:39], v[138:139], v[36:37]
	v_fma_f64 v[34:35], -v[38:39], v[140:141], v[34:35]
	s_waitcnt lgkmcnt(7)
	v_fma_f64 v[32:33], -v[38:39], v[142:143], v[32:33]
	v_fma_f64 v[28:29], -v[38:39], v[144:145], v[28:29]
	;; [unrolled: 3-line block ×8, first 2 shown]
	s_waitcnt lgkmcnt(0)
	v_fma_f64 v[126:127], -v[38:39], v[0:1], v[126:127]
.LBB120_743:
	s_or_b32 exec_lo, exec_lo, s0
	v_lshl_add_u32 v0, v137, 3, v134
	s_barrier
	buffer_gl0_inv
	v_mov_b32_e32 v128, 44
	ds_write_b64 v0, v[36:37]
	s_waitcnt lgkmcnt(0)
	s_barrier
	buffer_gl0_inv
	ds_read_b64 v[0:1], v134 offset:352
	s_cmp_lt_i32 s7, 46
	s_cbranch_scc1 .LBB120_746
; %bb.744:
	v_add3_u32 v129, v135, 0, 0x168
	v_mov_b32_e32 v128, 44
	s_mov_b32 s0, 45
.LBB120_745:                            ; =>This Inner Loop Header: Depth=1
	ds_read_b64 v[138:139], v129
	v_add_nc_u32_e32 v129, 8, v129
	s_waitcnt lgkmcnt(0)
	v_cmp_lt_f64_e64 vcc_lo, |v[0:1]|, |v[138:139]|
	v_cndmask_b32_e32 v1, v1, v139, vcc_lo
	v_cndmask_b32_e32 v0, v0, v138, vcc_lo
	v_cndmask_b32_e64 v128, v128, s0, vcc_lo
	s_add_i32 s0, s0, 1
	s_cmp_lg_u32 s7, s0
	s_cbranch_scc1 .LBB120_745
.LBB120_746:
	s_mov_b32 s0, exec_lo
	s_waitcnt lgkmcnt(0)
	v_cmpx_eq_f64_e32 0, v[0:1]
	s_xor_b32 s0, exec_lo, s0
; %bb.747:
	v_cmp_ne_u32_e32 vcc_lo, 0, v131
	v_cndmask_b32_e32 v131, 45, v131, vcc_lo
; %bb.748:
	s_andn2_saveexec_b32 s0, s0
	s_cbranch_execz .LBB120_750
; %bb.749:
	v_div_scale_f64 v[129:130], null, v[0:1], v[0:1], 1.0
	v_rcp_f64_e32 v[138:139], v[129:130]
	v_fma_f64 v[140:141], -v[129:130], v[138:139], 1.0
	v_fma_f64 v[138:139], v[138:139], v[140:141], v[138:139]
	v_fma_f64 v[140:141], -v[129:130], v[138:139], 1.0
	v_fma_f64 v[138:139], v[138:139], v[140:141], v[138:139]
	v_div_scale_f64 v[140:141], vcc_lo, 1.0, v[0:1], 1.0
	v_mul_f64 v[142:143], v[140:141], v[138:139]
	v_fma_f64 v[129:130], -v[129:130], v[142:143], v[140:141]
	v_div_fmas_f64 v[129:130], v[129:130], v[138:139], v[142:143]
	v_div_fixup_f64 v[0:1], v[129:130], v[0:1], 1.0
.LBB120_750:
	s_or_b32 exec_lo, exec_lo, s0
	s_mov_b32 s0, exec_lo
	v_cmpx_ne_u32_e64 v137, v128
	s_xor_b32 s0, exec_lo, s0
	s_cbranch_execz .LBB120_756
; %bb.751:
	s_mov_b32 s1, exec_lo
	v_cmpx_eq_u32_e32 44, v137
	s_cbranch_execz .LBB120_755
; %bb.752:
	v_cmp_ne_u32_e32 vcc_lo, 44, v128
	s_xor_b32 s2, s6, -1
	s_and_b32 s3, s2, vcc_lo
	s_and_saveexec_b32 s2, s3
	s_cbranch_execz .LBB120_754
; %bb.753:
	v_ashrrev_i32_e32 v129, 31, v128
	v_lshlrev_b64 v[129:130], 2, v[128:129]
	v_add_co_u32 v129, vcc_lo, v4, v129
	v_add_co_ci_u32_e64 v130, null, v5, v130, vcc_lo
	s_clause 0x1
	global_load_dword v136, v[129:130], off
	global_load_dword v137, v[4:5], off offset:176
	s_waitcnt vmcnt(1)
	global_store_dword v[4:5], v136, off offset:176
	s_waitcnt vmcnt(0)
	global_store_dword v[129:130], v137, off
.LBB120_754:
	s_or_b32 exec_lo, exec_lo, s2
	v_mov_b32_e32 v136, v128
	v_mov_b32_e32 v137, v128
.LBB120_755:
	s_or_b32 exec_lo, exec_lo, s1
.LBB120_756:
	s_andn2_saveexec_b32 s0, s0
	s_cbranch_execz .LBB120_758
; %bb.757:
	v_mov_b32_e32 v137, 44
	ds_write2_b64 v134, v[34:35], v[32:33] offset0:45 offset1:46
	ds_write2_b64 v134, v[28:29], v[30:31] offset0:47 offset1:48
	;; [unrolled: 1-line block ×8, first 2 shown]
.LBB120_758:
	s_or_b32 exec_lo, exec_lo, s0
	s_mov_b32 s0, exec_lo
	s_waitcnt lgkmcnt(0)
	s_waitcnt_vscnt null, 0x0
	s_barrier
	buffer_gl0_inv
	v_cmpx_lt_i32_e32 44, v137
	s_cbranch_execz .LBB120_760
; %bb.759:
	v_mul_f64 v[36:37], v[0:1], v[36:37]
	ds_read2_b64 v[138:141], v134 offset0:45 offset1:46
	ds_read2_b64 v[142:145], v134 offset0:47 offset1:48
	;; [unrolled: 1-line block ×8, first 2 shown]
	s_waitcnt lgkmcnt(7)
	v_fma_f64 v[34:35], -v[36:37], v[138:139], v[34:35]
	v_fma_f64 v[32:33], -v[36:37], v[140:141], v[32:33]
	s_waitcnt lgkmcnt(6)
	v_fma_f64 v[28:29], -v[36:37], v[142:143], v[28:29]
	v_fma_f64 v[30:31], -v[36:37], v[144:145], v[30:31]
	;; [unrolled: 3-line block ×8, first 2 shown]
.LBB120_760:
	s_or_b32 exec_lo, exec_lo, s0
	v_lshl_add_u32 v0, v137, 3, v134
	s_barrier
	buffer_gl0_inv
	v_mov_b32_e32 v128, 45
	ds_write_b64 v0, v[34:35]
	s_waitcnt lgkmcnt(0)
	s_barrier
	buffer_gl0_inv
	ds_read_b64 v[0:1], v134 offset:360
	s_cmp_lt_i32 s7, 47
	s_cbranch_scc1 .LBB120_763
; %bb.761:
	v_add3_u32 v129, v135, 0, 0x170
	v_mov_b32_e32 v128, 45
	s_mov_b32 s0, 46
.LBB120_762:                            ; =>This Inner Loop Header: Depth=1
	ds_read_b64 v[138:139], v129
	v_add_nc_u32_e32 v129, 8, v129
	s_waitcnt lgkmcnt(0)
	v_cmp_lt_f64_e64 vcc_lo, |v[0:1]|, |v[138:139]|
	v_cndmask_b32_e32 v1, v1, v139, vcc_lo
	v_cndmask_b32_e32 v0, v0, v138, vcc_lo
	v_cndmask_b32_e64 v128, v128, s0, vcc_lo
	s_add_i32 s0, s0, 1
	s_cmp_lg_u32 s7, s0
	s_cbranch_scc1 .LBB120_762
.LBB120_763:
	s_mov_b32 s0, exec_lo
	s_waitcnt lgkmcnt(0)
	v_cmpx_eq_f64_e32 0, v[0:1]
	s_xor_b32 s0, exec_lo, s0
; %bb.764:
	v_cmp_ne_u32_e32 vcc_lo, 0, v131
	v_cndmask_b32_e32 v131, 46, v131, vcc_lo
; %bb.765:
	s_andn2_saveexec_b32 s0, s0
	s_cbranch_execz .LBB120_767
; %bb.766:
	v_div_scale_f64 v[129:130], null, v[0:1], v[0:1], 1.0
	v_rcp_f64_e32 v[138:139], v[129:130]
	v_fma_f64 v[140:141], -v[129:130], v[138:139], 1.0
	v_fma_f64 v[138:139], v[138:139], v[140:141], v[138:139]
	v_fma_f64 v[140:141], -v[129:130], v[138:139], 1.0
	v_fma_f64 v[138:139], v[138:139], v[140:141], v[138:139]
	v_div_scale_f64 v[140:141], vcc_lo, 1.0, v[0:1], 1.0
	v_mul_f64 v[142:143], v[140:141], v[138:139]
	v_fma_f64 v[129:130], -v[129:130], v[142:143], v[140:141]
	v_div_fmas_f64 v[129:130], v[129:130], v[138:139], v[142:143]
	v_div_fixup_f64 v[0:1], v[129:130], v[0:1], 1.0
.LBB120_767:
	s_or_b32 exec_lo, exec_lo, s0
	s_mov_b32 s0, exec_lo
	v_cmpx_ne_u32_e64 v137, v128
	s_xor_b32 s0, exec_lo, s0
	s_cbranch_execz .LBB120_773
; %bb.768:
	s_mov_b32 s1, exec_lo
	v_cmpx_eq_u32_e32 45, v137
	s_cbranch_execz .LBB120_772
; %bb.769:
	v_cmp_ne_u32_e32 vcc_lo, 45, v128
	s_xor_b32 s2, s6, -1
	s_and_b32 s3, s2, vcc_lo
	s_and_saveexec_b32 s2, s3
	s_cbranch_execz .LBB120_771
; %bb.770:
	v_ashrrev_i32_e32 v129, 31, v128
	v_lshlrev_b64 v[129:130], 2, v[128:129]
	v_add_co_u32 v129, vcc_lo, v4, v129
	v_add_co_ci_u32_e64 v130, null, v5, v130, vcc_lo
	s_clause 0x1
	global_load_dword v136, v[129:130], off
	global_load_dword v137, v[4:5], off offset:180
	s_waitcnt vmcnt(1)
	global_store_dword v[4:5], v136, off offset:180
	s_waitcnt vmcnt(0)
	global_store_dword v[129:130], v137, off
.LBB120_771:
	s_or_b32 exec_lo, exec_lo, s2
	v_mov_b32_e32 v136, v128
	v_mov_b32_e32 v137, v128
.LBB120_772:
	s_or_b32 exec_lo, exec_lo, s1
.LBB120_773:
	s_andn2_saveexec_b32 s0, s0
	s_cbranch_execz .LBB120_775
; %bb.774:
	v_mov_b32_e32 v128, v32
	v_mov_b32_e32 v129, v33
	;; [unrolled: 1-line block ×12, first 2 shown]
	ds_write2_b64 v134, v[128:129], v[137:138] offset0:46 offset1:47
	ds_write2_b64 v134, v[139:140], v[141:142] offset0:48 offset1:49
	;; [unrolled: 1-line block ×3, first 2 shown]
	v_mov_b32_e32 v128, v20
	v_mov_b32_e32 v129, v21
	;; [unrolled: 1-line block ×8, first 2 shown]
	ds_write2_b64 v134, v[128:129], v[137:138] offset0:52 offset1:53
	v_mov_b32_e32 v137, 45
	v_mov_b32_e32 v143, v12
	;; [unrolled: 1-line block ×9, first 2 shown]
	ds_write2_b64 v134, v[139:140], v[141:142] offset0:54 offset1:55
	ds_write2_b64 v134, v[143:144], v[145:146] offset0:56 offset1:57
	;; [unrolled: 1-line block ×3, first 2 shown]
	ds_write_b64 v134, v[126:127] offset:480
.LBB120_775:
	s_or_b32 exec_lo, exec_lo, s0
	s_mov_b32 s0, exec_lo
	s_waitcnt lgkmcnt(0)
	s_waitcnt_vscnt null, 0x0
	s_barrier
	buffer_gl0_inv
	v_cmpx_lt_i32_e32 45, v137
	s_cbranch_execz .LBB120_777
; %bb.776:
	v_mul_f64 v[34:35], v[0:1], v[34:35]
	ds_read2_b64 v[138:141], v134 offset0:46 offset1:47
	ds_read2_b64 v[142:145], v134 offset0:48 offset1:49
	;; [unrolled: 1-line block ×7, first 2 shown]
	ds_read_b64 v[0:1], v134 offset:480
	s_waitcnt lgkmcnt(7)
	v_fma_f64 v[32:33], -v[34:35], v[138:139], v[32:33]
	v_fma_f64 v[28:29], -v[34:35], v[140:141], v[28:29]
	s_waitcnt lgkmcnt(6)
	v_fma_f64 v[30:31], -v[34:35], v[142:143], v[30:31]
	v_fma_f64 v[24:25], -v[34:35], v[144:145], v[24:25]
	;; [unrolled: 3-line block ×7, first 2 shown]
	s_waitcnt lgkmcnt(0)
	v_fma_f64 v[126:127], -v[34:35], v[0:1], v[126:127]
.LBB120_777:
	s_or_b32 exec_lo, exec_lo, s0
	v_lshl_add_u32 v0, v137, 3, v134
	s_barrier
	buffer_gl0_inv
	v_mov_b32_e32 v128, 46
	ds_write_b64 v0, v[32:33]
	s_waitcnt lgkmcnt(0)
	s_barrier
	buffer_gl0_inv
	ds_read_b64 v[0:1], v134 offset:368
	s_cmp_lt_i32 s7, 48
	s_cbranch_scc1 .LBB120_780
; %bb.778:
	v_add3_u32 v129, v135, 0, 0x178
	v_mov_b32_e32 v128, 46
	s_mov_b32 s0, 47
.LBB120_779:                            ; =>This Inner Loop Header: Depth=1
	ds_read_b64 v[138:139], v129
	v_add_nc_u32_e32 v129, 8, v129
	s_waitcnt lgkmcnt(0)
	v_cmp_lt_f64_e64 vcc_lo, |v[0:1]|, |v[138:139]|
	v_cndmask_b32_e32 v1, v1, v139, vcc_lo
	v_cndmask_b32_e32 v0, v0, v138, vcc_lo
	v_cndmask_b32_e64 v128, v128, s0, vcc_lo
	s_add_i32 s0, s0, 1
	s_cmp_lg_u32 s7, s0
	s_cbranch_scc1 .LBB120_779
.LBB120_780:
	s_mov_b32 s0, exec_lo
	s_waitcnt lgkmcnt(0)
	v_cmpx_eq_f64_e32 0, v[0:1]
	s_xor_b32 s0, exec_lo, s0
; %bb.781:
	v_cmp_ne_u32_e32 vcc_lo, 0, v131
	v_cndmask_b32_e32 v131, 47, v131, vcc_lo
; %bb.782:
	s_andn2_saveexec_b32 s0, s0
	s_cbranch_execz .LBB120_784
; %bb.783:
	v_div_scale_f64 v[129:130], null, v[0:1], v[0:1], 1.0
	v_rcp_f64_e32 v[138:139], v[129:130]
	v_fma_f64 v[140:141], -v[129:130], v[138:139], 1.0
	v_fma_f64 v[138:139], v[138:139], v[140:141], v[138:139]
	v_fma_f64 v[140:141], -v[129:130], v[138:139], 1.0
	v_fma_f64 v[138:139], v[138:139], v[140:141], v[138:139]
	v_div_scale_f64 v[140:141], vcc_lo, 1.0, v[0:1], 1.0
	v_mul_f64 v[142:143], v[140:141], v[138:139]
	v_fma_f64 v[129:130], -v[129:130], v[142:143], v[140:141]
	v_div_fmas_f64 v[129:130], v[129:130], v[138:139], v[142:143]
	v_div_fixup_f64 v[0:1], v[129:130], v[0:1], 1.0
.LBB120_784:
	s_or_b32 exec_lo, exec_lo, s0
	s_mov_b32 s0, exec_lo
	v_cmpx_ne_u32_e64 v137, v128
	s_xor_b32 s0, exec_lo, s0
	s_cbranch_execz .LBB120_790
; %bb.785:
	s_mov_b32 s1, exec_lo
	v_cmpx_eq_u32_e32 46, v137
	s_cbranch_execz .LBB120_789
; %bb.786:
	v_cmp_ne_u32_e32 vcc_lo, 46, v128
	s_xor_b32 s2, s6, -1
	s_and_b32 s3, s2, vcc_lo
	s_and_saveexec_b32 s2, s3
	s_cbranch_execz .LBB120_788
; %bb.787:
	v_ashrrev_i32_e32 v129, 31, v128
	v_lshlrev_b64 v[129:130], 2, v[128:129]
	v_add_co_u32 v129, vcc_lo, v4, v129
	v_add_co_ci_u32_e64 v130, null, v5, v130, vcc_lo
	s_clause 0x1
	global_load_dword v136, v[129:130], off
	global_load_dword v137, v[4:5], off offset:184
	s_waitcnt vmcnt(1)
	global_store_dword v[4:5], v136, off offset:184
	s_waitcnt vmcnt(0)
	global_store_dword v[129:130], v137, off
.LBB120_788:
	s_or_b32 exec_lo, exec_lo, s2
	v_mov_b32_e32 v136, v128
	v_mov_b32_e32 v137, v128
.LBB120_789:
	s_or_b32 exec_lo, exec_lo, s1
.LBB120_790:
	s_andn2_saveexec_b32 s0, s0
	s_cbranch_execz .LBB120_792
; %bb.791:
	v_mov_b32_e32 v137, 46
	ds_write2_b64 v134, v[28:29], v[30:31] offset0:47 offset1:48
	ds_write2_b64 v134, v[24:25], v[26:27] offset0:49 offset1:50
	;; [unrolled: 1-line block ×7, first 2 shown]
.LBB120_792:
	s_or_b32 exec_lo, exec_lo, s0
	s_mov_b32 s0, exec_lo
	s_waitcnt lgkmcnt(0)
	s_waitcnt_vscnt null, 0x0
	s_barrier
	buffer_gl0_inv
	v_cmpx_lt_i32_e32 46, v137
	s_cbranch_execz .LBB120_794
; %bb.793:
	v_mul_f64 v[32:33], v[0:1], v[32:33]
	ds_read2_b64 v[138:141], v134 offset0:47 offset1:48
	ds_read2_b64 v[142:145], v134 offset0:49 offset1:50
	;; [unrolled: 1-line block ×7, first 2 shown]
	s_waitcnt lgkmcnt(6)
	v_fma_f64 v[28:29], -v[32:33], v[138:139], v[28:29]
	v_fma_f64 v[30:31], -v[32:33], v[140:141], v[30:31]
	s_waitcnt lgkmcnt(5)
	v_fma_f64 v[24:25], -v[32:33], v[142:143], v[24:25]
	v_fma_f64 v[26:27], -v[32:33], v[144:145], v[26:27]
	;; [unrolled: 3-line block ×7, first 2 shown]
.LBB120_794:
	s_or_b32 exec_lo, exec_lo, s0
	v_lshl_add_u32 v0, v137, 3, v134
	s_barrier
	buffer_gl0_inv
	v_mov_b32_e32 v128, 47
	ds_write_b64 v0, v[28:29]
	s_waitcnt lgkmcnt(0)
	s_barrier
	buffer_gl0_inv
	ds_read_b64 v[0:1], v134 offset:376
	s_cmp_lt_i32 s7, 49
	s_cbranch_scc1 .LBB120_797
; %bb.795:
	v_add3_u32 v129, v135, 0, 0x180
	v_mov_b32_e32 v128, 47
	s_mov_b32 s0, 48
.LBB120_796:                            ; =>This Inner Loop Header: Depth=1
	ds_read_b64 v[138:139], v129
	v_add_nc_u32_e32 v129, 8, v129
	s_waitcnt lgkmcnt(0)
	v_cmp_lt_f64_e64 vcc_lo, |v[0:1]|, |v[138:139]|
	v_cndmask_b32_e32 v1, v1, v139, vcc_lo
	v_cndmask_b32_e32 v0, v0, v138, vcc_lo
	v_cndmask_b32_e64 v128, v128, s0, vcc_lo
	s_add_i32 s0, s0, 1
	s_cmp_lg_u32 s7, s0
	s_cbranch_scc1 .LBB120_796
.LBB120_797:
	s_mov_b32 s0, exec_lo
	s_waitcnt lgkmcnt(0)
	v_cmpx_eq_f64_e32 0, v[0:1]
	s_xor_b32 s0, exec_lo, s0
; %bb.798:
	v_cmp_ne_u32_e32 vcc_lo, 0, v131
	v_cndmask_b32_e32 v131, 48, v131, vcc_lo
; %bb.799:
	s_andn2_saveexec_b32 s0, s0
	s_cbranch_execz .LBB120_801
; %bb.800:
	v_div_scale_f64 v[129:130], null, v[0:1], v[0:1], 1.0
	v_rcp_f64_e32 v[138:139], v[129:130]
	v_fma_f64 v[140:141], -v[129:130], v[138:139], 1.0
	v_fma_f64 v[138:139], v[138:139], v[140:141], v[138:139]
	v_fma_f64 v[140:141], -v[129:130], v[138:139], 1.0
	v_fma_f64 v[138:139], v[138:139], v[140:141], v[138:139]
	v_div_scale_f64 v[140:141], vcc_lo, 1.0, v[0:1], 1.0
	v_mul_f64 v[142:143], v[140:141], v[138:139]
	v_fma_f64 v[129:130], -v[129:130], v[142:143], v[140:141]
	v_div_fmas_f64 v[129:130], v[129:130], v[138:139], v[142:143]
	v_div_fixup_f64 v[0:1], v[129:130], v[0:1], 1.0
.LBB120_801:
	s_or_b32 exec_lo, exec_lo, s0
	s_mov_b32 s0, exec_lo
	v_cmpx_ne_u32_e64 v137, v128
	s_xor_b32 s0, exec_lo, s0
	s_cbranch_execz .LBB120_807
; %bb.802:
	s_mov_b32 s1, exec_lo
	v_cmpx_eq_u32_e32 47, v137
	s_cbranch_execz .LBB120_806
; %bb.803:
	v_cmp_ne_u32_e32 vcc_lo, 47, v128
	s_xor_b32 s2, s6, -1
	s_and_b32 s3, s2, vcc_lo
	s_and_saveexec_b32 s2, s3
	s_cbranch_execz .LBB120_805
; %bb.804:
	v_ashrrev_i32_e32 v129, 31, v128
	v_lshlrev_b64 v[129:130], 2, v[128:129]
	v_add_co_u32 v129, vcc_lo, v4, v129
	v_add_co_ci_u32_e64 v130, null, v5, v130, vcc_lo
	s_clause 0x1
	global_load_dword v136, v[129:130], off
	global_load_dword v137, v[4:5], off offset:188
	s_waitcnt vmcnt(1)
	global_store_dword v[4:5], v136, off offset:188
	s_waitcnt vmcnt(0)
	global_store_dword v[129:130], v137, off
.LBB120_805:
	s_or_b32 exec_lo, exec_lo, s2
	v_mov_b32_e32 v136, v128
	v_mov_b32_e32 v137, v128
.LBB120_806:
	s_or_b32 exec_lo, exec_lo, s1
.LBB120_807:
	s_andn2_saveexec_b32 s0, s0
	s_cbranch_execz .LBB120_809
; %bb.808:
	v_mov_b32_e32 v128, v30
	v_mov_b32_e32 v129, v31
	;; [unrolled: 1-line block ×8, first 2 shown]
	ds_write2_b64 v134, v[128:129], v[137:138] offset0:48 offset1:49
	ds_write2_b64 v134, v[139:140], v[141:142] offset0:50 offset1:51
	v_mov_b32_e32 v128, v20
	v_mov_b32_e32 v129, v21
	;; [unrolled: 1-line block ×8, first 2 shown]
	ds_write2_b64 v134, v[128:129], v[137:138] offset0:52 offset1:53
	v_mov_b32_e32 v137, 47
	v_mov_b32_e32 v143, v12
	;; [unrolled: 1-line block ×9, first 2 shown]
	ds_write2_b64 v134, v[139:140], v[141:142] offset0:54 offset1:55
	ds_write2_b64 v134, v[143:144], v[145:146] offset0:56 offset1:57
	;; [unrolled: 1-line block ×3, first 2 shown]
	ds_write_b64 v134, v[126:127] offset:480
.LBB120_809:
	s_or_b32 exec_lo, exec_lo, s0
	s_mov_b32 s0, exec_lo
	s_waitcnt lgkmcnt(0)
	s_waitcnt_vscnt null, 0x0
	s_barrier
	buffer_gl0_inv
	v_cmpx_lt_i32_e32 47, v137
	s_cbranch_execz .LBB120_811
; %bb.810:
	v_mul_f64 v[28:29], v[0:1], v[28:29]
	ds_read2_b64 v[138:141], v134 offset0:48 offset1:49
	ds_read2_b64 v[142:145], v134 offset0:50 offset1:51
	;; [unrolled: 1-line block ×6, first 2 shown]
	ds_read_b64 v[0:1], v134 offset:480
	s_waitcnt lgkmcnt(6)
	v_fma_f64 v[30:31], -v[28:29], v[138:139], v[30:31]
	v_fma_f64 v[24:25], -v[28:29], v[140:141], v[24:25]
	s_waitcnt lgkmcnt(5)
	v_fma_f64 v[26:27], -v[28:29], v[142:143], v[26:27]
	v_fma_f64 v[22:23], -v[28:29], v[144:145], v[22:23]
	s_waitcnt lgkmcnt(4)
	v_fma_f64 v[20:21], -v[28:29], v[146:147], v[20:21]
	v_fma_f64 v[18:19], -v[28:29], v[148:149], v[18:19]
	s_waitcnt lgkmcnt(3)
	v_fma_f64 v[16:17], -v[28:29], v[150:151], v[16:17]
	v_fma_f64 v[14:15], -v[28:29], v[152:153], v[14:15]
	s_waitcnt lgkmcnt(2)
	v_fma_f64 v[12:13], -v[28:29], v[154:155], v[12:13]
	v_fma_f64 v[8:9], -v[28:29], v[156:157], v[8:9]
	s_waitcnt lgkmcnt(1)
	v_fma_f64 v[10:11], -v[28:29], v[158:159], v[10:11]
	v_fma_f64 v[6:7], -v[28:29], v[160:161], v[6:7]
	s_waitcnt lgkmcnt(0)
	v_fma_f64 v[126:127], -v[28:29], v[0:1], v[126:127]
.LBB120_811:
	s_or_b32 exec_lo, exec_lo, s0
	v_lshl_add_u32 v0, v137, 3, v134
	s_barrier
	buffer_gl0_inv
	v_mov_b32_e32 v128, 48
	ds_write_b64 v0, v[30:31]
	s_waitcnt lgkmcnt(0)
	s_barrier
	buffer_gl0_inv
	ds_read_b64 v[0:1], v134 offset:384
	s_cmp_lt_i32 s7, 50
	s_cbranch_scc1 .LBB120_814
; %bb.812:
	v_add3_u32 v129, v135, 0, 0x188
	v_mov_b32_e32 v128, 48
	s_mov_b32 s0, 49
.LBB120_813:                            ; =>This Inner Loop Header: Depth=1
	ds_read_b64 v[138:139], v129
	v_add_nc_u32_e32 v129, 8, v129
	s_waitcnt lgkmcnt(0)
	v_cmp_lt_f64_e64 vcc_lo, |v[0:1]|, |v[138:139]|
	v_cndmask_b32_e32 v1, v1, v139, vcc_lo
	v_cndmask_b32_e32 v0, v0, v138, vcc_lo
	v_cndmask_b32_e64 v128, v128, s0, vcc_lo
	s_add_i32 s0, s0, 1
	s_cmp_lg_u32 s7, s0
	s_cbranch_scc1 .LBB120_813
.LBB120_814:
	s_mov_b32 s0, exec_lo
	s_waitcnt lgkmcnt(0)
	v_cmpx_eq_f64_e32 0, v[0:1]
	s_xor_b32 s0, exec_lo, s0
; %bb.815:
	v_cmp_ne_u32_e32 vcc_lo, 0, v131
	v_cndmask_b32_e32 v131, 49, v131, vcc_lo
; %bb.816:
	s_andn2_saveexec_b32 s0, s0
	s_cbranch_execz .LBB120_818
; %bb.817:
	v_div_scale_f64 v[129:130], null, v[0:1], v[0:1], 1.0
	v_rcp_f64_e32 v[138:139], v[129:130]
	v_fma_f64 v[140:141], -v[129:130], v[138:139], 1.0
	v_fma_f64 v[138:139], v[138:139], v[140:141], v[138:139]
	v_fma_f64 v[140:141], -v[129:130], v[138:139], 1.0
	v_fma_f64 v[138:139], v[138:139], v[140:141], v[138:139]
	v_div_scale_f64 v[140:141], vcc_lo, 1.0, v[0:1], 1.0
	v_mul_f64 v[142:143], v[140:141], v[138:139]
	v_fma_f64 v[129:130], -v[129:130], v[142:143], v[140:141]
	v_div_fmas_f64 v[129:130], v[129:130], v[138:139], v[142:143]
	v_div_fixup_f64 v[0:1], v[129:130], v[0:1], 1.0
.LBB120_818:
	s_or_b32 exec_lo, exec_lo, s0
	s_mov_b32 s0, exec_lo
	v_cmpx_ne_u32_e64 v137, v128
	s_xor_b32 s0, exec_lo, s0
	s_cbranch_execz .LBB120_824
; %bb.819:
	s_mov_b32 s1, exec_lo
	v_cmpx_eq_u32_e32 48, v137
	s_cbranch_execz .LBB120_823
; %bb.820:
	v_cmp_ne_u32_e32 vcc_lo, 48, v128
	s_xor_b32 s2, s6, -1
	s_and_b32 s3, s2, vcc_lo
	s_and_saveexec_b32 s2, s3
	s_cbranch_execz .LBB120_822
; %bb.821:
	v_ashrrev_i32_e32 v129, 31, v128
	v_lshlrev_b64 v[129:130], 2, v[128:129]
	v_add_co_u32 v129, vcc_lo, v4, v129
	v_add_co_ci_u32_e64 v130, null, v5, v130, vcc_lo
	s_clause 0x1
	global_load_dword v136, v[129:130], off
	global_load_dword v137, v[4:5], off offset:192
	s_waitcnt vmcnt(1)
	global_store_dword v[4:5], v136, off offset:192
	s_waitcnt vmcnt(0)
	global_store_dword v[129:130], v137, off
.LBB120_822:
	s_or_b32 exec_lo, exec_lo, s2
	v_mov_b32_e32 v136, v128
	v_mov_b32_e32 v137, v128
.LBB120_823:
	s_or_b32 exec_lo, exec_lo, s1
.LBB120_824:
	s_andn2_saveexec_b32 s0, s0
	s_cbranch_execz .LBB120_826
; %bb.825:
	v_mov_b32_e32 v137, 48
	ds_write2_b64 v134, v[24:25], v[26:27] offset0:49 offset1:50
	ds_write2_b64 v134, v[22:23], v[20:21] offset0:51 offset1:52
	ds_write2_b64 v134, v[18:19], v[16:17] offset0:53 offset1:54
	ds_write2_b64 v134, v[14:15], v[12:13] offset0:55 offset1:56
	ds_write2_b64 v134, v[8:9], v[10:11] offset0:57 offset1:58
	ds_write2_b64 v134, v[6:7], v[126:127] offset0:59 offset1:60
.LBB120_826:
	s_or_b32 exec_lo, exec_lo, s0
	s_mov_b32 s0, exec_lo
	s_waitcnt lgkmcnt(0)
	s_waitcnt_vscnt null, 0x0
	s_barrier
	buffer_gl0_inv
	v_cmpx_lt_i32_e32 48, v137
	s_cbranch_execz .LBB120_828
; %bb.827:
	v_mul_f64 v[30:31], v[0:1], v[30:31]
	ds_read2_b64 v[138:141], v134 offset0:49 offset1:50
	ds_read2_b64 v[142:145], v134 offset0:51 offset1:52
	;; [unrolled: 1-line block ×6, first 2 shown]
	s_waitcnt lgkmcnt(5)
	v_fma_f64 v[24:25], -v[30:31], v[138:139], v[24:25]
	v_fma_f64 v[26:27], -v[30:31], v[140:141], v[26:27]
	s_waitcnt lgkmcnt(4)
	v_fma_f64 v[22:23], -v[30:31], v[142:143], v[22:23]
	v_fma_f64 v[20:21], -v[30:31], v[144:145], v[20:21]
	;; [unrolled: 3-line block ×6, first 2 shown]
.LBB120_828:
	s_or_b32 exec_lo, exec_lo, s0
	v_lshl_add_u32 v0, v137, 3, v134
	s_barrier
	buffer_gl0_inv
	v_mov_b32_e32 v128, 49
	ds_write_b64 v0, v[24:25]
	s_waitcnt lgkmcnt(0)
	s_barrier
	buffer_gl0_inv
	ds_read_b64 v[0:1], v134 offset:392
	s_cmp_lt_i32 s7, 51
	s_cbranch_scc1 .LBB120_831
; %bb.829:
	v_add3_u32 v129, v135, 0, 0x190
	v_mov_b32_e32 v128, 49
	s_mov_b32 s0, 50
.LBB120_830:                            ; =>This Inner Loop Header: Depth=1
	ds_read_b64 v[138:139], v129
	v_add_nc_u32_e32 v129, 8, v129
	s_waitcnt lgkmcnt(0)
	v_cmp_lt_f64_e64 vcc_lo, |v[0:1]|, |v[138:139]|
	v_cndmask_b32_e32 v1, v1, v139, vcc_lo
	v_cndmask_b32_e32 v0, v0, v138, vcc_lo
	v_cndmask_b32_e64 v128, v128, s0, vcc_lo
	s_add_i32 s0, s0, 1
	s_cmp_lg_u32 s7, s0
	s_cbranch_scc1 .LBB120_830
.LBB120_831:
	s_mov_b32 s0, exec_lo
	s_waitcnt lgkmcnt(0)
	v_cmpx_eq_f64_e32 0, v[0:1]
	s_xor_b32 s0, exec_lo, s0
; %bb.832:
	v_cmp_ne_u32_e32 vcc_lo, 0, v131
	v_cndmask_b32_e32 v131, 50, v131, vcc_lo
; %bb.833:
	s_andn2_saveexec_b32 s0, s0
	s_cbranch_execz .LBB120_835
; %bb.834:
	v_div_scale_f64 v[129:130], null, v[0:1], v[0:1], 1.0
	v_rcp_f64_e32 v[138:139], v[129:130]
	v_fma_f64 v[140:141], -v[129:130], v[138:139], 1.0
	v_fma_f64 v[138:139], v[138:139], v[140:141], v[138:139]
	v_fma_f64 v[140:141], -v[129:130], v[138:139], 1.0
	v_fma_f64 v[138:139], v[138:139], v[140:141], v[138:139]
	v_div_scale_f64 v[140:141], vcc_lo, 1.0, v[0:1], 1.0
	v_mul_f64 v[142:143], v[140:141], v[138:139]
	v_fma_f64 v[129:130], -v[129:130], v[142:143], v[140:141]
	v_div_fmas_f64 v[129:130], v[129:130], v[138:139], v[142:143]
	v_div_fixup_f64 v[0:1], v[129:130], v[0:1], 1.0
.LBB120_835:
	s_or_b32 exec_lo, exec_lo, s0
	s_mov_b32 s0, exec_lo
	v_cmpx_ne_u32_e64 v137, v128
	s_xor_b32 s0, exec_lo, s0
	s_cbranch_execz .LBB120_841
; %bb.836:
	s_mov_b32 s1, exec_lo
	v_cmpx_eq_u32_e32 49, v137
	s_cbranch_execz .LBB120_840
; %bb.837:
	v_cmp_ne_u32_e32 vcc_lo, 49, v128
	s_xor_b32 s2, s6, -1
	s_and_b32 s3, s2, vcc_lo
	s_and_saveexec_b32 s2, s3
	s_cbranch_execz .LBB120_839
; %bb.838:
	v_ashrrev_i32_e32 v129, 31, v128
	v_lshlrev_b64 v[129:130], 2, v[128:129]
	v_add_co_u32 v129, vcc_lo, v4, v129
	v_add_co_ci_u32_e64 v130, null, v5, v130, vcc_lo
	s_clause 0x1
	global_load_dword v136, v[129:130], off
	global_load_dword v137, v[4:5], off offset:196
	s_waitcnt vmcnt(1)
	global_store_dword v[4:5], v136, off offset:196
	s_waitcnt vmcnt(0)
	global_store_dword v[129:130], v137, off
.LBB120_839:
	s_or_b32 exec_lo, exec_lo, s2
	v_mov_b32_e32 v136, v128
	v_mov_b32_e32 v137, v128
.LBB120_840:
	s_or_b32 exec_lo, exec_lo, s1
.LBB120_841:
	s_andn2_saveexec_b32 s0, s0
	s_cbranch_execz .LBB120_843
; %bb.842:
	v_mov_b32_e32 v128, v26
	v_mov_b32_e32 v129, v27
	;; [unrolled: 1-line block ×8, first 2 shown]
	ds_write2_b64 v134, v[128:129], v[137:138] offset0:50 offset1:51
	v_mov_b32_e32 v128, v18
	v_mov_b32_e32 v129, v19
	;; [unrolled: 1-line block ×13, first 2 shown]
	ds_write2_b64 v134, v[139:140], v[128:129] offset0:52 offset1:53
	ds_write2_b64 v134, v[141:142], v[143:144] offset0:54 offset1:55
	;; [unrolled: 1-line block ×4, first 2 shown]
	ds_write_b64 v134, v[126:127] offset:480
.LBB120_843:
	s_or_b32 exec_lo, exec_lo, s0
	s_mov_b32 s0, exec_lo
	s_waitcnt lgkmcnt(0)
	s_waitcnt_vscnt null, 0x0
	s_barrier
	buffer_gl0_inv
	v_cmpx_lt_i32_e32 49, v137
	s_cbranch_execz .LBB120_845
; %bb.844:
	v_mul_f64 v[24:25], v[0:1], v[24:25]
	ds_read2_b64 v[138:141], v134 offset0:50 offset1:51
	ds_read2_b64 v[142:145], v134 offset0:52 offset1:53
	;; [unrolled: 1-line block ×5, first 2 shown]
	ds_read_b64 v[0:1], v134 offset:480
	s_waitcnt lgkmcnt(5)
	v_fma_f64 v[26:27], -v[24:25], v[138:139], v[26:27]
	v_fma_f64 v[22:23], -v[24:25], v[140:141], v[22:23]
	s_waitcnt lgkmcnt(4)
	v_fma_f64 v[20:21], -v[24:25], v[142:143], v[20:21]
	v_fma_f64 v[18:19], -v[24:25], v[144:145], v[18:19]
	;; [unrolled: 3-line block ×5, first 2 shown]
	s_waitcnt lgkmcnt(0)
	v_fma_f64 v[126:127], -v[24:25], v[0:1], v[126:127]
.LBB120_845:
	s_or_b32 exec_lo, exec_lo, s0
	v_lshl_add_u32 v0, v137, 3, v134
	s_barrier
	buffer_gl0_inv
	v_mov_b32_e32 v128, 50
	ds_write_b64 v0, v[26:27]
	s_waitcnt lgkmcnt(0)
	s_barrier
	buffer_gl0_inv
	ds_read_b64 v[0:1], v134 offset:400
	s_cmp_lt_i32 s7, 52
	s_cbranch_scc1 .LBB120_848
; %bb.846:
	v_add3_u32 v129, v135, 0, 0x198
	v_mov_b32_e32 v128, 50
	s_mov_b32 s0, 51
.LBB120_847:                            ; =>This Inner Loop Header: Depth=1
	ds_read_b64 v[138:139], v129
	v_add_nc_u32_e32 v129, 8, v129
	s_waitcnt lgkmcnt(0)
	v_cmp_lt_f64_e64 vcc_lo, |v[0:1]|, |v[138:139]|
	v_cndmask_b32_e32 v1, v1, v139, vcc_lo
	v_cndmask_b32_e32 v0, v0, v138, vcc_lo
	v_cndmask_b32_e64 v128, v128, s0, vcc_lo
	s_add_i32 s0, s0, 1
	s_cmp_lg_u32 s7, s0
	s_cbranch_scc1 .LBB120_847
.LBB120_848:
	s_mov_b32 s0, exec_lo
	s_waitcnt lgkmcnt(0)
	v_cmpx_eq_f64_e32 0, v[0:1]
	s_xor_b32 s0, exec_lo, s0
; %bb.849:
	v_cmp_ne_u32_e32 vcc_lo, 0, v131
	v_cndmask_b32_e32 v131, 51, v131, vcc_lo
; %bb.850:
	s_andn2_saveexec_b32 s0, s0
	s_cbranch_execz .LBB120_852
; %bb.851:
	v_div_scale_f64 v[129:130], null, v[0:1], v[0:1], 1.0
	v_rcp_f64_e32 v[138:139], v[129:130]
	v_fma_f64 v[140:141], -v[129:130], v[138:139], 1.0
	v_fma_f64 v[138:139], v[138:139], v[140:141], v[138:139]
	v_fma_f64 v[140:141], -v[129:130], v[138:139], 1.0
	v_fma_f64 v[138:139], v[138:139], v[140:141], v[138:139]
	v_div_scale_f64 v[140:141], vcc_lo, 1.0, v[0:1], 1.0
	v_mul_f64 v[142:143], v[140:141], v[138:139]
	v_fma_f64 v[129:130], -v[129:130], v[142:143], v[140:141]
	v_div_fmas_f64 v[129:130], v[129:130], v[138:139], v[142:143]
	v_div_fixup_f64 v[0:1], v[129:130], v[0:1], 1.0
.LBB120_852:
	s_or_b32 exec_lo, exec_lo, s0
	s_mov_b32 s0, exec_lo
	v_cmpx_ne_u32_e64 v137, v128
	s_xor_b32 s0, exec_lo, s0
	s_cbranch_execz .LBB120_858
; %bb.853:
	s_mov_b32 s1, exec_lo
	v_cmpx_eq_u32_e32 50, v137
	s_cbranch_execz .LBB120_857
; %bb.854:
	v_cmp_ne_u32_e32 vcc_lo, 50, v128
	s_xor_b32 s2, s6, -1
	s_and_b32 s3, s2, vcc_lo
	s_and_saveexec_b32 s2, s3
	s_cbranch_execz .LBB120_856
; %bb.855:
	v_ashrrev_i32_e32 v129, 31, v128
	v_lshlrev_b64 v[129:130], 2, v[128:129]
	v_add_co_u32 v129, vcc_lo, v4, v129
	v_add_co_ci_u32_e64 v130, null, v5, v130, vcc_lo
	s_clause 0x1
	global_load_dword v136, v[129:130], off
	global_load_dword v137, v[4:5], off offset:200
	s_waitcnt vmcnt(1)
	global_store_dword v[4:5], v136, off offset:200
	s_waitcnt vmcnt(0)
	global_store_dword v[129:130], v137, off
.LBB120_856:
	s_or_b32 exec_lo, exec_lo, s2
	v_mov_b32_e32 v136, v128
	v_mov_b32_e32 v137, v128
.LBB120_857:
	s_or_b32 exec_lo, exec_lo, s1
.LBB120_858:
	s_andn2_saveexec_b32 s0, s0
	s_cbranch_execz .LBB120_860
; %bb.859:
	v_mov_b32_e32 v137, 50
	ds_write2_b64 v134, v[22:23], v[20:21] offset0:51 offset1:52
	ds_write2_b64 v134, v[18:19], v[16:17] offset0:53 offset1:54
	;; [unrolled: 1-line block ×5, first 2 shown]
.LBB120_860:
	s_or_b32 exec_lo, exec_lo, s0
	s_mov_b32 s0, exec_lo
	s_waitcnt lgkmcnt(0)
	s_waitcnt_vscnt null, 0x0
	s_barrier
	buffer_gl0_inv
	v_cmpx_lt_i32_e32 50, v137
	s_cbranch_execz .LBB120_862
; %bb.861:
	v_mul_f64 v[26:27], v[0:1], v[26:27]
	ds_read2_b64 v[138:141], v134 offset0:51 offset1:52
	ds_read2_b64 v[142:145], v134 offset0:53 offset1:54
	;; [unrolled: 1-line block ×5, first 2 shown]
	s_waitcnt lgkmcnt(4)
	v_fma_f64 v[22:23], -v[26:27], v[138:139], v[22:23]
	v_fma_f64 v[20:21], -v[26:27], v[140:141], v[20:21]
	s_waitcnt lgkmcnt(3)
	v_fma_f64 v[18:19], -v[26:27], v[142:143], v[18:19]
	v_fma_f64 v[16:17], -v[26:27], v[144:145], v[16:17]
	;; [unrolled: 3-line block ×5, first 2 shown]
.LBB120_862:
	s_or_b32 exec_lo, exec_lo, s0
	v_lshl_add_u32 v0, v137, 3, v134
	s_barrier
	buffer_gl0_inv
	v_mov_b32_e32 v128, 51
	ds_write_b64 v0, v[22:23]
	s_waitcnt lgkmcnt(0)
	s_barrier
	buffer_gl0_inv
	ds_read_b64 v[0:1], v134 offset:408
	s_cmp_lt_i32 s7, 53
	s_cbranch_scc1 .LBB120_865
; %bb.863:
	v_add3_u32 v129, v135, 0, 0x1a0
	v_mov_b32_e32 v128, 51
	s_mov_b32 s0, 52
.LBB120_864:                            ; =>This Inner Loop Header: Depth=1
	ds_read_b64 v[138:139], v129
	v_add_nc_u32_e32 v129, 8, v129
	s_waitcnt lgkmcnt(0)
	v_cmp_lt_f64_e64 vcc_lo, |v[0:1]|, |v[138:139]|
	v_cndmask_b32_e32 v1, v1, v139, vcc_lo
	v_cndmask_b32_e32 v0, v0, v138, vcc_lo
	v_cndmask_b32_e64 v128, v128, s0, vcc_lo
	s_add_i32 s0, s0, 1
	s_cmp_lg_u32 s7, s0
	s_cbranch_scc1 .LBB120_864
.LBB120_865:
	s_mov_b32 s0, exec_lo
	s_waitcnt lgkmcnt(0)
	v_cmpx_eq_f64_e32 0, v[0:1]
	s_xor_b32 s0, exec_lo, s0
; %bb.866:
	v_cmp_ne_u32_e32 vcc_lo, 0, v131
	v_cndmask_b32_e32 v131, 52, v131, vcc_lo
; %bb.867:
	s_andn2_saveexec_b32 s0, s0
	s_cbranch_execz .LBB120_869
; %bb.868:
	v_div_scale_f64 v[129:130], null, v[0:1], v[0:1], 1.0
	v_rcp_f64_e32 v[138:139], v[129:130]
	v_fma_f64 v[140:141], -v[129:130], v[138:139], 1.0
	v_fma_f64 v[138:139], v[138:139], v[140:141], v[138:139]
	v_fma_f64 v[140:141], -v[129:130], v[138:139], 1.0
	v_fma_f64 v[138:139], v[138:139], v[140:141], v[138:139]
	v_div_scale_f64 v[140:141], vcc_lo, 1.0, v[0:1], 1.0
	v_mul_f64 v[142:143], v[140:141], v[138:139]
	v_fma_f64 v[129:130], -v[129:130], v[142:143], v[140:141]
	v_div_fmas_f64 v[129:130], v[129:130], v[138:139], v[142:143]
	v_div_fixup_f64 v[0:1], v[129:130], v[0:1], 1.0
.LBB120_869:
	s_or_b32 exec_lo, exec_lo, s0
	s_mov_b32 s0, exec_lo
	v_cmpx_ne_u32_e64 v137, v128
	s_xor_b32 s0, exec_lo, s0
	s_cbranch_execz .LBB120_875
; %bb.870:
	s_mov_b32 s1, exec_lo
	v_cmpx_eq_u32_e32 51, v137
	s_cbranch_execz .LBB120_874
; %bb.871:
	v_cmp_ne_u32_e32 vcc_lo, 51, v128
	s_xor_b32 s2, s6, -1
	s_and_b32 s3, s2, vcc_lo
	s_and_saveexec_b32 s2, s3
	s_cbranch_execz .LBB120_873
; %bb.872:
	v_ashrrev_i32_e32 v129, 31, v128
	v_lshlrev_b64 v[129:130], 2, v[128:129]
	v_add_co_u32 v129, vcc_lo, v4, v129
	v_add_co_ci_u32_e64 v130, null, v5, v130, vcc_lo
	s_clause 0x1
	global_load_dword v136, v[129:130], off
	global_load_dword v137, v[4:5], off offset:204
	s_waitcnt vmcnt(1)
	global_store_dword v[4:5], v136, off offset:204
	s_waitcnt vmcnt(0)
	global_store_dword v[129:130], v137, off
.LBB120_873:
	s_or_b32 exec_lo, exec_lo, s2
	v_mov_b32_e32 v136, v128
	v_mov_b32_e32 v137, v128
.LBB120_874:
	s_or_b32 exec_lo, exec_lo, s1
.LBB120_875:
	s_andn2_saveexec_b32 s0, s0
	s_cbranch_execz .LBB120_877
; %bb.876:
	v_mov_b32_e32 v128, v20
	v_mov_b32_e32 v129, v21
	;; [unrolled: 1-line block ×8, first 2 shown]
	ds_write2_b64 v134, v[128:129], v[137:138] offset0:52 offset1:53
	v_mov_b32_e32 v137, 51
	v_mov_b32_e32 v143, v12
	;; [unrolled: 1-line block ×9, first 2 shown]
	ds_write2_b64 v134, v[139:140], v[141:142] offset0:54 offset1:55
	ds_write2_b64 v134, v[143:144], v[145:146] offset0:56 offset1:57
	;; [unrolled: 1-line block ×3, first 2 shown]
	ds_write_b64 v134, v[126:127] offset:480
.LBB120_877:
	s_or_b32 exec_lo, exec_lo, s0
	s_mov_b32 s0, exec_lo
	s_waitcnt lgkmcnt(0)
	s_waitcnt_vscnt null, 0x0
	s_barrier
	buffer_gl0_inv
	v_cmpx_lt_i32_e32 51, v137
	s_cbranch_execz .LBB120_879
; %bb.878:
	v_mul_f64 v[22:23], v[0:1], v[22:23]
	ds_read2_b64 v[138:141], v134 offset0:52 offset1:53
	ds_read2_b64 v[142:145], v134 offset0:54 offset1:55
	;; [unrolled: 1-line block ×4, first 2 shown]
	ds_read_b64 v[0:1], v134 offset:480
	s_waitcnt lgkmcnt(4)
	v_fma_f64 v[20:21], -v[22:23], v[138:139], v[20:21]
	v_fma_f64 v[18:19], -v[22:23], v[140:141], v[18:19]
	s_waitcnt lgkmcnt(3)
	v_fma_f64 v[16:17], -v[22:23], v[142:143], v[16:17]
	v_fma_f64 v[14:15], -v[22:23], v[144:145], v[14:15]
	;; [unrolled: 3-line block ×4, first 2 shown]
	s_waitcnt lgkmcnt(0)
	v_fma_f64 v[126:127], -v[22:23], v[0:1], v[126:127]
.LBB120_879:
	s_or_b32 exec_lo, exec_lo, s0
	v_lshl_add_u32 v0, v137, 3, v134
	s_barrier
	buffer_gl0_inv
	v_mov_b32_e32 v128, 52
	ds_write_b64 v0, v[20:21]
	s_waitcnt lgkmcnt(0)
	s_barrier
	buffer_gl0_inv
	ds_read_b64 v[0:1], v134 offset:416
	s_cmp_lt_i32 s7, 54
	s_cbranch_scc1 .LBB120_882
; %bb.880:
	v_add3_u32 v129, v135, 0, 0x1a8
	v_mov_b32_e32 v128, 52
	s_mov_b32 s0, 53
.LBB120_881:                            ; =>This Inner Loop Header: Depth=1
	ds_read_b64 v[138:139], v129
	v_add_nc_u32_e32 v129, 8, v129
	s_waitcnt lgkmcnt(0)
	v_cmp_lt_f64_e64 vcc_lo, |v[0:1]|, |v[138:139]|
	v_cndmask_b32_e32 v1, v1, v139, vcc_lo
	v_cndmask_b32_e32 v0, v0, v138, vcc_lo
	v_cndmask_b32_e64 v128, v128, s0, vcc_lo
	s_add_i32 s0, s0, 1
	s_cmp_lg_u32 s7, s0
	s_cbranch_scc1 .LBB120_881
.LBB120_882:
	s_mov_b32 s0, exec_lo
	s_waitcnt lgkmcnt(0)
	v_cmpx_eq_f64_e32 0, v[0:1]
	s_xor_b32 s0, exec_lo, s0
; %bb.883:
	v_cmp_ne_u32_e32 vcc_lo, 0, v131
	v_cndmask_b32_e32 v131, 53, v131, vcc_lo
; %bb.884:
	s_andn2_saveexec_b32 s0, s0
	s_cbranch_execz .LBB120_886
; %bb.885:
	v_div_scale_f64 v[129:130], null, v[0:1], v[0:1], 1.0
	v_rcp_f64_e32 v[138:139], v[129:130]
	v_fma_f64 v[140:141], -v[129:130], v[138:139], 1.0
	v_fma_f64 v[138:139], v[138:139], v[140:141], v[138:139]
	v_fma_f64 v[140:141], -v[129:130], v[138:139], 1.0
	v_fma_f64 v[138:139], v[138:139], v[140:141], v[138:139]
	v_div_scale_f64 v[140:141], vcc_lo, 1.0, v[0:1], 1.0
	v_mul_f64 v[142:143], v[140:141], v[138:139]
	v_fma_f64 v[129:130], -v[129:130], v[142:143], v[140:141]
	v_div_fmas_f64 v[129:130], v[129:130], v[138:139], v[142:143]
	v_div_fixup_f64 v[0:1], v[129:130], v[0:1], 1.0
.LBB120_886:
	s_or_b32 exec_lo, exec_lo, s0
	s_mov_b32 s0, exec_lo
	v_cmpx_ne_u32_e64 v137, v128
	s_xor_b32 s0, exec_lo, s0
	s_cbranch_execz .LBB120_892
; %bb.887:
	s_mov_b32 s1, exec_lo
	v_cmpx_eq_u32_e32 52, v137
	s_cbranch_execz .LBB120_891
; %bb.888:
	v_cmp_ne_u32_e32 vcc_lo, 52, v128
	s_xor_b32 s2, s6, -1
	s_and_b32 s3, s2, vcc_lo
	s_and_saveexec_b32 s2, s3
	s_cbranch_execz .LBB120_890
; %bb.889:
	v_ashrrev_i32_e32 v129, 31, v128
	v_lshlrev_b64 v[129:130], 2, v[128:129]
	v_add_co_u32 v129, vcc_lo, v4, v129
	v_add_co_ci_u32_e64 v130, null, v5, v130, vcc_lo
	s_clause 0x1
	global_load_dword v136, v[129:130], off
	global_load_dword v137, v[4:5], off offset:208
	s_waitcnt vmcnt(1)
	global_store_dword v[4:5], v136, off offset:208
	s_waitcnt vmcnt(0)
	global_store_dword v[129:130], v137, off
.LBB120_890:
	s_or_b32 exec_lo, exec_lo, s2
	v_mov_b32_e32 v136, v128
	v_mov_b32_e32 v137, v128
.LBB120_891:
	s_or_b32 exec_lo, exec_lo, s1
.LBB120_892:
	s_andn2_saveexec_b32 s0, s0
	s_cbranch_execz .LBB120_894
; %bb.893:
	v_mov_b32_e32 v137, 52
	ds_write2_b64 v134, v[18:19], v[16:17] offset0:53 offset1:54
	ds_write2_b64 v134, v[14:15], v[12:13] offset0:55 offset1:56
	;; [unrolled: 1-line block ×4, first 2 shown]
.LBB120_894:
	s_or_b32 exec_lo, exec_lo, s0
	s_mov_b32 s0, exec_lo
	s_waitcnt lgkmcnt(0)
	s_waitcnt_vscnt null, 0x0
	s_barrier
	buffer_gl0_inv
	v_cmpx_lt_i32_e32 52, v137
	s_cbranch_execz .LBB120_896
; %bb.895:
	v_mul_f64 v[20:21], v[0:1], v[20:21]
	ds_read2_b64 v[138:141], v134 offset0:53 offset1:54
	ds_read2_b64 v[142:145], v134 offset0:55 offset1:56
	;; [unrolled: 1-line block ×4, first 2 shown]
	s_waitcnt lgkmcnt(3)
	v_fma_f64 v[18:19], -v[20:21], v[138:139], v[18:19]
	v_fma_f64 v[16:17], -v[20:21], v[140:141], v[16:17]
	s_waitcnt lgkmcnt(2)
	v_fma_f64 v[14:15], -v[20:21], v[142:143], v[14:15]
	v_fma_f64 v[12:13], -v[20:21], v[144:145], v[12:13]
	;; [unrolled: 3-line block ×4, first 2 shown]
.LBB120_896:
	s_or_b32 exec_lo, exec_lo, s0
	v_lshl_add_u32 v0, v137, 3, v134
	s_barrier
	buffer_gl0_inv
	v_mov_b32_e32 v128, 53
	ds_write_b64 v0, v[18:19]
	s_waitcnt lgkmcnt(0)
	s_barrier
	buffer_gl0_inv
	ds_read_b64 v[0:1], v134 offset:424
	s_cmp_lt_i32 s7, 55
	s_cbranch_scc1 .LBB120_899
; %bb.897:
	v_add3_u32 v129, v135, 0, 0x1b0
	v_mov_b32_e32 v128, 53
	s_mov_b32 s0, 54
.LBB120_898:                            ; =>This Inner Loop Header: Depth=1
	ds_read_b64 v[138:139], v129
	v_add_nc_u32_e32 v129, 8, v129
	s_waitcnt lgkmcnt(0)
	v_cmp_lt_f64_e64 vcc_lo, |v[0:1]|, |v[138:139]|
	v_cndmask_b32_e32 v1, v1, v139, vcc_lo
	v_cndmask_b32_e32 v0, v0, v138, vcc_lo
	v_cndmask_b32_e64 v128, v128, s0, vcc_lo
	s_add_i32 s0, s0, 1
	s_cmp_lg_u32 s7, s0
	s_cbranch_scc1 .LBB120_898
.LBB120_899:
	s_mov_b32 s0, exec_lo
	s_waitcnt lgkmcnt(0)
	v_cmpx_eq_f64_e32 0, v[0:1]
	s_xor_b32 s0, exec_lo, s0
; %bb.900:
	v_cmp_ne_u32_e32 vcc_lo, 0, v131
	v_cndmask_b32_e32 v131, 54, v131, vcc_lo
; %bb.901:
	s_andn2_saveexec_b32 s0, s0
	s_cbranch_execz .LBB120_903
; %bb.902:
	v_div_scale_f64 v[129:130], null, v[0:1], v[0:1], 1.0
	v_rcp_f64_e32 v[138:139], v[129:130]
	v_fma_f64 v[140:141], -v[129:130], v[138:139], 1.0
	v_fma_f64 v[138:139], v[138:139], v[140:141], v[138:139]
	v_fma_f64 v[140:141], -v[129:130], v[138:139], 1.0
	v_fma_f64 v[138:139], v[138:139], v[140:141], v[138:139]
	v_div_scale_f64 v[140:141], vcc_lo, 1.0, v[0:1], 1.0
	v_mul_f64 v[142:143], v[140:141], v[138:139]
	v_fma_f64 v[129:130], -v[129:130], v[142:143], v[140:141]
	v_div_fmas_f64 v[129:130], v[129:130], v[138:139], v[142:143]
	v_div_fixup_f64 v[0:1], v[129:130], v[0:1], 1.0
.LBB120_903:
	s_or_b32 exec_lo, exec_lo, s0
	s_mov_b32 s0, exec_lo
	v_cmpx_ne_u32_e64 v137, v128
	s_xor_b32 s0, exec_lo, s0
	s_cbranch_execz .LBB120_909
; %bb.904:
	s_mov_b32 s1, exec_lo
	v_cmpx_eq_u32_e32 53, v137
	s_cbranch_execz .LBB120_908
; %bb.905:
	v_cmp_ne_u32_e32 vcc_lo, 53, v128
	s_xor_b32 s2, s6, -1
	s_and_b32 s3, s2, vcc_lo
	s_and_saveexec_b32 s2, s3
	s_cbranch_execz .LBB120_907
; %bb.906:
	v_ashrrev_i32_e32 v129, 31, v128
	v_lshlrev_b64 v[129:130], 2, v[128:129]
	v_add_co_u32 v129, vcc_lo, v4, v129
	v_add_co_ci_u32_e64 v130, null, v5, v130, vcc_lo
	s_clause 0x1
	global_load_dword v136, v[129:130], off
	global_load_dword v137, v[4:5], off offset:212
	s_waitcnt vmcnt(1)
	global_store_dword v[4:5], v136, off offset:212
	s_waitcnt vmcnt(0)
	global_store_dword v[129:130], v137, off
.LBB120_907:
	s_or_b32 exec_lo, exec_lo, s2
	v_mov_b32_e32 v136, v128
	v_mov_b32_e32 v137, v128
.LBB120_908:
	s_or_b32 exec_lo, exec_lo, s1
.LBB120_909:
	s_andn2_saveexec_b32 s0, s0
	s_cbranch_execz .LBB120_911
; %bb.910:
	v_mov_b32_e32 v128, v16
	v_mov_b32_e32 v129, v17
	;; [unrolled: 1-line block ×13, first 2 shown]
	ds_write2_b64 v134, v[128:129], v[138:139] offset0:54 offset1:55
	ds_write2_b64 v134, v[140:141], v[142:143] offset0:56 offset1:57
	;; [unrolled: 1-line block ×3, first 2 shown]
	ds_write_b64 v134, v[126:127] offset:480
.LBB120_911:
	s_or_b32 exec_lo, exec_lo, s0
	s_mov_b32 s0, exec_lo
	s_waitcnt lgkmcnt(0)
	s_waitcnt_vscnt null, 0x0
	s_barrier
	buffer_gl0_inv
	v_cmpx_lt_i32_e32 53, v137
	s_cbranch_execz .LBB120_913
; %bb.912:
	v_mul_f64 v[18:19], v[0:1], v[18:19]
	ds_read2_b64 v[138:141], v134 offset0:54 offset1:55
	ds_read2_b64 v[142:145], v134 offset0:56 offset1:57
	;; [unrolled: 1-line block ×3, first 2 shown]
	ds_read_b64 v[0:1], v134 offset:480
	s_waitcnt lgkmcnt(3)
	v_fma_f64 v[16:17], -v[18:19], v[138:139], v[16:17]
	v_fma_f64 v[14:15], -v[18:19], v[140:141], v[14:15]
	s_waitcnt lgkmcnt(2)
	v_fma_f64 v[12:13], -v[18:19], v[142:143], v[12:13]
	v_fma_f64 v[8:9], -v[18:19], v[144:145], v[8:9]
	;; [unrolled: 3-line block ×3, first 2 shown]
	s_waitcnt lgkmcnt(0)
	v_fma_f64 v[126:127], -v[18:19], v[0:1], v[126:127]
.LBB120_913:
	s_or_b32 exec_lo, exec_lo, s0
	v_lshl_add_u32 v0, v137, 3, v134
	s_barrier
	buffer_gl0_inv
	v_mov_b32_e32 v128, 54
	ds_write_b64 v0, v[16:17]
	s_waitcnt lgkmcnt(0)
	s_barrier
	buffer_gl0_inv
	ds_read_b64 v[0:1], v134 offset:432
	s_cmp_lt_i32 s7, 56
	s_cbranch_scc1 .LBB120_916
; %bb.914:
	v_add3_u32 v129, v135, 0, 0x1b8
	v_mov_b32_e32 v128, 54
	s_mov_b32 s0, 55
.LBB120_915:                            ; =>This Inner Loop Header: Depth=1
	ds_read_b64 v[138:139], v129
	v_add_nc_u32_e32 v129, 8, v129
	s_waitcnt lgkmcnt(0)
	v_cmp_lt_f64_e64 vcc_lo, |v[0:1]|, |v[138:139]|
	v_cndmask_b32_e32 v1, v1, v139, vcc_lo
	v_cndmask_b32_e32 v0, v0, v138, vcc_lo
	v_cndmask_b32_e64 v128, v128, s0, vcc_lo
	s_add_i32 s0, s0, 1
	s_cmp_lg_u32 s7, s0
	s_cbranch_scc1 .LBB120_915
.LBB120_916:
	s_mov_b32 s0, exec_lo
	s_waitcnt lgkmcnt(0)
	v_cmpx_eq_f64_e32 0, v[0:1]
	s_xor_b32 s0, exec_lo, s0
; %bb.917:
	v_cmp_ne_u32_e32 vcc_lo, 0, v131
	v_cndmask_b32_e32 v131, 55, v131, vcc_lo
; %bb.918:
	s_andn2_saveexec_b32 s0, s0
	s_cbranch_execz .LBB120_920
; %bb.919:
	v_div_scale_f64 v[129:130], null, v[0:1], v[0:1], 1.0
	v_rcp_f64_e32 v[138:139], v[129:130]
	v_fma_f64 v[140:141], -v[129:130], v[138:139], 1.0
	v_fma_f64 v[138:139], v[138:139], v[140:141], v[138:139]
	v_fma_f64 v[140:141], -v[129:130], v[138:139], 1.0
	v_fma_f64 v[138:139], v[138:139], v[140:141], v[138:139]
	v_div_scale_f64 v[140:141], vcc_lo, 1.0, v[0:1], 1.0
	v_mul_f64 v[142:143], v[140:141], v[138:139]
	v_fma_f64 v[129:130], -v[129:130], v[142:143], v[140:141]
	v_div_fmas_f64 v[129:130], v[129:130], v[138:139], v[142:143]
	v_div_fixup_f64 v[0:1], v[129:130], v[0:1], 1.0
.LBB120_920:
	s_or_b32 exec_lo, exec_lo, s0
	s_mov_b32 s0, exec_lo
	v_cmpx_ne_u32_e64 v137, v128
	s_xor_b32 s0, exec_lo, s0
	s_cbranch_execz .LBB120_926
; %bb.921:
	s_mov_b32 s1, exec_lo
	v_cmpx_eq_u32_e32 54, v137
	s_cbranch_execz .LBB120_925
; %bb.922:
	v_cmp_ne_u32_e32 vcc_lo, 54, v128
	s_xor_b32 s2, s6, -1
	s_and_b32 s3, s2, vcc_lo
	s_and_saveexec_b32 s2, s3
	s_cbranch_execz .LBB120_924
; %bb.923:
	v_ashrrev_i32_e32 v129, 31, v128
	v_lshlrev_b64 v[129:130], 2, v[128:129]
	v_add_co_u32 v129, vcc_lo, v4, v129
	v_add_co_ci_u32_e64 v130, null, v5, v130, vcc_lo
	s_clause 0x1
	global_load_dword v136, v[129:130], off
	global_load_dword v137, v[4:5], off offset:216
	s_waitcnt vmcnt(1)
	global_store_dword v[4:5], v136, off offset:216
	s_waitcnt vmcnt(0)
	global_store_dword v[129:130], v137, off
.LBB120_924:
	s_or_b32 exec_lo, exec_lo, s2
	v_mov_b32_e32 v136, v128
	v_mov_b32_e32 v137, v128
.LBB120_925:
	s_or_b32 exec_lo, exec_lo, s1
.LBB120_926:
	s_andn2_saveexec_b32 s0, s0
	s_cbranch_execz .LBB120_928
; %bb.927:
	v_mov_b32_e32 v137, 54
	ds_write2_b64 v134, v[14:15], v[12:13] offset0:55 offset1:56
	ds_write2_b64 v134, v[8:9], v[10:11] offset0:57 offset1:58
	;; [unrolled: 1-line block ×3, first 2 shown]
.LBB120_928:
	s_or_b32 exec_lo, exec_lo, s0
	s_mov_b32 s0, exec_lo
	s_waitcnt lgkmcnt(0)
	s_waitcnt_vscnt null, 0x0
	s_barrier
	buffer_gl0_inv
	v_cmpx_lt_i32_e32 54, v137
	s_cbranch_execz .LBB120_930
; %bb.929:
	v_mul_f64 v[16:17], v[0:1], v[16:17]
	ds_read2_b64 v[138:141], v134 offset0:55 offset1:56
	ds_read2_b64 v[142:145], v134 offset0:57 offset1:58
	;; [unrolled: 1-line block ×3, first 2 shown]
	s_waitcnt lgkmcnt(2)
	v_fma_f64 v[14:15], -v[16:17], v[138:139], v[14:15]
	v_fma_f64 v[12:13], -v[16:17], v[140:141], v[12:13]
	s_waitcnt lgkmcnt(1)
	v_fma_f64 v[8:9], -v[16:17], v[142:143], v[8:9]
	v_fma_f64 v[10:11], -v[16:17], v[144:145], v[10:11]
	;; [unrolled: 3-line block ×3, first 2 shown]
.LBB120_930:
	s_or_b32 exec_lo, exec_lo, s0
	v_lshl_add_u32 v0, v137, 3, v134
	s_barrier
	buffer_gl0_inv
	v_mov_b32_e32 v128, 55
	ds_write_b64 v0, v[14:15]
	s_waitcnt lgkmcnt(0)
	s_barrier
	buffer_gl0_inv
	ds_read_b64 v[0:1], v134 offset:440
	s_cmp_lt_i32 s7, 57
	s_cbranch_scc1 .LBB120_933
; %bb.931:
	v_add3_u32 v129, v135, 0, 0x1c0
	v_mov_b32_e32 v128, 55
	s_mov_b32 s0, 56
.LBB120_932:                            ; =>This Inner Loop Header: Depth=1
	ds_read_b64 v[138:139], v129
	v_add_nc_u32_e32 v129, 8, v129
	s_waitcnt lgkmcnt(0)
	v_cmp_lt_f64_e64 vcc_lo, |v[0:1]|, |v[138:139]|
	v_cndmask_b32_e32 v1, v1, v139, vcc_lo
	v_cndmask_b32_e32 v0, v0, v138, vcc_lo
	v_cndmask_b32_e64 v128, v128, s0, vcc_lo
	s_add_i32 s0, s0, 1
	s_cmp_lg_u32 s7, s0
	s_cbranch_scc1 .LBB120_932
.LBB120_933:
	s_mov_b32 s0, exec_lo
	s_waitcnt lgkmcnt(0)
	v_cmpx_eq_f64_e32 0, v[0:1]
	s_xor_b32 s0, exec_lo, s0
; %bb.934:
	v_cmp_ne_u32_e32 vcc_lo, 0, v131
	v_cndmask_b32_e32 v131, 56, v131, vcc_lo
; %bb.935:
	s_andn2_saveexec_b32 s0, s0
	s_cbranch_execz .LBB120_937
; %bb.936:
	v_div_scale_f64 v[129:130], null, v[0:1], v[0:1], 1.0
	v_rcp_f64_e32 v[138:139], v[129:130]
	v_fma_f64 v[140:141], -v[129:130], v[138:139], 1.0
	v_fma_f64 v[138:139], v[138:139], v[140:141], v[138:139]
	v_fma_f64 v[140:141], -v[129:130], v[138:139], 1.0
	v_fma_f64 v[138:139], v[138:139], v[140:141], v[138:139]
	v_div_scale_f64 v[140:141], vcc_lo, 1.0, v[0:1], 1.0
	v_mul_f64 v[142:143], v[140:141], v[138:139]
	v_fma_f64 v[129:130], -v[129:130], v[142:143], v[140:141]
	v_div_fmas_f64 v[129:130], v[129:130], v[138:139], v[142:143]
	v_div_fixup_f64 v[0:1], v[129:130], v[0:1], 1.0
.LBB120_937:
	s_or_b32 exec_lo, exec_lo, s0
	s_mov_b32 s0, exec_lo
	v_cmpx_ne_u32_e64 v137, v128
	s_xor_b32 s0, exec_lo, s0
	s_cbranch_execz .LBB120_943
; %bb.938:
	s_mov_b32 s1, exec_lo
	v_cmpx_eq_u32_e32 55, v137
	s_cbranch_execz .LBB120_942
; %bb.939:
	v_cmp_ne_u32_e32 vcc_lo, 55, v128
	s_xor_b32 s2, s6, -1
	s_and_b32 s3, s2, vcc_lo
	s_and_saveexec_b32 s2, s3
	s_cbranch_execz .LBB120_941
; %bb.940:
	v_ashrrev_i32_e32 v129, 31, v128
	v_lshlrev_b64 v[129:130], 2, v[128:129]
	v_add_co_u32 v129, vcc_lo, v4, v129
	v_add_co_ci_u32_e64 v130, null, v5, v130, vcc_lo
	s_clause 0x1
	global_load_dword v136, v[129:130], off
	global_load_dword v137, v[4:5], off offset:220
	s_waitcnt vmcnt(1)
	global_store_dword v[4:5], v136, off offset:220
	s_waitcnt vmcnt(0)
	global_store_dword v[129:130], v137, off
.LBB120_941:
	s_or_b32 exec_lo, exec_lo, s2
	v_mov_b32_e32 v136, v128
	v_mov_b32_e32 v137, v128
.LBB120_942:
	s_or_b32 exec_lo, exec_lo, s1
.LBB120_943:
	s_andn2_saveexec_b32 s0, s0
	s_cbranch_execz .LBB120_945
; %bb.944:
	v_mov_b32_e32 v128, v12
	v_mov_b32_e32 v129, v13
	;; [unrolled: 1-line block ×9, first 2 shown]
	ds_write2_b64 v134, v[128:129], v[138:139] offset0:56 offset1:57
	ds_write2_b64 v134, v[140:141], v[142:143] offset0:58 offset1:59
	ds_write_b64 v134, v[126:127] offset:480
.LBB120_945:
	s_or_b32 exec_lo, exec_lo, s0
	s_mov_b32 s0, exec_lo
	s_waitcnt lgkmcnt(0)
	s_waitcnt_vscnt null, 0x0
	s_barrier
	buffer_gl0_inv
	v_cmpx_lt_i32_e32 55, v137
	s_cbranch_execz .LBB120_947
; %bb.946:
	v_mul_f64 v[14:15], v[0:1], v[14:15]
	ds_read2_b64 v[138:141], v134 offset0:56 offset1:57
	ds_read2_b64 v[142:145], v134 offset0:58 offset1:59
	ds_read_b64 v[0:1], v134 offset:480
	s_waitcnt lgkmcnt(2)
	v_fma_f64 v[12:13], -v[14:15], v[138:139], v[12:13]
	v_fma_f64 v[8:9], -v[14:15], v[140:141], v[8:9]
	s_waitcnt lgkmcnt(1)
	v_fma_f64 v[10:11], -v[14:15], v[142:143], v[10:11]
	v_fma_f64 v[6:7], -v[14:15], v[144:145], v[6:7]
	s_waitcnt lgkmcnt(0)
	v_fma_f64 v[126:127], -v[14:15], v[0:1], v[126:127]
.LBB120_947:
	s_or_b32 exec_lo, exec_lo, s0
	v_lshl_add_u32 v0, v137, 3, v134
	s_barrier
	buffer_gl0_inv
	v_mov_b32_e32 v128, 56
	ds_write_b64 v0, v[12:13]
	s_waitcnt lgkmcnt(0)
	s_barrier
	buffer_gl0_inv
	ds_read_b64 v[0:1], v134 offset:448
	s_cmp_lt_i32 s7, 58
	s_cbranch_scc1 .LBB120_950
; %bb.948:
	v_add3_u32 v129, v135, 0, 0x1c8
	v_mov_b32_e32 v128, 56
	s_mov_b32 s0, 57
.LBB120_949:                            ; =>This Inner Loop Header: Depth=1
	ds_read_b64 v[138:139], v129
	v_add_nc_u32_e32 v129, 8, v129
	s_waitcnt lgkmcnt(0)
	v_cmp_lt_f64_e64 vcc_lo, |v[0:1]|, |v[138:139]|
	v_cndmask_b32_e32 v1, v1, v139, vcc_lo
	v_cndmask_b32_e32 v0, v0, v138, vcc_lo
	v_cndmask_b32_e64 v128, v128, s0, vcc_lo
	s_add_i32 s0, s0, 1
	s_cmp_lg_u32 s7, s0
	s_cbranch_scc1 .LBB120_949
.LBB120_950:
	s_mov_b32 s0, exec_lo
	s_waitcnt lgkmcnt(0)
	v_cmpx_eq_f64_e32 0, v[0:1]
	s_xor_b32 s0, exec_lo, s0
; %bb.951:
	v_cmp_ne_u32_e32 vcc_lo, 0, v131
	v_cndmask_b32_e32 v131, 57, v131, vcc_lo
; %bb.952:
	s_andn2_saveexec_b32 s0, s0
	s_cbranch_execz .LBB120_954
; %bb.953:
	v_div_scale_f64 v[129:130], null, v[0:1], v[0:1], 1.0
	v_rcp_f64_e32 v[138:139], v[129:130]
	v_fma_f64 v[140:141], -v[129:130], v[138:139], 1.0
	v_fma_f64 v[138:139], v[138:139], v[140:141], v[138:139]
	v_fma_f64 v[140:141], -v[129:130], v[138:139], 1.0
	v_fma_f64 v[138:139], v[138:139], v[140:141], v[138:139]
	v_div_scale_f64 v[140:141], vcc_lo, 1.0, v[0:1], 1.0
	v_mul_f64 v[142:143], v[140:141], v[138:139]
	v_fma_f64 v[129:130], -v[129:130], v[142:143], v[140:141]
	v_div_fmas_f64 v[129:130], v[129:130], v[138:139], v[142:143]
	v_div_fixup_f64 v[0:1], v[129:130], v[0:1], 1.0
.LBB120_954:
	s_or_b32 exec_lo, exec_lo, s0
	s_mov_b32 s0, exec_lo
	v_cmpx_ne_u32_e64 v137, v128
	s_xor_b32 s0, exec_lo, s0
	s_cbranch_execz .LBB120_960
; %bb.955:
	s_mov_b32 s1, exec_lo
	v_cmpx_eq_u32_e32 56, v137
	s_cbranch_execz .LBB120_959
; %bb.956:
	v_cmp_ne_u32_e32 vcc_lo, 56, v128
	s_xor_b32 s2, s6, -1
	s_and_b32 s3, s2, vcc_lo
	s_and_saveexec_b32 s2, s3
	s_cbranch_execz .LBB120_958
; %bb.957:
	v_ashrrev_i32_e32 v129, 31, v128
	v_lshlrev_b64 v[129:130], 2, v[128:129]
	v_add_co_u32 v129, vcc_lo, v4, v129
	v_add_co_ci_u32_e64 v130, null, v5, v130, vcc_lo
	s_clause 0x1
	global_load_dword v136, v[129:130], off
	global_load_dword v137, v[4:5], off offset:224
	s_waitcnt vmcnt(1)
	global_store_dword v[4:5], v136, off offset:224
	s_waitcnt vmcnt(0)
	global_store_dword v[129:130], v137, off
.LBB120_958:
	s_or_b32 exec_lo, exec_lo, s2
	v_mov_b32_e32 v136, v128
	v_mov_b32_e32 v137, v128
.LBB120_959:
	s_or_b32 exec_lo, exec_lo, s1
.LBB120_960:
	s_andn2_saveexec_b32 s0, s0
	s_cbranch_execz .LBB120_962
; %bb.961:
	v_mov_b32_e32 v137, 56
	ds_write2_b64 v134, v[8:9], v[10:11] offset0:57 offset1:58
	ds_write2_b64 v134, v[6:7], v[126:127] offset0:59 offset1:60
.LBB120_962:
	s_or_b32 exec_lo, exec_lo, s0
	s_mov_b32 s0, exec_lo
	s_waitcnt lgkmcnt(0)
	s_waitcnt_vscnt null, 0x0
	s_barrier
	buffer_gl0_inv
	v_cmpx_lt_i32_e32 56, v137
	s_cbranch_execz .LBB120_964
; %bb.963:
	v_mul_f64 v[12:13], v[0:1], v[12:13]
	ds_read2_b64 v[138:141], v134 offset0:57 offset1:58
	ds_read2_b64 v[142:145], v134 offset0:59 offset1:60
	s_waitcnt lgkmcnt(1)
	v_fma_f64 v[8:9], -v[12:13], v[138:139], v[8:9]
	v_fma_f64 v[10:11], -v[12:13], v[140:141], v[10:11]
	s_waitcnt lgkmcnt(0)
	v_fma_f64 v[6:7], -v[12:13], v[142:143], v[6:7]
	v_fma_f64 v[126:127], -v[12:13], v[144:145], v[126:127]
.LBB120_964:
	s_or_b32 exec_lo, exec_lo, s0
	v_lshl_add_u32 v0, v137, 3, v134
	s_barrier
	buffer_gl0_inv
	v_mov_b32_e32 v128, 57
	ds_write_b64 v0, v[8:9]
	s_waitcnt lgkmcnt(0)
	s_barrier
	buffer_gl0_inv
	ds_read_b64 v[0:1], v134 offset:456
	s_cmp_lt_i32 s7, 59
	s_cbranch_scc1 .LBB120_967
; %bb.965:
	v_add3_u32 v129, v135, 0, 0x1d0
	v_mov_b32_e32 v128, 57
	s_mov_b32 s0, 58
.LBB120_966:                            ; =>This Inner Loop Header: Depth=1
	ds_read_b64 v[138:139], v129
	v_add_nc_u32_e32 v129, 8, v129
	s_waitcnt lgkmcnt(0)
	v_cmp_lt_f64_e64 vcc_lo, |v[0:1]|, |v[138:139]|
	v_cndmask_b32_e32 v1, v1, v139, vcc_lo
	v_cndmask_b32_e32 v0, v0, v138, vcc_lo
	v_cndmask_b32_e64 v128, v128, s0, vcc_lo
	s_add_i32 s0, s0, 1
	s_cmp_lg_u32 s7, s0
	s_cbranch_scc1 .LBB120_966
.LBB120_967:
	s_mov_b32 s0, exec_lo
	s_waitcnt lgkmcnt(0)
	v_cmpx_eq_f64_e32 0, v[0:1]
	s_xor_b32 s0, exec_lo, s0
; %bb.968:
	v_cmp_ne_u32_e32 vcc_lo, 0, v131
	v_cndmask_b32_e32 v131, 58, v131, vcc_lo
; %bb.969:
	s_andn2_saveexec_b32 s0, s0
	s_cbranch_execz .LBB120_971
; %bb.970:
	v_div_scale_f64 v[129:130], null, v[0:1], v[0:1], 1.0
	v_rcp_f64_e32 v[138:139], v[129:130]
	v_fma_f64 v[140:141], -v[129:130], v[138:139], 1.0
	v_fma_f64 v[138:139], v[138:139], v[140:141], v[138:139]
	v_fma_f64 v[140:141], -v[129:130], v[138:139], 1.0
	v_fma_f64 v[138:139], v[138:139], v[140:141], v[138:139]
	v_div_scale_f64 v[140:141], vcc_lo, 1.0, v[0:1], 1.0
	v_mul_f64 v[142:143], v[140:141], v[138:139]
	v_fma_f64 v[129:130], -v[129:130], v[142:143], v[140:141]
	v_div_fmas_f64 v[129:130], v[129:130], v[138:139], v[142:143]
	v_div_fixup_f64 v[0:1], v[129:130], v[0:1], 1.0
.LBB120_971:
	s_or_b32 exec_lo, exec_lo, s0
	s_mov_b32 s0, exec_lo
	v_cmpx_ne_u32_e64 v137, v128
	s_xor_b32 s0, exec_lo, s0
	s_cbranch_execz .LBB120_977
; %bb.972:
	s_mov_b32 s1, exec_lo
	v_cmpx_eq_u32_e32 57, v137
	s_cbranch_execz .LBB120_976
; %bb.973:
	v_cmp_ne_u32_e32 vcc_lo, 57, v128
	s_xor_b32 s2, s6, -1
	s_and_b32 s3, s2, vcc_lo
	s_and_saveexec_b32 s2, s3
	s_cbranch_execz .LBB120_975
; %bb.974:
	v_ashrrev_i32_e32 v129, 31, v128
	v_lshlrev_b64 v[129:130], 2, v[128:129]
	v_add_co_u32 v129, vcc_lo, v4, v129
	v_add_co_ci_u32_e64 v130, null, v5, v130, vcc_lo
	s_clause 0x1
	global_load_dword v136, v[129:130], off
	global_load_dword v137, v[4:5], off offset:228
	s_waitcnt vmcnt(1)
	global_store_dword v[4:5], v136, off offset:228
	s_waitcnt vmcnt(0)
	global_store_dword v[129:130], v137, off
.LBB120_975:
	s_or_b32 exec_lo, exec_lo, s2
	v_mov_b32_e32 v136, v128
	v_mov_b32_e32 v137, v128
.LBB120_976:
	s_or_b32 exec_lo, exec_lo, s1
.LBB120_977:
	s_andn2_saveexec_b32 s0, s0
	s_cbranch_execz .LBB120_979
; %bb.978:
	v_mov_b32_e32 v128, v10
	v_mov_b32_e32 v129, v11
	;; [unrolled: 1-line block ×5, first 2 shown]
	ds_write2_b64 v134, v[128:129], v[138:139] offset0:58 offset1:59
	ds_write_b64 v134, v[126:127] offset:480
.LBB120_979:
	s_or_b32 exec_lo, exec_lo, s0
	s_mov_b32 s0, exec_lo
	s_waitcnt lgkmcnt(0)
	s_waitcnt_vscnt null, 0x0
	s_barrier
	buffer_gl0_inv
	v_cmpx_lt_i32_e32 57, v137
	s_cbranch_execz .LBB120_981
; %bb.980:
	v_mul_f64 v[8:9], v[0:1], v[8:9]
	ds_read2_b64 v[138:141], v134 offset0:58 offset1:59
	ds_read_b64 v[0:1], v134 offset:480
	s_waitcnt lgkmcnt(1)
	v_fma_f64 v[10:11], -v[8:9], v[138:139], v[10:11]
	v_fma_f64 v[6:7], -v[8:9], v[140:141], v[6:7]
	s_waitcnt lgkmcnt(0)
	v_fma_f64 v[126:127], -v[8:9], v[0:1], v[126:127]
.LBB120_981:
	s_or_b32 exec_lo, exec_lo, s0
	v_lshl_add_u32 v0, v137, 3, v134
	s_barrier
	buffer_gl0_inv
	v_mov_b32_e32 v128, 58
	ds_write_b64 v0, v[10:11]
	s_waitcnt lgkmcnt(0)
	s_barrier
	buffer_gl0_inv
	ds_read_b64 v[0:1], v134 offset:464
	s_cmp_lt_i32 s7, 60
	s_cbranch_scc1 .LBB120_984
; %bb.982:
	v_add3_u32 v129, v135, 0, 0x1d8
	v_mov_b32_e32 v128, 58
	s_mov_b32 s0, 59
.LBB120_983:                            ; =>This Inner Loop Header: Depth=1
	ds_read_b64 v[138:139], v129
	v_add_nc_u32_e32 v129, 8, v129
	s_waitcnt lgkmcnt(0)
	v_cmp_lt_f64_e64 vcc_lo, |v[0:1]|, |v[138:139]|
	v_cndmask_b32_e32 v1, v1, v139, vcc_lo
	v_cndmask_b32_e32 v0, v0, v138, vcc_lo
	v_cndmask_b32_e64 v128, v128, s0, vcc_lo
	s_add_i32 s0, s0, 1
	s_cmp_lg_u32 s7, s0
	s_cbranch_scc1 .LBB120_983
.LBB120_984:
	s_mov_b32 s0, exec_lo
	s_waitcnt lgkmcnt(0)
	v_cmpx_eq_f64_e32 0, v[0:1]
	s_xor_b32 s0, exec_lo, s0
; %bb.985:
	v_cmp_ne_u32_e32 vcc_lo, 0, v131
	v_cndmask_b32_e32 v131, 59, v131, vcc_lo
; %bb.986:
	s_andn2_saveexec_b32 s0, s0
	s_cbranch_execz .LBB120_988
; %bb.987:
	v_div_scale_f64 v[129:130], null, v[0:1], v[0:1], 1.0
	v_rcp_f64_e32 v[138:139], v[129:130]
	v_fma_f64 v[140:141], -v[129:130], v[138:139], 1.0
	v_fma_f64 v[138:139], v[138:139], v[140:141], v[138:139]
	v_fma_f64 v[140:141], -v[129:130], v[138:139], 1.0
	v_fma_f64 v[138:139], v[138:139], v[140:141], v[138:139]
	v_div_scale_f64 v[140:141], vcc_lo, 1.0, v[0:1], 1.0
	v_mul_f64 v[142:143], v[140:141], v[138:139]
	v_fma_f64 v[129:130], -v[129:130], v[142:143], v[140:141]
	v_div_fmas_f64 v[129:130], v[129:130], v[138:139], v[142:143]
	v_div_fixup_f64 v[0:1], v[129:130], v[0:1], 1.0
.LBB120_988:
	s_or_b32 exec_lo, exec_lo, s0
	s_mov_b32 s0, exec_lo
	v_cmpx_ne_u32_e64 v137, v128
	s_xor_b32 s0, exec_lo, s0
	s_cbranch_execz .LBB120_994
; %bb.989:
	s_mov_b32 s1, exec_lo
	v_cmpx_eq_u32_e32 58, v137
	s_cbranch_execz .LBB120_993
; %bb.990:
	v_cmp_ne_u32_e32 vcc_lo, 58, v128
	s_xor_b32 s2, s6, -1
	s_and_b32 s3, s2, vcc_lo
	s_and_saveexec_b32 s2, s3
	s_cbranch_execz .LBB120_992
; %bb.991:
	v_ashrrev_i32_e32 v129, 31, v128
	v_lshlrev_b64 v[129:130], 2, v[128:129]
	v_add_co_u32 v129, vcc_lo, v4, v129
	v_add_co_ci_u32_e64 v130, null, v5, v130, vcc_lo
	s_clause 0x1
	global_load_dword v136, v[129:130], off
	global_load_dword v137, v[4:5], off offset:232
	s_waitcnt vmcnt(1)
	global_store_dword v[4:5], v136, off offset:232
	s_waitcnt vmcnt(0)
	global_store_dword v[129:130], v137, off
.LBB120_992:
	s_or_b32 exec_lo, exec_lo, s2
	v_mov_b32_e32 v136, v128
	v_mov_b32_e32 v137, v128
.LBB120_993:
	s_or_b32 exec_lo, exec_lo, s1
.LBB120_994:
	s_andn2_saveexec_b32 s0, s0
; %bb.995:
	v_mov_b32_e32 v137, 58
	ds_write2_b64 v134, v[6:7], v[126:127] offset0:59 offset1:60
; %bb.996:
	s_or_b32 exec_lo, exec_lo, s0
	s_mov_b32 s0, exec_lo
	s_waitcnt lgkmcnt(0)
	s_waitcnt_vscnt null, 0x0
	s_barrier
	buffer_gl0_inv
	v_cmpx_lt_i32_e32 58, v137
	s_cbranch_execz .LBB120_998
; %bb.997:
	v_mul_f64 v[10:11], v[0:1], v[10:11]
	ds_read2_b64 v[138:141], v134 offset0:59 offset1:60
	s_waitcnt lgkmcnt(0)
	v_fma_f64 v[6:7], -v[10:11], v[138:139], v[6:7]
	v_fma_f64 v[126:127], -v[10:11], v[140:141], v[126:127]
.LBB120_998:
	s_or_b32 exec_lo, exec_lo, s0
	v_lshl_add_u32 v0, v137, 3, v134
	s_barrier
	buffer_gl0_inv
	v_mov_b32_e32 v128, 59
	ds_write_b64 v0, v[6:7]
	s_waitcnt lgkmcnt(0)
	s_barrier
	buffer_gl0_inv
	ds_read_b64 v[0:1], v134 offset:472
	s_cmp_lt_i32 s7, 61
	s_cbranch_scc1 .LBB120_1001
; %bb.999:
	v_add3_u32 v129, v135, 0, 0x1e0
	v_mov_b32_e32 v128, 59
	s_mov_b32 s0, 60
.LBB120_1000:                           ; =>This Inner Loop Header: Depth=1
	ds_read_b64 v[138:139], v129
	v_add_nc_u32_e32 v129, 8, v129
	s_waitcnt lgkmcnt(0)
	v_cmp_lt_f64_e64 vcc_lo, |v[0:1]|, |v[138:139]|
	v_cndmask_b32_e32 v1, v1, v139, vcc_lo
	v_cndmask_b32_e32 v0, v0, v138, vcc_lo
	v_cndmask_b32_e64 v128, v128, s0, vcc_lo
	s_add_i32 s0, s0, 1
	s_cmp_lg_u32 s7, s0
	s_cbranch_scc1 .LBB120_1000
.LBB120_1001:
	s_mov_b32 s0, exec_lo
	s_waitcnt lgkmcnt(0)
	v_cmpx_eq_f64_e32 0, v[0:1]
	s_xor_b32 s0, exec_lo, s0
; %bb.1002:
	v_cmp_ne_u32_e32 vcc_lo, 0, v131
	v_cndmask_b32_e32 v131, 60, v131, vcc_lo
; %bb.1003:
	s_andn2_saveexec_b32 s0, s0
	s_cbranch_execz .LBB120_1005
; %bb.1004:
	v_div_scale_f64 v[129:130], null, v[0:1], v[0:1], 1.0
	v_rcp_f64_e32 v[138:139], v[129:130]
	v_fma_f64 v[140:141], -v[129:130], v[138:139], 1.0
	v_fma_f64 v[138:139], v[138:139], v[140:141], v[138:139]
	v_fma_f64 v[140:141], -v[129:130], v[138:139], 1.0
	v_fma_f64 v[138:139], v[138:139], v[140:141], v[138:139]
	v_div_scale_f64 v[140:141], vcc_lo, 1.0, v[0:1], 1.0
	v_mul_f64 v[142:143], v[140:141], v[138:139]
	v_fma_f64 v[129:130], -v[129:130], v[142:143], v[140:141]
	v_div_fmas_f64 v[129:130], v[129:130], v[138:139], v[142:143]
	v_div_fixup_f64 v[0:1], v[129:130], v[0:1], 1.0
.LBB120_1005:
	s_or_b32 exec_lo, exec_lo, s0
	s_mov_b32 s0, exec_lo
	v_cmpx_ne_u32_e64 v137, v128
	s_xor_b32 s0, exec_lo, s0
	s_cbranch_execz .LBB120_1011
; %bb.1006:
	s_mov_b32 s1, exec_lo
	v_cmpx_eq_u32_e32 59, v137
	s_cbranch_execz .LBB120_1010
; %bb.1007:
	v_cmp_ne_u32_e32 vcc_lo, 59, v128
	s_xor_b32 s2, s6, -1
	s_and_b32 s3, s2, vcc_lo
	s_and_saveexec_b32 s2, s3
	s_cbranch_execz .LBB120_1009
; %bb.1008:
	v_ashrrev_i32_e32 v129, 31, v128
	v_lshlrev_b64 v[129:130], 2, v[128:129]
	v_add_co_u32 v129, vcc_lo, v4, v129
	v_add_co_ci_u32_e64 v130, null, v5, v130, vcc_lo
	s_clause 0x1
	global_load_dword v136, v[129:130], off
	global_load_dword v137, v[4:5], off offset:236
	s_waitcnt vmcnt(1)
	global_store_dword v[4:5], v136, off offset:236
	s_waitcnt vmcnt(0)
	global_store_dword v[129:130], v137, off
.LBB120_1009:
	s_or_b32 exec_lo, exec_lo, s2
	v_mov_b32_e32 v136, v128
	v_mov_b32_e32 v137, v128
.LBB120_1010:
	s_or_b32 exec_lo, exec_lo, s1
.LBB120_1011:
	s_andn2_saveexec_b32 s0, s0
; %bb.1012:
	v_mov_b32_e32 v137, 59
	ds_write_b64 v134, v[126:127] offset:480
; %bb.1013:
	s_or_b32 exec_lo, exec_lo, s0
	s_mov_b32 s0, exec_lo
	s_waitcnt lgkmcnt(0)
	s_waitcnt_vscnt null, 0x0
	s_barrier
	buffer_gl0_inv
	v_cmpx_lt_i32_e32 59, v137
	s_cbranch_execz .LBB120_1015
; %bb.1014:
	v_mul_f64 v[6:7], v[0:1], v[6:7]
	ds_read_b64 v[0:1], v134 offset:480
	s_waitcnt lgkmcnt(0)
	v_fma_f64 v[126:127], -v[6:7], v[0:1], v[126:127]
.LBB120_1015:
	s_or_b32 exec_lo, exec_lo, s0
	v_lshl_add_u32 v0, v137, 3, v134
	s_barrier
	buffer_gl0_inv
	v_mov_b32_e32 v128, 60
	ds_write_b64 v0, v[126:127]
	s_waitcnt lgkmcnt(0)
	s_barrier
	buffer_gl0_inv
	ds_read_b64 v[0:1], v134 offset:480
	s_cmp_lt_i32 s7, 62
	s_cbranch_scc1 .LBB120_1018
; %bb.1016:
	v_add3_u32 v129, v135, 0, 0x1e8
	v_mov_b32_e32 v128, 60
	s_mov_b32 s0, 61
.LBB120_1017:                           ; =>This Inner Loop Header: Depth=1
	ds_read_b64 v[134:135], v129
	v_add_nc_u32_e32 v129, 8, v129
	s_waitcnt lgkmcnt(0)
	v_cmp_lt_f64_e64 vcc_lo, |v[0:1]|, |v[134:135]|
	v_cndmask_b32_e32 v1, v1, v135, vcc_lo
	v_cndmask_b32_e32 v0, v0, v134, vcc_lo
	v_cndmask_b32_e64 v128, v128, s0, vcc_lo
	s_add_i32 s0, s0, 1
	s_cmp_lg_u32 s7, s0
	s_cbranch_scc1 .LBB120_1017
.LBB120_1018:
	s_mov_b32 s0, exec_lo
	s_waitcnt lgkmcnt(0)
	v_cmpx_eq_f64_e32 0, v[0:1]
	s_xor_b32 s0, exec_lo, s0
; %bb.1019:
	v_cmp_ne_u32_e32 vcc_lo, 0, v131
	v_cndmask_b32_e32 v131, 61, v131, vcc_lo
; %bb.1020:
	s_andn2_saveexec_b32 s0, s0
	s_cbranch_execz .LBB120_1022
; %bb.1021:
	v_div_scale_f64 v[129:130], null, v[0:1], v[0:1], 1.0
	v_rcp_f64_e32 v[134:135], v[129:130]
	v_fma_f64 v[138:139], -v[129:130], v[134:135], 1.0
	v_fma_f64 v[134:135], v[134:135], v[138:139], v[134:135]
	v_fma_f64 v[138:139], -v[129:130], v[134:135], 1.0
	v_fma_f64 v[134:135], v[134:135], v[138:139], v[134:135]
	v_div_scale_f64 v[138:139], vcc_lo, 1.0, v[0:1], 1.0
	v_mul_f64 v[140:141], v[138:139], v[134:135]
	v_fma_f64 v[129:130], -v[129:130], v[140:141], v[138:139]
	v_div_fmas_f64 v[129:130], v[129:130], v[134:135], v[140:141]
	v_div_fixup_f64 v[0:1], v[129:130], v[0:1], 1.0
.LBB120_1022:
	s_or_b32 exec_lo, exec_lo, s0
	v_mov_b32_e32 v129, 60
	s_mov_b32 s0, exec_lo
	v_cmpx_ne_u32_e64 v137, v128
	s_cbranch_execz .LBB120_1028
; %bb.1023:
	s_mov_b32 s1, exec_lo
	v_cmpx_eq_u32_e32 60, v137
	s_cbranch_execz .LBB120_1027
; %bb.1024:
	v_cmp_ne_u32_e32 vcc_lo, 60, v128
	s_xor_b32 s2, s6, -1
	s_and_b32 s3, s2, vcc_lo
	s_and_saveexec_b32 s2, s3
	s_cbranch_execz .LBB120_1026
; %bb.1025:
	v_ashrrev_i32_e32 v129, 31, v128
	v_lshlrev_b64 v[129:130], 2, v[128:129]
	v_add_co_u32 v129, vcc_lo, v4, v129
	v_add_co_ci_u32_e64 v130, null, v5, v130, vcc_lo
	s_clause 0x1
	global_load_dword v134, v[129:130], off
	global_load_dword v135, v[4:5], off offset:240
	s_waitcnt vmcnt(1)
	global_store_dword v[4:5], v134, off offset:240
	s_waitcnt vmcnt(0)
	global_store_dword v[129:130], v135, off
.LBB120_1026:
	s_or_b32 exec_lo, exec_lo, s2
	v_mov_b32_e32 v136, v128
	v_mov_b32_e32 v137, v128
.LBB120_1027:
	s_or_b32 exec_lo, exec_lo, s1
	v_mov_b32_e32 v129, v137
.LBB120_1028:
	s_or_b32 exec_lo, exec_lo, s0
	s_load_dwordx8 s[0:7], s[4:5], 0x28
	v_ashrrev_i32_e32 v130, 31, v129
	s_mov_b32 s9, exec_lo
	s_waitcnt lgkmcnt(0)
	s_waitcnt_vscnt null, 0x0
	s_barrier
	buffer_gl0_inv
	s_barrier
	buffer_gl0_inv
	v_cmpx_gt_i32_e32 61, v129
	s_cbranch_execz .LBB120_1030
; %bb.1029:
	v_mul_lo_u32 v128, s5, v2
	v_mul_lo_u32 v134, s4, v3
	v_mad_u64_u32 v[4:5], null, s4, v2, 0
	s_lshl_b64 s[2:3], s[2:3], 2
	v_add3_u32 v5, v5, v134, v128
	v_lshlrev_b64 v[4:5], 2, v[4:5]
	v_add_co_u32 v128, vcc_lo, s0, v4
	v_add_co_ci_u32_e64 v134, null, s1, v5, vcc_lo
	v_lshlrev_b64 v[4:5], 2, v[129:130]
	v_add_co_u32 v128, vcc_lo, v128, s2
	v_add_co_ci_u32_e64 v134, null, s3, v134, vcc_lo
	v_add_co_u32 v4, vcc_lo, v128, v4
	v_add_co_ci_u32_e64 v5, null, v134, v5, vcc_lo
	v_add3_u32 v128, v136, s13, 1
	global_store_dword v[4:5], v128, off
.LBB120_1030:
	s_or_b32 exec_lo, exec_lo, s9
	s_mov_b32 s1, exec_lo
	v_cmpx_eq_u32_e32 0, v129
	s_cbranch_execz .LBB120_1033
; %bb.1031:
	v_lshlrev_b64 v[2:3], 2, v[2:3]
	v_cmp_ne_u32_e64 s0, 0, v131
	v_add_co_u32 v2, vcc_lo, s6, v2
	v_add_co_ci_u32_e64 v3, null, s7, v3, vcc_lo
	global_load_dword v4, v[2:3], off
	s_waitcnt vmcnt(0)
	v_cmp_eq_u32_e32 vcc_lo, 0, v4
	s_and_b32 s0, vcc_lo, s0
	s_and_b32 exec_lo, exec_lo, s0
	s_cbranch_execz .LBB120_1033
; %bb.1032:
	v_add_nc_u32_e32 v4, s13, v131
	global_store_dword v[2:3], v4, off
.LBB120_1033:
	s_or_b32 exec_lo, exec_lo, s1
	v_mul_f64 v[0:1], v[0:1], v[126:127]
	v_add3_u32 v2, s8, s8, v129
	v_lshlrev_b64 v[4:5], 3, v[129:130]
	v_add_nc_u32_e32 v128, s8, v2
	v_ashrrev_i32_e32 v3, 31, v2
	v_add_co_u32 v4, vcc_lo, v132, v4
	v_add_co_ci_u32_e64 v5, null, v133, v5, vcc_lo
	v_cmp_lt_i32_e32 vcc_lo, 60, v129
	v_ashrrev_i32_e32 v129, 31, v128
	v_lshlrev_b64 v[2:3], 3, v[2:3]
	flat_store_dwordx2 v[4:5], v[124:125]
	v_add_nc_u32_e32 v130, s8, v128
	v_add_co_u32 v4, s0, v4, s10
	v_lshlrev_b64 v[124:125], 3, v[128:129]
	v_add_co_ci_u32_e64 v5, null, s11, v5, s0
	v_cndmask_b32_e32 v1, v127, v1, vcc_lo
	v_cndmask_b32_e32 v0, v126, v0, vcc_lo
	v_add_co_u32 v2, vcc_lo, v132, v2
	v_add_co_ci_u32_e64 v3, null, v133, v3, vcc_lo
	v_add_co_u32 v124, vcc_lo, v132, v124
	v_add_nc_u32_e32 v126, s8, v130
	v_add_co_ci_u32_e64 v125, null, v133, v125, vcc_lo
	v_ashrrev_i32_e32 v131, 31, v130
	flat_store_dwordx2 v[4:5], v[122:123]
	flat_store_dwordx2 v[2:3], v[120:121]
	flat_store_dwordx2 v[124:125], v[118:119]
	v_add_nc_u32_e32 v118, s8, v126
	v_ashrrev_i32_e32 v127, 31, v126
	v_lshlrev_b64 v[4:5], 3, v[130:131]
	v_add_nc_u32_e32 v120, s8, v118
	v_lshlrev_b64 v[2:3], 3, v[126:127]
	v_ashrrev_i32_e32 v119, 31, v118
	v_add_co_u32 v4, vcc_lo, v132, v4
	v_add_nc_u32_e32 v122, s8, v120
	v_add_co_ci_u32_e64 v5, null, v133, v5, vcc_lo
	v_add_co_u32 v2, vcc_lo, v132, v2
	v_ashrrev_i32_e32 v121, 31, v120
	v_add_co_ci_u32_e64 v3, null, v133, v3, vcc_lo
	v_ashrrev_i32_e32 v123, 31, v122
	v_lshlrev_b64 v[118:119], 3, v[118:119]
	flat_store_dwordx2 v[4:5], v[116:117]
	flat_store_dwordx2 v[2:3], v[114:115]
	v_lshlrev_b64 v[2:3], 3, v[120:121]
	v_add_nc_u32_e32 v116, s8, v122
	v_lshlrev_b64 v[114:115], 3, v[122:123]
	v_add_co_u32 v4, vcc_lo, v132, v118
	v_add_co_ci_u32_e64 v5, null, v133, v119, vcc_lo
	v_add_co_u32 v2, vcc_lo, v132, v2
	v_add_co_ci_u32_e64 v3, null, v133, v3, vcc_lo
	v_add_co_u32 v114, vcc_lo, v132, v114
	v_add_nc_u32_e32 v118, s8, v116
	v_add_co_ci_u32_e64 v115, null, v133, v115, vcc_lo
	v_ashrrev_i32_e32 v117, 31, v116
	flat_store_dwordx2 v[4:5], v[112:113]
	flat_store_dwordx2 v[2:3], v[108:109]
	flat_store_dwordx2 v[114:115], v[110:111]
	v_add_nc_u32_e32 v108, s8, v118
	v_ashrrev_i32_e32 v119, 31, v118
	v_lshlrev_b64 v[4:5], 3, v[116:117]
	v_add_nc_u32_e32 v110, s8, v108
	v_lshlrev_b64 v[2:3], 3, v[118:119]
	v_ashrrev_i32_e32 v109, 31, v108
	v_add_co_u32 v4, vcc_lo, v132, v4
	v_add_nc_u32_e32 v112, s8, v110
	v_add_co_ci_u32_e64 v5, null, v133, v5, vcc_lo
	v_add_co_u32 v2, vcc_lo, v132, v2
	v_ashrrev_i32_e32 v111, 31, v110
	v_add_co_ci_u32_e64 v3, null, v133, v3, vcc_lo
	v_ashrrev_i32_e32 v113, 31, v112
	v_lshlrev_b64 v[108:109], 3, v[108:109]
	flat_store_dwordx2 v[4:5], v[104:105]
	flat_store_dwordx2 v[2:3], v[106:107]
	v_lshlrev_b64 v[2:3], 3, v[110:111]
	v_add_nc_u32_e32 v106, s8, v112
	v_lshlrev_b64 v[104:105], 3, v[112:113]
	v_add_co_u32 v4, vcc_lo, v132, v108
	v_add_co_ci_u32_e64 v5, null, v133, v109, vcc_lo
	;; [unrolled: 30-line block ×10, first 2 shown]
	v_add_co_u32 v2, vcc_lo, v132, v2
	v_add_nc_u32_e32 v28, s8, v26
	v_add_co_ci_u32_e64 v3, null, v133, v3, vcc_lo
	v_add_co_u32 v24, vcc_lo, v132, v24
	v_ashrrev_i32_e32 v27, 31, v26
	v_add_co_ci_u32_e64 v25, null, v133, v25, vcc_lo
	v_ashrrev_i32_e32 v29, 31, v28
	flat_store_dwordx2 v[4:5], v[22:23]
	v_lshlrev_b64 v[4:5], 3, v[26:27]
	flat_store_dwordx2 v[2:3], v[20:21]
	flat_store_dwordx2 v[24:25], v[18:19]
	v_add_nc_u32_e32 v18, s8, v28
	v_lshlrev_b64 v[2:3], 3, v[28:29]
	v_add_co_u32 v4, vcc_lo, v132, v4
	v_add_nc_u32_e32 v20, s8, v18
	v_add_co_ci_u32_e64 v5, null, v133, v5, vcc_lo
	v_add_co_u32 v2, vcc_lo, v132, v2
	v_add_co_ci_u32_e64 v3, null, v133, v3, vcc_lo
	v_add_nc_u32_e32 v22, s8, v20
	v_ashrrev_i32_e32 v19, 31, v18
	flat_store_dwordx2 v[4:5], v[16:17]
	flat_store_dwordx2 v[2:3], v[14:15]
	v_ashrrev_i32_e32 v21, 31, v20
	v_add_nc_u32_e32 v14, s8, v22
	v_lshlrev_b64 v[4:5], 3, v[18:19]
	v_ashrrev_i32_e32 v23, 31, v22
	v_lshlrev_b64 v[2:3], 3, v[20:21]
	v_add_nc_u32_e32 v18, s8, v14
	v_ashrrev_i32_e32 v15, 31, v14
	v_lshlrev_b64 v[16:17], 3, v[22:23]
	v_add_co_u32 v4, vcc_lo, v132, v4
	v_ashrrev_i32_e32 v19, 31, v18
	v_lshlrev_b64 v[14:15], 3, v[14:15]
	v_add_co_ci_u32_e64 v5, null, v133, v5, vcc_lo
	v_add_co_u32 v2, vcc_lo, v132, v2
	v_lshlrev_b64 v[18:19], 3, v[18:19]
	v_add_co_ci_u32_e64 v3, null, v133, v3, vcc_lo
	v_add_co_u32 v16, vcc_lo, v132, v16
	v_add_co_ci_u32_e64 v17, null, v133, v17, vcc_lo
	v_add_co_u32 v14, vcc_lo, v132, v14
	;; [unrolled: 2-line block ×3, first 2 shown]
	v_add_co_ci_u32_e64 v19, null, v133, v19, vcc_lo
	flat_store_dwordx2 v[4:5], v[12:13]
	flat_store_dwordx2 v[2:3], v[8:9]
	;; [unrolled: 1-line block ×5, first 2 shown]
.LBB120_1034:
	s_endpgm
	.section	.rodata,"a",@progbits
	.p2align	6, 0x0
	.amdhsa_kernel _ZN9rocsolver6v33100L18getf2_small_kernelILi61EdiiPKPdEEvT1_T3_lS5_lPS5_llPT2_S5_S5_S7_l
		.amdhsa_group_segment_fixed_size 0
		.amdhsa_private_segment_fixed_size 0
		.amdhsa_kernarg_size 352
		.amdhsa_user_sgpr_count 6
		.amdhsa_user_sgpr_private_segment_buffer 1
		.amdhsa_user_sgpr_dispatch_ptr 0
		.amdhsa_user_sgpr_queue_ptr 0
		.amdhsa_user_sgpr_kernarg_segment_ptr 1
		.amdhsa_user_sgpr_dispatch_id 0
		.amdhsa_user_sgpr_flat_scratch_init 0
		.amdhsa_user_sgpr_private_segment_size 0
		.amdhsa_wavefront_size32 1
		.amdhsa_uses_dynamic_stack 0
		.amdhsa_system_sgpr_private_segment_wavefront_offset 0
		.amdhsa_system_sgpr_workgroup_id_x 1
		.amdhsa_system_sgpr_workgroup_id_y 1
		.amdhsa_system_sgpr_workgroup_id_z 0
		.amdhsa_system_sgpr_workgroup_info 0
		.amdhsa_system_vgpr_workitem_id 1
		.amdhsa_next_free_vgpr 250
		.amdhsa_next_free_sgpr 14
		.amdhsa_reserve_vcc 1
		.amdhsa_reserve_flat_scratch 1
		.amdhsa_float_round_mode_32 0
		.amdhsa_float_round_mode_16_64 0
		.amdhsa_float_denorm_mode_32 3
		.amdhsa_float_denorm_mode_16_64 3
		.amdhsa_dx10_clamp 1
		.amdhsa_ieee_mode 1
		.amdhsa_fp16_overflow 0
		.amdhsa_workgroup_processor_mode 1
		.amdhsa_memory_ordered 1
		.amdhsa_forward_progress 1
		.amdhsa_shared_vgpr_count 0
		.amdhsa_exception_fp_ieee_invalid_op 0
		.amdhsa_exception_fp_denorm_src 0
		.amdhsa_exception_fp_ieee_div_zero 0
		.amdhsa_exception_fp_ieee_overflow 0
		.amdhsa_exception_fp_ieee_underflow 0
		.amdhsa_exception_fp_ieee_inexact 0
		.amdhsa_exception_int_div_zero 0
	.end_amdhsa_kernel
	.section	.text._ZN9rocsolver6v33100L18getf2_small_kernelILi61EdiiPKPdEEvT1_T3_lS5_lPS5_llPT2_S5_S5_S7_l,"axG",@progbits,_ZN9rocsolver6v33100L18getf2_small_kernelILi61EdiiPKPdEEvT1_T3_lS5_lPS5_llPT2_S5_S5_S7_l,comdat
.Lfunc_end120:
	.size	_ZN9rocsolver6v33100L18getf2_small_kernelILi61EdiiPKPdEEvT1_T3_lS5_lPS5_llPT2_S5_S5_S7_l, .Lfunc_end120-_ZN9rocsolver6v33100L18getf2_small_kernelILi61EdiiPKPdEEvT1_T3_lS5_lPS5_llPT2_S5_S5_S7_l
                                        ; -- End function
	.set _ZN9rocsolver6v33100L18getf2_small_kernelILi61EdiiPKPdEEvT1_T3_lS5_lPS5_llPT2_S5_S5_S7_l.num_vgpr, 250
	.set _ZN9rocsolver6v33100L18getf2_small_kernelILi61EdiiPKPdEEvT1_T3_lS5_lPS5_llPT2_S5_S5_S7_l.num_agpr, 0
	.set _ZN9rocsolver6v33100L18getf2_small_kernelILi61EdiiPKPdEEvT1_T3_lS5_lPS5_llPT2_S5_S5_S7_l.numbered_sgpr, 14
	.set _ZN9rocsolver6v33100L18getf2_small_kernelILi61EdiiPKPdEEvT1_T3_lS5_lPS5_llPT2_S5_S5_S7_l.num_named_barrier, 0
	.set _ZN9rocsolver6v33100L18getf2_small_kernelILi61EdiiPKPdEEvT1_T3_lS5_lPS5_llPT2_S5_S5_S7_l.private_seg_size, 0
	.set _ZN9rocsolver6v33100L18getf2_small_kernelILi61EdiiPKPdEEvT1_T3_lS5_lPS5_llPT2_S5_S5_S7_l.uses_vcc, 1
	.set _ZN9rocsolver6v33100L18getf2_small_kernelILi61EdiiPKPdEEvT1_T3_lS5_lPS5_llPT2_S5_S5_S7_l.uses_flat_scratch, 1
	.set _ZN9rocsolver6v33100L18getf2_small_kernelILi61EdiiPKPdEEvT1_T3_lS5_lPS5_llPT2_S5_S5_S7_l.has_dyn_sized_stack, 0
	.set _ZN9rocsolver6v33100L18getf2_small_kernelILi61EdiiPKPdEEvT1_T3_lS5_lPS5_llPT2_S5_S5_S7_l.has_recursion, 0
	.set _ZN9rocsolver6v33100L18getf2_small_kernelILi61EdiiPKPdEEvT1_T3_lS5_lPS5_llPT2_S5_S5_S7_l.has_indirect_call, 0
	.section	.AMDGPU.csdata,"",@progbits
; Kernel info:
; codeLenInByte = 73160
; TotalNumSgprs: 16
; NumVgprs: 250
; ScratchSize: 0
; MemoryBound: 0
; FloatMode: 240
; IeeeMode: 1
; LDSByteSize: 0 bytes/workgroup (compile time only)
; SGPRBlocks: 0
; VGPRBlocks: 31
; NumSGPRsForWavesPerEU: 16
; NumVGPRsForWavesPerEU: 250
; Occupancy: 4
; WaveLimiterHint : 1
; COMPUTE_PGM_RSRC2:SCRATCH_EN: 0
; COMPUTE_PGM_RSRC2:USER_SGPR: 6
; COMPUTE_PGM_RSRC2:TRAP_HANDLER: 0
; COMPUTE_PGM_RSRC2:TGID_X_EN: 1
; COMPUTE_PGM_RSRC2:TGID_Y_EN: 1
; COMPUTE_PGM_RSRC2:TGID_Z_EN: 0
; COMPUTE_PGM_RSRC2:TIDIG_COMP_CNT: 1
	.section	.text._ZN9rocsolver6v33100L23getf2_npvt_small_kernelILi61EdiiPKPdEEvT1_T3_lS5_lPT2_S5_S5_,"axG",@progbits,_ZN9rocsolver6v33100L23getf2_npvt_small_kernelILi61EdiiPKPdEEvT1_T3_lS5_lPT2_S5_S5_,comdat
	.globl	_ZN9rocsolver6v33100L23getf2_npvt_small_kernelILi61EdiiPKPdEEvT1_T3_lS5_lPT2_S5_S5_ ; -- Begin function _ZN9rocsolver6v33100L23getf2_npvt_small_kernelILi61EdiiPKPdEEvT1_T3_lS5_lPT2_S5_S5_
	.p2align	8
	.type	_ZN9rocsolver6v33100L23getf2_npvt_small_kernelILi61EdiiPKPdEEvT1_T3_lS5_lPT2_S5_S5_,@function
_ZN9rocsolver6v33100L23getf2_npvt_small_kernelILi61EdiiPKPdEEvT1_T3_lS5_lPT2_S5_S5_: ; @_ZN9rocsolver6v33100L23getf2_npvt_small_kernelILi61EdiiPKPdEEvT1_T3_lS5_lPT2_S5_S5_
; %bb.0:
	s_mov_b64 s[14:15], s[2:3]
	s_mov_b64 s[12:13], s[0:1]
	s_add_u32 s12, s12, s8
	s_clause 0x1
	s_load_dword s0, s[4:5], 0x44
	s_load_dwordx2 s[8:9], s[4:5], 0x30
	s_addc_u32 s13, s13, 0
	s_waitcnt lgkmcnt(0)
	s_lshr_b32 s10, s0, 16
	s_mov_b32 s0, exec_lo
	v_mad_u64_u32 v[2:3], null, s7, s10, v[1:2]
	v_cmpx_gt_i32_e64 s8, v2
	s_cbranch_execz .LBB121_308
; %bb.1:
	s_clause 0x1
	s_load_dwordx4 s[0:3], s[4:5], 0x8
	s_load_dword s6, s[4:5], 0x18
	v_ashrrev_i32_e32 v3, 31, v2
	s_mulk_i32 s10, 0x1e8
	v_lshlrev_b64 v[4:5], 3, v[2:3]
	s_waitcnt lgkmcnt(0)
	v_add_co_u32 v4, vcc_lo, s0, v4
	v_add_co_ci_u32_e64 v5, null, s1, v5, vcc_lo
	v_add3_u32 v6, s6, s6, v0
	s_lshl_b64 s[0:1], s[2:3], 3
	s_ashr_i32 s7, s6, 31
	global_load_dwordx2 v[4:5], v[4:5], off
	v_add_nc_u32_e32 v8, s6, v6
	v_ashrrev_i32_e32 v7, 31, v6
	v_add_nc_u32_e32 v10, s6, v8
	v_ashrrev_i32_e32 v9, 31, v8
	v_lshlrev_b64 v[6:7], 3, v[6:7]
	v_add_nc_u32_e32 v12, s6, v10
	v_ashrrev_i32_e32 v11, 31, v10
	v_lshlrev_b64 v[8:9], 3, v[8:9]
	;; [unrolled: 3-line block ×48, first 2 shown]
	v_ashrrev_i32_e32 v105, 31, v104
	v_lshlrev_b64 v[102:103], 3, v[102:103]
	s_waitcnt vmcnt(0)
	v_add_co_u32 v120, vcc_lo, v4, s0
	v_add_co_ci_u32_e64 v121, null, s1, v5, vcc_lo
	s_lshl_b64 s[0:1], s[6:7], 3
	v_add_co_u32 v4, vcc_lo, v120, v6
	v_add_co_ci_u32_e64 v5, null, v121, v7, vcc_lo
	v_add_co_u32 v6, vcc_lo, v120, v8
	v_add_co_ci_u32_e64 v7, null, v121, v9, vcc_lo
	;; [unrolled: 2-line block ×39, first 2 shown]
	v_mov_b32_e32 v83, v13
	v_mov_b32_e32 v82, v12
	v_add_co_u32 v12, vcc_lo, v120, v84
	v_add_co_ci_u32_e64 v13, null, v121, v85, vcc_lo
	v_mov_b32_e32 v85, v15
	v_mov_b32_e32 v84, v14
	v_add_co_u32 v14, vcc_lo, v120, v86
	v_add_co_ci_u32_e64 v15, null, v121, v87, vcc_lo
	;; [unrolled: 4-line block ×5, first 2 shown]
	v_mov_b32_e32 v93, v23
	v_mov_b32_e32 v92, v22
	v_add_co_u32 v22, vcc_lo, v120, v94
	v_mov_b32_e32 v73, v5
	v_mov_b32_e32 v72, v4
	v_add_co_ci_u32_e64 v23, null, v121, v95, vcc_lo
	v_mov_b32_e32 v95, v25
	v_add_nc_u32_e32 v4, s6, v104
	v_mov_b32_e32 v94, v24
	v_add_co_u32 v24, vcc_lo, v120, v96
	v_add_co_ci_u32_e64 v25, null, v121, v97, vcc_lo
	v_mov_b32_e32 v97, v27
	v_mov_b32_e32 v127, v9
	v_mov_b32_e32 v96, v26
	v_add_co_u32 v26, vcc_lo, v120, v98
	v_mov_b32_e32 v126, v8
	v_add_nc_u32_e32 v8, s6, v4
	v_mov_b32_e32 v75, v7
	v_add_co_ci_u32_e64 v27, null, v121, v99, vcc_lo
	v_mov_b32_e32 v99, v29
	v_mov_b32_e32 v74, v6
	;; [unrolled: 1-line block ×3, first 2 shown]
	v_add_co_u32 v28, vcc_lo, v120, v100
	v_lshlrev_b64 v[6:7], 3, v[104:105]
	v_ashrrev_i32_e32 v5, 31, v4
	v_mov_b32_e32 v81, v11
	v_add_co_ci_u32_e64 v29, null, v121, v101, vcc_lo
	v_mov_b32_e32 v101, v31
	v_mov_b32_e32 v80, v10
	;; [unrolled: 1-line block ×3, first 2 shown]
	v_add_co_u32 v30, vcc_lo, v120, v102
	v_ashrrev_i32_e32 v9, 31, v8
	v_add_nc_u32_e32 v10, s6, v8
	v_add_co_ci_u32_e64 v31, null, v121, v103, vcc_lo
	v_mov_b32_e32 v103, v33
	v_lshlrev_b64 v[4:5], 3, v[4:5]
	v_mov_b32_e32 v102, v32
	v_add_co_u32 v32, vcc_lo, v120, v6
	v_add_co_ci_u32_e64 v33, null, v121, v7, vcc_lo
	v_lshlrev_b64 v[6:7], 3, v[8:9]
	v_ashrrev_i32_e32 v11, 31, v10
	v_add_nc_u32_e32 v8, s6, v10
	v_mov_b32_e32 v105, v35
	v_mov_b32_e32 v104, v34
	v_add_co_u32 v34, vcc_lo, v120, v4
	v_add_co_ci_u32_e64 v35, null, v121, v5, vcc_lo
	v_lshlrev_b64 v[4:5], 3, v[10:11]
	v_ashrrev_i32_e32 v9, 31, v8
	v_add_nc_u32_e32 v10, s6, v8
	v_add_co_u32 v60, vcc_lo, v120, v6
	v_add_co_ci_u32_e64 v61, null, v121, v7, vcc_lo
	v_lshlrev_b64 v[6:7], 3, v[8:9]
	v_ashrrev_i32_e32 v11, 31, v10
	v_add_nc_u32_e32 v8, s6, v10
	;; [unrolled: 5-line block ×3, first 2 shown]
	v_add_co_u32 v64, vcc_lo, v120, v6
	v_add_co_ci_u32_e64 v65, null, v121, v7, vcc_lo
	v_lshlrev_b64 v[6:7], 3, v[8:9]
	v_add_nc_u32_e32 v8, s6, v10
	v_ashrrev_i32_e32 v11, 31, v10
	v_add_co_u32 v66, vcc_lo, v120, v4
	v_add_co_ci_u32_e64 v67, null, v121, v5, vcc_lo
	v_ashrrev_i32_e32 v9, 31, v8
	v_lshlrev_b64 v[4:5], 3, v[10:11]
	v_add_co_u32 v68, vcc_lo, v120, v6
	v_add_co_ci_u32_e64 v69, null, v121, v7, vcc_lo
	v_lshlrev_b64 v[6:7], 3, v[8:9]
	v_add_nc_u32_e32 v8, s6, v8
	v_lshlrev_b32_e32 v10, 3, v0
	v_add_co_u32 v70, vcc_lo, v120, v4
	v_add_co_ci_u32_e64 v71, null, v121, v5, vcc_lo
	v_add_co_u32 v6, vcc_lo, v120, v6
	v_ashrrev_i32_e32 v9, 31, v8
	v_add_co_ci_u32_e64 v7, null, v121, v7, vcc_lo
	v_add_co_u32 v122, vcc_lo, v120, v10
	v_add_co_ci_u32_e64 v123, null, 0, v121, vcc_lo
	v_lshlrev_b64 v[4:5], 3, v[8:9]
	v_add_co_u32 v8, vcc_lo, v122, s0
	v_add_co_ci_u32_e64 v9, null, s1, v123, vcc_lo
	flat_load_dwordx2 v[208:209], v[122:123]
	buffer_store_dword v8, off, s[12:15], 0 offset:248 ; 4-byte Folded Spill
	buffer_store_dword v9, off, s[12:15], 0 offset:252 ; 4-byte Folded Spill
	v_add_co_u32 v4, vcc_lo, v120, v4
	v_add_co_ci_u32_e64 v5, null, v121, v5, vcc_lo
	v_mov_b32_e32 v78, v37
	v_mov_b32_e32 v77, v36
	v_cmp_ne_u32_e64 s1, 0, v0
	v_cmp_eq_u32_e64 s0, 0, v0
	flat_load_dwordx2 v[226:227], v[8:9]
	buffer_store_dword v72, off, s[12:15], 0 offset:480 ; 4-byte Folded Spill
	buffer_store_dword v73, off, s[12:15], 0 offset:484 ; 4-byte Folded Spill
	flat_load_dwordx2 v[244:245], v[72:73]
	buffer_store_dword v74, off, s[12:15], 0 offset:488 ; 4-byte Folded Spill
	buffer_store_dword v75, off, s[12:15], 0 offset:492 ; 4-byte Folded Spill
	;; [unrolled: 3-line block ×3, first 2 shown]
	s_clause 0x19
	flat_load_dwordx2 v[242:243], v[126:127]
	flat_load_dwordx2 v[222:223], v[80:81]
	;; [unrolled: 1-line block ×26, first 2 shown]
	buffer_store_dword v38, off, s[12:15], 0 ; 4-byte Folded Spill
	buffer_store_dword v39, off, s[12:15], 0 offset:4 ; 4-byte Folded Spill
	flat_load_dwordx2 v[196:197], v[38:39]
	buffer_store_dword v40, off, s[12:15], 0 offset:8 ; 4-byte Folded Spill
	buffer_store_dword v41, off, s[12:15], 0 offset:12 ; 4-byte Folded Spill
	flat_load_dwordx2 v[154:155], v[40:41]
	buffer_store_dword v42, off, s[12:15], 0 offset:16 ; 4-byte Folded Spill
	;; [unrolled: 3-line block ×28, first 2 shown]
	buffer_store_dword v71, off, s[12:15], 0 offset:228 ; 4-byte Folded Spill
	v_mad_u32_u24 v68, 0x1e8, v1, 0
	flat_load_dwordx2 v[168:169], v[70:71]
	buffer_store_dword v6, off, s[12:15], 0 offset:232 ; 4-byte Folded Spill
	buffer_store_dword v7, off, s[12:15], 0 offset:236 ; 4-byte Folded Spill
	flat_load_dwordx2 v[126:127], v[6:7]
	buffer_store_dword v4, off, s[12:15], 0 offset:240 ; 4-byte Folded Spill
	buffer_store_dword v5, off, s[12:15], 0 offset:244 ; 4-byte Folded Spill
	flat_load_dwordx2 v[246:247], v[4:5]
	v_lshlrev_b32_e32 v4, 3, v1
	v_add3_u32 v1, 0, s10, v4
	s_and_saveexec_b32 s2, s0
	s_cbranch_execz .LBB121_4
; %bb.2:
	s_waitcnt vmcnt(60) lgkmcnt(60)
	ds_write_b64 v1, v[208:209]
	s_waitcnt vmcnt(58) lgkmcnt(59)
	ds_write2_b64 v68, v[226:227], v[244:245] offset0:1 offset1:2
	s_waitcnt vmcnt(56) lgkmcnt(58)
	ds_write2_b64 v68, v[224:225], v[242:243] offset0:3 offset1:4
	;; [unrolled: 2-line block ×30, first 2 shown]
	ds_read_b64 v[4:5], v1
	s_waitcnt lgkmcnt(0)
	v_cmp_neq_f64_e32 vcc_lo, 0, v[4:5]
	s_and_b32 exec_lo, exec_lo, vcc_lo
	s_cbranch_execz .LBB121_4
; %bb.3:
	v_div_scale_f64 v[6:7], null, v[4:5], v[4:5], 1.0
	v_rcp_f64_e32 v[8:9], v[6:7]
	v_fma_f64 v[10:11], -v[6:7], v[8:9], 1.0
	v_fma_f64 v[8:9], v[8:9], v[10:11], v[8:9]
	v_fma_f64 v[10:11], -v[6:7], v[8:9], 1.0
	v_fma_f64 v[8:9], v[8:9], v[10:11], v[8:9]
	v_div_scale_f64 v[10:11], vcc_lo, 1.0, v[4:5], 1.0
	v_mul_f64 v[12:13], v[10:11], v[8:9]
	v_fma_f64 v[6:7], -v[6:7], v[12:13], v[10:11]
	v_div_fmas_f64 v[6:7], v[6:7], v[8:9], v[12:13]
	v_div_fixup_f64 v[4:5], v[6:7], v[4:5], 1.0
	ds_write_b64 v1, v[4:5]
.LBB121_4:
	s_or_b32 exec_lo, exec_lo, s2
	s_waitcnt vmcnt(0) lgkmcnt(0)
	s_waitcnt_vscnt null, 0x0
	s_barrier
	buffer_gl0_inv
	ds_read_b64 v[4:5], v1
	s_waitcnt lgkmcnt(0)
	buffer_store_dword v4, off, s[12:15], 0 offset:256 ; 4-byte Folded Spill
	buffer_store_dword v5, off, s[12:15], 0 offset:260 ; 4-byte Folded Spill
	s_and_saveexec_b32 s2, s1
	s_cbranch_execz .LBB121_6
; %bb.5:
	s_clause 0x1
	buffer_load_dword v4, off, s[12:15], 0 offset:256
	buffer_load_dword v5, off, s[12:15], 0 offset:260
	s_waitcnt vmcnt(0)
	v_mul_f64 v[208:209], v[4:5], v[208:209]
	ds_read2_b64 v[4:7], v68 offset0:1 offset1:2
	s_waitcnt lgkmcnt(0)
	v_fma_f64 v[226:227], -v[208:209], v[4:5], v[226:227]
	v_fma_f64 v[244:245], -v[208:209], v[6:7], v[244:245]
	ds_read2_b64 v[4:7], v68 offset0:3 offset1:4
	s_waitcnt lgkmcnt(0)
	v_fma_f64 v[224:225], -v[208:209], v[4:5], v[224:225]
	v_fma_f64 v[242:243], -v[208:209], v[6:7], v[242:243]
	;; [unrolled: 4-line block ×30, first 2 shown]
.LBB121_6:
	s_or_b32 exec_lo, exec_lo, s2
	s_mov_b32 s1, exec_lo
	s_waitcnt_vscnt null, 0x0
	s_barrier
	buffer_gl0_inv
	v_cmpx_eq_u32_e32 1, v0
	s_cbranch_execz .LBB121_9
; %bb.7:
	v_mov_b32_e32 v4, v244
	v_mov_b32_e32 v5, v245
	;; [unrolled: 1-line block ×4, first 2 shown]
	ds_write_b64 v1, v[226:227]
	ds_write2_b64 v68, v[4:5], v[6:7] offset0:2 offset1:3
	v_mov_b32_e32 v4, v242
	v_mov_b32_e32 v5, v243
	v_mov_b32_e32 v6, v222
	v_mov_b32_e32 v7, v223
	ds_write2_b64 v68, v[4:5], v[6:7] offset0:4 offset1:5
	v_mov_b32_e32 v4, v240
	v_mov_b32_e32 v5, v241
	v_mov_b32_e32 v6, v220
	v_mov_b32_e32 v7, v221
	;; [unrolled: 5-line block ×28, first 2 shown]
	ds_write2_b64 v68, v[4:5], v[6:7] offset0:58 offset1:59
	ds_write_b64 v68, v[246:247] offset:480
	ds_read_b64 v[4:5], v1
	s_waitcnt lgkmcnt(0)
	v_cmp_neq_f64_e32 vcc_lo, 0, v[4:5]
	s_and_b32 exec_lo, exec_lo, vcc_lo
	s_cbranch_execz .LBB121_9
; %bb.8:
	v_div_scale_f64 v[6:7], null, v[4:5], v[4:5], 1.0
	v_rcp_f64_e32 v[8:9], v[6:7]
	v_fma_f64 v[10:11], -v[6:7], v[8:9], 1.0
	v_fma_f64 v[8:9], v[8:9], v[10:11], v[8:9]
	v_fma_f64 v[10:11], -v[6:7], v[8:9], 1.0
	v_fma_f64 v[8:9], v[8:9], v[10:11], v[8:9]
	v_div_scale_f64 v[10:11], vcc_lo, 1.0, v[4:5], 1.0
	v_mul_f64 v[12:13], v[10:11], v[8:9]
	v_fma_f64 v[6:7], -v[6:7], v[12:13], v[10:11]
	v_div_fmas_f64 v[6:7], v[6:7], v[8:9], v[12:13]
	v_div_fixup_f64 v[4:5], v[6:7], v[4:5], 1.0
	ds_write_b64 v1, v[4:5]
.LBB121_9:
	s_or_b32 exec_lo, exec_lo, s1
	s_waitcnt lgkmcnt(0)
	s_barrier
	buffer_gl0_inv
	ds_read_b64 v[4:5], v1
	s_mov_b32 s1, exec_lo
	s_waitcnt lgkmcnt(0)
	buffer_store_dword v4, off, s[12:15], 0 offset:264 ; 4-byte Folded Spill
	buffer_store_dword v5, off, s[12:15], 0 offset:268 ; 4-byte Folded Spill
	v_cmpx_lt_u32_e32 1, v0
	s_cbranch_execz .LBB121_11
; %bb.10:
	s_clause 0x1
	buffer_load_dword v4, off, s[12:15], 0 offset:264
	buffer_load_dword v5, off, s[12:15], 0 offset:268
	s_waitcnt vmcnt(0)
	v_mul_f64 v[226:227], v[4:5], v[226:227]
	ds_read2_b64 v[4:7], v68 offset0:2 offset1:3
	s_waitcnt lgkmcnt(0)
	v_fma_f64 v[244:245], -v[226:227], v[4:5], v[244:245]
	v_fma_f64 v[224:225], -v[226:227], v[6:7], v[224:225]
	ds_read2_b64 v[4:7], v68 offset0:4 offset1:5
	s_waitcnt lgkmcnt(0)
	v_fma_f64 v[242:243], -v[226:227], v[4:5], v[242:243]
	v_fma_f64 v[222:223], -v[226:227], v[6:7], v[222:223]
	;; [unrolled: 4-line block ×28, first 2 shown]
	ds_read2_b64 v[4:7], v68 offset0:58 offset1:59
	s_waitcnt lgkmcnt(0)
	v_fma_f64 v[168:169], -v[226:227], v[4:5], v[168:169]
	ds_read_b64 v[4:5], v68 offset:480
	v_fma_f64 v[126:127], -v[226:227], v[6:7], v[126:127]
	s_waitcnt lgkmcnt(0)
	v_fma_f64 v[246:247], -v[226:227], v[4:5], v[246:247]
.LBB121_11:
	s_or_b32 exec_lo, exec_lo, s1
	s_mov_b32 s1, exec_lo
	s_waitcnt_vscnt null, 0x0
	s_barrier
	buffer_gl0_inv
	v_cmpx_eq_u32_e32 2, v0
	s_cbranch_execz .LBB121_14
; %bb.12:
	ds_write_b64 v1, v[244:245]
	ds_write2_b64 v68, v[224:225], v[242:243] offset0:3 offset1:4
	ds_write2_b64 v68, v[222:223], v[240:241] offset0:5 offset1:6
	;; [unrolled: 1-line block ×29, first 2 shown]
	ds_read_b64 v[4:5], v1
	s_waitcnt lgkmcnt(0)
	v_cmp_neq_f64_e32 vcc_lo, 0, v[4:5]
	s_and_b32 exec_lo, exec_lo, vcc_lo
	s_cbranch_execz .LBB121_14
; %bb.13:
	v_div_scale_f64 v[6:7], null, v[4:5], v[4:5], 1.0
	v_rcp_f64_e32 v[8:9], v[6:7]
	v_fma_f64 v[10:11], -v[6:7], v[8:9], 1.0
	v_fma_f64 v[8:9], v[8:9], v[10:11], v[8:9]
	v_fma_f64 v[10:11], -v[6:7], v[8:9], 1.0
	v_fma_f64 v[8:9], v[8:9], v[10:11], v[8:9]
	v_div_scale_f64 v[10:11], vcc_lo, 1.0, v[4:5], 1.0
	v_mul_f64 v[12:13], v[10:11], v[8:9]
	v_fma_f64 v[6:7], -v[6:7], v[12:13], v[10:11]
	v_div_fmas_f64 v[6:7], v[6:7], v[8:9], v[12:13]
	v_div_fixup_f64 v[4:5], v[6:7], v[4:5], 1.0
	ds_write_b64 v1, v[4:5]
.LBB121_14:
	s_or_b32 exec_lo, exec_lo, s1
	s_waitcnt lgkmcnt(0)
	s_barrier
	buffer_gl0_inv
	ds_read_b64 v[4:5], v1
	s_mov_b32 s1, exec_lo
	s_waitcnt lgkmcnt(0)
	buffer_store_dword v4, off, s[12:15], 0 offset:272 ; 4-byte Folded Spill
	buffer_store_dword v5, off, s[12:15], 0 offset:276 ; 4-byte Folded Spill
	v_cmpx_lt_u32_e32 2, v0
	s_cbranch_execz .LBB121_16
; %bb.15:
	s_clause 0x1
	buffer_load_dword v4, off, s[12:15], 0 offset:272
	buffer_load_dword v5, off, s[12:15], 0 offset:276
	s_waitcnt vmcnt(0)
	v_mul_f64 v[244:245], v[4:5], v[244:245]
	ds_read2_b64 v[4:7], v68 offset0:3 offset1:4
	s_waitcnt lgkmcnt(0)
	v_fma_f64 v[224:225], -v[244:245], v[4:5], v[224:225]
	v_fma_f64 v[242:243], -v[244:245], v[6:7], v[242:243]
	ds_read2_b64 v[4:7], v68 offset0:5 offset1:6
	s_waitcnt lgkmcnt(0)
	v_fma_f64 v[222:223], -v[244:245], v[4:5], v[222:223]
	v_fma_f64 v[240:241], -v[244:245], v[6:7], v[240:241]
	;; [unrolled: 4-line block ×29, first 2 shown]
.LBB121_16:
	s_or_b32 exec_lo, exec_lo, s1
	s_mov_b32 s1, exec_lo
	s_waitcnt_vscnt null, 0x0
	s_barrier
	buffer_gl0_inv
	v_cmpx_eq_u32_e32 3, v0
	s_cbranch_execz .LBB121_19
; %bb.17:
	v_mov_b32_e32 v4, v242
	v_mov_b32_e32 v5, v243
	;; [unrolled: 1-line block ×4, first 2 shown]
	ds_write_b64 v1, v[224:225]
	ds_write2_b64 v68, v[4:5], v[6:7] offset0:4 offset1:5
	v_mov_b32_e32 v4, v240
	v_mov_b32_e32 v5, v241
	v_mov_b32_e32 v6, v220
	v_mov_b32_e32 v7, v221
	ds_write2_b64 v68, v[4:5], v[6:7] offset0:6 offset1:7
	v_mov_b32_e32 v4, v238
	v_mov_b32_e32 v5, v239
	v_mov_b32_e32 v6, v218
	v_mov_b32_e32 v7, v219
	ds_write2_b64 v68, v[4:5], v[6:7] offset0:8 offset1:9
	v_mov_b32_e32 v4, v236
	v_mov_b32_e32 v5, v237
	v_mov_b32_e32 v6, v216
	v_mov_b32_e32 v7, v217
	ds_write2_b64 v68, v[4:5], v[6:7] offset0:10 offset1:11
	v_mov_b32_e32 v4, v234
	v_mov_b32_e32 v5, v235
	v_mov_b32_e32 v6, v214
	v_mov_b32_e32 v7, v215
	ds_write2_b64 v68, v[4:5], v[6:7] offset0:12 offset1:13
	v_mov_b32_e32 v4, v232
	v_mov_b32_e32 v5, v233
	v_mov_b32_e32 v6, v212
	v_mov_b32_e32 v7, v213
	ds_write2_b64 v68, v[4:5], v[6:7] offset0:14 offset1:15
	v_mov_b32_e32 v4, v230
	v_mov_b32_e32 v5, v231
	v_mov_b32_e32 v6, v210
	v_mov_b32_e32 v7, v211
	ds_write2_b64 v68, v[4:5], v[6:7] offset0:16 offset1:17
	v_mov_b32_e32 v4, v228
	v_mov_b32_e32 v5, v229
	v_mov_b32_e32 v6, v166
	v_mov_b32_e32 v7, v167
	ds_write2_b64 v68, v[4:5], v[6:7] offset0:18 offset1:19
	v_mov_b32_e32 v4, v206
	v_mov_b32_e32 v5, v207
	v_mov_b32_e32 v6, v164
	v_mov_b32_e32 v7, v165
	ds_write2_b64 v68, v[4:5], v[6:7] offset0:20 offset1:21
	v_mov_b32_e32 v4, v204
	v_mov_b32_e32 v5, v205
	v_mov_b32_e32 v6, v162
	v_mov_b32_e32 v7, v163
	ds_write2_b64 v68, v[4:5], v[6:7] offset0:22 offset1:23
	v_mov_b32_e32 v4, v202
	v_mov_b32_e32 v5, v203
	v_mov_b32_e32 v6, v160
	v_mov_b32_e32 v7, v161
	ds_write2_b64 v68, v[4:5], v[6:7] offset0:24 offset1:25
	v_mov_b32_e32 v4, v200
	v_mov_b32_e32 v5, v201
	v_mov_b32_e32 v6, v158
	v_mov_b32_e32 v7, v159
	ds_write2_b64 v68, v[4:5], v[6:7] offset0:26 offset1:27
	v_mov_b32_e32 v4, v198
	v_mov_b32_e32 v5, v199
	v_mov_b32_e32 v6, v156
	v_mov_b32_e32 v7, v157
	ds_write2_b64 v68, v[4:5], v[6:7] offset0:28 offset1:29
	v_mov_b32_e32 v4, v196
	v_mov_b32_e32 v5, v197
	v_mov_b32_e32 v6, v154
	v_mov_b32_e32 v7, v155
	ds_write2_b64 v68, v[4:5], v[6:7] offset0:30 offset1:31
	v_mov_b32_e32 v4, v194
	v_mov_b32_e32 v5, v195
	v_mov_b32_e32 v6, v152
	v_mov_b32_e32 v7, v153
	ds_write2_b64 v68, v[4:5], v[6:7] offset0:32 offset1:33
	v_mov_b32_e32 v4, v192
	v_mov_b32_e32 v5, v193
	v_mov_b32_e32 v6, v150
	v_mov_b32_e32 v7, v151
	ds_write2_b64 v68, v[4:5], v[6:7] offset0:34 offset1:35
	v_mov_b32_e32 v4, v190
	v_mov_b32_e32 v5, v191
	v_mov_b32_e32 v6, v148
	v_mov_b32_e32 v7, v149
	ds_write2_b64 v68, v[4:5], v[6:7] offset0:36 offset1:37
	v_mov_b32_e32 v4, v188
	v_mov_b32_e32 v5, v189
	v_mov_b32_e32 v6, v146
	v_mov_b32_e32 v7, v147
	ds_write2_b64 v68, v[4:5], v[6:7] offset0:38 offset1:39
	v_mov_b32_e32 v4, v186
	v_mov_b32_e32 v5, v187
	v_mov_b32_e32 v6, v144
	v_mov_b32_e32 v7, v145
	ds_write2_b64 v68, v[4:5], v[6:7] offset0:40 offset1:41
	v_mov_b32_e32 v4, v184
	v_mov_b32_e32 v5, v185
	v_mov_b32_e32 v6, v142
	v_mov_b32_e32 v7, v143
	ds_write2_b64 v68, v[4:5], v[6:7] offset0:42 offset1:43
	v_mov_b32_e32 v4, v182
	v_mov_b32_e32 v5, v183
	v_mov_b32_e32 v6, v140
	v_mov_b32_e32 v7, v141
	ds_write2_b64 v68, v[4:5], v[6:7] offset0:44 offset1:45
	v_mov_b32_e32 v4, v180
	v_mov_b32_e32 v5, v181
	v_mov_b32_e32 v6, v138
	v_mov_b32_e32 v7, v139
	ds_write2_b64 v68, v[4:5], v[6:7] offset0:46 offset1:47
	v_mov_b32_e32 v4, v178
	v_mov_b32_e32 v5, v179
	v_mov_b32_e32 v6, v136
	v_mov_b32_e32 v7, v137
	ds_write2_b64 v68, v[4:5], v[6:7] offset0:48 offset1:49
	v_mov_b32_e32 v4, v176
	v_mov_b32_e32 v5, v177
	v_mov_b32_e32 v6, v134
	v_mov_b32_e32 v7, v135
	ds_write2_b64 v68, v[4:5], v[6:7] offset0:50 offset1:51
	v_mov_b32_e32 v4, v174
	v_mov_b32_e32 v5, v175
	v_mov_b32_e32 v6, v132
	v_mov_b32_e32 v7, v133
	ds_write2_b64 v68, v[4:5], v[6:7] offset0:52 offset1:53
	v_mov_b32_e32 v4, v172
	v_mov_b32_e32 v5, v173
	v_mov_b32_e32 v6, v130
	v_mov_b32_e32 v7, v131
	ds_write2_b64 v68, v[4:5], v[6:7] offset0:54 offset1:55
	v_mov_b32_e32 v4, v170
	v_mov_b32_e32 v5, v171
	v_mov_b32_e32 v6, v128
	v_mov_b32_e32 v7, v129
	ds_write2_b64 v68, v[4:5], v[6:7] offset0:56 offset1:57
	v_mov_b32_e32 v4, v168
	v_mov_b32_e32 v5, v169
	v_mov_b32_e32 v6, v126
	v_mov_b32_e32 v7, v127
	ds_write2_b64 v68, v[4:5], v[6:7] offset0:58 offset1:59
	ds_write_b64 v68, v[246:247] offset:480
	ds_read_b64 v[4:5], v1
	s_waitcnt lgkmcnt(0)
	v_cmp_neq_f64_e32 vcc_lo, 0, v[4:5]
	s_and_b32 exec_lo, exec_lo, vcc_lo
	s_cbranch_execz .LBB121_19
; %bb.18:
	v_div_scale_f64 v[6:7], null, v[4:5], v[4:5], 1.0
	v_rcp_f64_e32 v[8:9], v[6:7]
	v_fma_f64 v[10:11], -v[6:7], v[8:9], 1.0
	v_fma_f64 v[8:9], v[8:9], v[10:11], v[8:9]
	v_fma_f64 v[10:11], -v[6:7], v[8:9], 1.0
	v_fma_f64 v[8:9], v[8:9], v[10:11], v[8:9]
	v_div_scale_f64 v[10:11], vcc_lo, 1.0, v[4:5], 1.0
	v_mul_f64 v[12:13], v[10:11], v[8:9]
	v_fma_f64 v[6:7], -v[6:7], v[12:13], v[10:11]
	v_div_fmas_f64 v[6:7], v[6:7], v[8:9], v[12:13]
	v_div_fixup_f64 v[4:5], v[6:7], v[4:5], 1.0
	ds_write_b64 v1, v[4:5]
.LBB121_19:
	s_or_b32 exec_lo, exec_lo, s1
	s_waitcnt lgkmcnt(0)
	s_barrier
	buffer_gl0_inv
	ds_read_b64 v[4:5], v1
	s_mov_b32 s1, exec_lo
	s_waitcnt lgkmcnt(0)
	buffer_store_dword v4, off, s[12:15], 0 offset:280 ; 4-byte Folded Spill
	buffer_store_dword v5, off, s[12:15], 0 offset:284 ; 4-byte Folded Spill
	v_cmpx_lt_u32_e32 3, v0
	s_cbranch_execz .LBB121_21
; %bb.20:
	s_clause 0x1
	buffer_load_dword v4, off, s[12:15], 0 offset:280
	buffer_load_dword v5, off, s[12:15], 0 offset:284
	s_waitcnt vmcnt(0)
	v_mul_f64 v[224:225], v[4:5], v[224:225]
	ds_read2_b64 v[4:7], v68 offset0:4 offset1:5
	s_waitcnt lgkmcnt(0)
	v_fma_f64 v[242:243], -v[224:225], v[4:5], v[242:243]
	v_fma_f64 v[222:223], -v[224:225], v[6:7], v[222:223]
	ds_read2_b64 v[4:7], v68 offset0:6 offset1:7
	s_waitcnt lgkmcnt(0)
	v_fma_f64 v[240:241], -v[224:225], v[4:5], v[240:241]
	v_fma_f64 v[220:221], -v[224:225], v[6:7], v[220:221]
	;; [unrolled: 4-line block ×27, first 2 shown]
	ds_read2_b64 v[4:7], v68 offset0:58 offset1:59
	s_waitcnt lgkmcnt(0)
	v_fma_f64 v[168:169], -v[224:225], v[4:5], v[168:169]
	ds_read_b64 v[4:5], v68 offset:480
	v_fma_f64 v[126:127], -v[224:225], v[6:7], v[126:127]
	s_waitcnt lgkmcnt(0)
	v_fma_f64 v[246:247], -v[224:225], v[4:5], v[246:247]
.LBB121_21:
	s_or_b32 exec_lo, exec_lo, s1
	s_mov_b32 s1, exec_lo
	s_waitcnt_vscnt null, 0x0
	s_barrier
	buffer_gl0_inv
	v_cmpx_eq_u32_e32 4, v0
	s_cbranch_execz .LBB121_24
; %bb.22:
	ds_write_b64 v1, v[242:243]
	ds_write2_b64 v68, v[222:223], v[240:241] offset0:5 offset1:6
	ds_write2_b64 v68, v[220:221], v[238:239] offset0:7 offset1:8
	;; [unrolled: 1-line block ×28, first 2 shown]
	ds_read_b64 v[4:5], v1
	s_waitcnt lgkmcnt(0)
	v_cmp_neq_f64_e32 vcc_lo, 0, v[4:5]
	s_and_b32 exec_lo, exec_lo, vcc_lo
	s_cbranch_execz .LBB121_24
; %bb.23:
	v_div_scale_f64 v[6:7], null, v[4:5], v[4:5], 1.0
	v_rcp_f64_e32 v[8:9], v[6:7]
	v_fma_f64 v[10:11], -v[6:7], v[8:9], 1.0
	v_fma_f64 v[8:9], v[8:9], v[10:11], v[8:9]
	v_fma_f64 v[10:11], -v[6:7], v[8:9], 1.0
	v_fma_f64 v[8:9], v[8:9], v[10:11], v[8:9]
	v_div_scale_f64 v[10:11], vcc_lo, 1.0, v[4:5], 1.0
	v_mul_f64 v[12:13], v[10:11], v[8:9]
	v_fma_f64 v[6:7], -v[6:7], v[12:13], v[10:11]
	v_div_fmas_f64 v[6:7], v[6:7], v[8:9], v[12:13]
	v_div_fixup_f64 v[4:5], v[6:7], v[4:5], 1.0
	ds_write_b64 v1, v[4:5]
.LBB121_24:
	s_or_b32 exec_lo, exec_lo, s1
	s_waitcnt lgkmcnt(0)
	s_barrier
	buffer_gl0_inv
	ds_read_b64 v[4:5], v1
	s_mov_b32 s1, exec_lo
	s_waitcnt lgkmcnt(0)
	buffer_store_dword v4, off, s[12:15], 0 offset:288 ; 4-byte Folded Spill
	buffer_store_dword v5, off, s[12:15], 0 offset:292 ; 4-byte Folded Spill
	v_cmpx_lt_u32_e32 4, v0
	s_cbranch_execz .LBB121_26
; %bb.25:
	s_clause 0x1
	buffer_load_dword v4, off, s[12:15], 0 offset:288
	buffer_load_dword v5, off, s[12:15], 0 offset:292
	s_waitcnt vmcnt(0)
	v_mul_f64 v[242:243], v[4:5], v[242:243]
	ds_read2_b64 v[4:7], v68 offset0:5 offset1:6
	s_waitcnt lgkmcnt(0)
	v_fma_f64 v[222:223], -v[242:243], v[4:5], v[222:223]
	v_fma_f64 v[240:241], -v[242:243], v[6:7], v[240:241]
	ds_read2_b64 v[4:7], v68 offset0:7 offset1:8
	s_waitcnt lgkmcnt(0)
	v_fma_f64 v[220:221], -v[242:243], v[4:5], v[220:221]
	v_fma_f64 v[238:239], -v[242:243], v[6:7], v[238:239]
	;; [unrolled: 4-line block ×28, first 2 shown]
.LBB121_26:
	s_or_b32 exec_lo, exec_lo, s1
	s_mov_b32 s1, exec_lo
	s_waitcnt_vscnt null, 0x0
	s_barrier
	buffer_gl0_inv
	v_cmpx_eq_u32_e32 5, v0
	s_cbranch_execz .LBB121_29
; %bb.27:
	v_mov_b32_e32 v4, v240
	v_mov_b32_e32 v5, v241
	;; [unrolled: 1-line block ×4, first 2 shown]
	ds_write_b64 v1, v[222:223]
	ds_write2_b64 v68, v[4:5], v[6:7] offset0:6 offset1:7
	v_mov_b32_e32 v4, v238
	v_mov_b32_e32 v5, v239
	v_mov_b32_e32 v6, v218
	v_mov_b32_e32 v7, v219
	ds_write2_b64 v68, v[4:5], v[6:7] offset0:8 offset1:9
	v_mov_b32_e32 v4, v236
	v_mov_b32_e32 v5, v237
	v_mov_b32_e32 v6, v216
	v_mov_b32_e32 v7, v217
	;; [unrolled: 5-line block ×26, first 2 shown]
	ds_write2_b64 v68, v[4:5], v[6:7] offset0:58 offset1:59
	ds_write_b64 v68, v[246:247] offset:480
	ds_read_b64 v[4:5], v1
	s_waitcnt lgkmcnt(0)
	v_cmp_neq_f64_e32 vcc_lo, 0, v[4:5]
	s_and_b32 exec_lo, exec_lo, vcc_lo
	s_cbranch_execz .LBB121_29
; %bb.28:
	v_div_scale_f64 v[6:7], null, v[4:5], v[4:5], 1.0
	v_rcp_f64_e32 v[8:9], v[6:7]
	v_fma_f64 v[10:11], -v[6:7], v[8:9], 1.0
	v_fma_f64 v[8:9], v[8:9], v[10:11], v[8:9]
	v_fma_f64 v[10:11], -v[6:7], v[8:9], 1.0
	v_fma_f64 v[8:9], v[8:9], v[10:11], v[8:9]
	v_div_scale_f64 v[10:11], vcc_lo, 1.0, v[4:5], 1.0
	v_mul_f64 v[12:13], v[10:11], v[8:9]
	v_fma_f64 v[6:7], -v[6:7], v[12:13], v[10:11]
	v_div_fmas_f64 v[6:7], v[6:7], v[8:9], v[12:13]
	v_div_fixup_f64 v[4:5], v[6:7], v[4:5], 1.0
	ds_write_b64 v1, v[4:5]
.LBB121_29:
	s_or_b32 exec_lo, exec_lo, s1
	s_waitcnt lgkmcnt(0)
	s_barrier
	buffer_gl0_inv
	ds_read_b64 v[4:5], v1
	s_mov_b32 s1, exec_lo
	s_waitcnt lgkmcnt(0)
	buffer_store_dword v4, off, s[12:15], 0 offset:296 ; 4-byte Folded Spill
	buffer_store_dword v5, off, s[12:15], 0 offset:300 ; 4-byte Folded Spill
	v_cmpx_lt_u32_e32 5, v0
	s_cbranch_execz .LBB121_31
; %bb.30:
	s_clause 0x1
	buffer_load_dword v4, off, s[12:15], 0 offset:296
	buffer_load_dword v5, off, s[12:15], 0 offset:300
	s_waitcnt vmcnt(0)
	v_mul_f64 v[222:223], v[4:5], v[222:223]
	ds_read2_b64 v[4:7], v68 offset0:6 offset1:7
	s_waitcnt lgkmcnt(0)
	v_fma_f64 v[240:241], -v[222:223], v[4:5], v[240:241]
	v_fma_f64 v[220:221], -v[222:223], v[6:7], v[220:221]
	ds_read2_b64 v[4:7], v68 offset0:8 offset1:9
	s_waitcnt lgkmcnt(0)
	v_fma_f64 v[238:239], -v[222:223], v[4:5], v[238:239]
	v_fma_f64 v[218:219], -v[222:223], v[6:7], v[218:219]
	;; [unrolled: 4-line block ×26, first 2 shown]
	ds_read2_b64 v[4:7], v68 offset0:58 offset1:59
	s_waitcnt lgkmcnt(0)
	v_fma_f64 v[168:169], -v[222:223], v[4:5], v[168:169]
	ds_read_b64 v[4:5], v68 offset:480
	v_fma_f64 v[126:127], -v[222:223], v[6:7], v[126:127]
	s_waitcnt lgkmcnt(0)
	v_fma_f64 v[246:247], -v[222:223], v[4:5], v[246:247]
.LBB121_31:
	s_or_b32 exec_lo, exec_lo, s1
	s_mov_b32 s1, exec_lo
	s_waitcnt_vscnt null, 0x0
	s_barrier
	buffer_gl0_inv
	v_cmpx_eq_u32_e32 6, v0
	s_cbranch_execz .LBB121_34
; %bb.32:
	ds_write_b64 v1, v[240:241]
	ds_write2_b64 v68, v[220:221], v[238:239] offset0:7 offset1:8
	ds_write2_b64 v68, v[218:219], v[236:237] offset0:9 offset1:10
	ds_write2_b64 v68, v[216:217], v[234:235] offset0:11 offset1:12
	ds_write2_b64 v68, v[214:215], v[232:233] offset0:13 offset1:14
	ds_write2_b64 v68, v[212:213], v[230:231] offset0:15 offset1:16
	ds_write2_b64 v68, v[210:211], v[228:229] offset0:17 offset1:18
	ds_write2_b64 v68, v[166:167], v[206:207] offset0:19 offset1:20
	ds_write2_b64 v68, v[164:165], v[204:205] offset0:21 offset1:22
	ds_write2_b64 v68, v[162:163], v[202:203] offset0:23 offset1:24
	ds_write2_b64 v68, v[160:161], v[200:201] offset0:25 offset1:26
	ds_write2_b64 v68, v[158:159], v[198:199] offset0:27 offset1:28
	ds_write2_b64 v68, v[156:157], v[196:197] offset0:29 offset1:30
	ds_write2_b64 v68, v[154:155], v[194:195] offset0:31 offset1:32
	ds_write2_b64 v68, v[152:153], v[192:193] offset0:33 offset1:34
	ds_write2_b64 v68, v[150:151], v[190:191] offset0:35 offset1:36
	ds_write2_b64 v68, v[148:149], v[188:189] offset0:37 offset1:38
	ds_write2_b64 v68, v[146:147], v[186:187] offset0:39 offset1:40
	ds_write2_b64 v68, v[144:145], v[184:185] offset0:41 offset1:42
	ds_write2_b64 v68, v[142:143], v[182:183] offset0:43 offset1:44
	ds_write2_b64 v68, v[140:141], v[180:181] offset0:45 offset1:46
	ds_write2_b64 v68, v[138:139], v[178:179] offset0:47 offset1:48
	ds_write2_b64 v68, v[136:137], v[176:177] offset0:49 offset1:50
	ds_write2_b64 v68, v[134:135], v[174:175] offset0:51 offset1:52
	ds_write2_b64 v68, v[132:133], v[172:173] offset0:53 offset1:54
	ds_write2_b64 v68, v[130:131], v[170:171] offset0:55 offset1:56
	ds_write2_b64 v68, v[128:129], v[168:169] offset0:57 offset1:58
	ds_write2_b64 v68, v[126:127], v[246:247] offset0:59 offset1:60
	ds_read_b64 v[4:5], v1
	s_waitcnt lgkmcnt(0)
	v_cmp_neq_f64_e32 vcc_lo, 0, v[4:5]
	s_and_b32 exec_lo, exec_lo, vcc_lo
	s_cbranch_execz .LBB121_34
; %bb.33:
	v_div_scale_f64 v[6:7], null, v[4:5], v[4:5], 1.0
	v_rcp_f64_e32 v[8:9], v[6:7]
	v_fma_f64 v[10:11], -v[6:7], v[8:9], 1.0
	v_fma_f64 v[8:9], v[8:9], v[10:11], v[8:9]
	v_fma_f64 v[10:11], -v[6:7], v[8:9], 1.0
	v_fma_f64 v[8:9], v[8:9], v[10:11], v[8:9]
	v_div_scale_f64 v[10:11], vcc_lo, 1.0, v[4:5], 1.0
	v_mul_f64 v[12:13], v[10:11], v[8:9]
	v_fma_f64 v[6:7], -v[6:7], v[12:13], v[10:11]
	v_div_fmas_f64 v[6:7], v[6:7], v[8:9], v[12:13]
	v_div_fixup_f64 v[4:5], v[6:7], v[4:5], 1.0
	ds_write_b64 v1, v[4:5]
.LBB121_34:
	s_or_b32 exec_lo, exec_lo, s1
	s_waitcnt lgkmcnt(0)
	s_barrier
	buffer_gl0_inv
	ds_read_b64 v[4:5], v1
	s_mov_b32 s1, exec_lo
	s_waitcnt lgkmcnt(0)
	buffer_store_dword v4, off, s[12:15], 0 offset:304 ; 4-byte Folded Spill
	buffer_store_dword v5, off, s[12:15], 0 offset:308 ; 4-byte Folded Spill
	v_cmpx_lt_u32_e32 6, v0
	s_cbranch_execz .LBB121_36
; %bb.35:
	s_clause 0x1
	buffer_load_dword v4, off, s[12:15], 0 offset:304
	buffer_load_dword v5, off, s[12:15], 0 offset:308
	s_waitcnt vmcnt(0)
	v_mul_f64 v[240:241], v[4:5], v[240:241]
	ds_read2_b64 v[4:7], v68 offset0:7 offset1:8
	s_waitcnt lgkmcnt(0)
	v_fma_f64 v[220:221], -v[240:241], v[4:5], v[220:221]
	v_fma_f64 v[238:239], -v[240:241], v[6:7], v[238:239]
	ds_read2_b64 v[4:7], v68 offset0:9 offset1:10
	s_waitcnt lgkmcnt(0)
	v_fma_f64 v[218:219], -v[240:241], v[4:5], v[218:219]
	v_fma_f64 v[236:237], -v[240:241], v[6:7], v[236:237]
	;; [unrolled: 4-line block ×27, first 2 shown]
.LBB121_36:
	s_or_b32 exec_lo, exec_lo, s1
	s_mov_b32 s1, exec_lo
	s_waitcnt_vscnt null, 0x0
	s_barrier
	buffer_gl0_inv
	v_cmpx_eq_u32_e32 7, v0
	s_cbranch_execz .LBB121_39
; %bb.37:
	v_mov_b32_e32 v4, v238
	v_mov_b32_e32 v5, v239
	;; [unrolled: 1-line block ×4, first 2 shown]
	ds_write_b64 v1, v[220:221]
	ds_write2_b64 v68, v[4:5], v[6:7] offset0:8 offset1:9
	v_mov_b32_e32 v4, v236
	v_mov_b32_e32 v5, v237
	v_mov_b32_e32 v6, v216
	v_mov_b32_e32 v7, v217
	ds_write2_b64 v68, v[4:5], v[6:7] offset0:10 offset1:11
	v_mov_b32_e32 v4, v234
	v_mov_b32_e32 v5, v235
	v_mov_b32_e32 v6, v214
	v_mov_b32_e32 v7, v215
	;; [unrolled: 5-line block ×25, first 2 shown]
	ds_write2_b64 v68, v[4:5], v[6:7] offset0:58 offset1:59
	ds_write_b64 v68, v[246:247] offset:480
	ds_read_b64 v[4:5], v1
	s_waitcnt lgkmcnt(0)
	v_cmp_neq_f64_e32 vcc_lo, 0, v[4:5]
	s_and_b32 exec_lo, exec_lo, vcc_lo
	s_cbranch_execz .LBB121_39
; %bb.38:
	v_div_scale_f64 v[6:7], null, v[4:5], v[4:5], 1.0
	v_rcp_f64_e32 v[8:9], v[6:7]
	v_fma_f64 v[10:11], -v[6:7], v[8:9], 1.0
	v_fma_f64 v[8:9], v[8:9], v[10:11], v[8:9]
	v_fma_f64 v[10:11], -v[6:7], v[8:9], 1.0
	v_fma_f64 v[8:9], v[8:9], v[10:11], v[8:9]
	v_div_scale_f64 v[10:11], vcc_lo, 1.0, v[4:5], 1.0
	v_mul_f64 v[12:13], v[10:11], v[8:9]
	v_fma_f64 v[6:7], -v[6:7], v[12:13], v[10:11]
	v_div_fmas_f64 v[6:7], v[6:7], v[8:9], v[12:13]
	v_div_fixup_f64 v[4:5], v[6:7], v[4:5], 1.0
	ds_write_b64 v1, v[4:5]
.LBB121_39:
	s_or_b32 exec_lo, exec_lo, s1
	s_waitcnt lgkmcnt(0)
	s_barrier
	buffer_gl0_inv
	ds_read_b64 v[4:5], v1
	s_mov_b32 s1, exec_lo
	s_waitcnt lgkmcnt(0)
	buffer_store_dword v4, off, s[12:15], 0 offset:312 ; 4-byte Folded Spill
	buffer_store_dword v5, off, s[12:15], 0 offset:316 ; 4-byte Folded Spill
	v_cmpx_lt_u32_e32 7, v0
	s_cbranch_execz .LBB121_41
; %bb.40:
	s_clause 0x1
	buffer_load_dword v4, off, s[12:15], 0 offset:312
	buffer_load_dword v5, off, s[12:15], 0 offset:316
	s_waitcnt vmcnt(0)
	v_mul_f64 v[220:221], v[4:5], v[220:221]
	ds_read2_b64 v[4:7], v68 offset0:8 offset1:9
	s_waitcnt lgkmcnt(0)
	v_fma_f64 v[238:239], -v[220:221], v[4:5], v[238:239]
	v_fma_f64 v[218:219], -v[220:221], v[6:7], v[218:219]
	ds_read2_b64 v[4:7], v68 offset0:10 offset1:11
	s_waitcnt lgkmcnt(0)
	v_fma_f64 v[236:237], -v[220:221], v[4:5], v[236:237]
	v_fma_f64 v[216:217], -v[220:221], v[6:7], v[216:217]
	;; [unrolled: 4-line block ×25, first 2 shown]
	ds_read2_b64 v[4:7], v68 offset0:58 offset1:59
	s_waitcnt lgkmcnt(0)
	v_fma_f64 v[168:169], -v[220:221], v[4:5], v[168:169]
	ds_read_b64 v[4:5], v68 offset:480
	v_fma_f64 v[126:127], -v[220:221], v[6:7], v[126:127]
	s_waitcnt lgkmcnt(0)
	v_fma_f64 v[246:247], -v[220:221], v[4:5], v[246:247]
.LBB121_41:
	s_or_b32 exec_lo, exec_lo, s1
	s_mov_b32 s1, exec_lo
	s_waitcnt_vscnt null, 0x0
	s_barrier
	buffer_gl0_inv
	v_cmpx_eq_u32_e32 8, v0
	s_cbranch_execz .LBB121_44
; %bb.42:
	ds_write_b64 v1, v[238:239]
	ds_write2_b64 v68, v[218:219], v[236:237] offset0:9 offset1:10
	ds_write2_b64 v68, v[216:217], v[234:235] offset0:11 offset1:12
	;; [unrolled: 1-line block ×26, first 2 shown]
	ds_read_b64 v[4:5], v1
	s_waitcnt lgkmcnt(0)
	v_cmp_neq_f64_e32 vcc_lo, 0, v[4:5]
	s_and_b32 exec_lo, exec_lo, vcc_lo
	s_cbranch_execz .LBB121_44
; %bb.43:
	v_div_scale_f64 v[6:7], null, v[4:5], v[4:5], 1.0
	v_rcp_f64_e32 v[8:9], v[6:7]
	v_fma_f64 v[10:11], -v[6:7], v[8:9], 1.0
	v_fma_f64 v[8:9], v[8:9], v[10:11], v[8:9]
	v_fma_f64 v[10:11], -v[6:7], v[8:9], 1.0
	v_fma_f64 v[8:9], v[8:9], v[10:11], v[8:9]
	v_div_scale_f64 v[10:11], vcc_lo, 1.0, v[4:5], 1.0
	v_mul_f64 v[12:13], v[10:11], v[8:9]
	v_fma_f64 v[6:7], -v[6:7], v[12:13], v[10:11]
	v_div_fmas_f64 v[6:7], v[6:7], v[8:9], v[12:13]
	v_div_fixup_f64 v[4:5], v[6:7], v[4:5], 1.0
	ds_write_b64 v1, v[4:5]
.LBB121_44:
	s_or_b32 exec_lo, exec_lo, s1
	s_waitcnt lgkmcnt(0)
	s_barrier
	buffer_gl0_inv
	ds_read_b64 v[4:5], v1
	s_mov_b32 s1, exec_lo
	s_waitcnt lgkmcnt(0)
	buffer_store_dword v4, off, s[12:15], 0 offset:320 ; 4-byte Folded Spill
	buffer_store_dword v5, off, s[12:15], 0 offset:324 ; 4-byte Folded Spill
	v_cmpx_lt_u32_e32 8, v0
	s_cbranch_execz .LBB121_46
; %bb.45:
	s_clause 0x1
	buffer_load_dword v4, off, s[12:15], 0 offset:320
	buffer_load_dword v5, off, s[12:15], 0 offset:324
	s_waitcnt vmcnt(0)
	v_mul_f64 v[238:239], v[4:5], v[238:239]
	ds_read2_b64 v[4:7], v68 offset0:9 offset1:10
	s_waitcnt lgkmcnt(0)
	v_fma_f64 v[218:219], -v[238:239], v[4:5], v[218:219]
	v_fma_f64 v[236:237], -v[238:239], v[6:7], v[236:237]
	ds_read2_b64 v[4:7], v68 offset0:11 offset1:12
	s_waitcnt lgkmcnt(0)
	v_fma_f64 v[216:217], -v[238:239], v[4:5], v[216:217]
	v_fma_f64 v[234:235], -v[238:239], v[6:7], v[234:235]
	;; [unrolled: 4-line block ×26, first 2 shown]
.LBB121_46:
	s_or_b32 exec_lo, exec_lo, s1
	s_mov_b32 s1, exec_lo
	s_waitcnt_vscnt null, 0x0
	s_barrier
	buffer_gl0_inv
	v_cmpx_eq_u32_e32 9, v0
	s_cbranch_execz .LBB121_49
; %bb.47:
	v_mov_b32_e32 v4, v236
	v_mov_b32_e32 v5, v237
	;; [unrolled: 1-line block ×4, first 2 shown]
	ds_write_b64 v1, v[218:219]
	ds_write2_b64 v68, v[4:5], v[6:7] offset0:10 offset1:11
	v_mov_b32_e32 v4, v234
	v_mov_b32_e32 v5, v235
	v_mov_b32_e32 v6, v214
	v_mov_b32_e32 v7, v215
	ds_write2_b64 v68, v[4:5], v[6:7] offset0:12 offset1:13
	v_mov_b32_e32 v4, v232
	v_mov_b32_e32 v5, v233
	v_mov_b32_e32 v6, v212
	v_mov_b32_e32 v7, v213
	;; [unrolled: 5-line block ×24, first 2 shown]
	ds_write2_b64 v68, v[4:5], v[6:7] offset0:58 offset1:59
	ds_write_b64 v68, v[246:247] offset:480
	ds_read_b64 v[4:5], v1
	s_waitcnt lgkmcnt(0)
	v_cmp_neq_f64_e32 vcc_lo, 0, v[4:5]
	s_and_b32 exec_lo, exec_lo, vcc_lo
	s_cbranch_execz .LBB121_49
; %bb.48:
	v_div_scale_f64 v[6:7], null, v[4:5], v[4:5], 1.0
	v_rcp_f64_e32 v[8:9], v[6:7]
	v_fma_f64 v[10:11], -v[6:7], v[8:9], 1.0
	v_fma_f64 v[8:9], v[8:9], v[10:11], v[8:9]
	v_fma_f64 v[10:11], -v[6:7], v[8:9], 1.0
	v_fma_f64 v[8:9], v[8:9], v[10:11], v[8:9]
	v_div_scale_f64 v[10:11], vcc_lo, 1.0, v[4:5], 1.0
	v_mul_f64 v[12:13], v[10:11], v[8:9]
	v_fma_f64 v[6:7], -v[6:7], v[12:13], v[10:11]
	v_div_fmas_f64 v[6:7], v[6:7], v[8:9], v[12:13]
	v_div_fixup_f64 v[4:5], v[6:7], v[4:5], 1.0
	ds_write_b64 v1, v[4:5]
.LBB121_49:
	s_or_b32 exec_lo, exec_lo, s1
	s_waitcnt lgkmcnt(0)
	s_barrier
	buffer_gl0_inv
	ds_read_b64 v[4:5], v1
	s_mov_b32 s1, exec_lo
	s_waitcnt lgkmcnt(0)
	buffer_store_dword v4, off, s[12:15], 0 offset:328 ; 4-byte Folded Spill
	buffer_store_dword v5, off, s[12:15], 0 offset:332 ; 4-byte Folded Spill
	v_cmpx_lt_u32_e32 9, v0
	s_cbranch_execz .LBB121_51
; %bb.50:
	s_clause 0x1
	buffer_load_dword v4, off, s[12:15], 0 offset:328
	buffer_load_dword v5, off, s[12:15], 0 offset:332
	s_waitcnt vmcnt(0)
	v_mul_f64 v[218:219], v[4:5], v[218:219]
	ds_read2_b64 v[4:7], v68 offset0:10 offset1:11
	s_waitcnt lgkmcnt(0)
	v_fma_f64 v[236:237], -v[218:219], v[4:5], v[236:237]
	v_fma_f64 v[216:217], -v[218:219], v[6:7], v[216:217]
	ds_read2_b64 v[4:7], v68 offset0:12 offset1:13
	s_waitcnt lgkmcnt(0)
	v_fma_f64 v[234:235], -v[218:219], v[4:5], v[234:235]
	v_fma_f64 v[214:215], -v[218:219], v[6:7], v[214:215]
	ds_read2_b64 v[4:7], v68 offset0:14 offset1:15
	s_waitcnt lgkmcnt(0)
	v_fma_f64 v[232:233], -v[218:219], v[4:5], v[232:233]
	v_fma_f64 v[212:213], -v[218:219], v[6:7], v[212:213]
	ds_read2_b64 v[4:7], v68 offset0:16 offset1:17
	s_waitcnt lgkmcnt(0)
	v_fma_f64 v[230:231], -v[218:219], v[4:5], v[230:231]
	v_fma_f64 v[210:211], -v[218:219], v[6:7], v[210:211]
	ds_read2_b64 v[4:7], v68 offset0:18 offset1:19
	s_waitcnt lgkmcnt(0)
	v_fma_f64 v[228:229], -v[218:219], v[4:5], v[228:229]
	v_fma_f64 v[166:167], -v[218:219], v[6:7], v[166:167]
	ds_read2_b64 v[4:7], v68 offset0:20 offset1:21
	s_waitcnt lgkmcnt(0)
	v_fma_f64 v[206:207], -v[218:219], v[4:5], v[206:207]
	v_fma_f64 v[164:165], -v[218:219], v[6:7], v[164:165]
	ds_read2_b64 v[4:7], v68 offset0:22 offset1:23
	s_waitcnt lgkmcnt(0)
	v_fma_f64 v[204:205], -v[218:219], v[4:5], v[204:205]
	v_fma_f64 v[162:163], -v[218:219], v[6:7], v[162:163]
	ds_read2_b64 v[4:7], v68 offset0:24 offset1:25
	s_waitcnt lgkmcnt(0)
	v_fma_f64 v[202:203], -v[218:219], v[4:5], v[202:203]
	v_fma_f64 v[160:161], -v[218:219], v[6:7], v[160:161]
	ds_read2_b64 v[4:7], v68 offset0:26 offset1:27
	s_waitcnt lgkmcnt(0)
	v_fma_f64 v[200:201], -v[218:219], v[4:5], v[200:201]
	v_fma_f64 v[158:159], -v[218:219], v[6:7], v[158:159]
	ds_read2_b64 v[4:7], v68 offset0:28 offset1:29
	s_waitcnt lgkmcnt(0)
	v_fma_f64 v[198:199], -v[218:219], v[4:5], v[198:199]
	v_fma_f64 v[156:157], -v[218:219], v[6:7], v[156:157]
	ds_read2_b64 v[4:7], v68 offset0:30 offset1:31
	s_waitcnt lgkmcnt(0)
	v_fma_f64 v[196:197], -v[218:219], v[4:5], v[196:197]
	v_fma_f64 v[154:155], -v[218:219], v[6:7], v[154:155]
	ds_read2_b64 v[4:7], v68 offset0:32 offset1:33
	s_waitcnt lgkmcnt(0)
	v_fma_f64 v[194:195], -v[218:219], v[4:5], v[194:195]
	v_fma_f64 v[152:153], -v[218:219], v[6:7], v[152:153]
	ds_read2_b64 v[4:7], v68 offset0:34 offset1:35
	s_waitcnt lgkmcnt(0)
	v_fma_f64 v[192:193], -v[218:219], v[4:5], v[192:193]
	v_fma_f64 v[150:151], -v[218:219], v[6:7], v[150:151]
	ds_read2_b64 v[4:7], v68 offset0:36 offset1:37
	s_waitcnt lgkmcnt(0)
	v_fma_f64 v[190:191], -v[218:219], v[4:5], v[190:191]
	v_fma_f64 v[148:149], -v[218:219], v[6:7], v[148:149]
	ds_read2_b64 v[4:7], v68 offset0:38 offset1:39
	s_waitcnt lgkmcnt(0)
	v_fma_f64 v[188:189], -v[218:219], v[4:5], v[188:189]
	v_fma_f64 v[146:147], -v[218:219], v[6:7], v[146:147]
	ds_read2_b64 v[4:7], v68 offset0:40 offset1:41
	s_waitcnt lgkmcnt(0)
	v_fma_f64 v[186:187], -v[218:219], v[4:5], v[186:187]
	v_fma_f64 v[144:145], -v[218:219], v[6:7], v[144:145]
	ds_read2_b64 v[4:7], v68 offset0:42 offset1:43
	s_waitcnt lgkmcnt(0)
	v_fma_f64 v[184:185], -v[218:219], v[4:5], v[184:185]
	v_fma_f64 v[142:143], -v[218:219], v[6:7], v[142:143]
	ds_read2_b64 v[4:7], v68 offset0:44 offset1:45
	s_waitcnt lgkmcnt(0)
	v_fma_f64 v[182:183], -v[218:219], v[4:5], v[182:183]
	v_fma_f64 v[140:141], -v[218:219], v[6:7], v[140:141]
	ds_read2_b64 v[4:7], v68 offset0:46 offset1:47
	s_waitcnt lgkmcnt(0)
	v_fma_f64 v[180:181], -v[218:219], v[4:5], v[180:181]
	v_fma_f64 v[138:139], -v[218:219], v[6:7], v[138:139]
	ds_read2_b64 v[4:7], v68 offset0:48 offset1:49
	s_waitcnt lgkmcnt(0)
	v_fma_f64 v[178:179], -v[218:219], v[4:5], v[178:179]
	v_fma_f64 v[136:137], -v[218:219], v[6:7], v[136:137]
	ds_read2_b64 v[4:7], v68 offset0:50 offset1:51
	s_waitcnt lgkmcnt(0)
	v_fma_f64 v[176:177], -v[218:219], v[4:5], v[176:177]
	v_fma_f64 v[134:135], -v[218:219], v[6:7], v[134:135]
	ds_read2_b64 v[4:7], v68 offset0:52 offset1:53
	s_waitcnt lgkmcnt(0)
	v_fma_f64 v[174:175], -v[218:219], v[4:5], v[174:175]
	v_fma_f64 v[132:133], -v[218:219], v[6:7], v[132:133]
	ds_read2_b64 v[4:7], v68 offset0:54 offset1:55
	s_waitcnt lgkmcnt(0)
	v_fma_f64 v[172:173], -v[218:219], v[4:5], v[172:173]
	v_fma_f64 v[130:131], -v[218:219], v[6:7], v[130:131]
	ds_read2_b64 v[4:7], v68 offset0:56 offset1:57
	s_waitcnt lgkmcnt(0)
	v_fma_f64 v[170:171], -v[218:219], v[4:5], v[170:171]
	v_fma_f64 v[128:129], -v[218:219], v[6:7], v[128:129]
	ds_read2_b64 v[4:7], v68 offset0:58 offset1:59
	s_waitcnt lgkmcnt(0)
	v_fma_f64 v[168:169], -v[218:219], v[4:5], v[168:169]
	ds_read_b64 v[4:5], v68 offset:480
	v_fma_f64 v[126:127], -v[218:219], v[6:7], v[126:127]
	s_waitcnt lgkmcnt(0)
	v_fma_f64 v[246:247], -v[218:219], v[4:5], v[246:247]
.LBB121_51:
	s_or_b32 exec_lo, exec_lo, s1
	s_mov_b32 s1, exec_lo
	s_waitcnt_vscnt null, 0x0
	s_barrier
	buffer_gl0_inv
	v_cmpx_eq_u32_e32 10, v0
	s_cbranch_execz .LBB121_54
; %bb.52:
	ds_write_b64 v1, v[236:237]
	ds_write2_b64 v68, v[216:217], v[234:235] offset0:11 offset1:12
	ds_write2_b64 v68, v[214:215], v[232:233] offset0:13 offset1:14
	;; [unrolled: 1-line block ×25, first 2 shown]
	ds_read_b64 v[4:5], v1
	s_waitcnt lgkmcnt(0)
	v_cmp_neq_f64_e32 vcc_lo, 0, v[4:5]
	s_and_b32 exec_lo, exec_lo, vcc_lo
	s_cbranch_execz .LBB121_54
; %bb.53:
	v_div_scale_f64 v[6:7], null, v[4:5], v[4:5], 1.0
	v_rcp_f64_e32 v[8:9], v[6:7]
	v_fma_f64 v[10:11], -v[6:7], v[8:9], 1.0
	v_fma_f64 v[8:9], v[8:9], v[10:11], v[8:9]
	v_fma_f64 v[10:11], -v[6:7], v[8:9], 1.0
	v_fma_f64 v[8:9], v[8:9], v[10:11], v[8:9]
	v_div_scale_f64 v[10:11], vcc_lo, 1.0, v[4:5], 1.0
	v_mul_f64 v[12:13], v[10:11], v[8:9]
	v_fma_f64 v[6:7], -v[6:7], v[12:13], v[10:11]
	v_div_fmas_f64 v[6:7], v[6:7], v[8:9], v[12:13]
	v_div_fixup_f64 v[4:5], v[6:7], v[4:5], 1.0
	ds_write_b64 v1, v[4:5]
.LBB121_54:
	s_or_b32 exec_lo, exec_lo, s1
	s_waitcnt lgkmcnt(0)
	s_barrier
	buffer_gl0_inv
	ds_read_b64 v[4:5], v1
	s_mov_b32 s1, exec_lo
	s_waitcnt lgkmcnt(0)
	buffer_store_dword v4, off, s[12:15], 0 offset:336 ; 4-byte Folded Spill
	buffer_store_dword v5, off, s[12:15], 0 offset:340 ; 4-byte Folded Spill
	v_cmpx_lt_u32_e32 10, v0
	s_cbranch_execz .LBB121_56
; %bb.55:
	s_clause 0x1
	buffer_load_dword v4, off, s[12:15], 0 offset:336
	buffer_load_dword v5, off, s[12:15], 0 offset:340
	s_waitcnt vmcnt(0)
	v_mul_f64 v[236:237], v[4:5], v[236:237]
	ds_read2_b64 v[4:7], v68 offset0:11 offset1:12
	s_waitcnt lgkmcnt(0)
	v_fma_f64 v[216:217], -v[236:237], v[4:5], v[216:217]
	v_fma_f64 v[234:235], -v[236:237], v[6:7], v[234:235]
	ds_read2_b64 v[4:7], v68 offset0:13 offset1:14
	s_waitcnt lgkmcnt(0)
	v_fma_f64 v[214:215], -v[236:237], v[4:5], v[214:215]
	v_fma_f64 v[232:233], -v[236:237], v[6:7], v[232:233]
	;; [unrolled: 4-line block ×25, first 2 shown]
.LBB121_56:
	s_or_b32 exec_lo, exec_lo, s1
	s_mov_b32 s1, exec_lo
	s_waitcnt_vscnt null, 0x0
	s_barrier
	buffer_gl0_inv
	v_cmpx_eq_u32_e32 11, v0
	s_cbranch_execz .LBB121_59
; %bb.57:
	v_mov_b32_e32 v4, v234
	v_mov_b32_e32 v5, v235
	v_mov_b32_e32 v6, v214
	v_mov_b32_e32 v7, v215
	ds_write_b64 v1, v[216:217]
	ds_write2_b64 v68, v[4:5], v[6:7] offset0:12 offset1:13
	v_mov_b32_e32 v4, v232
	v_mov_b32_e32 v5, v233
	v_mov_b32_e32 v6, v212
	v_mov_b32_e32 v7, v213
	ds_write2_b64 v68, v[4:5], v[6:7] offset0:14 offset1:15
	v_mov_b32_e32 v4, v230
	v_mov_b32_e32 v5, v231
	v_mov_b32_e32 v6, v210
	v_mov_b32_e32 v7, v211
	;; [unrolled: 5-line block ×23, first 2 shown]
	ds_write2_b64 v68, v[4:5], v[6:7] offset0:58 offset1:59
	ds_write_b64 v68, v[246:247] offset:480
	ds_read_b64 v[4:5], v1
	s_waitcnt lgkmcnt(0)
	v_cmp_neq_f64_e32 vcc_lo, 0, v[4:5]
	s_and_b32 exec_lo, exec_lo, vcc_lo
	s_cbranch_execz .LBB121_59
; %bb.58:
	v_div_scale_f64 v[6:7], null, v[4:5], v[4:5], 1.0
	v_rcp_f64_e32 v[8:9], v[6:7]
	v_fma_f64 v[10:11], -v[6:7], v[8:9], 1.0
	v_fma_f64 v[8:9], v[8:9], v[10:11], v[8:9]
	v_fma_f64 v[10:11], -v[6:7], v[8:9], 1.0
	v_fma_f64 v[8:9], v[8:9], v[10:11], v[8:9]
	v_div_scale_f64 v[10:11], vcc_lo, 1.0, v[4:5], 1.0
	v_mul_f64 v[12:13], v[10:11], v[8:9]
	v_fma_f64 v[6:7], -v[6:7], v[12:13], v[10:11]
	v_div_fmas_f64 v[6:7], v[6:7], v[8:9], v[12:13]
	v_div_fixup_f64 v[4:5], v[6:7], v[4:5], 1.0
	ds_write_b64 v1, v[4:5]
.LBB121_59:
	s_or_b32 exec_lo, exec_lo, s1
	s_waitcnt lgkmcnt(0)
	s_barrier
	buffer_gl0_inv
	ds_read_b64 v[4:5], v1
	s_mov_b32 s1, exec_lo
	s_waitcnt lgkmcnt(0)
	buffer_store_dword v4, off, s[12:15], 0 offset:344 ; 4-byte Folded Spill
	buffer_store_dword v5, off, s[12:15], 0 offset:348 ; 4-byte Folded Spill
	v_cmpx_lt_u32_e32 11, v0
	s_cbranch_execz .LBB121_61
; %bb.60:
	s_clause 0x1
	buffer_load_dword v4, off, s[12:15], 0 offset:344
	buffer_load_dword v5, off, s[12:15], 0 offset:348
	s_waitcnt vmcnt(0)
	v_mul_f64 v[216:217], v[4:5], v[216:217]
	ds_read2_b64 v[4:7], v68 offset0:12 offset1:13
	s_waitcnt lgkmcnt(0)
	v_fma_f64 v[234:235], -v[216:217], v[4:5], v[234:235]
	v_fma_f64 v[214:215], -v[216:217], v[6:7], v[214:215]
	ds_read2_b64 v[4:7], v68 offset0:14 offset1:15
	s_waitcnt lgkmcnt(0)
	v_fma_f64 v[232:233], -v[216:217], v[4:5], v[232:233]
	v_fma_f64 v[212:213], -v[216:217], v[6:7], v[212:213]
	;; [unrolled: 4-line block ×23, first 2 shown]
	ds_read2_b64 v[4:7], v68 offset0:58 offset1:59
	s_waitcnt lgkmcnt(0)
	v_fma_f64 v[168:169], -v[216:217], v[4:5], v[168:169]
	ds_read_b64 v[4:5], v68 offset:480
	v_fma_f64 v[126:127], -v[216:217], v[6:7], v[126:127]
	s_waitcnt lgkmcnt(0)
	v_fma_f64 v[246:247], -v[216:217], v[4:5], v[246:247]
.LBB121_61:
	s_or_b32 exec_lo, exec_lo, s1
	s_mov_b32 s1, exec_lo
	s_waitcnt_vscnt null, 0x0
	s_barrier
	buffer_gl0_inv
	v_cmpx_eq_u32_e32 12, v0
	s_cbranch_execz .LBB121_64
; %bb.62:
	ds_write_b64 v1, v[234:235]
	ds_write2_b64 v68, v[214:215], v[232:233] offset0:13 offset1:14
	ds_write2_b64 v68, v[212:213], v[230:231] offset0:15 offset1:16
	;; [unrolled: 1-line block ×24, first 2 shown]
	ds_read_b64 v[4:5], v1
	s_waitcnt lgkmcnt(0)
	v_cmp_neq_f64_e32 vcc_lo, 0, v[4:5]
	s_and_b32 exec_lo, exec_lo, vcc_lo
	s_cbranch_execz .LBB121_64
; %bb.63:
	v_div_scale_f64 v[6:7], null, v[4:5], v[4:5], 1.0
	v_rcp_f64_e32 v[8:9], v[6:7]
	v_fma_f64 v[10:11], -v[6:7], v[8:9], 1.0
	v_fma_f64 v[8:9], v[8:9], v[10:11], v[8:9]
	v_fma_f64 v[10:11], -v[6:7], v[8:9], 1.0
	v_fma_f64 v[8:9], v[8:9], v[10:11], v[8:9]
	v_div_scale_f64 v[10:11], vcc_lo, 1.0, v[4:5], 1.0
	v_mul_f64 v[12:13], v[10:11], v[8:9]
	v_fma_f64 v[6:7], -v[6:7], v[12:13], v[10:11]
	v_div_fmas_f64 v[6:7], v[6:7], v[8:9], v[12:13]
	v_div_fixup_f64 v[4:5], v[6:7], v[4:5], 1.0
	ds_write_b64 v1, v[4:5]
.LBB121_64:
	s_or_b32 exec_lo, exec_lo, s1
	s_waitcnt lgkmcnt(0)
	s_barrier
	buffer_gl0_inv
	ds_read_b64 v[4:5], v1
	s_mov_b32 s1, exec_lo
	s_waitcnt lgkmcnt(0)
	buffer_store_dword v4, off, s[12:15], 0 offset:352 ; 4-byte Folded Spill
	buffer_store_dword v5, off, s[12:15], 0 offset:356 ; 4-byte Folded Spill
	v_cmpx_lt_u32_e32 12, v0
	s_cbranch_execz .LBB121_66
; %bb.65:
	s_clause 0x1
	buffer_load_dword v4, off, s[12:15], 0 offset:352
	buffer_load_dword v5, off, s[12:15], 0 offset:356
	s_waitcnt vmcnt(0)
	v_mul_f64 v[234:235], v[4:5], v[234:235]
	ds_read2_b64 v[4:7], v68 offset0:13 offset1:14
	s_waitcnt lgkmcnt(0)
	v_fma_f64 v[214:215], -v[234:235], v[4:5], v[214:215]
	v_fma_f64 v[232:233], -v[234:235], v[6:7], v[232:233]
	ds_read2_b64 v[4:7], v68 offset0:15 offset1:16
	s_waitcnt lgkmcnt(0)
	v_fma_f64 v[212:213], -v[234:235], v[4:5], v[212:213]
	v_fma_f64 v[230:231], -v[234:235], v[6:7], v[230:231]
	;; [unrolled: 4-line block ×24, first 2 shown]
.LBB121_66:
	s_or_b32 exec_lo, exec_lo, s1
	s_mov_b32 s1, exec_lo
	s_waitcnt_vscnt null, 0x0
	s_barrier
	buffer_gl0_inv
	v_cmpx_eq_u32_e32 13, v0
	s_cbranch_execz .LBB121_69
; %bb.67:
	v_mov_b32_e32 v4, v232
	v_mov_b32_e32 v5, v233
	;; [unrolled: 1-line block ×4, first 2 shown]
	ds_write_b64 v1, v[214:215]
	ds_write2_b64 v68, v[4:5], v[6:7] offset0:14 offset1:15
	v_mov_b32_e32 v4, v230
	v_mov_b32_e32 v5, v231
	v_mov_b32_e32 v6, v210
	v_mov_b32_e32 v7, v211
	ds_write2_b64 v68, v[4:5], v[6:7] offset0:16 offset1:17
	v_mov_b32_e32 v4, v228
	v_mov_b32_e32 v5, v229
	v_mov_b32_e32 v6, v166
	v_mov_b32_e32 v7, v167
	;; [unrolled: 5-line block ×22, first 2 shown]
	ds_write2_b64 v68, v[4:5], v[6:7] offset0:58 offset1:59
	ds_write_b64 v68, v[246:247] offset:480
	ds_read_b64 v[4:5], v1
	s_waitcnt lgkmcnt(0)
	v_cmp_neq_f64_e32 vcc_lo, 0, v[4:5]
	s_and_b32 exec_lo, exec_lo, vcc_lo
	s_cbranch_execz .LBB121_69
; %bb.68:
	v_div_scale_f64 v[6:7], null, v[4:5], v[4:5], 1.0
	v_rcp_f64_e32 v[8:9], v[6:7]
	v_fma_f64 v[10:11], -v[6:7], v[8:9], 1.0
	v_fma_f64 v[8:9], v[8:9], v[10:11], v[8:9]
	v_fma_f64 v[10:11], -v[6:7], v[8:9], 1.0
	v_fma_f64 v[8:9], v[8:9], v[10:11], v[8:9]
	v_div_scale_f64 v[10:11], vcc_lo, 1.0, v[4:5], 1.0
	v_mul_f64 v[12:13], v[10:11], v[8:9]
	v_fma_f64 v[6:7], -v[6:7], v[12:13], v[10:11]
	v_div_fmas_f64 v[6:7], v[6:7], v[8:9], v[12:13]
	v_div_fixup_f64 v[4:5], v[6:7], v[4:5], 1.0
	ds_write_b64 v1, v[4:5]
.LBB121_69:
	s_or_b32 exec_lo, exec_lo, s1
	s_waitcnt lgkmcnt(0)
	s_barrier
	buffer_gl0_inv
	ds_read_b64 v[4:5], v1
	s_mov_b32 s1, exec_lo
	s_waitcnt lgkmcnt(0)
	buffer_store_dword v4, off, s[12:15], 0 offset:360 ; 4-byte Folded Spill
	buffer_store_dword v5, off, s[12:15], 0 offset:364 ; 4-byte Folded Spill
	v_cmpx_lt_u32_e32 13, v0
	s_cbranch_execz .LBB121_71
; %bb.70:
	s_clause 0x1
	buffer_load_dword v4, off, s[12:15], 0 offset:360
	buffer_load_dword v5, off, s[12:15], 0 offset:364
	s_waitcnt vmcnt(0)
	v_mul_f64 v[214:215], v[4:5], v[214:215]
	ds_read2_b64 v[4:7], v68 offset0:14 offset1:15
	s_waitcnt lgkmcnt(0)
	v_fma_f64 v[232:233], -v[214:215], v[4:5], v[232:233]
	v_fma_f64 v[212:213], -v[214:215], v[6:7], v[212:213]
	ds_read2_b64 v[4:7], v68 offset0:16 offset1:17
	s_waitcnt lgkmcnt(0)
	v_fma_f64 v[230:231], -v[214:215], v[4:5], v[230:231]
	v_fma_f64 v[210:211], -v[214:215], v[6:7], v[210:211]
	;; [unrolled: 4-line block ×22, first 2 shown]
	ds_read2_b64 v[4:7], v68 offset0:58 offset1:59
	s_waitcnt lgkmcnt(0)
	v_fma_f64 v[168:169], -v[214:215], v[4:5], v[168:169]
	ds_read_b64 v[4:5], v68 offset:480
	v_fma_f64 v[126:127], -v[214:215], v[6:7], v[126:127]
	s_waitcnt lgkmcnt(0)
	v_fma_f64 v[246:247], -v[214:215], v[4:5], v[246:247]
.LBB121_71:
	s_or_b32 exec_lo, exec_lo, s1
	s_mov_b32 s1, exec_lo
	s_waitcnt_vscnt null, 0x0
	s_barrier
	buffer_gl0_inv
	v_cmpx_eq_u32_e32 14, v0
	s_cbranch_execz .LBB121_74
; %bb.72:
	ds_write_b64 v1, v[232:233]
	ds_write2_b64 v68, v[212:213], v[230:231] offset0:15 offset1:16
	ds_write2_b64 v68, v[210:211], v[228:229] offset0:17 offset1:18
	;; [unrolled: 1-line block ×23, first 2 shown]
	ds_read_b64 v[4:5], v1
	s_waitcnt lgkmcnt(0)
	v_cmp_neq_f64_e32 vcc_lo, 0, v[4:5]
	s_and_b32 exec_lo, exec_lo, vcc_lo
	s_cbranch_execz .LBB121_74
; %bb.73:
	v_div_scale_f64 v[6:7], null, v[4:5], v[4:5], 1.0
	v_rcp_f64_e32 v[8:9], v[6:7]
	v_fma_f64 v[10:11], -v[6:7], v[8:9], 1.0
	v_fma_f64 v[8:9], v[8:9], v[10:11], v[8:9]
	v_fma_f64 v[10:11], -v[6:7], v[8:9], 1.0
	v_fma_f64 v[8:9], v[8:9], v[10:11], v[8:9]
	v_div_scale_f64 v[10:11], vcc_lo, 1.0, v[4:5], 1.0
	v_mul_f64 v[12:13], v[10:11], v[8:9]
	v_fma_f64 v[6:7], -v[6:7], v[12:13], v[10:11]
	v_div_fmas_f64 v[6:7], v[6:7], v[8:9], v[12:13]
	v_div_fixup_f64 v[4:5], v[6:7], v[4:5], 1.0
	ds_write_b64 v1, v[4:5]
.LBB121_74:
	s_or_b32 exec_lo, exec_lo, s1
	s_waitcnt lgkmcnt(0)
	s_barrier
	buffer_gl0_inv
	ds_read_b64 v[4:5], v1
	s_mov_b32 s1, exec_lo
	s_waitcnt lgkmcnt(0)
	buffer_store_dword v4, off, s[12:15], 0 offset:368 ; 4-byte Folded Spill
	buffer_store_dword v5, off, s[12:15], 0 offset:372 ; 4-byte Folded Spill
	v_cmpx_lt_u32_e32 14, v0
	s_cbranch_execz .LBB121_76
; %bb.75:
	s_clause 0x1
	buffer_load_dword v4, off, s[12:15], 0 offset:368
	buffer_load_dword v5, off, s[12:15], 0 offset:372
	s_waitcnt vmcnt(0)
	v_mul_f64 v[232:233], v[4:5], v[232:233]
	ds_read2_b64 v[4:7], v68 offset0:15 offset1:16
	s_waitcnt lgkmcnt(0)
	v_fma_f64 v[212:213], -v[232:233], v[4:5], v[212:213]
	v_fma_f64 v[230:231], -v[232:233], v[6:7], v[230:231]
	ds_read2_b64 v[4:7], v68 offset0:17 offset1:18
	s_waitcnt lgkmcnt(0)
	v_fma_f64 v[210:211], -v[232:233], v[4:5], v[210:211]
	v_fma_f64 v[228:229], -v[232:233], v[6:7], v[228:229]
	;; [unrolled: 4-line block ×23, first 2 shown]
.LBB121_76:
	s_or_b32 exec_lo, exec_lo, s1
	s_mov_b32 s1, exec_lo
	s_waitcnt_vscnt null, 0x0
	s_barrier
	buffer_gl0_inv
	v_cmpx_eq_u32_e32 15, v0
	s_cbranch_execz .LBB121_79
; %bb.77:
	v_mov_b32_e32 v4, v230
	v_mov_b32_e32 v5, v231
	;; [unrolled: 1-line block ×4, first 2 shown]
	ds_write_b64 v1, v[212:213]
	ds_write2_b64 v68, v[4:5], v[6:7] offset0:16 offset1:17
	v_mov_b32_e32 v4, v228
	v_mov_b32_e32 v5, v229
	v_mov_b32_e32 v6, v166
	v_mov_b32_e32 v7, v167
	ds_write2_b64 v68, v[4:5], v[6:7] offset0:18 offset1:19
	v_mov_b32_e32 v4, v206
	v_mov_b32_e32 v5, v207
	v_mov_b32_e32 v6, v164
	v_mov_b32_e32 v7, v165
	;; [unrolled: 5-line block ×21, first 2 shown]
	ds_write2_b64 v68, v[4:5], v[6:7] offset0:58 offset1:59
	ds_write_b64 v68, v[246:247] offset:480
	ds_read_b64 v[4:5], v1
	s_waitcnt lgkmcnt(0)
	v_cmp_neq_f64_e32 vcc_lo, 0, v[4:5]
	s_and_b32 exec_lo, exec_lo, vcc_lo
	s_cbranch_execz .LBB121_79
; %bb.78:
	v_div_scale_f64 v[6:7], null, v[4:5], v[4:5], 1.0
	v_rcp_f64_e32 v[8:9], v[6:7]
	v_fma_f64 v[10:11], -v[6:7], v[8:9], 1.0
	v_fma_f64 v[8:9], v[8:9], v[10:11], v[8:9]
	v_fma_f64 v[10:11], -v[6:7], v[8:9], 1.0
	v_fma_f64 v[8:9], v[8:9], v[10:11], v[8:9]
	v_div_scale_f64 v[10:11], vcc_lo, 1.0, v[4:5], 1.0
	v_mul_f64 v[12:13], v[10:11], v[8:9]
	v_fma_f64 v[6:7], -v[6:7], v[12:13], v[10:11]
	v_div_fmas_f64 v[6:7], v[6:7], v[8:9], v[12:13]
	v_div_fixup_f64 v[4:5], v[6:7], v[4:5], 1.0
	ds_write_b64 v1, v[4:5]
.LBB121_79:
	s_or_b32 exec_lo, exec_lo, s1
	s_waitcnt lgkmcnt(0)
	s_barrier
	buffer_gl0_inv
	ds_read_b64 v[4:5], v1
	s_mov_b32 s1, exec_lo
	s_waitcnt lgkmcnt(0)
	buffer_store_dword v4, off, s[12:15], 0 offset:376 ; 4-byte Folded Spill
	buffer_store_dword v5, off, s[12:15], 0 offset:380 ; 4-byte Folded Spill
	v_cmpx_lt_u32_e32 15, v0
	s_cbranch_execz .LBB121_81
; %bb.80:
	s_clause 0x1
	buffer_load_dword v4, off, s[12:15], 0 offset:376
	buffer_load_dword v5, off, s[12:15], 0 offset:380
	s_waitcnt vmcnt(0)
	v_mul_f64 v[212:213], v[4:5], v[212:213]
	ds_read2_b64 v[4:7], v68 offset0:16 offset1:17
	s_waitcnt lgkmcnt(0)
	v_fma_f64 v[230:231], -v[212:213], v[4:5], v[230:231]
	v_fma_f64 v[210:211], -v[212:213], v[6:7], v[210:211]
	ds_read2_b64 v[4:7], v68 offset0:18 offset1:19
	s_waitcnt lgkmcnt(0)
	v_fma_f64 v[228:229], -v[212:213], v[4:5], v[228:229]
	v_fma_f64 v[166:167], -v[212:213], v[6:7], v[166:167]
	;; [unrolled: 4-line block ×21, first 2 shown]
	ds_read2_b64 v[4:7], v68 offset0:58 offset1:59
	s_waitcnt lgkmcnt(0)
	v_fma_f64 v[168:169], -v[212:213], v[4:5], v[168:169]
	ds_read_b64 v[4:5], v68 offset:480
	v_fma_f64 v[126:127], -v[212:213], v[6:7], v[126:127]
	s_waitcnt lgkmcnt(0)
	v_fma_f64 v[246:247], -v[212:213], v[4:5], v[246:247]
.LBB121_81:
	s_or_b32 exec_lo, exec_lo, s1
	s_mov_b32 s1, exec_lo
	s_waitcnt_vscnt null, 0x0
	s_barrier
	buffer_gl0_inv
	v_cmpx_eq_u32_e32 16, v0
	s_cbranch_execz .LBB121_84
; %bb.82:
	ds_write_b64 v1, v[230:231]
	ds_write2_b64 v68, v[210:211], v[228:229] offset0:17 offset1:18
	ds_write2_b64 v68, v[166:167], v[206:207] offset0:19 offset1:20
	;; [unrolled: 1-line block ×22, first 2 shown]
	ds_read_b64 v[4:5], v1
	s_waitcnt lgkmcnt(0)
	v_cmp_neq_f64_e32 vcc_lo, 0, v[4:5]
	s_and_b32 exec_lo, exec_lo, vcc_lo
	s_cbranch_execz .LBB121_84
; %bb.83:
	v_div_scale_f64 v[6:7], null, v[4:5], v[4:5], 1.0
	v_rcp_f64_e32 v[8:9], v[6:7]
	v_fma_f64 v[10:11], -v[6:7], v[8:9], 1.0
	v_fma_f64 v[8:9], v[8:9], v[10:11], v[8:9]
	v_fma_f64 v[10:11], -v[6:7], v[8:9], 1.0
	v_fma_f64 v[8:9], v[8:9], v[10:11], v[8:9]
	v_div_scale_f64 v[10:11], vcc_lo, 1.0, v[4:5], 1.0
	v_mul_f64 v[12:13], v[10:11], v[8:9]
	v_fma_f64 v[6:7], -v[6:7], v[12:13], v[10:11]
	v_div_fmas_f64 v[6:7], v[6:7], v[8:9], v[12:13]
	v_div_fixup_f64 v[4:5], v[6:7], v[4:5], 1.0
	ds_write_b64 v1, v[4:5]
.LBB121_84:
	s_or_b32 exec_lo, exec_lo, s1
	s_waitcnt lgkmcnt(0)
	s_barrier
	buffer_gl0_inv
	ds_read_b64 v[4:5], v1
	s_mov_b32 s1, exec_lo
	s_waitcnt lgkmcnt(0)
	buffer_store_dword v4, off, s[12:15], 0 offset:384 ; 4-byte Folded Spill
	buffer_store_dword v5, off, s[12:15], 0 offset:388 ; 4-byte Folded Spill
	v_cmpx_lt_u32_e32 16, v0
	s_cbranch_execz .LBB121_86
; %bb.85:
	s_clause 0x1
	buffer_load_dword v4, off, s[12:15], 0 offset:384
	buffer_load_dword v5, off, s[12:15], 0 offset:388
	s_waitcnt vmcnt(0)
	v_mul_f64 v[230:231], v[4:5], v[230:231]
	ds_read2_b64 v[4:7], v68 offset0:17 offset1:18
	s_waitcnt lgkmcnt(0)
	v_fma_f64 v[210:211], -v[230:231], v[4:5], v[210:211]
	v_fma_f64 v[228:229], -v[230:231], v[6:7], v[228:229]
	ds_read2_b64 v[4:7], v68 offset0:19 offset1:20
	s_waitcnt lgkmcnt(0)
	v_fma_f64 v[166:167], -v[230:231], v[4:5], v[166:167]
	v_fma_f64 v[206:207], -v[230:231], v[6:7], v[206:207]
	;; [unrolled: 4-line block ×22, first 2 shown]
.LBB121_86:
	s_or_b32 exec_lo, exec_lo, s1
	s_mov_b32 s1, exec_lo
	s_waitcnt_vscnt null, 0x0
	s_barrier
	buffer_gl0_inv
	v_cmpx_eq_u32_e32 17, v0
	s_cbranch_execz .LBB121_89
; %bb.87:
	v_mov_b32_e32 v4, v228
	v_mov_b32_e32 v5, v229
	;; [unrolled: 1-line block ×4, first 2 shown]
	ds_write_b64 v1, v[210:211]
	ds_write2_b64 v68, v[4:5], v[6:7] offset0:18 offset1:19
	v_mov_b32_e32 v4, v206
	v_mov_b32_e32 v5, v207
	v_mov_b32_e32 v6, v164
	v_mov_b32_e32 v7, v165
	ds_write2_b64 v68, v[4:5], v[6:7] offset0:20 offset1:21
	v_mov_b32_e32 v4, v204
	v_mov_b32_e32 v5, v205
	v_mov_b32_e32 v6, v162
	v_mov_b32_e32 v7, v163
	ds_write2_b64 v68, v[4:5], v[6:7] offset0:22 offset1:23
	v_mov_b32_e32 v4, v202
	v_mov_b32_e32 v5, v203
	v_mov_b32_e32 v6, v160
	v_mov_b32_e32 v7, v161
	ds_write2_b64 v68, v[4:5], v[6:7] offset0:24 offset1:25
	v_mov_b32_e32 v4, v200
	v_mov_b32_e32 v5, v201
	v_mov_b32_e32 v6, v158
	v_mov_b32_e32 v7, v159
	ds_write2_b64 v68, v[4:5], v[6:7] offset0:26 offset1:27
	v_mov_b32_e32 v4, v198
	v_mov_b32_e32 v5, v199
	v_mov_b32_e32 v6, v156
	v_mov_b32_e32 v7, v157
	ds_write2_b64 v68, v[4:5], v[6:7] offset0:28 offset1:29
	v_mov_b32_e32 v4, v196
	v_mov_b32_e32 v5, v197
	v_mov_b32_e32 v6, v154
	v_mov_b32_e32 v7, v155
	ds_write2_b64 v68, v[4:5], v[6:7] offset0:30 offset1:31
	v_mov_b32_e32 v4, v194
	v_mov_b32_e32 v5, v195
	v_mov_b32_e32 v6, v152
	v_mov_b32_e32 v7, v153
	ds_write2_b64 v68, v[4:5], v[6:7] offset0:32 offset1:33
	v_mov_b32_e32 v4, v192
	v_mov_b32_e32 v5, v193
	v_mov_b32_e32 v6, v150
	v_mov_b32_e32 v7, v151
	ds_write2_b64 v68, v[4:5], v[6:7] offset0:34 offset1:35
	v_mov_b32_e32 v4, v190
	v_mov_b32_e32 v5, v191
	v_mov_b32_e32 v6, v148
	v_mov_b32_e32 v7, v149
	ds_write2_b64 v68, v[4:5], v[6:7] offset0:36 offset1:37
	v_mov_b32_e32 v4, v188
	v_mov_b32_e32 v5, v189
	v_mov_b32_e32 v6, v146
	v_mov_b32_e32 v7, v147
	ds_write2_b64 v68, v[4:5], v[6:7] offset0:38 offset1:39
	v_mov_b32_e32 v4, v186
	v_mov_b32_e32 v5, v187
	v_mov_b32_e32 v6, v144
	v_mov_b32_e32 v7, v145
	ds_write2_b64 v68, v[4:5], v[6:7] offset0:40 offset1:41
	v_mov_b32_e32 v4, v184
	v_mov_b32_e32 v5, v185
	v_mov_b32_e32 v6, v142
	v_mov_b32_e32 v7, v143
	ds_write2_b64 v68, v[4:5], v[6:7] offset0:42 offset1:43
	v_mov_b32_e32 v4, v182
	v_mov_b32_e32 v5, v183
	v_mov_b32_e32 v6, v140
	v_mov_b32_e32 v7, v141
	ds_write2_b64 v68, v[4:5], v[6:7] offset0:44 offset1:45
	v_mov_b32_e32 v4, v180
	v_mov_b32_e32 v5, v181
	v_mov_b32_e32 v6, v138
	v_mov_b32_e32 v7, v139
	ds_write2_b64 v68, v[4:5], v[6:7] offset0:46 offset1:47
	v_mov_b32_e32 v4, v178
	v_mov_b32_e32 v5, v179
	v_mov_b32_e32 v6, v136
	v_mov_b32_e32 v7, v137
	ds_write2_b64 v68, v[4:5], v[6:7] offset0:48 offset1:49
	v_mov_b32_e32 v4, v176
	v_mov_b32_e32 v5, v177
	v_mov_b32_e32 v6, v134
	v_mov_b32_e32 v7, v135
	ds_write2_b64 v68, v[4:5], v[6:7] offset0:50 offset1:51
	v_mov_b32_e32 v4, v174
	v_mov_b32_e32 v5, v175
	v_mov_b32_e32 v6, v132
	v_mov_b32_e32 v7, v133
	ds_write2_b64 v68, v[4:5], v[6:7] offset0:52 offset1:53
	v_mov_b32_e32 v4, v172
	v_mov_b32_e32 v5, v173
	v_mov_b32_e32 v6, v130
	v_mov_b32_e32 v7, v131
	ds_write2_b64 v68, v[4:5], v[6:7] offset0:54 offset1:55
	v_mov_b32_e32 v4, v170
	v_mov_b32_e32 v5, v171
	v_mov_b32_e32 v6, v128
	v_mov_b32_e32 v7, v129
	ds_write2_b64 v68, v[4:5], v[6:7] offset0:56 offset1:57
	v_mov_b32_e32 v4, v168
	v_mov_b32_e32 v5, v169
	v_mov_b32_e32 v6, v126
	v_mov_b32_e32 v7, v127
	ds_write2_b64 v68, v[4:5], v[6:7] offset0:58 offset1:59
	ds_write_b64 v68, v[246:247] offset:480
	ds_read_b64 v[4:5], v1
	s_waitcnt lgkmcnt(0)
	v_cmp_neq_f64_e32 vcc_lo, 0, v[4:5]
	s_and_b32 exec_lo, exec_lo, vcc_lo
	s_cbranch_execz .LBB121_89
; %bb.88:
	v_div_scale_f64 v[6:7], null, v[4:5], v[4:5], 1.0
	v_rcp_f64_e32 v[8:9], v[6:7]
	v_fma_f64 v[10:11], -v[6:7], v[8:9], 1.0
	v_fma_f64 v[8:9], v[8:9], v[10:11], v[8:9]
	v_fma_f64 v[10:11], -v[6:7], v[8:9], 1.0
	v_fma_f64 v[8:9], v[8:9], v[10:11], v[8:9]
	v_div_scale_f64 v[10:11], vcc_lo, 1.0, v[4:5], 1.0
	v_mul_f64 v[12:13], v[10:11], v[8:9]
	v_fma_f64 v[6:7], -v[6:7], v[12:13], v[10:11]
	v_div_fmas_f64 v[6:7], v[6:7], v[8:9], v[12:13]
	v_div_fixup_f64 v[4:5], v[6:7], v[4:5], 1.0
	ds_write_b64 v1, v[4:5]
.LBB121_89:
	s_or_b32 exec_lo, exec_lo, s1
	s_waitcnt lgkmcnt(0)
	s_barrier
	buffer_gl0_inv
	ds_read_b64 v[4:5], v1
	s_mov_b32 s1, exec_lo
	s_waitcnt lgkmcnt(0)
	buffer_store_dword v4, off, s[12:15], 0 offset:392 ; 4-byte Folded Spill
	buffer_store_dword v5, off, s[12:15], 0 offset:396 ; 4-byte Folded Spill
	v_cmpx_lt_u32_e32 17, v0
	s_cbranch_execz .LBB121_91
; %bb.90:
	s_clause 0x1
	buffer_load_dword v4, off, s[12:15], 0 offset:392
	buffer_load_dword v5, off, s[12:15], 0 offset:396
	s_waitcnt vmcnt(0)
	v_mul_f64 v[210:211], v[4:5], v[210:211]
	ds_read2_b64 v[4:7], v68 offset0:18 offset1:19
	s_waitcnt lgkmcnt(0)
	v_fma_f64 v[228:229], -v[210:211], v[4:5], v[228:229]
	v_fma_f64 v[166:167], -v[210:211], v[6:7], v[166:167]
	ds_read2_b64 v[4:7], v68 offset0:20 offset1:21
	s_waitcnt lgkmcnt(0)
	v_fma_f64 v[206:207], -v[210:211], v[4:5], v[206:207]
	v_fma_f64 v[164:165], -v[210:211], v[6:7], v[164:165]
	ds_read2_b64 v[4:7], v68 offset0:22 offset1:23
	s_waitcnt lgkmcnt(0)
	v_fma_f64 v[204:205], -v[210:211], v[4:5], v[204:205]
	v_fma_f64 v[162:163], -v[210:211], v[6:7], v[162:163]
	ds_read2_b64 v[4:7], v68 offset0:24 offset1:25
	s_waitcnt lgkmcnt(0)
	v_fma_f64 v[202:203], -v[210:211], v[4:5], v[202:203]
	v_fma_f64 v[160:161], -v[210:211], v[6:7], v[160:161]
	ds_read2_b64 v[4:7], v68 offset0:26 offset1:27
	s_waitcnt lgkmcnt(0)
	v_fma_f64 v[200:201], -v[210:211], v[4:5], v[200:201]
	v_fma_f64 v[158:159], -v[210:211], v[6:7], v[158:159]
	ds_read2_b64 v[4:7], v68 offset0:28 offset1:29
	s_waitcnt lgkmcnt(0)
	v_fma_f64 v[198:199], -v[210:211], v[4:5], v[198:199]
	v_fma_f64 v[156:157], -v[210:211], v[6:7], v[156:157]
	ds_read2_b64 v[4:7], v68 offset0:30 offset1:31
	s_waitcnt lgkmcnt(0)
	v_fma_f64 v[196:197], -v[210:211], v[4:5], v[196:197]
	v_fma_f64 v[154:155], -v[210:211], v[6:7], v[154:155]
	ds_read2_b64 v[4:7], v68 offset0:32 offset1:33
	s_waitcnt lgkmcnt(0)
	v_fma_f64 v[194:195], -v[210:211], v[4:5], v[194:195]
	v_fma_f64 v[152:153], -v[210:211], v[6:7], v[152:153]
	ds_read2_b64 v[4:7], v68 offset0:34 offset1:35
	s_waitcnt lgkmcnt(0)
	v_fma_f64 v[192:193], -v[210:211], v[4:5], v[192:193]
	v_fma_f64 v[150:151], -v[210:211], v[6:7], v[150:151]
	ds_read2_b64 v[4:7], v68 offset0:36 offset1:37
	s_waitcnt lgkmcnt(0)
	v_fma_f64 v[190:191], -v[210:211], v[4:5], v[190:191]
	v_fma_f64 v[148:149], -v[210:211], v[6:7], v[148:149]
	ds_read2_b64 v[4:7], v68 offset0:38 offset1:39
	s_waitcnt lgkmcnt(0)
	v_fma_f64 v[188:189], -v[210:211], v[4:5], v[188:189]
	v_fma_f64 v[146:147], -v[210:211], v[6:7], v[146:147]
	ds_read2_b64 v[4:7], v68 offset0:40 offset1:41
	s_waitcnt lgkmcnt(0)
	v_fma_f64 v[186:187], -v[210:211], v[4:5], v[186:187]
	v_fma_f64 v[144:145], -v[210:211], v[6:7], v[144:145]
	ds_read2_b64 v[4:7], v68 offset0:42 offset1:43
	s_waitcnt lgkmcnt(0)
	v_fma_f64 v[184:185], -v[210:211], v[4:5], v[184:185]
	v_fma_f64 v[142:143], -v[210:211], v[6:7], v[142:143]
	ds_read2_b64 v[4:7], v68 offset0:44 offset1:45
	s_waitcnt lgkmcnt(0)
	v_fma_f64 v[182:183], -v[210:211], v[4:5], v[182:183]
	v_fma_f64 v[140:141], -v[210:211], v[6:7], v[140:141]
	ds_read2_b64 v[4:7], v68 offset0:46 offset1:47
	s_waitcnt lgkmcnt(0)
	v_fma_f64 v[180:181], -v[210:211], v[4:5], v[180:181]
	v_fma_f64 v[138:139], -v[210:211], v[6:7], v[138:139]
	ds_read2_b64 v[4:7], v68 offset0:48 offset1:49
	s_waitcnt lgkmcnt(0)
	v_fma_f64 v[178:179], -v[210:211], v[4:5], v[178:179]
	v_fma_f64 v[136:137], -v[210:211], v[6:7], v[136:137]
	ds_read2_b64 v[4:7], v68 offset0:50 offset1:51
	s_waitcnt lgkmcnt(0)
	v_fma_f64 v[176:177], -v[210:211], v[4:5], v[176:177]
	v_fma_f64 v[134:135], -v[210:211], v[6:7], v[134:135]
	ds_read2_b64 v[4:7], v68 offset0:52 offset1:53
	s_waitcnt lgkmcnt(0)
	v_fma_f64 v[174:175], -v[210:211], v[4:5], v[174:175]
	v_fma_f64 v[132:133], -v[210:211], v[6:7], v[132:133]
	ds_read2_b64 v[4:7], v68 offset0:54 offset1:55
	s_waitcnt lgkmcnt(0)
	v_fma_f64 v[172:173], -v[210:211], v[4:5], v[172:173]
	v_fma_f64 v[130:131], -v[210:211], v[6:7], v[130:131]
	ds_read2_b64 v[4:7], v68 offset0:56 offset1:57
	s_waitcnt lgkmcnt(0)
	v_fma_f64 v[170:171], -v[210:211], v[4:5], v[170:171]
	v_fma_f64 v[128:129], -v[210:211], v[6:7], v[128:129]
	ds_read2_b64 v[4:7], v68 offset0:58 offset1:59
	s_waitcnt lgkmcnt(0)
	v_fma_f64 v[168:169], -v[210:211], v[4:5], v[168:169]
	ds_read_b64 v[4:5], v68 offset:480
	v_fma_f64 v[126:127], -v[210:211], v[6:7], v[126:127]
	s_waitcnt lgkmcnt(0)
	v_fma_f64 v[246:247], -v[210:211], v[4:5], v[246:247]
.LBB121_91:
	s_or_b32 exec_lo, exec_lo, s1
	s_mov_b32 s1, exec_lo
	s_waitcnt_vscnt null, 0x0
	s_barrier
	buffer_gl0_inv
	v_cmpx_eq_u32_e32 18, v0
	s_cbranch_execz .LBB121_94
; %bb.92:
	ds_write_b64 v1, v[228:229]
	ds_write2_b64 v68, v[166:167], v[206:207] offset0:19 offset1:20
	ds_write2_b64 v68, v[164:165], v[204:205] offset0:21 offset1:22
	;; [unrolled: 1-line block ×21, first 2 shown]
	ds_read_b64 v[4:5], v1
	s_waitcnt lgkmcnt(0)
	v_cmp_neq_f64_e32 vcc_lo, 0, v[4:5]
	s_and_b32 exec_lo, exec_lo, vcc_lo
	s_cbranch_execz .LBB121_94
; %bb.93:
	v_div_scale_f64 v[6:7], null, v[4:5], v[4:5], 1.0
	v_rcp_f64_e32 v[8:9], v[6:7]
	v_fma_f64 v[10:11], -v[6:7], v[8:9], 1.0
	v_fma_f64 v[8:9], v[8:9], v[10:11], v[8:9]
	v_fma_f64 v[10:11], -v[6:7], v[8:9], 1.0
	v_fma_f64 v[8:9], v[8:9], v[10:11], v[8:9]
	v_div_scale_f64 v[10:11], vcc_lo, 1.0, v[4:5], 1.0
	v_mul_f64 v[12:13], v[10:11], v[8:9]
	v_fma_f64 v[6:7], -v[6:7], v[12:13], v[10:11]
	v_div_fmas_f64 v[6:7], v[6:7], v[8:9], v[12:13]
	v_div_fixup_f64 v[4:5], v[6:7], v[4:5], 1.0
	ds_write_b64 v1, v[4:5]
.LBB121_94:
	s_or_b32 exec_lo, exec_lo, s1
	s_waitcnt lgkmcnt(0)
	s_barrier
	buffer_gl0_inv
	ds_read_b64 v[4:5], v1
	s_mov_b32 s1, exec_lo
	s_waitcnt lgkmcnt(0)
	buffer_store_dword v4, off, s[12:15], 0 offset:400 ; 4-byte Folded Spill
	buffer_store_dword v5, off, s[12:15], 0 offset:404 ; 4-byte Folded Spill
	v_cmpx_lt_u32_e32 18, v0
	s_cbranch_execz .LBB121_96
; %bb.95:
	s_clause 0x1
	buffer_load_dword v4, off, s[12:15], 0 offset:400
	buffer_load_dword v5, off, s[12:15], 0 offset:404
	s_waitcnt vmcnt(0)
	v_mul_f64 v[228:229], v[4:5], v[228:229]
	ds_read2_b64 v[4:7], v68 offset0:19 offset1:20
	s_waitcnt lgkmcnt(0)
	v_fma_f64 v[166:167], -v[228:229], v[4:5], v[166:167]
	v_fma_f64 v[206:207], -v[228:229], v[6:7], v[206:207]
	ds_read2_b64 v[4:7], v68 offset0:21 offset1:22
	s_waitcnt lgkmcnt(0)
	v_fma_f64 v[164:165], -v[228:229], v[4:5], v[164:165]
	v_fma_f64 v[204:205], -v[228:229], v[6:7], v[204:205]
	;; [unrolled: 4-line block ×21, first 2 shown]
.LBB121_96:
	s_or_b32 exec_lo, exec_lo, s1
	s_mov_b32 s1, exec_lo
	s_waitcnt_vscnt null, 0x0
	s_barrier
	buffer_gl0_inv
	v_cmpx_eq_u32_e32 19, v0
	s_cbranch_execz .LBB121_99
; %bb.97:
	v_mov_b32_e32 v4, v206
	v_mov_b32_e32 v5, v207
	;; [unrolled: 1-line block ×4, first 2 shown]
	ds_write_b64 v1, v[166:167]
	ds_write2_b64 v68, v[4:5], v[6:7] offset0:20 offset1:21
	v_mov_b32_e32 v4, v204
	v_mov_b32_e32 v5, v205
	v_mov_b32_e32 v6, v162
	v_mov_b32_e32 v7, v163
	ds_write2_b64 v68, v[4:5], v[6:7] offset0:22 offset1:23
	v_mov_b32_e32 v4, v202
	v_mov_b32_e32 v5, v203
	v_mov_b32_e32 v6, v160
	v_mov_b32_e32 v7, v161
	;; [unrolled: 5-line block ×19, first 2 shown]
	ds_write2_b64 v68, v[4:5], v[6:7] offset0:58 offset1:59
	ds_write_b64 v68, v[246:247] offset:480
	ds_read_b64 v[4:5], v1
	s_waitcnt lgkmcnt(0)
	v_cmp_neq_f64_e32 vcc_lo, 0, v[4:5]
	s_and_b32 exec_lo, exec_lo, vcc_lo
	s_cbranch_execz .LBB121_99
; %bb.98:
	v_div_scale_f64 v[6:7], null, v[4:5], v[4:5], 1.0
	v_rcp_f64_e32 v[8:9], v[6:7]
	v_fma_f64 v[10:11], -v[6:7], v[8:9], 1.0
	v_fma_f64 v[8:9], v[8:9], v[10:11], v[8:9]
	v_fma_f64 v[10:11], -v[6:7], v[8:9], 1.0
	v_fma_f64 v[8:9], v[8:9], v[10:11], v[8:9]
	v_div_scale_f64 v[10:11], vcc_lo, 1.0, v[4:5], 1.0
	v_mul_f64 v[12:13], v[10:11], v[8:9]
	v_fma_f64 v[6:7], -v[6:7], v[12:13], v[10:11]
	v_div_fmas_f64 v[6:7], v[6:7], v[8:9], v[12:13]
	v_div_fixup_f64 v[4:5], v[6:7], v[4:5], 1.0
	ds_write_b64 v1, v[4:5]
.LBB121_99:
	s_or_b32 exec_lo, exec_lo, s1
	s_waitcnt lgkmcnt(0)
	s_barrier
	buffer_gl0_inv
	ds_read_b64 v[4:5], v1
	s_mov_b32 s1, exec_lo
	s_waitcnt lgkmcnt(0)
	buffer_store_dword v4, off, s[12:15], 0 offset:408 ; 4-byte Folded Spill
	buffer_store_dword v5, off, s[12:15], 0 offset:412 ; 4-byte Folded Spill
	v_cmpx_lt_u32_e32 19, v0
	s_cbranch_execz .LBB121_101
; %bb.100:
	s_clause 0x1
	buffer_load_dword v4, off, s[12:15], 0 offset:408
	buffer_load_dword v5, off, s[12:15], 0 offset:412
	s_waitcnt vmcnt(0)
	v_mul_f64 v[166:167], v[4:5], v[166:167]
	ds_read2_b64 v[4:7], v68 offset0:20 offset1:21
	s_waitcnt lgkmcnt(0)
	v_fma_f64 v[206:207], -v[166:167], v[4:5], v[206:207]
	v_fma_f64 v[164:165], -v[166:167], v[6:7], v[164:165]
	ds_read2_b64 v[4:7], v68 offset0:22 offset1:23
	s_waitcnt lgkmcnt(0)
	v_fma_f64 v[204:205], -v[166:167], v[4:5], v[204:205]
	v_fma_f64 v[162:163], -v[166:167], v[6:7], v[162:163]
	;; [unrolled: 4-line block ×19, first 2 shown]
	ds_read2_b64 v[4:7], v68 offset0:58 offset1:59
	s_waitcnt lgkmcnt(0)
	v_fma_f64 v[168:169], -v[166:167], v[4:5], v[168:169]
	ds_read_b64 v[4:5], v68 offset:480
	v_fma_f64 v[126:127], -v[166:167], v[6:7], v[126:127]
	s_waitcnt lgkmcnt(0)
	v_fma_f64 v[246:247], -v[166:167], v[4:5], v[246:247]
.LBB121_101:
	s_or_b32 exec_lo, exec_lo, s1
	s_mov_b32 s1, exec_lo
	s_waitcnt_vscnt null, 0x0
	s_barrier
	buffer_gl0_inv
	v_cmpx_eq_u32_e32 20, v0
	s_cbranch_execz .LBB121_104
; %bb.102:
	ds_write_b64 v1, v[206:207]
	ds_write2_b64 v68, v[164:165], v[204:205] offset0:21 offset1:22
	ds_write2_b64 v68, v[162:163], v[202:203] offset0:23 offset1:24
	;; [unrolled: 1-line block ×20, first 2 shown]
	ds_read_b64 v[4:5], v1
	s_waitcnt lgkmcnt(0)
	v_cmp_neq_f64_e32 vcc_lo, 0, v[4:5]
	s_and_b32 exec_lo, exec_lo, vcc_lo
	s_cbranch_execz .LBB121_104
; %bb.103:
	v_div_scale_f64 v[6:7], null, v[4:5], v[4:5], 1.0
	v_rcp_f64_e32 v[8:9], v[6:7]
	v_fma_f64 v[10:11], -v[6:7], v[8:9], 1.0
	v_fma_f64 v[8:9], v[8:9], v[10:11], v[8:9]
	v_fma_f64 v[10:11], -v[6:7], v[8:9], 1.0
	v_fma_f64 v[8:9], v[8:9], v[10:11], v[8:9]
	v_div_scale_f64 v[10:11], vcc_lo, 1.0, v[4:5], 1.0
	v_mul_f64 v[12:13], v[10:11], v[8:9]
	v_fma_f64 v[6:7], -v[6:7], v[12:13], v[10:11]
	v_div_fmas_f64 v[6:7], v[6:7], v[8:9], v[12:13]
	v_div_fixup_f64 v[4:5], v[6:7], v[4:5], 1.0
	ds_write_b64 v1, v[4:5]
.LBB121_104:
	s_or_b32 exec_lo, exec_lo, s1
	s_waitcnt lgkmcnt(0)
	s_barrier
	buffer_gl0_inv
	ds_read_b64 v[4:5], v1
	s_mov_b32 s1, exec_lo
	s_waitcnt lgkmcnt(0)
	buffer_store_dword v4, off, s[12:15], 0 offset:416 ; 4-byte Folded Spill
	buffer_store_dword v5, off, s[12:15], 0 offset:420 ; 4-byte Folded Spill
	v_cmpx_lt_u32_e32 20, v0
	s_cbranch_execz .LBB121_106
; %bb.105:
	s_clause 0x1
	buffer_load_dword v4, off, s[12:15], 0 offset:416
	buffer_load_dword v5, off, s[12:15], 0 offset:420
	s_waitcnt vmcnt(0)
	v_mul_f64 v[206:207], v[4:5], v[206:207]
	ds_read2_b64 v[4:7], v68 offset0:21 offset1:22
	s_waitcnt lgkmcnt(0)
	v_fma_f64 v[164:165], -v[206:207], v[4:5], v[164:165]
	v_fma_f64 v[204:205], -v[206:207], v[6:7], v[204:205]
	ds_read2_b64 v[4:7], v68 offset0:23 offset1:24
	s_waitcnt lgkmcnt(0)
	v_fma_f64 v[162:163], -v[206:207], v[4:5], v[162:163]
	v_fma_f64 v[202:203], -v[206:207], v[6:7], v[202:203]
	;; [unrolled: 4-line block ×20, first 2 shown]
.LBB121_106:
	s_or_b32 exec_lo, exec_lo, s1
	s_mov_b32 s1, exec_lo
	s_waitcnt_vscnt null, 0x0
	s_barrier
	buffer_gl0_inv
	v_cmpx_eq_u32_e32 21, v0
	s_cbranch_execz .LBB121_109
; %bb.107:
	v_mov_b32_e32 v4, v204
	v_mov_b32_e32 v5, v205
	;; [unrolled: 1-line block ×4, first 2 shown]
	ds_write_b64 v1, v[164:165]
	ds_write2_b64 v68, v[4:5], v[6:7] offset0:22 offset1:23
	v_mov_b32_e32 v4, v202
	v_mov_b32_e32 v5, v203
	v_mov_b32_e32 v6, v160
	v_mov_b32_e32 v7, v161
	ds_write2_b64 v68, v[4:5], v[6:7] offset0:24 offset1:25
	v_mov_b32_e32 v4, v200
	v_mov_b32_e32 v5, v201
	v_mov_b32_e32 v6, v158
	v_mov_b32_e32 v7, v159
	;; [unrolled: 5-line block ×18, first 2 shown]
	ds_write2_b64 v68, v[4:5], v[6:7] offset0:58 offset1:59
	ds_write_b64 v68, v[246:247] offset:480
	ds_read_b64 v[4:5], v1
	s_waitcnt lgkmcnt(0)
	v_cmp_neq_f64_e32 vcc_lo, 0, v[4:5]
	s_and_b32 exec_lo, exec_lo, vcc_lo
	s_cbranch_execz .LBB121_109
; %bb.108:
	v_div_scale_f64 v[6:7], null, v[4:5], v[4:5], 1.0
	v_rcp_f64_e32 v[8:9], v[6:7]
	v_fma_f64 v[10:11], -v[6:7], v[8:9], 1.0
	v_fma_f64 v[8:9], v[8:9], v[10:11], v[8:9]
	v_fma_f64 v[10:11], -v[6:7], v[8:9], 1.0
	v_fma_f64 v[8:9], v[8:9], v[10:11], v[8:9]
	v_div_scale_f64 v[10:11], vcc_lo, 1.0, v[4:5], 1.0
	v_mul_f64 v[12:13], v[10:11], v[8:9]
	v_fma_f64 v[6:7], -v[6:7], v[12:13], v[10:11]
	v_div_fmas_f64 v[6:7], v[6:7], v[8:9], v[12:13]
	v_div_fixup_f64 v[4:5], v[6:7], v[4:5], 1.0
	ds_write_b64 v1, v[4:5]
.LBB121_109:
	s_or_b32 exec_lo, exec_lo, s1
	s_waitcnt lgkmcnt(0)
	s_barrier
	buffer_gl0_inv
	ds_read_b64 v[4:5], v1
	s_mov_b32 s1, exec_lo
	s_waitcnt lgkmcnt(0)
	buffer_store_dword v4, off, s[12:15], 0 offset:424 ; 4-byte Folded Spill
	buffer_store_dword v5, off, s[12:15], 0 offset:428 ; 4-byte Folded Spill
	v_cmpx_lt_u32_e32 21, v0
	s_cbranch_execz .LBB121_111
; %bb.110:
	s_clause 0x1
	buffer_load_dword v4, off, s[12:15], 0 offset:424
	buffer_load_dword v5, off, s[12:15], 0 offset:428
	s_waitcnt vmcnt(0)
	v_mul_f64 v[164:165], v[4:5], v[164:165]
	ds_read2_b64 v[4:7], v68 offset0:22 offset1:23
	s_waitcnt lgkmcnt(0)
	v_fma_f64 v[204:205], -v[164:165], v[4:5], v[204:205]
	v_fma_f64 v[162:163], -v[164:165], v[6:7], v[162:163]
	ds_read2_b64 v[4:7], v68 offset0:24 offset1:25
	s_waitcnt lgkmcnt(0)
	v_fma_f64 v[202:203], -v[164:165], v[4:5], v[202:203]
	v_fma_f64 v[160:161], -v[164:165], v[6:7], v[160:161]
	;; [unrolled: 4-line block ×18, first 2 shown]
	ds_read2_b64 v[4:7], v68 offset0:58 offset1:59
	s_waitcnt lgkmcnt(0)
	v_fma_f64 v[168:169], -v[164:165], v[4:5], v[168:169]
	ds_read_b64 v[4:5], v68 offset:480
	v_fma_f64 v[126:127], -v[164:165], v[6:7], v[126:127]
	s_waitcnt lgkmcnt(0)
	v_fma_f64 v[246:247], -v[164:165], v[4:5], v[246:247]
.LBB121_111:
	s_or_b32 exec_lo, exec_lo, s1
	s_mov_b32 s1, exec_lo
	s_waitcnt_vscnt null, 0x0
	s_barrier
	buffer_gl0_inv
	v_cmpx_eq_u32_e32 22, v0
	s_cbranch_execz .LBB121_114
; %bb.112:
	ds_write_b64 v1, v[204:205]
	ds_write2_b64 v68, v[162:163], v[202:203] offset0:23 offset1:24
	ds_write2_b64 v68, v[160:161], v[200:201] offset0:25 offset1:26
	ds_write2_b64 v68, v[158:159], v[198:199] offset0:27 offset1:28
	ds_write2_b64 v68, v[156:157], v[196:197] offset0:29 offset1:30
	ds_write2_b64 v68, v[154:155], v[194:195] offset0:31 offset1:32
	ds_write2_b64 v68, v[152:153], v[192:193] offset0:33 offset1:34
	ds_write2_b64 v68, v[150:151], v[190:191] offset0:35 offset1:36
	ds_write2_b64 v68, v[148:149], v[188:189] offset0:37 offset1:38
	ds_write2_b64 v68, v[146:147], v[186:187] offset0:39 offset1:40
	ds_write2_b64 v68, v[144:145], v[184:185] offset0:41 offset1:42
	ds_write2_b64 v68, v[142:143], v[182:183] offset0:43 offset1:44
	ds_write2_b64 v68, v[140:141], v[180:181] offset0:45 offset1:46
	ds_write2_b64 v68, v[138:139], v[178:179] offset0:47 offset1:48
	ds_write2_b64 v68, v[136:137], v[176:177] offset0:49 offset1:50
	ds_write2_b64 v68, v[134:135], v[174:175] offset0:51 offset1:52
	ds_write2_b64 v68, v[132:133], v[172:173] offset0:53 offset1:54
	ds_write2_b64 v68, v[130:131], v[170:171] offset0:55 offset1:56
	ds_write2_b64 v68, v[128:129], v[168:169] offset0:57 offset1:58
	ds_write2_b64 v68, v[126:127], v[246:247] offset0:59 offset1:60
	ds_read_b64 v[4:5], v1
	s_waitcnt lgkmcnt(0)
	v_cmp_neq_f64_e32 vcc_lo, 0, v[4:5]
	s_and_b32 exec_lo, exec_lo, vcc_lo
	s_cbranch_execz .LBB121_114
; %bb.113:
	v_div_scale_f64 v[6:7], null, v[4:5], v[4:5], 1.0
	v_rcp_f64_e32 v[8:9], v[6:7]
	v_fma_f64 v[10:11], -v[6:7], v[8:9], 1.0
	v_fma_f64 v[8:9], v[8:9], v[10:11], v[8:9]
	v_fma_f64 v[10:11], -v[6:7], v[8:9], 1.0
	v_fma_f64 v[8:9], v[8:9], v[10:11], v[8:9]
	v_div_scale_f64 v[10:11], vcc_lo, 1.0, v[4:5], 1.0
	v_mul_f64 v[12:13], v[10:11], v[8:9]
	v_fma_f64 v[6:7], -v[6:7], v[12:13], v[10:11]
	v_div_fmas_f64 v[6:7], v[6:7], v[8:9], v[12:13]
	v_div_fixup_f64 v[4:5], v[6:7], v[4:5], 1.0
	ds_write_b64 v1, v[4:5]
.LBB121_114:
	s_or_b32 exec_lo, exec_lo, s1
	s_waitcnt lgkmcnt(0)
	s_barrier
	buffer_gl0_inv
	ds_read_b64 v[4:5], v1
	s_mov_b32 s1, exec_lo
	s_waitcnt lgkmcnt(0)
	buffer_store_dword v4, off, s[12:15], 0 offset:432 ; 4-byte Folded Spill
	buffer_store_dword v5, off, s[12:15], 0 offset:436 ; 4-byte Folded Spill
	v_cmpx_lt_u32_e32 22, v0
	s_cbranch_execz .LBB121_116
; %bb.115:
	s_clause 0x1
	buffer_load_dword v4, off, s[12:15], 0 offset:432
	buffer_load_dword v5, off, s[12:15], 0 offset:436
	s_waitcnt vmcnt(0)
	v_mul_f64 v[204:205], v[4:5], v[204:205]
	ds_read2_b64 v[4:7], v68 offset0:23 offset1:24
	s_waitcnt lgkmcnt(0)
	v_fma_f64 v[162:163], -v[204:205], v[4:5], v[162:163]
	v_fma_f64 v[202:203], -v[204:205], v[6:7], v[202:203]
	ds_read2_b64 v[4:7], v68 offset0:25 offset1:26
	s_waitcnt lgkmcnt(0)
	v_fma_f64 v[160:161], -v[204:205], v[4:5], v[160:161]
	v_fma_f64 v[200:201], -v[204:205], v[6:7], v[200:201]
	;; [unrolled: 4-line block ×19, first 2 shown]
.LBB121_116:
	s_or_b32 exec_lo, exec_lo, s1
	s_mov_b32 s1, exec_lo
	s_waitcnt_vscnt null, 0x0
	s_barrier
	buffer_gl0_inv
	v_cmpx_eq_u32_e32 23, v0
	s_cbranch_execz .LBB121_119
; %bb.117:
	v_mov_b32_e32 v4, v202
	v_mov_b32_e32 v5, v203
	v_mov_b32_e32 v6, v160
	v_mov_b32_e32 v7, v161
	ds_write_b64 v1, v[162:163]
	ds_write2_b64 v68, v[4:5], v[6:7] offset0:24 offset1:25
	v_mov_b32_e32 v4, v200
	v_mov_b32_e32 v5, v201
	v_mov_b32_e32 v6, v158
	v_mov_b32_e32 v7, v159
	ds_write2_b64 v68, v[4:5], v[6:7] offset0:26 offset1:27
	v_mov_b32_e32 v4, v198
	v_mov_b32_e32 v5, v199
	v_mov_b32_e32 v6, v156
	v_mov_b32_e32 v7, v157
	;; [unrolled: 5-line block ×17, first 2 shown]
	ds_write2_b64 v68, v[4:5], v[6:7] offset0:58 offset1:59
	ds_write_b64 v68, v[246:247] offset:480
	ds_read_b64 v[4:5], v1
	s_waitcnt lgkmcnt(0)
	v_cmp_neq_f64_e32 vcc_lo, 0, v[4:5]
	s_and_b32 exec_lo, exec_lo, vcc_lo
	s_cbranch_execz .LBB121_119
; %bb.118:
	v_div_scale_f64 v[6:7], null, v[4:5], v[4:5], 1.0
	v_rcp_f64_e32 v[8:9], v[6:7]
	v_fma_f64 v[10:11], -v[6:7], v[8:9], 1.0
	v_fma_f64 v[8:9], v[8:9], v[10:11], v[8:9]
	v_fma_f64 v[10:11], -v[6:7], v[8:9], 1.0
	v_fma_f64 v[8:9], v[8:9], v[10:11], v[8:9]
	v_div_scale_f64 v[10:11], vcc_lo, 1.0, v[4:5], 1.0
	v_mul_f64 v[12:13], v[10:11], v[8:9]
	v_fma_f64 v[6:7], -v[6:7], v[12:13], v[10:11]
	v_div_fmas_f64 v[6:7], v[6:7], v[8:9], v[12:13]
	v_div_fixup_f64 v[4:5], v[6:7], v[4:5], 1.0
	ds_write_b64 v1, v[4:5]
.LBB121_119:
	s_or_b32 exec_lo, exec_lo, s1
	s_waitcnt lgkmcnt(0)
	s_barrier
	buffer_gl0_inv
	ds_read_b64 v[4:5], v1
	s_mov_b32 s1, exec_lo
	s_waitcnt lgkmcnt(0)
	buffer_store_dword v4, off, s[12:15], 0 offset:440 ; 4-byte Folded Spill
	buffer_store_dword v5, off, s[12:15], 0 offset:444 ; 4-byte Folded Spill
	v_cmpx_lt_u32_e32 23, v0
	s_cbranch_execz .LBB121_121
; %bb.120:
	s_clause 0x1
	buffer_load_dword v4, off, s[12:15], 0 offset:440
	buffer_load_dword v5, off, s[12:15], 0 offset:444
	s_waitcnt vmcnt(0)
	v_mul_f64 v[162:163], v[4:5], v[162:163]
	ds_read2_b64 v[4:7], v68 offset0:24 offset1:25
	s_waitcnt lgkmcnt(0)
	v_fma_f64 v[202:203], -v[162:163], v[4:5], v[202:203]
	v_fma_f64 v[160:161], -v[162:163], v[6:7], v[160:161]
	ds_read2_b64 v[4:7], v68 offset0:26 offset1:27
	s_waitcnt lgkmcnt(0)
	v_fma_f64 v[200:201], -v[162:163], v[4:5], v[200:201]
	v_fma_f64 v[158:159], -v[162:163], v[6:7], v[158:159]
	;; [unrolled: 4-line block ×17, first 2 shown]
	ds_read2_b64 v[4:7], v68 offset0:58 offset1:59
	s_waitcnt lgkmcnt(0)
	v_fma_f64 v[168:169], -v[162:163], v[4:5], v[168:169]
	ds_read_b64 v[4:5], v68 offset:480
	v_fma_f64 v[126:127], -v[162:163], v[6:7], v[126:127]
	s_waitcnt lgkmcnt(0)
	v_fma_f64 v[246:247], -v[162:163], v[4:5], v[246:247]
.LBB121_121:
	s_or_b32 exec_lo, exec_lo, s1
	s_mov_b32 s1, exec_lo
	s_waitcnt_vscnt null, 0x0
	s_barrier
	buffer_gl0_inv
	v_cmpx_eq_u32_e32 24, v0
	s_cbranch_execz .LBB121_124
; %bb.122:
	ds_write_b64 v1, v[202:203]
	ds_write2_b64 v68, v[160:161], v[200:201] offset0:25 offset1:26
	ds_write2_b64 v68, v[158:159], v[198:199] offset0:27 offset1:28
	ds_write2_b64 v68, v[156:157], v[196:197] offset0:29 offset1:30
	ds_write2_b64 v68, v[154:155], v[194:195] offset0:31 offset1:32
	ds_write2_b64 v68, v[152:153], v[192:193] offset0:33 offset1:34
	ds_write2_b64 v68, v[150:151], v[190:191] offset0:35 offset1:36
	ds_write2_b64 v68, v[148:149], v[188:189] offset0:37 offset1:38
	ds_write2_b64 v68, v[146:147], v[186:187] offset0:39 offset1:40
	ds_write2_b64 v68, v[144:145], v[184:185] offset0:41 offset1:42
	ds_write2_b64 v68, v[142:143], v[182:183] offset0:43 offset1:44
	ds_write2_b64 v68, v[140:141], v[180:181] offset0:45 offset1:46
	ds_write2_b64 v68, v[138:139], v[178:179] offset0:47 offset1:48
	ds_write2_b64 v68, v[136:137], v[176:177] offset0:49 offset1:50
	ds_write2_b64 v68, v[134:135], v[174:175] offset0:51 offset1:52
	ds_write2_b64 v68, v[132:133], v[172:173] offset0:53 offset1:54
	ds_write2_b64 v68, v[130:131], v[170:171] offset0:55 offset1:56
	ds_write2_b64 v68, v[128:129], v[168:169] offset0:57 offset1:58
	ds_write2_b64 v68, v[126:127], v[246:247] offset0:59 offset1:60
	ds_read_b64 v[4:5], v1
	s_waitcnt lgkmcnt(0)
	v_cmp_neq_f64_e32 vcc_lo, 0, v[4:5]
	s_and_b32 exec_lo, exec_lo, vcc_lo
	s_cbranch_execz .LBB121_124
; %bb.123:
	v_div_scale_f64 v[6:7], null, v[4:5], v[4:5], 1.0
	v_rcp_f64_e32 v[8:9], v[6:7]
	v_fma_f64 v[10:11], -v[6:7], v[8:9], 1.0
	v_fma_f64 v[8:9], v[8:9], v[10:11], v[8:9]
	v_fma_f64 v[10:11], -v[6:7], v[8:9], 1.0
	v_fma_f64 v[8:9], v[8:9], v[10:11], v[8:9]
	v_div_scale_f64 v[10:11], vcc_lo, 1.0, v[4:5], 1.0
	v_mul_f64 v[12:13], v[10:11], v[8:9]
	v_fma_f64 v[6:7], -v[6:7], v[12:13], v[10:11]
	v_div_fmas_f64 v[6:7], v[6:7], v[8:9], v[12:13]
	v_div_fixup_f64 v[4:5], v[6:7], v[4:5], 1.0
	ds_write_b64 v1, v[4:5]
.LBB121_124:
	s_or_b32 exec_lo, exec_lo, s1
	s_waitcnt lgkmcnt(0)
	s_barrier
	buffer_gl0_inv
	ds_read_b64 v[4:5], v1
	s_mov_b32 s1, exec_lo
	s_waitcnt lgkmcnt(0)
	buffer_store_dword v4, off, s[12:15], 0 offset:448 ; 4-byte Folded Spill
	buffer_store_dword v5, off, s[12:15], 0 offset:452 ; 4-byte Folded Spill
	v_cmpx_lt_u32_e32 24, v0
	s_cbranch_execz .LBB121_126
; %bb.125:
	s_clause 0x1
	buffer_load_dword v4, off, s[12:15], 0 offset:448
	buffer_load_dword v5, off, s[12:15], 0 offset:452
	s_waitcnt vmcnt(0)
	v_mul_f64 v[202:203], v[4:5], v[202:203]
	ds_read2_b64 v[4:7], v68 offset0:25 offset1:26
	s_waitcnt lgkmcnt(0)
	v_fma_f64 v[160:161], -v[202:203], v[4:5], v[160:161]
	v_fma_f64 v[200:201], -v[202:203], v[6:7], v[200:201]
	ds_read2_b64 v[4:7], v68 offset0:27 offset1:28
	s_waitcnt lgkmcnt(0)
	v_fma_f64 v[158:159], -v[202:203], v[4:5], v[158:159]
	v_fma_f64 v[198:199], -v[202:203], v[6:7], v[198:199]
	;; [unrolled: 4-line block ×18, first 2 shown]
.LBB121_126:
	s_or_b32 exec_lo, exec_lo, s1
	s_mov_b32 s1, exec_lo
	s_waitcnt_vscnt null, 0x0
	s_barrier
	buffer_gl0_inv
	v_cmpx_eq_u32_e32 25, v0
	s_cbranch_execz .LBB121_129
; %bb.127:
	v_mov_b32_e32 v4, v200
	v_mov_b32_e32 v5, v201
	;; [unrolled: 1-line block ×4, first 2 shown]
	ds_write_b64 v1, v[160:161]
	ds_write2_b64 v68, v[4:5], v[6:7] offset0:26 offset1:27
	v_mov_b32_e32 v4, v198
	v_mov_b32_e32 v5, v199
	v_mov_b32_e32 v6, v156
	v_mov_b32_e32 v7, v157
	ds_write2_b64 v68, v[4:5], v[6:7] offset0:28 offset1:29
	v_mov_b32_e32 v4, v196
	v_mov_b32_e32 v5, v197
	v_mov_b32_e32 v6, v154
	v_mov_b32_e32 v7, v155
	;; [unrolled: 5-line block ×16, first 2 shown]
	ds_write2_b64 v68, v[4:5], v[6:7] offset0:58 offset1:59
	ds_write_b64 v68, v[246:247] offset:480
	ds_read_b64 v[4:5], v1
	s_waitcnt lgkmcnt(0)
	v_cmp_neq_f64_e32 vcc_lo, 0, v[4:5]
	s_and_b32 exec_lo, exec_lo, vcc_lo
	s_cbranch_execz .LBB121_129
; %bb.128:
	v_div_scale_f64 v[6:7], null, v[4:5], v[4:5], 1.0
	v_rcp_f64_e32 v[8:9], v[6:7]
	v_fma_f64 v[10:11], -v[6:7], v[8:9], 1.0
	v_fma_f64 v[8:9], v[8:9], v[10:11], v[8:9]
	v_fma_f64 v[10:11], -v[6:7], v[8:9], 1.0
	v_fma_f64 v[8:9], v[8:9], v[10:11], v[8:9]
	v_div_scale_f64 v[10:11], vcc_lo, 1.0, v[4:5], 1.0
	v_mul_f64 v[12:13], v[10:11], v[8:9]
	v_fma_f64 v[6:7], -v[6:7], v[12:13], v[10:11]
	v_div_fmas_f64 v[6:7], v[6:7], v[8:9], v[12:13]
	v_div_fixup_f64 v[4:5], v[6:7], v[4:5], 1.0
	ds_write_b64 v1, v[4:5]
.LBB121_129:
	s_or_b32 exec_lo, exec_lo, s1
	s_waitcnt lgkmcnt(0)
	s_barrier
	buffer_gl0_inv
	ds_read_b64 v[4:5], v1
	s_mov_b32 s1, exec_lo
	s_waitcnt lgkmcnt(0)
	buffer_store_dword v4, off, s[12:15], 0 offset:456 ; 4-byte Folded Spill
	buffer_store_dword v5, off, s[12:15], 0 offset:460 ; 4-byte Folded Spill
	v_cmpx_lt_u32_e32 25, v0
	s_cbranch_execz .LBB121_131
; %bb.130:
	s_clause 0x1
	buffer_load_dword v4, off, s[12:15], 0 offset:456
	buffer_load_dword v5, off, s[12:15], 0 offset:460
	s_waitcnt vmcnt(0)
	v_mul_f64 v[160:161], v[4:5], v[160:161]
	ds_read2_b64 v[4:7], v68 offset0:26 offset1:27
	s_waitcnt lgkmcnt(0)
	v_fma_f64 v[200:201], -v[160:161], v[4:5], v[200:201]
	v_fma_f64 v[158:159], -v[160:161], v[6:7], v[158:159]
	ds_read2_b64 v[4:7], v68 offset0:28 offset1:29
	s_waitcnt lgkmcnt(0)
	v_fma_f64 v[198:199], -v[160:161], v[4:5], v[198:199]
	v_fma_f64 v[156:157], -v[160:161], v[6:7], v[156:157]
	;; [unrolled: 4-line block ×16, first 2 shown]
	ds_read2_b64 v[4:7], v68 offset0:58 offset1:59
	s_waitcnt lgkmcnt(0)
	v_fma_f64 v[168:169], -v[160:161], v[4:5], v[168:169]
	ds_read_b64 v[4:5], v68 offset:480
	v_fma_f64 v[126:127], -v[160:161], v[6:7], v[126:127]
	s_waitcnt lgkmcnt(0)
	v_fma_f64 v[246:247], -v[160:161], v[4:5], v[246:247]
.LBB121_131:
	s_or_b32 exec_lo, exec_lo, s1
	s_mov_b32 s1, exec_lo
	s_waitcnt_vscnt null, 0x0
	s_barrier
	buffer_gl0_inv
	v_cmpx_eq_u32_e32 26, v0
	s_cbranch_execz .LBB121_134
; %bb.132:
	ds_write_b64 v1, v[200:201]
	ds_write2_b64 v68, v[158:159], v[198:199] offset0:27 offset1:28
	ds_write2_b64 v68, v[156:157], v[196:197] offset0:29 offset1:30
	;; [unrolled: 1-line block ×17, first 2 shown]
	ds_read_b64 v[4:5], v1
	s_waitcnt lgkmcnt(0)
	v_cmp_neq_f64_e32 vcc_lo, 0, v[4:5]
	s_and_b32 exec_lo, exec_lo, vcc_lo
	s_cbranch_execz .LBB121_134
; %bb.133:
	v_div_scale_f64 v[6:7], null, v[4:5], v[4:5], 1.0
	v_rcp_f64_e32 v[8:9], v[6:7]
	v_fma_f64 v[10:11], -v[6:7], v[8:9], 1.0
	v_fma_f64 v[8:9], v[8:9], v[10:11], v[8:9]
	v_fma_f64 v[10:11], -v[6:7], v[8:9], 1.0
	v_fma_f64 v[8:9], v[8:9], v[10:11], v[8:9]
	v_div_scale_f64 v[10:11], vcc_lo, 1.0, v[4:5], 1.0
	v_mul_f64 v[12:13], v[10:11], v[8:9]
	v_fma_f64 v[6:7], -v[6:7], v[12:13], v[10:11]
	v_div_fmas_f64 v[6:7], v[6:7], v[8:9], v[12:13]
	v_div_fixup_f64 v[4:5], v[6:7], v[4:5], 1.0
	ds_write_b64 v1, v[4:5]
.LBB121_134:
	s_or_b32 exec_lo, exec_lo, s1
	s_waitcnt lgkmcnt(0)
	s_barrier
	buffer_gl0_inv
	ds_read_b64 v[4:5], v1
	s_mov_b32 s1, exec_lo
	s_waitcnt lgkmcnt(0)
	buffer_store_dword v4, off, s[12:15], 0 offset:464 ; 4-byte Folded Spill
	buffer_store_dword v5, off, s[12:15], 0 offset:468 ; 4-byte Folded Spill
	v_cmpx_lt_u32_e32 26, v0
	s_cbranch_execz .LBB121_136
; %bb.135:
	s_clause 0x1
	buffer_load_dword v4, off, s[12:15], 0 offset:464
	buffer_load_dword v5, off, s[12:15], 0 offset:468
	s_waitcnt vmcnt(0)
	v_mul_f64 v[200:201], v[4:5], v[200:201]
	ds_read2_b64 v[4:7], v68 offset0:27 offset1:28
	s_waitcnt lgkmcnt(0)
	v_fma_f64 v[158:159], -v[200:201], v[4:5], v[158:159]
	v_fma_f64 v[198:199], -v[200:201], v[6:7], v[198:199]
	ds_read2_b64 v[4:7], v68 offset0:29 offset1:30
	s_waitcnt lgkmcnt(0)
	v_fma_f64 v[156:157], -v[200:201], v[4:5], v[156:157]
	v_fma_f64 v[196:197], -v[200:201], v[6:7], v[196:197]
	;; [unrolled: 4-line block ×17, first 2 shown]
.LBB121_136:
	s_or_b32 exec_lo, exec_lo, s1
	s_mov_b32 s1, exec_lo
	s_waitcnt_vscnt null, 0x0
	s_barrier
	buffer_gl0_inv
	v_cmpx_eq_u32_e32 27, v0
	s_cbranch_execz .LBB121_139
; %bb.137:
	v_mov_b32_e32 v4, v198
	v_mov_b32_e32 v5, v199
	;; [unrolled: 1-line block ×4, first 2 shown]
	ds_write_b64 v1, v[158:159]
	ds_write2_b64 v68, v[4:5], v[6:7] offset0:28 offset1:29
	v_mov_b32_e32 v4, v196
	v_mov_b32_e32 v5, v197
	v_mov_b32_e32 v6, v154
	v_mov_b32_e32 v7, v155
	ds_write2_b64 v68, v[4:5], v[6:7] offset0:30 offset1:31
	v_mov_b32_e32 v4, v194
	v_mov_b32_e32 v5, v195
	v_mov_b32_e32 v6, v152
	v_mov_b32_e32 v7, v153
	;; [unrolled: 5-line block ×15, first 2 shown]
	ds_write2_b64 v68, v[4:5], v[6:7] offset0:58 offset1:59
	ds_write_b64 v68, v[246:247] offset:480
	ds_read_b64 v[4:5], v1
	s_waitcnt lgkmcnt(0)
	v_cmp_neq_f64_e32 vcc_lo, 0, v[4:5]
	s_and_b32 exec_lo, exec_lo, vcc_lo
	s_cbranch_execz .LBB121_139
; %bb.138:
	v_div_scale_f64 v[6:7], null, v[4:5], v[4:5], 1.0
	v_rcp_f64_e32 v[8:9], v[6:7]
	v_fma_f64 v[10:11], -v[6:7], v[8:9], 1.0
	v_fma_f64 v[8:9], v[8:9], v[10:11], v[8:9]
	v_fma_f64 v[10:11], -v[6:7], v[8:9], 1.0
	v_fma_f64 v[8:9], v[8:9], v[10:11], v[8:9]
	v_div_scale_f64 v[10:11], vcc_lo, 1.0, v[4:5], 1.0
	v_mul_f64 v[12:13], v[10:11], v[8:9]
	v_fma_f64 v[6:7], -v[6:7], v[12:13], v[10:11]
	v_div_fmas_f64 v[6:7], v[6:7], v[8:9], v[12:13]
	v_div_fixup_f64 v[4:5], v[6:7], v[4:5], 1.0
	ds_write_b64 v1, v[4:5]
.LBB121_139:
	s_or_b32 exec_lo, exec_lo, s1
	s_waitcnt lgkmcnt(0)
	s_barrier
	buffer_gl0_inv
	ds_read_b64 v[4:5], v1
	s_mov_b32 s1, exec_lo
	s_waitcnt lgkmcnt(0)
	buffer_store_dword v4, off, s[12:15], 0 offset:472 ; 4-byte Folded Spill
	buffer_store_dword v5, off, s[12:15], 0 offset:476 ; 4-byte Folded Spill
	v_cmpx_lt_u32_e32 27, v0
	s_cbranch_execz .LBB121_141
; %bb.140:
	s_clause 0x1
	buffer_load_dword v4, off, s[12:15], 0 offset:472
	buffer_load_dword v5, off, s[12:15], 0 offset:476
	s_waitcnt vmcnt(0)
	v_mul_f64 v[158:159], v[4:5], v[158:159]
	ds_read2_b64 v[4:7], v68 offset0:28 offset1:29
	s_waitcnt lgkmcnt(0)
	v_fma_f64 v[198:199], -v[158:159], v[4:5], v[198:199]
	v_fma_f64 v[156:157], -v[158:159], v[6:7], v[156:157]
	ds_read2_b64 v[4:7], v68 offset0:30 offset1:31
	s_waitcnt lgkmcnt(0)
	v_fma_f64 v[196:197], -v[158:159], v[4:5], v[196:197]
	v_fma_f64 v[154:155], -v[158:159], v[6:7], v[154:155]
	;; [unrolled: 4-line block ×15, first 2 shown]
	ds_read2_b64 v[4:7], v68 offset0:58 offset1:59
	s_waitcnt lgkmcnt(0)
	v_fma_f64 v[168:169], -v[158:159], v[4:5], v[168:169]
	ds_read_b64 v[4:5], v68 offset:480
	v_fma_f64 v[126:127], -v[158:159], v[6:7], v[126:127]
	s_waitcnt lgkmcnt(0)
	v_fma_f64 v[246:247], -v[158:159], v[4:5], v[246:247]
.LBB121_141:
	s_or_b32 exec_lo, exec_lo, s1
	s_mov_b32 s1, exec_lo
	s_waitcnt_vscnt null, 0x0
	s_barrier
	buffer_gl0_inv
	v_cmpx_eq_u32_e32 28, v0
	s_cbranch_execz .LBB121_144
; %bb.142:
	ds_write_b64 v1, v[198:199]
	ds_write2_b64 v68, v[156:157], v[196:197] offset0:29 offset1:30
	ds_write2_b64 v68, v[154:155], v[194:195] offset0:31 offset1:32
	;; [unrolled: 1-line block ×16, first 2 shown]
	ds_read_b64 v[4:5], v1
	s_waitcnt lgkmcnt(0)
	v_cmp_neq_f64_e32 vcc_lo, 0, v[4:5]
	s_and_b32 exec_lo, exec_lo, vcc_lo
	s_cbranch_execz .LBB121_144
; %bb.143:
	v_div_scale_f64 v[6:7], null, v[4:5], v[4:5], 1.0
	v_rcp_f64_e32 v[8:9], v[6:7]
	v_fma_f64 v[10:11], -v[6:7], v[8:9], 1.0
	v_fma_f64 v[8:9], v[8:9], v[10:11], v[8:9]
	v_fma_f64 v[10:11], -v[6:7], v[8:9], 1.0
	v_fma_f64 v[8:9], v[8:9], v[10:11], v[8:9]
	v_div_scale_f64 v[10:11], vcc_lo, 1.0, v[4:5], 1.0
	v_mul_f64 v[12:13], v[10:11], v[8:9]
	v_fma_f64 v[6:7], -v[6:7], v[12:13], v[10:11]
	v_div_fmas_f64 v[6:7], v[6:7], v[8:9], v[12:13]
	v_div_fixup_f64 v[4:5], v[6:7], v[4:5], 1.0
	ds_write_b64 v1, v[4:5]
.LBB121_144:
	s_or_b32 exec_lo, exec_lo, s1
	s_waitcnt lgkmcnt(0)
	s_barrier
	buffer_gl0_inv
	ds_read_b64 v[4:5], v1
	s_mov_b32 s1, exec_lo
	v_cmpx_lt_u32_e32 28, v0
	s_cbranch_execz .LBB121_146
; %bb.145:
	s_waitcnt lgkmcnt(0)
	v_mul_f64 v[198:199], v[4:5], v[198:199]
	ds_read2_b64 v[6:9], v68 offset0:29 offset1:30
	s_waitcnt lgkmcnt(0)
	v_fma_f64 v[156:157], -v[198:199], v[6:7], v[156:157]
	v_fma_f64 v[196:197], -v[198:199], v[8:9], v[196:197]
	ds_read2_b64 v[6:9], v68 offset0:31 offset1:32
	s_waitcnt lgkmcnt(0)
	v_fma_f64 v[154:155], -v[198:199], v[6:7], v[154:155]
	v_fma_f64 v[194:195], -v[198:199], v[8:9], v[194:195]
	;; [unrolled: 4-line block ×16, first 2 shown]
.LBB121_146:
	s_or_b32 exec_lo, exec_lo, s1
	s_mov_b32 s1, exec_lo
	s_waitcnt lgkmcnt(0)
	s_barrier
	buffer_gl0_inv
	v_cmpx_eq_u32_e32 29, v0
	s_cbranch_execz .LBB121_149
; %bb.147:
	v_mov_b32_e32 v6, v196
	v_mov_b32_e32 v7, v197
	;; [unrolled: 1-line block ×4, first 2 shown]
	ds_write_b64 v1, v[156:157]
	ds_write2_b64 v68, v[6:7], v[8:9] offset0:30 offset1:31
	v_mov_b32_e32 v6, v194
	v_mov_b32_e32 v7, v195
	v_mov_b32_e32 v8, v152
	v_mov_b32_e32 v9, v153
	ds_write2_b64 v68, v[6:7], v[8:9] offset0:32 offset1:33
	v_mov_b32_e32 v6, v192
	v_mov_b32_e32 v7, v193
	v_mov_b32_e32 v8, v150
	v_mov_b32_e32 v9, v151
	;; [unrolled: 5-line block ×14, first 2 shown]
	ds_write2_b64 v68, v[6:7], v[8:9] offset0:58 offset1:59
	ds_write_b64 v68, v[246:247] offset:480
	ds_read_b64 v[6:7], v1
	s_waitcnt lgkmcnt(0)
	v_cmp_neq_f64_e32 vcc_lo, 0, v[6:7]
	s_and_b32 exec_lo, exec_lo, vcc_lo
	s_cbranch_execz .LBB121_149
; %bb.148:
	v_div_scale_f64 v[8:9], null, v[6:7], v[6:7], 1.0
	v_rcp_f64_e32 v[10:11], v[8:9]
	v_fma_f64 v[12:13], -v[8:9], v[10:11], 1.0
	v_fma_f64 v[10:11], v[10:11], v[12:13], v[10:11]
	v_fma_f64 v[12:13], -v[8:9], v[10:11], 1.0
	v_fma_f64 v[10:11], v[10:11], v[12:13], v[10:11]
	v_div_scale_f64 v[12:13], vcc_lo, 1.0, v[6:7], 1.0
	v_mul_f64 v[14:15], v[12:13], v[10:11]
	v_fma_f64 v[8:9], -v[8:9], v[14:15], v[12:13]
	v_div_fmas_f64 v[8:9], v[8:9], v[10:11], v[14:15]
	v_div_fixup_f64 v[6:7], v[8:9], v[6:7], 1.0
	ds_write_b64 v1, v[6:7]
.LBB121_149:
	s_or_b32 exec_lo, exec_lo, s1
	s_waitcnt lgkmcnt(0)
	s_barrier
	buffer_gl0_inv
	ds_read_b64 v[6:7], v1
	s_mov_b32 s1, exec_lo
	v_cmpx_lt_u32_e32 29, v0
	s_cbranch_execz .LBB121_151
; %bb.150:
	s_waitcnt lgkmcnt(0)
	v_mul_f64 v[156:157], v[6:7], v[156:157]
	ds_read2_b64 v[8:11], v68 offset0:30 offset1:31
	s_waitcnt lgkmcnt(0)
	v_fma_f64 v[196:197], -v[156:157], v[8:9], v[196:197]
	v_fma_f64 v[154:155], -v[156:157], v[10:11], v[154:155]
	ds_read2_b64 v[8:11], v68 offset0:32 offset1:33
	s_waitcnt lgkmcnt(0)
	v_fma_f64 v[194:195], -v[156:157], v[8:9], v[194:195]
	v_fma_f64 v[152:153], -v[156:157], v[10:11], v[152:153]
	;; [unrolled: 4-line block ×14, first 2 shown]
	ds_read2_b64 v[8:11], v68 offset0:58 offset1:59
	s_waitcnt lgkmcnt(0)
	v_fma_f64 v[168:169], -v[156:157], v[8:9], v[168:169]
	ds_read_b64 v[8:9], v68 offset:480
	v_fma_f64 v[126:127], -v[156:157], v[10:11], v[126:127]
	s_waitcnt lgkmcnt(0)
	v_fma_f64 v[246:247], -v[156:157], v[8:9], v[246:247]
.LBB121_151:
	s_or_b32 exec_lo, exec_lo, s1
	s_mov_b32 s1, exec_lo
	s_waitcnt lgkmcnt(0)
	s_barrier
	buffer_gl0_inv
	v_cmpx_eq_u32_e32 30, v0
	s_cbranch_execz .LBB121_154
; %bb.152:
	ds_write_b64 v1, v[196:197]
	ds_write2_b64 v68, v[154:155], v[194:195] offset0:31 offset1:32
	ds_write2_b64 v68, v[152:153], v[192:193] offset0:33 offset1:34
	;; [unrolled: 1-line block ×15, first 2 shown]
	ds_read_b64 v[8:9], v1
	s_waitcnt lgkmcnt(0)
	v_cmp_neq_f64_e32 vcc_lo, 0, v[8:9]
	s_and_b32 exec_lo, exec_lo, vcc_lo
	s_cbranch_execz .LBB121_154
; %bb.153:
	v_div_scale_f64 v[10:11], null, v[8:9], v[8:9], 1.0
	v_rcp_f64_e32 v[12:13], v[10:11]
	v_fma_f64 v[14:15], -v[10:11], v[12:13], 1.0
	v_fma_f64 v[12:13], v[12:13], v[14:15], v[12:13]
	v_fma_f64 v[14:15], -v[10:11], v[12:13], 1.0
	v_fma_f64 v[12:13], v[12:13], v[14:15], v[12:13]
	v_div_scale_f64 v[14:15], vcc_lo, 1.0, v[8:9], 1.0
	v_mul_f64 v[16:17], v[14:15], v[12:13]
	v_fma_f64 v[10:11], -v[10:11], v[16:17], v[14:15]
	v_div_fmas_f64 v[10:11], v[10:11], v[12:13], v[16:17]
	v_div_fixup_f64 v[8:9], v[10:11], v[8:9], 1.0
	ds_write_b64 v1, v[8:9]
.LBB121_154:
	s_or_b32 exec_lo, exec_lo, s1
	s_waitcnt lgkmcnt(0)
	s_barrier
	buffer_gl0_inv
	ds_read_b64 v[8:9], v1
	s_mov_b32 s1, exec_lo
	v_cmpx_lt_u32_e32 30, v0
	s_cbranch_execz .LBB121_156
; %bb.155:
	s_waitcnt lgkmcnt(0)
	v_mul_f64 v[196:197], v[8:9], v[196:197]
	ds_read2_b64 v[10:13], v68 offset0:31 offset1:32
	s_waitcnt lgkmcnt(0)
	v_fma_f64 v[154:155], -v[196:197], v[10:11], v[154:155]
	v_fma_f64 v[194:195], -v[196:197], v[12:13], v[194:195]
	ds_read2_b64 v[10:13], v68 offset0:33 offset1:34
	s_waitcnt lgkmcnt(0)
	v_fma_f64 v[152:153], -v[196:197], v[10:11], v[152:153]
	v_fma_f64 v[192:193], -v[196:197], v[12:13], v[192:193]
	;; [unrolled: 4-line block ×15, first 2 shown]
.LBB121_156:
	s_or_b32 exec_lo, exec_lo, s1
	s_mov_b32 s1, exec_lo
	s_waitcnt lgkmcnt(0)
	s_barrier
	buffer_gl0_inv
	v_cmpx_eq_u32_e32 31, v0
	s_cbranch_execz .LBB121_159
; %bb.157:
	v_mov_b32_e32 v10, v194
	v_mov_b32_e32 v11, v195
	;; [unrolled: 1-line block ×4, first 2 shown]
	ds_write_b64 v1, v[154:155]
	ds_write2_b64 v68, v[10:11], v[12:13] offset0:32 offset1:33
	v_mov_b32_e32 v10, v192
	v_mov_b32_e32 v11, v193
	v_mov_b32_e32 v12, v150
	v_mov_b32_e32 v13, v151
	ds_write2_b64 v68, v[10:11], v[12:13] offset0:34 offset1:35
	v_mov_b32_e32 v10, v190
	v_mov_b32_e32 v11, v191
	v_mov_b32_e32 v12, v148
	v_mov_b32_e32 v13, v149
	;; [unrolled: 5-line block ×13, first 2 shown]
	ds_write2_b64 v68, v[10:11], v[12:13] offset0:58 offset1:59
	ds_write_b64 v68, v[246:247] offset:480
	ds_read_b64 v[10:11], v1
	s_waitcnt lgkmcnt(0)
	v_cmp_neq_f64_e32 vcc_lo, 0, v[10:11]
	s_and_b32 exec_lo, exec_lo, vcc_lo
	s_cbranch_execz .LBB121_159
; %bb.158:
	v_div_scale_f64 v[12:13], null, v[10:11], v[10:11], 1.0
	v_rcp_f64_e32 v[14:15], v[12:13]
	v_fma_f64 v[16:17], -v[12:13], v[14:15], 1.0
	v_fma_f64 v[14:15], v[14:15], v[16:17], v[14:15]
	v_fma_f64 v[16:17], -v[12:13], v[14:15], 1.0
	v_fma_f64 v[14:15], v[14:15], v[16:17], v[14:15]
	v_div_scale_f64 v[16:17], vcc_lo, 1.0, v[10:11], 1.0
	v_mul_f64 v[18:19], v[16:17], v[14:15]
	v_fma_f64 v[12:13], -v[12:13], v[18:19], v[16:17]
	v_div_fmas_f64 v[12:13], v[12:13], v[14:15], v[18:19]
	v_div_fixup_f64 v[10:11], v[12:13], v[10:11], 1.0
	ds_write_b64 v1, v[10:11]
.LBB121_159:
	s_or_b32 exec_lo, exec_lo, s1
	s_waitcnt lgkmcnt(0)
	s_barrier
	buffer_gl0_inv
	ds_read_b64 v[10:11], v1
	s_mov_b32 s1, exec_lo
	v_cmpx_lt_u32_e32 31, v0
	s_cbranch_execz .LBB121_161
; %bb.160:
	s_waitcnt lgkmcnt(0)
	v_mul_f64 v[154:155], v[10:11], v[154:155]
	ds_read2_b64 v[12:15], v68 offset0:32 offset1:33
	s_waitcnt lgkmcnt(0)
	v_fma_f64 v[194:195], -v[154:155], v[12:13], v[194:195]
	v_fma_f64 v[152:153], -v[154:155], v[14:15], v[152:153]
	ds_read2_b64 v[12:15], v68 offset0:34 offset1:35
	s_waitcnt lgkmcnt(0)
	v_fma_f64 v[192:193], -v[154:155], v[12:13], v[192:193]
	v_fma_f64 v[150:151], -v[154:155], v[14:15], v[150:151]
	;; [unrolled: 4-line block ×13, first 2 shown]
	ds_read2_b64 v[12:15], v68 offset0:58 offset1:59
	s_waitcnt lgkmcnt(0)
	v_fma_f64 v[168:169], -v[154:155], v[12:13], v[168:169]
	ds_read_b64 v[12:13], v68 offset:480
	v_fma_f64 v[126:127], -v[154:155], v[14:15], v[126:127]
	s_waitcnt lgkmcnt(0)
	v_fma_f64 v[246:247], -v[154:155], v[12:13], v[246:247]
.LBB121_161:
	s_or_b32 exec_lo, exec_lo, s1
	s_mov_b32 s1, exec_lo
	s_waitcnt lgkmcnt(0)
	s_barrier
	buffer_gl0_inv
	v_cmpx_eq_u32_e32 32, v0
	s_cbranch_execz .LBB121_164
; %bb.162:
	ds_write_b64 v1, v[194:195]
	ds_write2_b64 v68, v[152:153], v[192:193] offset0:33 offset1:34
	ds_write2_b64 v68, v[150:151], v[190:191] offset0:35 offset1:36
	;; [unrolled: 1-line block ×14, first 2 shown]
	ds_read_b64 v[12:13], v1
	s_waitcnt lgkmcnt(0)
	v_cmp_neq_f64_e32 vcc_lo, 0, v[12:13]
	s_and_b32 exec_lo, exec_lo, vcc_lo
	s_cbranch_execz .LBB121_164
; %bb.163:
	v_div_scale_f64 v[14:15], null, v[12:13], v[12:13], 1.0
	v_rcp_f64_e32 v[16:17], v[14:15]
	v_fma_f64 v[18:19], -v[14:15], v[16:17], 1.0
	v_fma_f64 v[16:17], v[16:17], v[18:19], v[16:17]
	v_fma_f64 v[18:19], -v[14:15], v[16:17], 1.0
	v_fma_f64 v[16:17], v[16:17], v[18:19], v[16:17]
	v_div_scale_f64 v[18:19], vcc_lo, 1.0, v[12:13], 1.0
	v_mul_f64 v[20:21], v[18:19], v[16:17]
	v_fma_f64 v[14:15], -v[14:15], v[20:21], v[18:19]
	v_div_fmas_f64 v[14:15], v[14:15], v[16:17], v[20:21]
	v_div_fixup_f64 v[12:13], v[14:15], v[12:13], 1.0
	ds_write_b64 v1, v[12:13]
.LBB121_164:
	s_or_b32 exec_lo, exec_lo, s1
	s_waitcnt lgkmcnt(0)
	s_barrier
	buffer_gl0_inv
	ds_read_b64 v[12:13], v1
	s_mov_b32 s1, exec_lo
	v_cmpx_lt_u32_e32 32, v0
	s_cbranch_execz .LBB121_166
; %bb.165:
	s_waitcnt lgkmcnt(0)
	v_mul_f64 v[194:195], v[12:13], v[194:195]
	ds_read2_b64 v[14:17], v68 offset0:33 offset1:34
	s_waitcnt lgkmcnt(0)
	v_fma_f64 v[152:153], -v[194:195], v[14:15], v[152:153]
	v_fma_f64 v[192:193], -v[194:195], v[16:17], v[192:193]
	ds_read2_b64 v[14:17], v68 offset0:35 offset1:36
	s_waitcnt lgkmcnt(0)
	v_fma_f64 v[150:151], -v[194:195], v[14:15], v[150:151]
	v_fma_f64 v[190:191], -v[194:195], v[16:17], v[190:191]
	;; [unrolled: 4-line block ×14, first 2 shown]
.LBB121_166:
	s_or_b32 exec_lo, exec_lo, s1
	s_mov_b32 s1, exec_lo
	s_waitcnt lgkmcnt(0)
	s_barrier
	buffer_gl0_inv
	v_cmpx_eq_u32_e32 33, v0
	s_cbranch_execz .LBB121_169
; %bb.167:
	v_mov_b32_e32 v14, v192
	v_mov_b32_e32 v15, v193
	;; [unrolled: 1-line block ×4, first 2 shown]
	ds_write_b64 v1, v[152:153]
	ds_write2_b64 v68, v[14:15], v[16:17] offset0:34 offset1:35
	v_mov_b32_e32 v14, v190
	v_mov_b32_e32 v15, v191
	v_mov_b32_e32 v16, v148
	v_mov_b32_e32 v17, v149
	ds_write2_b64 v68, v[14:15], v[16:17] offset0:36 offset1:37
	v_mov_b32_e32 v14, v188
	v_mov_b32_e32 v15, v189
	v_mov_b32_e32 v16, v146
	v_mov_b32_e32 v17, v147
	;; [unrolled: 5-line block ×12, first 2 shown]
	ds_write2_b64 v68, v[14:15], v[16:17] offset0:58 offset1:59
	ds_write_b64 v68, v[246:247] offset:480
	ds_read_b64 v[14:15], v1
	s_waitcnt lgkmcnt(0)
	v_cmp_neq_f64_e32 vcc_lo, 0, v[14:15]
	s_and_b32 exec_lo, exec_lo, vcc_lo
	s_cbranch_execz .LBB121_169
; %bb.168:
	v_div_scale_f64 v[16:17], null, v[14:15], v[14:15], 1.0
	v_rcp_f64_e32 v[18:19], v[16:17]
	v_fma_f64 v[20:21], -v[16:17], v[18:19], 1.0
	v_fma_f64 v[18:19], v[18:19], v[20:21], v[18:19]
	v_fma_f64 v[20:21], -v[16:17], v[18:19], 1.0
	v_fma_f64 v[18:19], v[18:19], v[20:21], v[18:19]
	v_div_scale_f64 v[20:21], vcc_lo, 1.0, v[14:15], 1.0
	v_mul_f64 v[22:23], v[20:21], v[18:19]
	v_fma_f64 v[16:17], -v[16:17], v[22:23], v[20:21]
	v_div_fmas_f64 v[16:17], v[16:17], v[18:19], v[22:23]
	v_div_fixup_f64 v[14:15], v[16:17], v[14:15], 1.0
	ds_write_b64 v1, v[14:15]
.LBB121_169:
	s_or_b32 exec_lo, exec_lo, s1
	s_waitcnt lgkmcnt(0)
	s_barrier
	buffer_gl0_inv
	ds_read_b64 v[14:15], v1
	s_mov_b32 s1, exec_lo
	v_cmpx_lt_u32_e32 33, v0
	s_cbranch_execz .LBB121_171
; %bb.170:
	s_waitcnt lgkmcnt(0)
	v_mul_f64 v[152:153], v[14:15], v[152:153]
	ds_read2_b64 v[16:19], v68 offset0:34 offset1:35
	s_waitcnt lgkmcnt(0)
	v_fma_f64 v[192:193], -v[152:153], v[16:17], v[192:193]
	v_fma_f64 v[150:151], -v[152:153], v[18:19], v[150:151]
	ds_read2_b64 v[16:19], v68 offset0:36 offset1:37
	s_waitcnt lgkmcnt(0)
	v_fma_f64 v[190:191], -v[152:153], v[16:17], v[190:191]
	v_fma_f64 v[148:149], -v[152:153], v[18:19], v[148:149]
	;; [unrolled: 4-line block ×12, first 2 shown]
	ds_read2_b64 v[16:19], v68 offset0:58 offset1:59
	s_waitcnt lgkmcnt(0)
	v_fma_f64 v[168:169], -v[152:153], v[16:17], v[168:169]
	ds_read_b64 v[16:17], v68 offset:480
	v_fma_f64 v[126:127], -v[152:153], v[18:19], v[126:127]
	s_waitcnt lgkmcnt(0)
	v_fma_f64 v[246:247], -v[152:153], v[16:17], v[246:247]
.LBB121_171:
	s_or_b32 exec_lo, exec_lo, s1
	s_mov_b32 s1, exec_lo
	s_waitcnt lgkmcnt(0)
	s_barrier
	buffer_gl0_inv
	v_cmpx_eq_u32_e32 34, v0
	s_cbranch_execz .LBB121_174
; %bb.172:
	ds_write_b64 v1, v[192:193]
	ds_write2_b64 v68, v[150:151], v[190:191] offset0:35 offset1:36
	ds_write2_b64 v68, v[148:149], v[188:189] offset0:37 offset1:38
	;; [unrolled: 1-line block ×13, first 2 shown]
	ds_read_b64 v[16:17], v1
	s_waitcnt lgkmcnt(0)
	v_cmp_neq_f64_e32 vcc_lo, 0, v[16:17]
	s_and_b32 exec_lo, exec_lo, vcc_lo
	s_cbranch_execz .LBB121_174
; %bb.173:
	v_div_scale_f64 v[18:19], null, v[16:17], v[16:17], 1.0
	v_rcp_f64_e32 v[20:21], v[18:19]
	v_fma_f64 v[22:23], -v[18:19], v[20:21], 1.0
	v_fma_f64 v[20:21], v[20:21], v[22:23], v[20:21]
	v_fma_f64 v[22:23], -v[18:19], v[20:21], 1.0
	v_fma_f64 v[20:21], v[20:21], v[22:23], v[20:21]
	v_div_scale_f64 v[22:23], vcc_lo, 1.0, v[16:17], 1.0
	v_mul_f64 v[24:25], v[22:23], v[20:21]
	v_fma_f64 v[18:19], -v[18:19], v[24:25], v[22:23]
	v_div_fmas_f64 v[18:19], v[18:19], v[20:21], v[24:25]
	v_div_fixup_f64 v[16:17], v[18:19], v[16:17], 1.0
	ds_write_b64 v1, v[16:17]
.LBB121_174:
	s_or_b32 exec_lo, exec_lo, s1
	s_waitcnt lgkmcnt(0)
	s_barrier
	buffer_gl0_inv
	ds_read_b64 v[16:17], v1
	s_mov_b32 s1, exec_lo
	v_cmpx_lt_u32_e32 34, v0
	s_cbranch_execz .LBB121_176
; %bb.175:
	s_waitcnt lgkmcnt(0)
	v_mul_f64 v[192:193], v[16:17], v[192:193]
	ds_read2_b64 v[18:21], v68 offset0:35 offset1:36
	s_waitcnt lgkmcnt(0)
	v_fma_f64 v[150:151], -v[192:193], v[18:19], v[150:151]
	v_fma_f64 v[190:191], -v[192:193], v[20:21], v[190:191]
	ds_read2_b64 v[18:21], v68 offset0:37 offset1:38
	s_waitcnt lgkmcnt(0)
	v_fma_f64 v[148:149], -v[192:193], v[18:19], v[148:149]
	v_fma_f64 v[188:189], -v[192:193], v[20:21], v[188:189]
	;; [unrolled: 4-line block ×13, first 2 shown]
.LBB121_176:
	s_or_b32 exec_lo, exec_lo, s1
	s_mov_b32 s1, exec_lo
	s_waitcnt lgkmcnt(0)
	s_barrier
	buffer_gl0_inv
	v_cmpx_eq_u32_e32 35, v0
	s_cbranch_execz .LBB121_179
; %bb.177:
	v_mov_b32_e32 v18, v190
	v_mov_b32_e32 v19, v191
	;; [unrolled: 1-line block ×4, first 2 shown]
	ds_write_b64 v1, v[150:151]
	ds_write2_b64 v68, v[18:19], v[20:21] offset0:36 offset1:37
	v_mov_b32_e32 v18, v188
	v_mov_b32_e32 v19, v189
	v_mov_b32_e32 v20, v146
	v_mov_b32_e32 v21, v147
	ds_write2_b64 v68, v[18:19], v[20:21] offset0:38 offset1:39
	v_mov_b32_e32 v18, v186
	v_mov_b32_e32 v19, v187
	v_mov_b32_e32 v20, v144
	v_mov_b32_e32 v21, v145
	;; [unrolled: 5-line block ×11, first 2 shown]
	ds_write2_b64 v68, v[18:19], v[20:21] offset0:58 offset1:59
	ds_write_b64 v68, v[246:247] offset:480
	ds_read_b64 v[18:19], v1
	s_waitcnt lgkmcnt(0)
	v_cmp_neq_f64_e32 vcc_lo, 0, v[18:19]
	s_and_b32 exec_lo, exec_lo, vcc_lo
	s_cbranch_execz .LBB121_179
; %bb.178:
	v_div_scale_f64 v[20:21], null, v[18:19], v[18:19], 1.0
	v_rcp_f64_e32 v[22:23], v[20:21]
	v_fma_f64 v[24:25], -v[20:21], v[22:23], 1.0
	v_fma_f64 v[22:23], v[22:23], v[24:25], v[22:23]
	v_fma_f64 v[24:25], -v[20:21], v[22:23], 1.0
	v_fma_f64 v[22:23], v[22:23], v[24:25], v[22:23]
	v_div_scale_f64 v[24:25], vcc_lo, 1.0, v[18:19], 1.0
	v_mul_f64 v[26:27], v[24:25], v[22:23]
	v_fma_f64 v[20:21], -v[20:21], v[26:27], v[24:25]
	v_div_fmas_f64 v[20:21], v[20:21], v[22:23], v[26:27]
	v_div_fixup_f64 v[18:19], v[20:21], v[18:19], 1.0
	ds_write_b64 v1, v[18:19]
.LBB121_179:
	s_or_b32 exec_lo, exec_lo, s1
	s_waitcnt lgkmcnt(0)
	s_barrier
	buffer_gl0_inv
	ds_read_b64 v[18:19], v1
	s_mov_b32 s1, exec_lo
	v_cmpx_lt_u32_e32 35, v0
	s_cbranch_execz .LBB121_181
; %bb.180:
	s_waitcnt lgkmcnt(0)
	v_mul_f64 v[150:151], v[18:19], v[150:151]
	ds_read2_b64 v[20:23], v68 offset0:36 offset1:37
	s_waitcnt lgkmcnt(0)
	v_fma_f64 v[190:191], -v[150:151], v[20:21], v[190:191]
	v_fma_f64 v[148:149], -v[150:151], v[22:23], v[148:149]
	ds_read2_b64 v[20:23], v68 offset0:38 offset1:39
	s_waitcnt lgkmcnt(0)
	v_fma_f64 v[188:189], -v[150:151], v[20:21], v[188:189]
	v_fma_f64 v[146:147], -v[150:151], v[22:23], v[146:147]
	;; [unrolled: 4-line block ×11, first 2 shown]
	ds_read2_b64 v[20:23], v68 offset0:58 offset1:59
	s_waitcnt lgkmcnt(0)
	v_fma_f64 v[168:169], -v[150:151], v[20:21], v[168:169]
	ds_read_b64 v[20:21], v68 offset:480
	v_fma_f64 v[126:127], -v[150:151], v[22:23], v[126:127]
	s_waitcnt lgkmcnt(0)
	v_fma_f64 v[246:247], -v[150:151], v[20:21], v[246:247]
.LBB121_181:
	s_or_b32 exec_lo, exec_lo, s1
	s_mov_b32 s1, exec_lo
	s_waitcnt lgkmcnt(0)
	s_barrier
	buffer_gl0_inv
	v_cmpx_eq_u32_e32 36, v0
	s_cbranch_execz .LBB121_184
; %bb.182:
	ds_write_b64 v1, v[190:191]
	ds_write2_b64 v68, v[148:149], v[188:189] offset0:37 offset1:38
	ds_write2_b64 v68, v[146:147], v[186:187] offset0:39 offset1:40
	;; [unrolled: 1-line block ×12, first 2 shown]
	ds_read_b64 v[20:21], v1
	s_waitcnt lgkmcnt(0)
	v_cmp_neq_f64_e32 vcc_lo, 0, v[20:21]
	s_and_b32 exec_lo, exec_lo, vcc_lo
	s_cbranch_execz .LBB121_184
; %bb.183:
	v_div_scale_f64 v[22:23], null, v[20:21], v[20:21], 1.0
	v_rcp_f64_e32 v[24:25], v[22:23]
	v_fma_f64 v[26:27], -v[22:23], v[24:25], 1.0
	v_fma_f64 v[24:25], v[24:25], v[26:27], v[24:25]
	v_fma_f64 v[26:27], -v[22:23], v[24:25], 1.0
	v_fma_f64 v[24:25], v[24:25], v[26:27], v[24:25]
	v_div_scale_f64 v[26:27], vcc_lo, 1.0, v[20:21], 1.0
	v_mul_f64 v[28:29], v[26:27], v[24:25]
	v_fma_f64 v[22:23], -v[22:23], v[28:29], v[26:27]
	v_div_fmas_f64 v[22:23], v[22:23], v[24:25], v[28:29]
	v_div_fixup_f64 v[20:21], v[22:23], v[20:21], 1.0
	ds_write_b64 v1, v[20:21]
.LBB121_184:
	s_or_b32 exec_lo, exec_lo, s1
	s_waitcnt lgkmcnt(0)
	s_barrier
	buffer_gl0_inv
	ds_read_b64 v[248:249], v1
	s_mov_b32 s1, exec_lo
	v_cmpx_lt_u32_e32 36, v0
	s_cbranch_execz .LBB121_186
; %bb.185:
	s_waitcnt lgkmcnt(0)
	v_mul_f64 v[190:191], v[248:249], v[190:191]
	ds_read2_b64 v[20:23], v68 offset0:37 offset1:38
	s_waitcnt lgkmcnt(0)
	v_fma_f64 v[148:149], -v[190:191], v[20:21], v[148:149]
	v_fma_f64 v[188:189], -v[190:191], v[22:23], v[188:189]
	ds_read2_b64 v[20:23], v68 offset0:39 offset1:40
	s_waitcnt lgkmcnt(0)
	v_fma_f64 v[146:147], -v[190:191], v[20:21], v[146:147]
	v_fma_f64 v[186:187], -v[190:191], v[22:23], v[186:187]
	;; [unrolled: 4-line block ×12, first 2 shown]
.LBB121_186:
	s_or_b32 exec_lo, exec_lo, s1
	s_mov_b32 s1, exec_lo
	s_waitcnt lgkmcnt(0)
	s_barrier
	buffer_gl0_inv
	v_cmpx_eq_u32_e32 37, v0
	s_cbranch_execz .LBB121_189
; %bb.187:
	v_mov_b32_e32 v20, v188
	v_mov_b32_e32 v21, v189
	v_mov_b32_e32 v22, v146
	v_mov_b32_e32 v23, v147
	ds_write_b64 v1, v[148:149]
	ds_write2_b64 v68, v[20:21], v[22:23] offset0:38 offset1:39
	v_mov_b32_e32 v20, v186
	v_mov_b32_e32 v21, v187
	v_mov_b32_e32 v22, v144
	v_mov_b32_e32 v23, v145
	ds_write2_b64 v68, v[20:21], v[22:23] offset0:40 offset1:41
	v_mov_b32_e32 v20, v184
	v_mov_b32_e32 v21, v185
	v_mov_b32_e32 v22, v142
	v_mov_b32_e32 v23, v143
	;; [unrolled: 5-line block ×10, first 2 shown]
	ds_write2_b64 v68, v[20:21], v[22:23] offset0:58 offset1:59
	ds_write_b64 v68, v[246:247] offset:480
	ds_read_b64 v[20:21], v1
	s_waitcnt lgkmcnt(0)
	v_cmp_neq_f64_e32 vcc_lo, 0, v[20:21]
	s_and_b32 exec_lo, exec_lo, vcc_lo
	s_cbranch_execz .LBB121_189
; %bb.188:
	v_div_scale_f64 v[22:23], null, v[20:21], v[20:21], 1.0
	v_rcp_f64_e32 v[24:25], v[22:23]
	v_fma_f64 v[26:27], -v[22:23], v[24:25], 1.0
	v_fma_f64 v[24:25], v[24:25], v[26:27], v[24:25]
	v_fma_f64 v[26:27], -v[22:23], v[24:25], 1.0
	v_fma_f64 v[24:25], v[24:25], v[26:27], v[24:25]
	v_div_scale_f64 v[26:27], vcc_lo, 1.0, v[20:21], 1.0
	v_mul_f64 v[28:29], v[26:27], v[24:25]
	v_fma_f64 v[22:23], -v[22:23], v[28:29], v[26:27]
	v_div_fmas_f64 v[22:23], v[22:23], v[24:25], v[28:29]
	v_div_fixup_f64 v[20:21], v[22:23], v[20:21], 1.0
	ds_write_b64 v1, v[20:21]
.LBB121_189:
	s_or_b32 exec_lo, exec_lo, s1
	s_waitcnt lgkmcnt(0)
	s_barrier
	buffer_gl0_inv
	ds_read_b64 v[20:21], v1
	s_mov_b32 s1, exec_lo
	v_cmpx_lt_u32_e32 37, v0
	s_cbranch_execz .LBB121_191
; %bb.190:
	s_waitcnt lgkmcnt(0)
	v_mul_f64 v[148:149], v[20:21], v[148:149]
	ds_read2_b64 v[22:25], v68 offset0:38 offset1:39
	s_waitcnt lgkmcnt(0)
	v_fma_f64 v[188:189], -v[148:149], v[22:23], v[188:189]
	v_fma_f64 v[146:147], -v[148:149], v[24:25], v[146:147]
	ds_read2_b64 v[22:25], v68 offset0:40 offset1:41
	s_waitcnt lgkmcnt(0)
	v_fma_f64 v[186:187], -v[148:149], v[22:23], v[186:187]
	v_fma_f64 v[144:145], -v[148:149], v[24:25], v[144:145]
	;; [unrolled: 4-line block ×10, first 2 shown]
	ds_read2_b64 v[22:25], v68 offset0:58 offset1:59
	s_waitcnt lgkmcnt(0)
	v_fma_f64 v[168:169], -v[148:149], v[22:23], v[168:169]
	ds_read_b64 v[22:23], v68 offset:480
	v_fma_f64 v[126:127], -v[148:149], v[24:25], v[126:127]
	s_waitcnt lgkmcnt(0)
	v_fma_f64 v[246:247], -v[148:149], v[22:23], v[246:247]
.LBB121_191:
	s_or_b32 exec_lo, exec_lo, s1
	s_mov_b32 s1, exec_lo
	s_waitcnt lgkmcnt(0)
	s_barrier
	buffer_gl0_inv
	v_cmpx_eq_u32_e32 38, v0
	s_cbranch_execz .LBB121_194
; %bb.192:
	ds_write_b64 v1, v[188:189]
	ds_write2_b64 v68, v[146:147], v[186:187] offset0:39 offset1:40
	ds_write2_b64 v68, v[144:145], v[184:185] offset0:41 offset1:42
	;; [unrolled: 1-line block ×11, first 2 shown]
	ds_read_b64 v[22:23], v1
	s_waitcnt lgkmcnt(0)
	v_cmp_neq_f64_e32 vcc_lo, 0, v[22:23]
	s_and_b32 exec_lo, exec_lo, vcc_lo
	s_cbranch_execz .LBB121_194
; %bb.193:
	v_div_scale_f64 v[24:25], null, v[22:23], v[22:23], 1.0
	v_rcp_f64_e32 v[26:27], v[24:25]
	v_fma_f64 v[28:29], -v[24:25], v[26:27], 1.0
	v_fma_f64 v[26:27], v[26:27], v[28:29], v[26:27]
	v_fma_f64 v[28:29], -v[24:25], v[26:27], 1.0
	v_fma_f64 v[26:27], v[26:27], v[28:29], v[26:27]
	v_div_scale_f64 v[28:29], vcc_lo, 1.0, v[22:23], 1.0
	v_mul_f64 v[30:31], v[28:29], v[26:27]
	v_fma_f64 v[24:25], -v[24:25], v[30:31], v[28:29]
	v_div_fmas_f64 v[24:25], v[24:25], v[26:27], v[30:31]
	v_div_fixup_f64 v[22:23], v[24:25], v[22:23], 1.0
	ds_write_b64 v1, v[22:23]
.LBB121_194:
	s_or_b32 exec_lo, exec_lo, s1
	s_waitcnt lgkmcnt(0)
	s_barrier
	buffer_gl0_inv
	ds_read_b64 v[22:23], v1
	s_mov_b32 s1, exec_lo
	v_cmpx_lt_u32_e32 38, v0
	s_cbranch_execz .LBB121_196
; %bb.195:
	s_waitcnt lgkmcnt(0)
	v_mul_f64 v[188:189], v[22:23], v[188:189]
	ds_read2_b64 v[24:27], v68 offset0:39 offset1:40
	s_waitcnt lgkmcnt(0)
	v_fma_f64 v[146:147], -v[188:189], v[24:25], v[146:147]
	v_fma_f64 v[186:187], -v[188:189], v[26:27], v[186:187]
	ds_read2_b64 v[24:27], v68 offset0:41 offset1:42
	s_waitcnt lgkmcnt(0)
	v_fma_f64 v[144:145], -v[188:189], v[24:25], v[144:145]
	v_fma_f64 v[184:185], -v[188:189], v[26:27], v[184:185]
	;; [unrolled: 4-line block ×11, first 2 shown]
.LBB121_196:
	s_or_b32 exec_lo, exec_lo, s1
	s_mov_b32 s1, exec_lo
	s_waitcnt lgkmcnt(0)
	s_barrier
	buffer_gl0_inv
	v_cmpx_eq_u32_e32 39, v0
	s_cbranch_execz .LBB121_199
; %bb.197:
	v_mov_b32_e32 v24, v186
	v_mov_b32_e32 v25, v187
	;; [unrolled: 1-line block ×4, first 2 shown]
	ds_write_b64 v1, v[146:147]
	ds_write2_b64 v68, v[24:25], v[26:27] offset0:40 offset1:41
	v_mov_b32_e32 v24, v184
	v_mov_b32_e32 v25, v185
	v_mov_b32_e32 v26, v142
	v_mov_b32_e32 v27, v143
	ds_write2_b64 v68, v[24:25], v[26:27] offset0:42 offset1:43
	v_mov_b32_e32 v24, v182
	v_mov_b32_e32 v25, v183
	v_mov_b32_e32 v26, v140
	v_mov_b32_e32 v27, v141
	;; [unrolled: 5-line block ×9, first 2 shown]
	ds_write2_b64 v68, v[24:25], v[26:27] offset0:58 offset1:59
	ds_write_b64 v68, v[246:247] offset:480
	ds_read_b64 v[24:25], v1
	s_waitcnt lgkmcnt(0)
	v_cmp_neq_f64_e32 vcc_lo, 0, v[24:25]
	s_and_b32 exec_lo, exec_lo, vcc_lo
	s_cbranch_execz .LBB121_199
; %bb.198:
	v_div_scale_f64 v[26:27], null, v[24:25], v[24:25], 1.0
	v_rcp_f64_e32 v[28:29], v[26:27]
	v_fma_f64 v[30:31], -v[26:27], v[28:29], 1.0
	v_fma_f64 v[28:29], v[28:29], v[30:31], v[28:29]
	v_fma_f64 v[30:31], -v[26:27], v[28:29], 1.0
	v_fma_f64 v[28:29], v[28:29], v[30:31], v[28:29]
	v_div_scale_f64 v[30:31], vcc_lo, 1.0, v[24:25], 1.0
	v_mul_f64 v[32:33], v[30:31], v[28:29]
	v_fma_f64 v[26:27], -v[26:27], v[32:33], v[30:31]
	v_div_fmas_f64 v[26:27], v[26:27], v[28:29], v[32:33]
	v_div_fixup_f64 v[24:25], v[26:27], v[24:25], 1.0
	ds_write_b64 v1, v[24:25]
.LBB121_199:
	s_or_b32 exec_lo, exec_lo, s1
	s_waitcnt lgkmcnt(0)
	s_barrier
	buffer_gl0_inv
	ds_read_b64 v[24:25], v1
	s_mov_b32 s1, exec_lo
	v_cmpx_lt_u32_e32 39, v0
	s_cbranch_execz .LBB121_201
; %bb.200:
	s_waitcnt lgkmcnt(0)
	v_mul_f64 v[146:147], v[24:25], v[146:147]
	ds_read2_b64 v[26:29], v68 offset0:40 offset1:41
	s_waitcnt lgkmcnt(0)
	v_fma_f64 v[186:187], -v[146:147], v[26:27], v[186:187]
	v_fma_f64 v[144:145], -v[146:147], v[28:29], v[144:145]
	ds_read2_b64 v[26:29], v68 offset0:42 offset1:43
	s_waitcnt lgkmcnt(0)
	v_fma_f64 v[184:185], -v[146:147], v[26:27], v[184:185]
	v_fma_f64 v[142:143], -v[146:147], v[28:29], v[142:143]
	;; [unrolled: 4-line block ×9, first 2 shown]
	ds_read2_b64 v[26:29], v68 offset0:58 offset1:59
	s_waitcnt lgkmcnt(0)
	v_fma_f64 v[168:169], -v[146:147], v[26:27], v[168:169]
	ds_read_b64 v[26:27], v68 offset:480
	v_fma_f64 v[126:127], -v[146:147], v[28:29], v[126:127]
	s_waitcnt lgkmcnt(0)
	v_fma_f64 v[246:247], -v[146:147], v[26:27], v[246:247]
.LBB121_201:
	s_or_b32 exec_lo, exec_lo, s1
	s_mov_b32 s1, exec_lo
	s_waitcnt lgkmcnt(0)
	s_barrier
	buffer_gl0_inv
	v_cmpx_eq_u32_e32 40, v0
	s_cbranch_execz .LBB121_204
; %bb.202:
	ds_write_b64 v1, v[186:187]
	ds_write2_b64 v68, v[144:145], v[184:185] offset0:41 offset1:42
	ds_write2_b64 v68, v[142:143], v[182:183] offset0:43 offset1:44
	;; [unrolled: 1-line block ×10, first 2 shown]
	ds_read_b64 v[26:27], v1
	s_waitcnt lgkmcnt(0)
	v_cmp_neq_f64_e32 vcc_lo, 0, v[26:27]
	s_and_b32 exec_lo, exec_lo, vcc_lo
	s_cbranch_execz .LBB121_204
; %bb.203:
	v_div_scale_f64 v[28:29], null, v[26:27], v[26:27], 1.0
	v_rcp_f64_e32 v[30:31], v[28:29]
	v_fma_f64 v[32:33], -v[28:29], v[30:31], 1.0
	v_fma_f64 v[30:31], v[30:31], v[32:33], v[30:31]
	v_fma_f64 v[32:33], -v[28:29], v[30:31], 1.0
	v_fma_f64 v[30:31], v[30:31], v[32:33], v[30:31]
	v_div_scale_f64 v[32:33], vcc_lo, 1.0, v[26:27], 1.0
	v_mul_f64 v[34:35], v[32:33], v[30:31]
	v_fma_f64 v[28:29], -v[28:29], v[34:35], v[32:33]
	v_div_fmas_f64 v[28:29], v[28:29], v[30:31], v[34:35]
	v_div_fixup_f64 v[26:27], v[28:29], v[26:27], 1.0
	ds_write_b64 v1, v[26:27]
.LBB121_204:
	s_or_b32 exec_lo, exec_lo, s1
	s_waitcnt lgkmcnt(0)
	s_barrier
	buffer_gl0_inv
	ds_read_b64 v[26:27], v1
	s_mov_b32 s1, exec_lo
	v_cmpx_lt_u32_e32 40, v0
	s_cbranch_execz .LBB121_206
; %bb.205:
	s_waitcnt lgkmcnt(0)
	v_mul_f64 v[186:187], v[26:27], v[186:187]
	ds_read2_b64 v[28:31], v68 offset0:41 offset1:42
	s_waitcnt lgkmcnt(0)
	v_fma_f64 v[144:145], -v[186:187], v[28:29], v[144:145]
	v_fma_f64 v[184:185], -v[186:187], v[30:31], v[184:185]
	ds_read2_b64 v[28:31], v68 offset0:43 offset1:44
	s_waitcnt lgkmcnt(0)
	v_fma_f64 v[142:143], -v[186:187], v[28:29], v[142:143]
	v_fma_f64 v[182:183], -v[186:187], v[30:31], v[182:183]
	;; [unrolled: 4-line block ×10, first 2 shown]
.LBB121_206:
	s_or_b32 exec_lo, exec_lo, s1
	s_mov_b32 s1, exec_lo
	s_waitcnt lgkmcnt(0)
	s_barrier
	buffer_gl0_inv
	v_cmpx_eq_u32_e32 41, v0
	s_cbranch_execz .LBB121_209
; %bb.207:
	v_mov_b32_e32 v28, v184
	v_mov_b32_e32 v29, v185
	;; [unrolled: 1-line block ×4, first 2 shown]
	ds_write_b64 v1, v[144:145]
	ds_write2_b64 v68, v[28:29], v[30:31] offset0:42 offset1:43
	v_mov_b32_e32 v28, v182
	v_mov_b32_e32 v29, v183
	v_mov_b32_e32 v30, v140
	v_mov_b32_e32 v31, v141
	ds_write2_b64 v68, v[28:29], v[30:31] offset0:44 offset1:45
	v_mov_b32_e32 v28, v180
	v_mov_b32_e32 v29, v181
	v_mov_b32_e32 v30, v138
	v_mov_b32_e32 v31, v139
	;; [unrolled: 5-line block ×8, first 2 shown]
	ds_write2_b64 v68, v[28:29], v[30:31] offset0:58 offset1:59
	ds_write_b64 v68, v[246:247] offset:480
	ds_read_b64 v[28:29], v1
	s_waitcnt lgkmcnt(0)
	v_cmp_neq_f64_e32 vcc_lo, 0, v[28:29]
	s_and_b32 exec_lo, exec_lo, vcc_lo
	s_cbranch_execz .LBB121_209
; %bb.208:
	v_div_scale_f64 v[30:31], null, v[28:29], v[28:29], 1.0
	v_rcp_f64_e32 v[32:33], v[30:31]
	v_fma_f64 v[34:35], -v[30:31], v[32:33], 1.0
	v_fma_f64 v[32:33], v[32:33], v[34:35], v[32:33]
	v_fma_f64 v[34:35], -v[30:31], v[32:33], 1.0
	v_fma_f64 v[32:33], v[32:33], v[34:35], v[32:33]
	v_div_scale_f64 v[34:35], vcc_lo, 1.0, v[28:29], 1.0
	v_mul_f64 v[36:37], v[34:35], v[32:33]
	v_fma_f64 v[30:31], -v[30:31], v[36:37], v[34:35]
	v_div_fmas_f64 v[30:31], v[30:31], v[32:33], v[36:37]
	v_div_fixup_f64 v[28:29], v[30:31], v[28:29], 1.0
	ds_write_b64 v1, v[28:29]
.LBB121_209:
	s_or_b32 exec_lo, exec_lo, s1
	s_waitcnt lgkmcnt(0)
	s_barrier
	buffer_gl0_inv
	ds_read_b64 v[28:29], v1
	s_mov_b32 s1, exec_lo
	v_cmpx_lt_u32_e32 41, v0
	s_cbranch_execz .LBB121_211
; %bb.210:
	s_waitcnt lgkmcnt(0)
	v_mul_f64 v[144:145], v[28:29], v[144:145]
	ds_read2_b64 v[30:33], v68 offset0:42 offset1:43
	s_waitcnt lgkmcnt(0)
	v_fma_f64 v[184:185], -v[144:145], v[30:31], v[184:185]
	v_fma_f64 v[142:143], -v[144:145], v[32:33], v[142:143]
	ds_read2_b64 v[30:33], v68 offset0:44 offset1:45
	s_waitcnt lgkmcnt(0)
	v_fma_f64 v[182:183], -v[144:145], v[30:31], v[182:183]
	v_fma_f64 v[140:141], -v[144:145], v[32:33], v[140:141]
	;; [unrolled: 4-line block ×8, first 2 shown]
	ds_read2_b64 v[30:33], v68 offset0:58 offset1:59
	s_waitcnt lgkmcnt(0)
	v_fma_f64 v[168:169], -v[144:145], v[30:31], v[168:169]
	ds_read_b64 v[30:31], v68 offset:480
	v_fma_f64 v[126:127], -v[144:145], v[32:33], v[126:127]
	s_waitcnt lgkmcnt(0)
	v_fma_f64 v[246:247], -v[144:145], v[30:31], v[246:247]
.LBB121_211:
	s_or_b32 exec_lo, exec_lo, s1
	s_mov_b32 s1, exec_lo
	s_waitcnt lgkmcnt(0)
	s_barrier
	buffer_gl0_inv
	v_cmpx_eq_u32_e32 42, v0
	s_cbranch_execz .LBB121_214
; %bb.212:
	ds_write_b64 v1, v[184:185]
	ds_write2_b64 v68, v[142:143], v[182:183] offset0:43 offset1:44
	ds_write2_b64 v68, v[140:141], v[180:181] offset0:45 offset1:46
	ds_write2_b64 v68, v[138:139], v[178:179] offset0:47 offset1:48
	ds_write2_b64 v68, v[136:137], v[176:177] offset0:49 offset1:50
	ds_write2_b64 v68, v[134:135], v[174:175] offset0:51 offset1:52
	ds_write2_b64 v68, v[132:133], v[172:173] offset0:53 offset1:54
	ds_write2_b64 v68, v[130:131], v[170:171] offset0:55 offset1:56
	ds_write2_b64 v68, v[128:129], v[168:169] offset0:57 offset1:58
	ds_write2_b64 v68, v[126:127], v[246:247] offset0:59 offset1:60
	ds_read_b64 v[30:31], v1
	s_waitcnt lgkmcnt(0)
	v_cmp_neq_f64_e32 vcc_lo, 0, v[30:31]
	s_and_b32 exec_lo, exec_lo, vcc_lo
	s_cbranch_execz .LBB121_214
; %bb.213:
	v_div_scale_f64 v[32:33], null, v[30:31], v[30:31], 1.0
	v_rcp_f64_e32 v[34:35], v[32:33]
	v_fma_f64 v[36:37], -v[32:33], v[34:35], 1.0
	v_fma_f64 v[34:35], v[34:35], v[36:37], v[34:35]
	v_fma_f64 v[36:37], -v[32:33], v[34:35], 1.0
	v_fma_f64 v[34:35], v[34:35], v[36:37], v[34:35]
	v_div_scale_f64 v[36:37], vcc_lo, 1.0, v[30:31], 1.0
	v_mul_f64 v[38:39], v[36:37], v[34:35]
	v_fma_f64 v[32:33], -v[32:33], v[38:39], v[36:37]
	v_div_fmas_f64 v[32:33], v[32:33], v[34:35], v[38:39]
	v_div_fixup_f64 v[30:31], v[32:33], v[30:31], 1.0
	ds_write_b64 v1, v[30:31]
.LBB121_214:
	s_or_b32 exec_lo, exec_lo, s1
	s_waitcnt lgkmcnt(0)
	s_barrier
	buffer_gl0_inv
	ds_read_b64 v[30:31], v1
	s_mov_b32 s1, exec_lo
	v_cmpx_lt_u32_e32 42, v0
	s_cbranch_execz .LBB121_216
; %bb.215:
	s_waitcnt lgkmcnt(0)
	v_mul_f64 v[184:185], v[30:31], v[184:185]
	ds_read2_b64 v[32:35], v68 offset0:43 offset1:44
	s_waitcnt lgkmcnt(0)
	v_fma_f64 v[142:143], -v[184:185], v[32:33], v[142:143]
	v_fma_f64 v[182:183], -v[184:185], v[34:35], v[182:183]
	ds_read2_b64 v[32:35], v68 offset0:45 offset1:46
	s_waitcnt lgkmcnt(0)
	v_fma_f64 v[140:141], -v[184:185], v[32:33], v[140:141]
	v_fma_f64 v[180:181], -v[184:185], v[34:35], v[180:181]
	;; [unrolled: 4-line block ×9, first 2 shown]
.LBB121_216:
	s_or_b32 exec_lo, exec_lo, s1
	s_mov_b32 s1, exec_lo
	s_waitcnt lgkmcnt(0)
	s_barrier
	buffer_gl0_inv
	v_cmpx_eq_u32_e32 43, v0
	s_cbranch_execz .LBB121_219
; %bb.217:
	v_mov_b32_e32 v32, v182
	v_mov_b32_e32 v33, v183
	;; [unrolled: 1-line block ×4, first 2 shown]
	ds_write_b64 v1, v[142:143]
	ds_write2_b64 v68, v[32:33], v[34:35] offset0:44 offset1:45
	v_mov_b32_e32 v32, v180
	v_mov_b32_e32 v33, v181
	v_mov_b32_e32 v34, v138
	v_mov_b32_e32 v35, v139
	ds_write2_b64 v68, v[32:33], v[34:35] offset0:46 offset1:47
	v_mov_b32_e32 v32, v178
	v_mov_b32_e32 v33, v179
	v_mov_b32_e32 v34, v136
	v_mov_b32_e32 v35, v137
	;; [unrolled: 5-line block ×7, first 2 shown]
	ds_write2_b64 v68, v[32:33], v[34:35] offset0:58 offset1:59
	ds_write_b64 v68, v[246:247] offset:480
	ds_read_b64 v[32:33], v1
	s_waitcnt lgkmcnt(0)
	v_cmp_neq_f64_e32 vcc_lo, 0, v[32:33]
	s_and_b32 exec_lo, exec_lo, vcc_lo
	s_cbranch_execz .LBB121_219
; %bb.218:
	v_div_scale_f64 v[34:35], null, v[32:33], v[32:33], 1.0
	v_rcp_f64_e32 v[36:37], v[34:35]
	v_fma_f64 v[38:39], -v[34:35], v[36:37], 1.0
	v_fma_f64 v[36:37], v[36:37], v[38:39], v[36:37]
	v_fma_f64 v[38:39], -v[34:35], v[36:37], 1.0
	v_fma_f64 v[36:37], v[36:37], v[38:39], v[36:37]
	v_div_scale_f64 v[38:39], vcc_lo, 1.0, v[32:33], 1.0
	v_mul_f64 v[40:41], v[38:39], v[36:37]
	v_fma_f64 v[34:35], -v[34:35], v[40:41], v[38:39]
	v_div_fmas_f64 v[34:35], v[34:35], v[36:37], v[40:41]
	v_div_fixup_f64 v[32:33], v[34:35], v[32:33], 1.0
	ds_write_b64 v1, v[32:33]
.LBB121_219:
	s_or_b32 exec_lo, exec_lo, s1
	s_waitcnt lgkmcnt(0)
	s_barrier
	buffer_gl0_inv
	ds_read_b64 v[32:33], v1
	s_mov_b32 s1, exec_lo
	v_cmpx_lt_u32_e32 43, v0
	s_cbranch_execz .LBB121_221
; %bb.220:
	s_waitcnt lgkmcnt(0)
	v_mul_f64 v[142:143], v[32:33], v[142:143]
	ds_read2_b64 v[34:37], v68 offset0:44 offset1:45
	s_waitcnt lgkmcnt(0)
	v_fma_f64 v[182:183], -v[142:143], v[34:35], v[182:183]
	v_fma_f64 v[140:141], -v[142:143], v[36:37], v[140:141]
	ds_read2_b64 v[34:37], v68 offset0:46 offset1:47
	s_waitcnt lgkmcnt(0)
	v_fma_f64 v[180:181], -v[142:143], v[34:35], v[180:181]
	v_fma_f64 v[138:139], -v[142:143], v[36:37], v[138:139]
	ds_read2_b64 v[34:37], v68 offset0:48 offset1:49
	s_waitcnt lgkmcnt(0)
	v_fma_f64 v[178:179], -v[142:143], v[34:35], v[178:179]
	v_fma_f64 v[136:137], -v[142:143], v[36:37], v[136:137]
	ds_read2_b64 v[34:37], v68 offset0:50 offset1:51
	s_waitcnt lgkmcnt(0)
	v_fma_f64 v[176:177], -v[142:143], v[34:35], v[176:177]
	v_fma_f64 v[134:135], -v[142:143], v[36:37], v[134:135]
	ds_read2_b64 v[34:37], v68 offset0:52 offset1:53
	s_waitcnt lgkmcnt(0)
	v_fma_f64 v[174:175], -v[142:143], v[34:35], v[174:175]
	v_fma_f64 v[132:133], -v[142:143], v[36:37], v[132:133]
	ds_read2_b64 v[34:37], v68 offset0:54 offset1:55
	s_waitcnt lgkmcnt(0)
	v_fma_f64 v[172:173], -v[142:143], v[34:35], v[172:173]
	v_fma_f64 v[130:131], -v[142:143], v[36:37], v[130:131]
	ds_read2_b64 v[34:37], v68 offset0:56 offset1:57
	s_waitcnt lgkmcnt(0)
	v_fma_f64 v[170:171], -v[142:143], v[34:35], v[170:171]
	v_fma_f64 v[128:129], -v[142:143], v[36:37], v[128:129]
	ds_read2_b64 v[34:37], v68 offset0:58 offset1:59
	s_waitcnt lgkmcnt(0)
	v_fma_f64 v[168:169], -v[142:143], v[34:35], v[168:169]
	ds_read_b64 v[34:35], v68 offset:480
	v_fma_f64 v[126:127], -v[142:143], v[36:37], v[126:127]
	s_waitcnt lgkmcnt(0)
	v_fma_f64 v[246:247], -v[142:143], v[34:35], v[246:247]
.LBB121_221:
	s_or_b32 exec_lo, exec_lo, s1
	s_mov_b32 s1, exec_lo
	s_waitcnt lgkmcnt(0)
	s_barrier
	buffer_gl0_inv
	v_cmpx_eq_u32_e32 44, v0
	s_cbranch_execz .LBB121_224
; %bb.222:
	ds_write_b64 v1, v[182:183]
	ds_write2_b64 v68, v[140:141], v[180:181] offset0:45 offset1:46
	ds_write2_b64 v68, v[138:139], v[178:179] offset0:47 offset1:48
	;; [unrolled: 1-line block ×8, first 2 shown]
	ds_read_b64 v[34:35], v1
	s_waitcnt lgkmcnt(0)
	v_cmp_neq_f64_e32 vcc_lo, 0, v[34:35]
	s_and_b32 exec_lo, exec_lo, vcc_lo
	s_cbranch_execz .LBB121_224
; %bb.223:
	v_div_scale_f64 v[36:37], null, v[34:35], v[34:35], 1.0
	v_rcp_f64_e32 v[38:39], v[36:37]
	v_fma_f64 v[40:41], -v[36:37], v[38:39], 1.0
	v_fma_f64 v[38:39], v[38:39], v[40:41], v[38:39]
	v_fma_f64 v[40:41], -v[36:37], v[38:39], 1.0
	v_fma_f64 v[38:39], v[38:39], v[40:41], v[38:39]
	v_div_scale_f64 v[40:41], vcc_lo, 1.0, v[34:35], 1.0
	v_mul_f64 v[42:43], v[40:41], v[38:39]
	v_fma_f64 v[36:37], -v[36:37], v[42:43], v[40:41]
	v_div_fmas_f64 v[36:37], v[36:37], v[38:39], v[42:43]
	v_div_fixup_f64 v[34:35], v[36:37], v[34:35], 1.0
	ds_write_b64 v1, v[34:35]
.LBB121_224:
	s_or_b32 exec_lo, exec_lo, s1
	s_waitcnt lgkmcnt(0)
	s_barrier
	buffer_gl0_inv
	ds_read_b64 v[34:35], v1
	s_mov_b32 s1, exec_lo
	v_cmpx_lt_u32_e32 44, v0
	s_cbranch_execz .LBB121_226
; %bb.225:
	s_waitcnt lgkmcnt(0)
	v_mul_f64 v[182:183], v[34:35], v[182:183]
	ds_read2_b64 v[36:39], v68 offset0:45 offset1:46
	s_waitcnt lgkmcnt(0)
	v_fma_f64 v[140:141], -v[182:183], v[36:37], v[140:141]
	v_fma_f64 v[180:181], -v[182:183], v[38:39], v[180:181]
	ds_read2_b64 v[36:39], v68 offset0:47 offset1:48
	s_waitcnt lgkmcnt(0)
	v_fma_f64 v[138:139], -v[182:183], v[36:37], v[138:139]
	v_fma_f64 v[178:179], -v[182:183], v[38:39], v[178:179]
	;; [unrolled: 4-line block ×8, first 2 shown]
.LBB121_226:
	s_or_b32 exec_lo, exec_lo, s1
	s_mov_b32 s1, exec_lo
	s_waitcnt lgkmcnt(0)
	s_barrier
	buffer_gl0_inv
	v_cmpx_eq_u32_e32 45, v0
	s_cbranch_execz .LBB121_229
; %bb.227:
	v_mov_b32_e32 v36, v180
	v_mov_b32_e32 v37, v181
	;; [unrolled: 1-line block ×4, first 2 shown]
	ds_write_b64 v1, v[140:141]
	ds_write2_b64 v68, v[36:37], v[38:39] offset0:46 offset1:47
	v_mov_b32_e32 v36, v178
	v_mov_b32_e32 v37, v179
	v_mov_b32_e32 v38, v136
	v_mov_b32_e32 v39, v137
	ds_write2_b64 v68, v[36:37], v[38:39] offset0:48 offset1:49
	v_mov_b32_e32 v36, v176
	v_mov_b32_e32 v37, v177
	v_mov_b32_e32 v38, v134
	v_mov_b32_e32 v39, v135
	;; [unrolled: 5-line block ×6, first 2 shown]
	ds_write2_b64 v68, v[36:37], v[38:39] offset0:58 offset1:59
	ds_write_b64 v68, v[246:247] offset:480
	ds_read_b64 v[36:37], v1
	s_waitcnt lgkmcnt(0)
	v_cmp_neq_f64_e32 vcc_lo, 0, v[36:37]
	s_and_b32 exec_lo, exec_lo, vcc_lo
	s_cbranch_execz .LBB121_229
; %bb.228:
	v_div_scale_f64 v[38:39], null, v[36:37], v[36:37], 1.0
	v_rcp_f64_e32 v[40:41], v[38:39]
	v_fma_f64 v[42:43], -v[38:39], v[40:41], 1.0
	v_fma_f64 v[40:41], v[40:41], v[42:43], v[40:41]
	v_fma_f64 v[42:43], -v[38:39], v[40:41], 1.0
	v_fma_f64 v[40:41], v[40:41], v[42:43], v[40:41]
	v_div_scale_f64 v[42:43], vcc_lo, 1.0, v[36:37], 1.0
	v_mul_f64 v[44:45], v[42:43], v[40:41]
	v_fma_f64 v[38:39], -v[38:39], v[44:45], v[42:43]
	v_div_fmas_f64 v[38:39], v[38:39], v[40:41], v[44:45]
	v_div_fixup_f64 v[36:37], v[38:39], v[36:37], 1.0
	ds_write_b64 v1, v[36:37]
.LBB121_229:
	s_or_b32 exec_lo, exec_lo, s1
	s_waitcnt lgkmcnt(0)
	s_barrier
	buffer_gl0_inv
	ds_read_b64 v[36:37], v1
	s_mov_b32 s1, exec_lo
	v_cmpx_lt_u32_e32 45, v0
	s_cbranch_execz .LBB121_231
; %bb.230:
	s_waitcnt lgkmcnt(0)
	v_mul_f64 v[140:141], v[36:37], v[140:141]
	ds_read2_b64 v[38:41], v68 offset0:46 offset1:47
	s_waitcnt lgkmcnt(0)
	v_fma_f64 v[180:181], -v[140:141], v[38:39], v[180:181]
	v_fma_f64 v[138:139], -v[140:141], v[40:41], v[138:139]
	ds_read2_b64 v[38:41], v68 offset0:48 offset1:49
	s_waitcnt lgkmcnt(0)
	v_fma_f64 v[178:179], -v[140:141], v[38:39], v[178:179]
	v_fma_f64 v[136:137], -v[140:141], v[40:41], v[136:137]
	;; [unrolled: 4-line block ×6, first 2 shown]
	ds_read2_b64 v[38:41], v68 offset0:58 offset1:59
	s_waitcnt lgkmcnt(0)
	v_fma_f64 v[168:169], -v[140:141], v[38:39], v[168:169]
	ds_read_b64 v[38:39], v68 offset:480
	v_fma_f64 v[126:127], -v[140:141], v[40:41], v[126:127]
	s_waitcnt lgkmcnt(0)
	v_fma_f64 v[246:247], -v[140:141], v[38:39], v[246:247]
.LBB121_231:
	s_or_b32 exec_lo, exec_lo, s1
	s_mov_b32 s1, exec_lo
	s_waitcnt lgkmcnt(0)
	s_barrier
	buffer_gl0_inv
	v_cmpx_eq_u32_e32 46, v0
	s_cbranch_execz .LBB121_234
; %bb.232:
	ds_write_b64 v1, v[180:181]
	ds_write2_b64 v68, v[138:139], v[178:179] offset0:47 offset1:48
	ds_write2_b64 v68, v[136:137], v[176:177] offset0:49 offset1:50
	;; [unrolled: 1-line block ×7, first 2 shown]
	ds_read_b64 v[38:39], v1
	s_waitcnt lgkmcnt(0)
	v_cmp_neq_f64_e32 vcc_lo, 0, v[38:39]
	s_and_b32 exec_lo, exec_lo, vcc_lo
	s_cbranch_execz .LBB121_234
; %bb.233:
	v_div_scale_f64 v[40:41], null, v[38:39], v[38:39], 1.0
	v_rcp_f64_e32 v[42:43], v[40:41]
	v_fma_f64 v[44:45], -v[40:41], v[42:43], 1.0
	v_fma_f64 v[42:43], v[42:43], v[44:45], v[42:43]
	v_fma_f64 v[44:45], -v[40:41], v[42:43], 1.0
	v_fma_f64 v[42:43], v[42:43], v[44:45], v[42:43]
	v_div_scale_f64 v[44:45], vcc_lo, 1.0, v[38:39], 1.0
	v_mul_f64 v[46:47], v[44:45], v[42:43]
	v_fma_f64 v[40:41], -v[40:41], v[46:47], v[44:45]
	v_div_fmas_f64 v[40:41], v[40:41], v[42:43], v[46:47]
	v_div_fixup_f64 v[38:39], v[40:41], v[38:39], 1.0
	ds_write_b64 v1, v[38:39]
.LBB121_234:
	s_or_b32 exec_lo, exec_lo, s1
	s_waitcnt lgkmcnt(0)
	s_barrier
	buffer_gl0_inv
	ds_read_b64 v[38:39], v1
	s_mov_b32 s1, exec_lo
	v_cmpx_lt_u32_e32 46, v0
	s_cbranch_execz .LBB121_236
; %bb.235:
	s_waitcnt lgkmcnt(0)
	v_mul_f64 v[180:181], v[38:39], v[180:181]
	ds_read2_b64 v[40:43], v68 offset0:47 offset1:48
	s_waitcnt lgkmcnt(0)
	v_fma_f64 v[138:139], -v[180:181], v[40:41], v[138:139]
	v_fma_f64 v[178:179], -v[180:181], v[42:43], v[178:179]
	ds_read2_b64 v[40:43], v68 offset0:49 offset1:50
	s_waitcnt lgkmcnt(0)
	v_fma_f64 v[136:137], -v[180:181], v[40:41], v[136:137]
	v_fma_f64 v[176:177], -v[180:181], v[42:43], v[176:177]
	;; [unrolled: 4-line block ×7, first 2 shown]
.LBB121_236:
	s_or_b32 exec_lo, exec_lo, s1
	s_mov_b32 s1, exec_lo
	s_waitcnt lgkmcnt(0)
	s_barrier
	buffer_gl0_inv
	v_cmpx_eq_u32_e32 47, v0
	s_cbranch_execz .LBB121_239
; %bb.237:
	v_mov_b32_e32 v40, v178
	v_mov_b32_e32 v41, v179
	;; [unrolled: 1-line block ×4, first 2 shown]
	ds_write_b64 v1, v[138:139]
	ds_write2_b64 v68, v[40:41], v[42:43] offset0:48 offset1:49
	v_mov_b32_e32 v40, v176
	v_mov_b32_e32 v41, v177
	v_mov_b32_e32 v42, v134
	v_mov_b32_e32 v43, v135
	ds_write2_b64 v68, v[40:41], v[42:43] offset0:50 offset1:51
	v_mov_b32_e32 v40, v174
	v_mov_b32_e32 v41, v175
	v_mov_b32_e32 v42, v132
	v_mov_b32_e32 v43, v133
	;; [unrolled: 5-line block ×5, first 2 shown]
	ds_write2_b64 v68, v[40:41], v[42:43] offset0:58 offset1:59
	ds_write_b64 v68, v[246:247] offset:480
	ds_read_b64 v[40:41], v1
	s_waitcnt lgkmcnt(0)
	v_cmp_neq_f64_e32 vcc_lo, 0, v[40:41]
	s_and_b32 exec_lo, exec_lo, vcc_lo
	s_cbranch_execz .LBB121_239
; %bb.238:
	v_div_scale_f64 v[42:43], null, v[40:41], v[40:41], 1.0
	v_rcp_f64_e32 v[44:45], v[42:43]
	v_fma_f64 v[46:47], -v[42:43], v[44:45], 1.0
	v_fma_f64 v[44:45], v[44:45], v[46:47], v[44:45]
	v_fma_f64 v[46:47], -v[42:43], v[44:45], 1.0
	v_fma_f64 v[44:45], v[44:45], v[46:47], v[44:45]
	v_div_scale_f64 v[46:47], vcc_lo, 1.0, v[40:41], 1.0
	v_mul_f64 v[48:49], v[46:47], v[44:45]
	v_fma_f64 v[42:43], -v[42:43], v[48:49], v[46:47]
	v_div_fmas_f64 v[42:43], v[42:43], v[44:45], v[48:49]
	v_div_fixup_f64 v[40:41], v[42:43], v[40:41], 1.0
	ds_write_b64 v1, v[40:41]
.LBB121_239:
	s_or_b32 exec_lo, exec_lo, s1
	s_waitcnt lgkmcnt(0)
	s_barrier
	buffer_gl0_inv
	ds_read_b64 v[40:41], v1
	s_mov_b32 s1, exec_lo
	v_cmpx_lt_u32_e32 47, v0
	s_cbranch_execz .LBB121_241
; %bb.240:
	s_waitcnt lgkmcnt(0)
	v_mul_f64 v[138:139], v[40:41], v[138:139]
	ds_read2_b64 v[42:45], v68 offset0:48 offset1:49
	s_waitcnt lgkmcnt(0)
	v_fma_f64 v[178:179], -v[138:139], v[42:43], v[178:179]
	v_fma_f64 v[136:137], -v[138:139], v[44:45], v[136:137]
	ds_read2_b64 v[42:45], v68 offset0:50 offset1:51
	s_waitcnt lgkmcnt(0)
	v_fma_f64 v[176:177], -v[138:139], v[42:43], v[176:177]
	v_fma_f64 v[134:135], -v[138:139], v[44:45], v[134:135]
	;; [unrolled: 4-line block ×5, first 2 shown]
	ds_read2_b64 v[42:45], v68 offset0:58 offset1:59
	s_waitcnt lgkmcnt(0)
	v_fma_f64 v[168:169], -v[138:139], v[42:43], v[168:169]
	ds_read_b64 v[42:43], v68 offset:480
	v_fma_f64 v[126:127], -v[138:139], v[44:45], v[126:127]
	s_waitcnt lgkmcnt(0)
	v_fma_f64 v[246:247], -v[138:139], v[42:43], v[246:247]
.LBB121_241:
	s_or_b32 exec_lo, exec_lo, s1
	s_mov_b32 s1, exec_lo
	s_waitcnt lgkmcnt(0)
	s_barrier
	buffer_gl0_inv
	v_cmpx_eq_u32_e32 48, v0
	s_cbranch_execz .LBB121_244
; %bb.242:
	ds_write_b64 v1, v[178:179]
	ds_write2_b64 v68, v[136:137], v[176:177] offset0:49 offset1:50
	ds_write2_b64 v68, v[134:135], v[174:175] offset0:51 offset1:52
	;; [unrolled: 1-line block ×6, first 2 shown]
	ds_read_b64 v[42:43], v1
	s_waitcnt lgkmcnt(0)
	v_cmp_neq_f64_e32 vcc_lo, 0, v[42:43]
	s_and_b32 exec_lo, exec_lo, vcc_lo
	s_cbranch_execz .LBB121_244
; %bb.243:
	v_div_scale_f64 v[44:45], null, v[42:43], v[42:43], 1.0
	v_rcp_f64_e32 v[46:47], v[44:45]
	v_fma_f64 v[48:49], -v[44:45], v[46:47], 1.0
	v_fma_f64 v[46:47], v[46:47], v[48:49], v[46:47]
	v_fma_f64 v[48:49], -v[44:45], v[46:47], 1.0
	v_fma_f64 v[46:47], v[46:47], v[48:49], v[46:47]
	v_div_scale_f64 v[48:49], vcc_lo, 1.0, v[42:43], 1.0
	v_mul_f64 v[50:51], v[48:49], v[46:47]
	v_fma_f64 v[44:45], -v[44:45], v[50:51], v[48:49]
	v_div_fmas_f64 v[44:45], v[44:45], v[46:47], v[50:51]
	v_div_fixup_f64 v[42:43], v[44:45], v[42:43], 1.0
	ds_write_b64 v1, v[42:43]
.LBB121_244:
	s_or_b32 exec_lo, exec_lo, s1
	s_waitcnt lgkmcnt(0)
	s_barrier
	buffer_gl0_inv
	ds_read_b64 v[42:43], v1
	s_mov_b32 s1, exec_lo
	v_cmpx_lt_u32_e32 48, v0
	s_cbranch_execz .LBB121_246
; %bb.245:
	s_waitcnt lgkmcnt(0)
	v_mul_f64 v[178:179], v[42:43], v[178:179]
	ds_read2_b64 v[44:47], v68 offset0:49 offset1:50
	s_waitcnt lgkmcnt(0)
	v_fma_f64 v[136:137], -v[178:179], v[44:45], v[136:137]
	v_fma_f64 v[176:177], -v[178:179], v[46:47], v[176:177]
	ds_read2_b64 v[44:47], v68 offset0:51 offset1:52
	s_waitcnt lgkmcnt(0)
	v_fma_f64 v[134:135], -v[178:179], v[44:45], v[134:135]
	v_fma_f64 v[174:175], -v[178:179], v[46:47], v[174:175]
	;; [unrolled: 4-line block ×6, first 2 shown]
.LBB121_246:
	s_or_b32 exec_lo, exec_lo, s1
	s_mov_b32 s1, exec_lo
	s_waitcnt lgkmcnt(0)
	s_barrier
	buffer_gl0_inv
	v_cmpx_eq_u32_e32 49, v0
	s_cbranch_execz .LBB121_249
; %bb.247:
	v_mov_b32_e32 v44, v176
	v_mov_b32_e32 v45, v177
	;; [unrolled: 1-line block ×4, first 2 shown]
	ds_write_b64 v1, v[136:137]
	ds_write2_b64 v68, v[44:45], v[46:47] offset0:50 offset1:51
	v_mov_b32_e32 v44, v174
	v_mov_b32_e32 v45, v175
	v_mov_b32_e32 v46, v132
	v_mov_b32_e32 v47, v133
	ds_write2_b64 v68, v[44:45], v[46:47] offset0:52 offset1:53
	v_mov_b32_e32 v44, v172
	v_mov_b32_e32 v45, v173
	v_mov_b32_e32 v46, v130
	v_mov_b32_e32 v47, v131
	;; [unrolled: 5-line block ×4, first 2 shown]
	ds_write2_b64 v68, v[44:45], v[46:47] offset0:58 offset1:59
	ds_write_b64 v68, v[246:247] offset:480
	ds_read_b64 v[44:45], v1
	s_waitcnt lgkmcnt(0)
	v_cmp_neq_f64_e32 vcc_lo, 0, v[44:45]
	s_and_b32 exec_lo, exec_lo, vcc_lo
	s_cbranch_execz .LBB121_249
; %bb.248:
	v_div_scale_f64 v[46:47], null, v[44:45], v[44:45], 1.0
	v_rcp_f64_e32 v[48:49], v[46:47]
	v_fma_f64 v[50:51], -v[46:47], v[48:49], 1.0
	v_fma_f64 v[48:49], v[48:49], v[50:51], v[48:49]
	v_fma_f64 v[50:51], -v[46:47], v[48:49], 1.0
	v_fma_f64 v[48:49], v[48:49], v[50:51], v[48:49]
	v_div_scale_f64 v[50:51], vcc_lo, 1.0, v[44:45], 1.0
	v_mul_f64 v[52:53], v[50:51], v[48:49]
	v_fma_f64 v[46:47], -v[46:47], v[52:53], v[50:51]
	v_div_fmas_f64 v[46:47], v[46:47], v[48:49], v[52:53]
	v_div_fixup_f64 v[44:45], v[46:47], v[44:45], 1.0
	ds_write_b64 v1, v[44:45]
.LBB121_249:
	s_or_b32 exec_lo, exec_lo, s1
	s_waitcnt lgkmcnt(0)
	s_barrier
	buffer_gl0_inv
	ds_read_b64 v[44:45], v1
	s_mov_b32 s1, exec_lo
	v_cmpx_lt_u32_e32 49, v0
	s_cbranch_execz .LBB121_251
; %bb.250:
	s_waitcnt lgkmcnt(0)
	v_mul_f64 v[136:137], v[44:45], v[136:137]
	ds_read2_b64 v[46:49], v68 offset0:50 offset1:51
	s_waitcnt lgkmcnt(0)
	v_fma_f64 v[176:177], -v[136:137], v[46:47], v[176:177]
	v_fma_f64 v[134:135], -v[136:137], v[48:49], v[134:135]
	ds_read2_b64 v[46:49], v68 offset0:52 offset1:53
	s_waitcnt lgkmcnt(0)
	v_fma_f64 v[174:175], -v[136:137], v[46:47], v[174:175]
	v_fma_f64 v[132:133], -v[136:137], v[48:49], v[132:133]
	;; [unrolled: 4-line block ×4, first 2 shown]
	ds_read2_b64 v[46:49], v68 offset0:58 offset1:59
	s_waitcnt lgkmcnt(0)
	v_fma_f64 v[168:169], -v[136:137], v[46:47], v[168:169]
	ds_read_b64 v[46:47], v68 offset:480
	v_fma_f64 v[126:127], -v[136:137], v[48:49], v[126:127]
	s_waitcnt lgkmcnt(0)
	v_fma_f64 v[246:247], -v[136:137], v[46:47], v[246:247]
.LBB121_251:
	s_or_b32 exec_lo, exec_lo, s1
	s_mov_b32 s1, exec_lo
	s_waitcnt lgkmcnt(0)
	s_barrier
	buffer_gl0_inv
	v_cmpx_eq_u32_e32 50, v0
	s_cbranch_execz .LBB121_254
; %bb.252:
	ds_write_b64 v1, v[176:177]
	ds_write2_b64 v68, v[134:135], v[174:175] offset0:51 offset1:52
	ds_write2_b64 v68, v[132:133], v[172:173] offset0:53 offset1:54
	;; [unrolled: 1-line block ×5, first 2 shown]
	ds_read_b64 v[46:47], v1
	s_waitcnt lgkmcnt(0)
	v_cmp_neq_f64_e32 vcc_lo, 0, v[46:47]
	s_and_b32 exec_lo, exec_lo, vcc_lo
	s_cbranch_execz .LBB121_254
; %bb.253:
	v_div_scale_f64 v[48:49], null, v[46:47], v[46:47], 1.0
	v_rcp_f64_e32 v[50:51], v[48:49]
	v_fma_f64 v[52:53], -v[48:49], v[50:51], 1.0
	v_fma_f64 v[50:51], v[50:51], v[52:53], v[50:51]
	v_fma_f64 v[52:53], -v[48:49], v[50:51], 1.0
	v_fma_f64 v[50:51], v[50:51], v[52:53], v[50:51]
	v_div_scale_f64 v[52:53], vcc_lo, 1.0, v[46:47], 1.0
	v_mul_f64 v[54:55], v[52:53], v[50:51]
	v_fma_f64 v[48:49], -v[48:49], v[54:55], v[52:53]
	v_div_fmas_f64 v[48:49], v[48:49], v[50:51], v[54:55]
	v_div_fixup_f64 v[46:47], v[48:49], v[46:47], 1.0
	ds_write_b64 v1, v[46:47]
.LBB121_254:
	s_or_b32 exec_lo, exec_lo, s1
	s_waitcnt lgkmcnt(0)
	s_barrier
	buffer_gl0_inv
	ds_read_b64 v[46:47], v1
	s_mov_b32 s1, exec_lo
	v_cmpx_lt_u32_e32 50, v0
	s_cbranch_execz .LBB121_256
; %bb.255:
	s_waitcnt lgkmcnt(0)
	v_mul_f64 v[176:177], v[46:47], v[176:177]
	ds_read2_b64 v[48:51], v68 offset0:51 offset1:52
	s_waitcnt lgkmcnt(0)
	v_fma_f64 v[134:135], -v[176:177], v[48:49], v[134:135]
	v_fma_f64 v[174:175], -v[176:177], v[50:51], v[174:175]
	ds_read2_b64 v[48:51], v68 offset0:53 offset1:54
	s_waitcnt lgkmcnt(0)
	v_fma_f64 v[132:133], -v[176:177], v[48:49], v[132:133]
	v_fma_f64 v[172:173], -v[176:177], v[50:51], v[172:173]
	;; [unrolled: 4-line block ×5, first 2 shown]
.LBB121_256:
	s_or_b32 exec_lo, exec_lo, s1
	s_mov_b32 s1, exec_lo
	s_waitcnt lgkmcnt(0)
	s_barrier
	buffer_gl0_inv
	v_cmpx_eq_u32_e32 51, v0
	s_cbranch_execz .LBB121_259
; %bb.257:
	v_mov_b32_e32 v48, v174
	v_mov_b32_e32 v49, v175
	;; [unrolled: 1-line block ×4, first 2 shown]
	ds_write_b64 v1, v[134:135]
	ds_write2_b64 v68, v[48:49], v[50:51] offset0:52 offset1:53
	v_mov_b32_e32 v48, v172
	v_mov_b32_e32 v49, v173
	v_mov_b32_e32 v50, v130
	v_mov_b32_e32 v51, v131
	ds_write2_b64 v68, v[48:49], v[50:51] offset0:54 offset1:55
	v_mov_b32_e32 v48, v170
	v_mov_b32_e32 v49, v171
	v_mov_b32_e32 v50, v128
	v_mov_b32_e32 v51, v129
	;; [unrolled: 5-line block ×3, first 2 shown]
	ds_write2_b64 v68, v[48:49], v[50:51] offset0:58 offset1:59
	ds_write_b64 v68, v[246:247] offset:480
	ds_read_b64 v[48:49], v1
	s_waitcnt lgkmcnt(0)
	v_cmp_neq_f64_e32 vcc_lo, 0, v[48:49]
	s_and_b32 exec_lo, exec_lo, vcc_lo
	s_cbranch_execz .LBB121_259
; %bb.258:
	v_div_scale_f64 v[50:51], null, v[48:49], v[48:49], 1.0
	v_rcp_f64_e32 v[52:53], v[50:51]
	v_fma_f64 v[54:55], -v[50:51], v[52:53], 1.0
	v_fma_f64 v[52:53], v[52:53], v[54:55], v[52:53]
	v_fma_f64 v[54:55], -v[50:51], v[52:53], 1.0
	v_fma_f64 v[52:53], v[52:53], v[54:55], v[52:53]
	v_div_scale_f64 v[54:55], vcc_lo, 1.0, v[48:49], 1.0
	v_mul_f64 v[56:57], v[54:55], v[52:53]
	v_fma_f64 v[50:51], -v[50:51], v[56:57], v[54:55]
	v_div_fmas_f64 v[50:51], v[50:51], v[52:53], v[56:57]
	v_div_fixup_f64 v[48:49], v[50:51], v[48:49], 1.0
	ds_write_b64 v1, v[48:49]
.LBB121_259:
	s_or_b32 exec_lo, exec_lo, s1
	s_waitcnt lgkmcnt(0)
	s_barrier
	buffer_gl0_inv
	ds_read_b64 v[48:49], v1
	s_mov_b32 s1, exec_lo
	v_cmpx_lt_u32_e32 51, v0
	s_cbranch_execz .LBB121_261
; %bb.260:
	s_waitcnt lgkmcnt(0)
	v_mul_f64 v[134:135], v[48:49], v[134:135]
	ds_read2_b64 v[50:53], v68 offset0:52 offset1:53
	s_waitcnt lgkmcnt(0)
	v_fma_f64 v[174:175], -v[134:135], v[50:51], v[174:175]
	v_fma_f64 v[132:133], -v[134:135], v[52:53], v[132:133]
	ds_read2_b64 v[50:53], v68 offset0:54 offset1:55
	s_waitcnt lgkmcnt(0)
	v_fma_f64 v[172:173], -v[134:135], v[50:51], v[172:173]
	v_fma_f64 v[130:131], -v[134:135], v[52:53], v[130:131]
	;; [unrolled: 4-line block ×3, first 2 shown]
	ds_read2_b64 v[50:53], v68 offset0:58 offset1:59
	s_waitcnt lgkmcnt(0)
	v_fma_f64 v[168:169], -v[134:135], v[50:51], v[168:169]
	ds_read_b64 v[50:51], v68 offset:480
	v_fma_f64 v[126:127], -v[134:135], v[52:53], v[126:127]
	s_waitcnt lgkmcnt(0)
	v_fma_f64 v[246:247], -v[134:135], v[50:51], v[246:247]
.LBB121_261:
	s_or_b32 exec_lo, exec_lo, s1
	s_mov_b32 s1, exec_lo
	s_waitcnt lgkmcnt(0)
	s_barrier
	buffer_gl0_inv
	v_cmpx_eq_u32_e32 52, v0
	s_cbranch_execz .LBB121_264
; %bb.262:
	ds_write_b64 v1, v[174:175]
	ds_write2_b64 v68, v[132:133], v[172:173] offset0:53 offset1:54
	ds_write2_b64 v68, v[130:131], v[170:171] offset0:55 offset1:56
	;; [unrolled: 1-line block ×4, first 2 shown]
	ds_read_b64 v[50:51], v1
	s_waitcnt lgkmcnt(0)
	v_cmp_neq_f64_e32 vcc_lo, 0, v[50:51]
	s_and_b32 exec_lo, exec_lo, vcc_lo
	s_cbranch_execz .LBB121_264
; %bb.263:
	v_div_scale_f64 v[52:53], null, v[50:51], v[50:51], 1.0
	v_rcp_f64_e32 v[54:55], v[52:53]
	v_fma_f64 v[56:57], -v[52:53], v[54:55], 1.0
	v_fma_f64 v[54:55], v[54:55], v[56:57], v[54:55]
	v_fma_f64 v[56:57], -v[52:53], v[54:55], 1.0
	v_fma_f64 v[54:55], v[54:55], v[56:57], v[54:55]
	v_div_scale_f64 v[56:57], vcc_lo, 1.0, v[50:51], 1.0
	v_mul_f64 v[58:59], v[56:57], v[54:55]
	v_fma_f64 v[52:53], -v[52:53], v[58:59], v[56:57]
	v_div_fmas_f64 v[52:53], v[52:53], v[54:55], v[58:59]
	v_div_fixup_f64 v[50:51], v[52:53], v[50:51], 1.0
	ds_write_b64 v1, v[50:51]
.LBB121_264:
	s_or_b32 exec_lo, exec_lo, s1
	s_waitcnt lgkmcnt(0)
	s_barrier
	buffer_gl0_inv
	ds_read_b64 v[50:51], v1
	s_mov_b32 s1, exec_lo
	v_cmpx_lt_u32_e32 52, v0
	s_cbranch_execz .LBB121_266
; %bb.265:
	s_waitcnt lgkmcnt(0)
	v_mul_f64 v[174:175], v[50:51], v[174:175]
	ds_read2_b64 v[52:55], v68 offset0:53 offset1:54
	s_waitcnt lgkmcnt(0)
	v_fma_f64 v[132:133], -v[174:175], v[52:53], v[132:133]
	v_fma_f64 v[172:173], -v[174:175], v[54:55], v[172:173]
	ds_read2_b64 v[52:55], v68 offset0:55 offset1:56
	s_waitcnt lgkmcnt(0)
	v_fma_f64 v[130:131], -v[174:175], v[52:53], v[130:131]
	v_fma_f64 v[170:171], -v[174:175], v[54:55], v[170:171]
	;; [unrolled: 4-line block ×4, first 2 shown]
.LBB121_266:
	s_or_b32 exec_lo, exec_lo, s1
	s_mov_b32 s1, exec_lo
	s_waitcnt lgkmcnt(0)
	s_barrier
	buffer_gl0_inv
	v_cmpx_eq_u32_e32 53, v0
	s_cbranch_execz .LBB121_269
; %bb.267:
	v_mov_b32_e32 v52, v172
	v_mov_b32_e32 v53, v173
	;; [unrolled: 1-line block ×4, first 2 shown]
	ds_write_b64 v1, v[132:133]
	ds_write2_b64 v68, v[52:53], v[54:55] offset0:54 offset1:55
	v_mov_b32_e32 v52, v170
	v_mov_b32_e32 v53, v171
	;; [unrolled: 1-line block ×4, first 2 shown]
	ds_write2_b64 v68, v[52:53], v[54:55] offset0:56 offset1:57
	v_mov_b32_e32 v52, v168
	v_mov_b32_e32 v53, v169
	;; [unrolled: 1-line block ×4, first 2 shown]
	ds_write2_b64 v68, v[52:53], v[54:55] offset0:58 offset1:59
	ds_write_b64 v68, v[246:247] offset:480
	ds_read_b64 v[52:53], v1
	s_waitcnt lgkmcnt(0)
	v_cmp_neq_f64_e32 vcc_lo, 0, v[52:53]
	s_and_b32 exec_lo, exec_lo, vcc_lo
	s_cbranch_execz .LBB121_269
; %bb.268:
	v_div_scale_f64 v[54:55], null, v[52:53], v[52:53], 1.0
	v_rcp_f64_e32 v[56:57], v[54:55]
	v_fma_f64 v[58:59], -v[54:55], v[56:57], 1.0
	v_fma_f64 v[56:57], v[56:57], v[58:59], v[56:57]
	v_fma_f64 v[58:59], -v[54:55], v[56:57], 1.0
	v_fma_f64 v[56:57], v[56:57], v[58:59], v[56:57]
	v_div_scale_f64 v[58:59], vcc_lo, 1.0, v[52:53], 1.0
	v_mul_f64 v[60:61], v[58:59], v[56:57]
	v_fma_f64 v[54:55], -v[54:55], v[60:61], v[58:59]
	v_div_fmas_f64 v[54:55], v[54:55], v[56:57], v[60:61]
	v_div_fixup_f64 v[52:53], v[54:55], v[52:53], 1.0
	ds_write_b64 v1, v[52:53]
.LBB121_269:
	s_or_b32 exec_lo, exec_lo, s1
	s_waitcnt lgkmcnt(0)
	s_barrier
	buffer_gl0_inv
	ds_read_b64 v[54:55], v1
	s_mov_b32 s1, exec_lo
	v_cmpx_lt_u32_e32 53, v0
	s_cbranch_execz .LBB121_271
; %bb.270:
	s_waitcnt lgkmcnt(0)
	v_mul_f64 v[132:133], v[54:55], v[132:133]
	ds_read2_b64 v[56:59], v68 offset0:54 offset1:55
	ds_read_b64 v[52:53], v68 offset:480
	s_waitcnt lgkmcnt(1)
	v_fma_f64 v[172:173], -v[132:133], v[56:57], v[172:173]
	v_fma_f64 v[130:131], -v[132:133], v[58:59], v[130:131]
	ds_read2_b64 v[56:59], v68 offset0:56 offset1:57
	s_waitcnt lgkmcnt(1)
	v_fma_f64 v[246:247], -v[132:133], v[52:53], v[246:247]
	s_waitcnt lgkmcnt(0)
	v_fma_f64 v[170:171], -v[132:133], v[56:57], v[170:171]
	v_fma_f64 v[128:129], -v[132:133], v[58:59], v[128:129]
	ds_read2_b64 v[56:59], v68 offset0:58 offset1:59
	s_waitcnt lgkmcnt(0)
	v_fma_f64 v[168:169], -v[132:133], v[56:57], v[168:169]
	v_fma_f64 v[126:127], -v[132:133], v[58:59], v[126:127]
.LBB121_271:
	s_or_b32 exec_lo, exec_lo, s1
	s_mov_b32 s1, exec_lo
	s_waitcnt lgkmcnt(0)
	s_barrier
	buffer_gl0_inv
	v_cmpx_eq_u32_e32 54, v0
	s_cbranch_execz .LBB121_274
; %bb.272:
	ds_write_b64 v1, v[172:173]
	ds_write2_b64 v68, v[130:131], v[170:171] offset0:55 offset1:56
	ds_write2_b64 v68, v[128:129], v[168:169] offset0:57 offset1:58
	;; [unrolled: 1-line block ×3, first 2 shown]
	ds_read_b64 v[52:53], v1
	s_waitcnt lgkmcnt(0)
	v_cmp_neq_f64_e32 vcc_lo, 0, v[52:53]
	s_and_b32 exec_lo, exec_lo, vcc_lo
	s_cbranch_execz .LBB121_274
; %bb.273:
	v_div_scale_f64 v[56:57], null, v[52:53], v[52:53], 1.0
	v_rcp_f64_e32 v[58:59], v[56:57]
	v_fma_f64 v[60:61], -v[56:57], v[58:59], 1.0
	v_fma_f64 v[58:59], v[58:59], v[60:61], v[58:59]
	v_fma_f64 v[60:61], -v[56:57], v[58:59], 1.0
	v_fma_f64 v[58:59], v[58:59], v[60:61], v[58:59]
	v_div_scale_f64 v[60:61], vcc_lo, 1.0, v[52:53], 1.0
	v_mul_f64 v[62:63], v[60:61], v[58:59]
	v_fma_f64 v[56:57], -v[56:57], v[62:63], v[60:61]
	v_div_fmas_f64 v[56:57], v[56:57], v[58:59], v[62:63]
	v_div_fixup_f64 v[52:53], v[56:57], v[52:53], 1.0
	ds_write_b64 v1, v[52:53]
.LBB121_274:
	s_or_b32 exec_lo, exec_lo, s1
	s_waitcnt lgkmcnt(0)
	s_barrier
	buffer_gl0_inv
	ds_read_b64 v[56:57], v1
	s_mov_b32 s1, exec_lo
	v_cmpx_lt_u32_e32 54, v0
	s_cbranch_execz .LBB121_276
; %bb.275:
	s_waitcnt lgkmcnt(0)
	v_mul_f64 v[172:173], v[56:57], v[172:173]
	ds_read2_b64 v[58:61], v68 offset0:55 offset1:56
	s_waitcnt lgkmcnt(0)
	v_fma_f64 v[130:131], -v[172:173], v[58:59], v[130:131]
	v_fma_f64 v[170:171], -v[172:173], v[60:61], v[170:171]
	ds_read2_b64 v[58:61], v68 offset0:57 offset1:58
	s_waitcnt lgkmcnt(0)
	v_fma_f64 v[128:129], -v[172:173], v[58:59], v[128:129]
	v_fma_f64 v[168:169], -v[172:173], v[60:61], v[168:169]
	;; [unrolled: 4-line block ×3, first 2 shown]
.LBB121_276:
	s_or_b32 exec_lo, exec_lo, s1
	s_mov_b32 s1, exec_lo
	s_waitcnt lgkmcnt(0)
	s_barrier
	buffer_gl0_inv
	v_cmpx_eq_u32_e32 55, v0
	s_cbranch_execz .LBB121_279
; %bb.277:
	v_mov_b32_e32 v52, v170
	v_mov_b32_e32 v53, v171
	;; [unrolled: 1-line block ×4, first 2 shown]
	ds_write_b64 v1, v[130:131]
	ds_write2_b64 v68, v[52:53], v[58:59] offset0:56 offset1:57
	v_mov_b32_e32 v52, v168
	v_mov_b32_e32 v53, v169
	;; [unrolled: 1-line block ×4, first 2 shown]
	ds_write2_b64 v68, v[52:53], v[58:59] offset0:58 offset1:59
	ds_write_b64 v68, v[246:247] offset:480
	ds_read_b64 v[52:53], v1
	s_waitcnt lgkmcnt(0)
	v_cmp_neq_f64_e32 vcc_lo, 0, v[52:53]
	s_and_b32 exec_lo, exec_lo, vcc_lo
	s_cbranch_execz .LBB121_279
; %bb.278:
	v_div_scale_f64 v[58:59], null, v[52:53], v[52:53], 1.0
	v_rcp_f64_e32 v[60:61], v[58:59]
	v_fma_f64 v[62:63], -v[58:59], v[60:61], 1.0
	v_fma_f64 v[60:61], v[60:61], v[62:63], v[60:61]
	v_fma_f64 v[62:63], -v[58:59], v[60:61], 1.0
	v_fma_f64 v[60:61], v[60:61], v[62:63], v[60:61]
	v_div_scale_f64 v[62:63], vcc_lo, 1.0, v[52:53], 1.0
	v_mul_f64 v[64:65], v[62:63], v[60:61]
	v_fma_f64 v[58:59], -v[58:59], v[64:65], v[62:63]
	v_div_fmas_f64 v[58:59], v[58:59], v[60:61], v[64:65]
	v_div_fixup_f64 v[52:53], v[58:59], v[52:53], 1.0
	ds_write_b64 v1, v[52:53]
.LBB121_279:
	s_or_b32 exec_lo, exec_lo, s1
	s_waitcnt lgkmcnt(0)
	s_barrier
	buffer_gl0_inv
	ds_read_b64 v[58:59], v1
	s_mov_b32 s1, exec_lo
	v_cmpx_lt_u32_e32 55, v0
	s_cbranch_execz .LBB121_281
; %bb.280:
	s_waitcnt lgkmcnt(0)
	v_mul_f64 v[130:131], v[58:59], v[130:131]
	ds_read2_b64 v[60:63], v68 offset0:56 offset1:57
	ds_read_b64 v[52:53], v68 offset:480
	s_waitcnt lgkmcnt(1)
	v_fma_f64 v[170:171], -v[130:131], v[60:61], v[170:171]
	v_fma_f64 v[128:129], -v[130:131], v[62:63], v[128:129]
	ds_read2_b64 v[60:63], v68 offset0:58 offset1:59
	s_waitcnt lgkmcnt(1)
	v_fma_f64 v[246:247], -v[130:131], v[52:53], v[246:247]
	s_waitcnt lgkmcnt(0)
	v_fma_f64 v[168:169], -v[130:131], v[60:61], v[168:169]
	v_fma_f64 v[126:127], -v[130:131], v[62:63], v[126:127]
.LBB121_281:
	s_or_b32 exec_lo, exec_lo, s1
	s_mov_b32 s1, exec_lo
	s_waitcnt lgkmcnt(0)
	s_barrier
	buffer_gl0_inv
	v_cmpx_eq_u32_e32 56, v0
	s_cbranch_execz .LBB121_284
; %bb.282:
	ds_write_b64 v1, v[170:171]
	ds_write2_b64 v68, v[128:129], v[168:169] offset0:57 offset1:58
	ds_write2_b64 v68, v[126:127], v[246:247] offset0:59 offset1:60
	ds_read_b64 v[52:53], v1
	s_waitcnt lgkmcnt(0)
	v_cmp_neq_f64_e32 vcc_lo, 0, v[52:53]
	s_and_b32 exec_lo, exec_lo, vcc_lo
	s_cbranch_execz .LBB121_284
; %bb.283:
	v_div_scale_f64 v[60:61], null, v[52:53], v[52:53], 1.0
	v_rcp_f64_e32 v[62:63], v[60:61]
	v_fma_f64 v[64:65], -v[60:61], v[62:63], 1.0
	v_fma_f64 v[62:63], v[62:63], v[64:65], v[62:63]
	v_fma_f64 v[64:65], -v[60:61], v[62:63], 1.0
	v_fma_f64 v[62:63], v[62:63], v[64:65], v[62:63]
	v_div_scale_f64 v[64:65], vcc_lo, 1.0, v[52:53], 1.0
	v_mul_f64 v[66:67], v[64:65], v[62:63]
	v_fma_f64 v[60:61], -v[60:61], v[66:67], v[64:65]
	v_div_fmas_f64 v[60:61], v[60:61], v[62:63], v[66:67]
	v_div_fixup_f64 v[52:53], v[60:61], v[52:53], 1.0
	ds_write_b64 v1, v[52:53]
.LBB121_284:
	s_or_b32 exec_lo, exec_lo, s1
	s_waitcnt lgkmcnt(0)
	s_barrier
	buffer_gl0_inv
	ds_read_b64 v[60:61], v1
	s_mov_b32 s1, exec_lo
	v_cmpx_lt_u32_e32 56, v0
	s_cbranch_execz .LBB121_286
; %bb.285:
	s_waitcnt lgkmcnt(0)
	v_mul_f64 v[170:171], v[60:61], v[170:171]
	ds_read2_b64 v[62:65], v68 offset0:57 offset1:58
	s_waitcnt lgkmcnt(0)
	v_fma_f64 v[128:129], -v[170:171], v[62:63], v[128:129]
	v_fma_f64 v[168:169], -v[170:171], v[64:65], v[168:169]
	ds_read2_b64 v[62:65], v68 offset0:59 offset1:60
	s_waitcnt lgkmcnt(0)
	v_fma_f64 v[126:127], -v[170:171], v[62:63], v[126:127]
	v_fma_f64 v[246:247], -v[170:171], v[64:65], v[246:247]
.LBB121_286:
	s_or_b32 exec_lo, exec_lo, s1
	s_mov_b32 s1, exec_lo
	s_waitcnt lgkmcnt(0)
	s_barrier
	buffer_gl0_inv
	v_cmpx_eq_u32_e32 57, v0
	s_cbranch_execz .LBB121_289
; %bb.287:
	v_mov_b32_e32 v52, v168
	v_mov_b32_e32 v53, v169
	v_mov_b32_e32 v62, v126
	v_mov_b32_e32 v63, v127
	ds_write_b64 v1, v[128:129]
	ds_write2_b64 v68, v[52:53], v[62:63] offset0:58 offset1:59
	ds_write_b64 v68, v[246:247] offset:480
	ds_read_b64 v[52:53], v1
	s_waitcnt lgkmcnt(0)
	v_cmp_neq_f64_e32 vcc_lo, 0, v[52:53]
	s_and_b32 exec_lo, exec_lo, vcc_lo
	s_cbranch_execz .LBB121_289
; %bb.288:
	v_div_scale_f64 v[62:63], null, v[52:53], v[52:53], 1.0
	v_rcp_f64_e32 v[64:65], v[62:63]
	v_fma_f64 v[66:67], -v[62:63], v[64:65], 1.0
	v_fma_f64 v[64:65], v[64:65], v[66:67], v[64:65]
	v_fma_f64 v[66:67], -v[62:63], v[64:65], 1.0
	v_fma_f64 v[64:65], v[64:65], v[66:67], v[64:65]
	v_div_scale_f64 v[66:67], vcc_lo, 1.0, v[52:53], 1.0
	v_mul_f64 v[69:70], v[66:67], v[64:65]
	v_fma_f64 v[62:63], -v[62:63], v[69:70], v[66:67]
	v_div_fmas_f64 v[62:63], v[62:63], v[64:65], v[69:70]
	v_div_fixup_f64 v[52:53], v[62:63], v[52:53], 1.0
	ds_write_b64 v1, v[52:53]
.LBB121_289:
	s_or_b32 exec_lo, exec_lo, s1
	s_waitcnt lgkmcnt(0)
	s_barrier
	buffer_gl0_inv
	ds_read_b64 v[62:63], v1
	s_mov_b32 s1, exec_lo
	v_cmpx_lt_u32_e32 57, v0
	s_cbranch_execz .LBB121_291
; %bb.290:
	s_waitcnt lgkmcnt(0)
	v_mul_f64 v[128:129], v[62:63], v[128:129]
	ds_read2_b64 v[64:67], v68 offset0:58 offset1:59
	ds_read_b64 v[52:53], v68 offset:480
	s_waitcnt lgkmcnt(1)
	v_fma_f64 v[168:169], -v[128:129], v[64:65], v[168:169]
	v_fma_f64 v[126:127], -v[128:129], v[66:67], v[126:127]
	s_waitcnt lgkmcnt(0)
	v_fma_f64 v[246:247], -v[128:129], v[52:53], v[246:247]
.LBB121_291:
	s_or_b32 exec_lo, exec_lo, s1
	s_mov_b32 s1, exec_lo
	s_waitcnt lgkmcnt(0)
	s_barrier
	buffer_gl0_inv
	v_cmpx_eq_u32_e32 58, v0
	s_cbranch_execz .LBB121_294
; %bb.292:
	ds_write_b64 v1, v[168:169]
	ds_write2_b64 v68, v[126:127], v[246:247] offset0:59 offset1:60
	ds_read_b64 v[52:53], v1
	s_waitcnt lgkmcnt(0)
	v_cmp_neq_f64_e32 vcc_lo, 0, v[52:53]
	s_and_b32 exec_lo, exec_lo, vcc_lo
	s_cbranch_execz .LBB121_294
; %bb.293:
	v_div_scale_f64 v[64:65], null, v[52:53], v[52:53], 1.0
	v_rcp_f64_e32 v[66:67], v[64:65]
	v_fma_f64 v[69:70], -v[64:65], v[66:67], 1.0
	v_fma_f64 v[66:67], v[66:67], v[69:70], v[66:67]
	v_fma_f64 v[69:70], -v[64:65], v[66:67], 1.0
	v_fma_f64 v[66:67], v[66:67], v[69:70], v[66:67]
	v_div_scale_f64 v[69:70], vcc_lo, 1.0, v[52:53], 1.0
	v_mul_f64 v[71:72], v[69:70], v[66:67]
	v_fma_f64 v[64:65], -v[64:65], v[71:72], v[69:70]
	v_div_fmas_f64 v[64:65], v[64:65], v[66:67], v[71:72]
	v_div_fixup_f64 v[52:53], v[64:65], v[52:53], 1.0
	ds_write_b64 v1, v[52:53]
.LBB121_294:
	s_or_b32 exec_lo, exec_lo, s1
	s_waitcnt lgkmcnt(0)
	s_barrier
	buffer_gl0_inv
	ds_read_b64 v[64:65], v1
	s_mov_b32 s1, exec_lo
	v_cmpx_lt_u32_e32 58, v0
	s_cbranch_execz .LBB121_296
; %bb.295:
	s_waitcnt lgkmcnt(0)
	v_mul_f64 v[168:169], v[64:65], v[168:169]
	ds_read2_b64 v[69:72], v68 offset0:59 offset1:60
	s_waitcnt lgkmcnt(0)
	v_fma_f64 v[126:127], -v[168:169], v[69:70], v[126:127]
	v_fma_f64 v[246:247], -v[168:169], v[71:72], v[246:247]
.LBB121_296:
	s_or_b32 exec_lo, exec_lo, s1
	s_mov_b32 s1, exec_lo
	s_waitcnt lgkmcnt(0)
	s_barrier
	buffer_gl0_inv
	v_cmpx_eq_u32_e32 59, v0
	s_cbranch_execz .LBB121_299
; %bb.297:
	ds_write_b64 v1, v[126:127]
	ds_write_b64 v68, v[246:247] offset:480
	ds_read_b64 v[52:53], v1
	s_waitcnt lgkmcnt(0)
	v_cmp_neq_f64_e32 vcc_lo, 0, v[52:53]
	s_and_b32 exec_lo, exec_lo, vcc_lo
	s_cbranch_execz .LBB121_299
; %bb.298:
	v_div_scale_f64 v[66:67], null, v[52:53], v[52:53], 1.0
	v_mov_b32_e32 v120, v119
	v_mov_b32_e32 v119, v118
	;; [unrolled: 1-line block ×20, first 2 shown]
	v_rcp_f64_e32 v[69:70], v[66:67]
	v_mov_b32_e32 v100, v99
	v_mov_b32_e32 v99, v98
	;; [unrolled: 1-line block ×23, first 2 shown]
	v_fma_f64 v[71:72], -v[66:67], v[69:70], 1.0
	v_mov_b32_e32 v80, v81
	v_mov_b32_e32 v81, v82
	;; [unrolled: 1-line block ×21, first 2 shown]
	v_fma_f64 v[69:70], v[69:70], v[71:72], v[69:70]
	v_mov_b32_e32 v5, v255
	v_mov_b32_e32 v255, v253
	;; [unrolled: 1-line block ×21, first 2 shown]
	v_fma_f64 v[71:72], -v[66:67], v[69:70], 1.0
	v_mov_b32_e32 v255, v5
	v_mov_b32_e32 v109, v110
	;; [unrolled: 1-line block ×21, first 2 shown]
	v_fma_f64 v[69:70], v[69:70], v[71:72], v[69:70]
	v_div_scale_f64 v[71:72], vcc_lo, 1.0, v[52:53], 1.0
	v_mov_b32_e32 v119, v120
	v_mov_b32_e32 v122, v75
	v_mul_f64 v[73:74], v[71:72], v[69:70]
	v_fma_f64 v[66:67], -v[66:67], v[73:74], v[71:72]
	v_div_fmas_f64 v[66:67], v[66:67], v[69:70], v[73:74]
	v_div_fixup_f64 v[52:53], v[66:67], v[52:53], 1.0
	ds_write_b64 v1, v[52:53]
.LBB121_299:
	s_or_b32 exec_lo, exec_lo, s1
	s_waitcnt lgkmcnt(0)
	s_barrier
	buffer_gl0_inv
	ds_read_b64 v[66:67], v1
	s_mov_b32 s1, exec_lo
	v_cmpx_lt_u32_e32 59, v0
	s_cbranch_execz .LBB121_301
; %bb.300:
	s_waitcnt lgkmcnt(0)
	v_mul_f64 v[126:127], v[66:67], v[126:127]
	ds_read_b64 v[52:53], v68 offset:480
	s_waitcnt lgkmcnt(0)
	v_fma_f64 v[246:247], -v[126:127], v[52:53], v[246:247]
.LBB121_301:
	s_or_b32 exec_lo, exec_lo, s1
	s_mov_b32 s1, exec_lo
	s_waitcnt lgkmcnt(0)
	s_barrier
	buffer_gl0_inv
	v_cmpx_eq_u32_e32 60, v0
	s_cbranch_execz .LBB121_304
; %bb.302:
	v_cmp_neq_f64_e32 vcc_lo, 0, v[246:247]
	ds_write_b64 v1, v[246:247]
	s_and_b32 exec_lo, exec_lo, vcc_lo
	s_cbranch_execz .LBB121_304
; %bb.303:
	v_div_scale_f64 v[52:53], null, v[246:247], v[246:247], 1.0
	v_rcp_f64_e32 v[68:69], v[52:53]
	v_fma_f64 v[70:71], -v[52:53], v[68:69], 1.0
	v_fma_f64 v[68:69], v[68:69], v[70:71], v[68:69]
	v_fma_f64 v[70:71], -v[52:53], v[68:69], 1.0
	v_fma_f64 v[68:69], v[68:69], v[70:71], v[68:69]
	v_div_scale_f64 v[70:71], vcc_lo, 1.0, v[246:247], 1.0
	v_mul_f64 v[72:73], v[70:71], v[68:69]
	v_fma_f64 v[52:53], -v[52:53], v[72:73], v[70:71]
	v_div_fmas_f64 v[52:53], v[52:53], v[68:69], v[72:73]
	v_div_fixup_f64 v[52:53], v[52:53], v[246:247], 1.0
	ds_write_b64 v1, v[52:53]
.LBB121_304:
	s_or_b32 exec_lo, exec_lo, s1
	s_waitcnt lgkmcnt(0)
	s_barrier
	buffer_gl0_inv
	ds_read_b64 v[52:53], v1
	s_waitcnt lgkmcnt(0)
	s_barrier
	buffer_gl0_inv
	s_and_saveexec_b32 s1, s0
	s_cbranch_execz .LBB121_307
; %bb.305:
	v_mov_b32_e32 v69, v5
	v_mov_b32_e32 v68, v4
	s_clause 0x1
	buffer_load_dword v4, off, s[12:15], 0 offset:256
	buffer_load_dword v5, off, s[12:15], 0 offset:260
	s_load_dwordx2 s[2:3], s[4:5], 0x28
	s_waitcnt vmcnt(0)
	v_cmp_eq_f64_e32 vcc_lo, 0, v[4:5]
	s_clause 0x1
	buffer_load_dword v4, off, s[12:15], 0 offset:264
	buffer_load_dword v5, off, s[12:15], 0 offset:268
	v_cndmask_b32_e64 v1, 0, 1, vcc_lo
	s_waitcnt vmcnt(0)
	v_cmp_neq_f64_e64 s0, 0, v[4:5]
	s_clause 0x1
	buffer_load_dword v4, off, s[12:15], 0 offset:272
	buffer_load_dword v5, off, s[12:15], 0 offset:276
	s_or_b32 vcc_lo, s0, vcc_lo
	v_cndmask_b32_e32 v1, 2, v1, vcc_lo
	v_cmp_eq_u32_e64 s0, 0, v1
	s_waitcnt vmcnt(0)
	v_cmp_eq_f64_e32 vcc_lo, 0, v[4:5]
	s_clause 0x1
	buffer_load_dword v4, off, s[12:15], 0 offset:280
	buffer_load_dword v5, off, s[12:15], 0 offset:284
	s_and_b32 s0, vcc_lo, s0
	v_cndmask_b32_e64 v1, v1, 3, s0
	v_cmp_eq_u32_e64 s0, 0, v1
	s_waitcnt vmcnt(0)
	v_cmp_eq_f64_e32 vcc_lo, 0, v[4:5]
	s_clause 0x1
	buffer_load_dword v4, off, s[12:15], 0 offset:288
	buffer_load_dword v5, off, s[12:15], 0 offset:292
	s_and_b32 s0, vcc_lo, s0
	v_cndmask_b32_e64 v1, v1, 4, s0
	;; [unrolled: 8-line block ×25, first 2 shown]
	v_cmp_eq_u32_e64 s0, 0, v1
	s_waitcnt vmcnt(0)
	v_cmp_eq_f64_e32 vcc_lo, 0, v[4:5]
	s_and_b32 s0, vcc_lo, s0
	v_cmp_eq_f64_e32 vcc_lo, 0, v[68:69]
	v_cndmask_b32_e64 v1, v1, 28, s0
	v_cmp_eq_u32_e64 s0, 0, v1
	s_and_b32 s0, vcc_lo, s0
	v_cmp_eq_f64_e32 vcc_lo, 0, v[6:7]
	v_cndmask_b32_e64 v1, v1, 29, s0
	v_cmp_eq_u32_e64 s0, 0, v1
	;; [unrolled: 4-line block ×33, first 2 shown]
	s_and_b32 s0, vcc_lo, s0
	v_cndmask_b32_e64 v4, v1, 61, s0
	v_lshlrev_b64 v[1:2], 2, v[2:3]
	v_cmp_ne_u32_e64 s0, 0, v4
	s_waitcnt lgkmcnt(0)
	v_add_co_u32 v1, vcc_lo, s2, v1
	v_add_co_ci_u32_e64 v2, null, s3, v2, vcc_lo
	global_load_dword v3, v[1:2], off
	s_waitcnt vmcnt(0)
	v_cmp_eq_u32_e32 vcc_lo, 0, v3
	s_and_b32 s0, vcc_lo, s0
	s_and_b32 exec_lo, exec_lo, s0
	s_cbranch_execz .LBB121_307
; %bb.306:
	v_add_nc_u32_e32 v3, s9, v4
	global_store_dword v[1:2], v3, off
.LBB121_307:
	s_or_b32 exec_lo, exec_lo, s1
	flat_store_dwordx2 v[122:123], v[208:209]
	s_clause 0x1
	buffer_load_dword v3, off, s[12:15], 0 offset:248
	buffer_load_dword v4, off, s[12:15], 0 offset:252
	v_mul_f64 v[1:2], v[52:53], v[246:247]
	v_cmp_lt_u32_e32 vcc_lo, 60, v0
	v_cndmask_b32_e32 v2, v247, v2, vcc_lo
	v_cndmask_b32_e32 v1, v246, v1, vcc_lo
	s_waitcnt vmcnt(0)
	flat_store_dwordx2 v[3:4], v[226:227]
	s_clause 0x1
	buffer_load_dword v3, off, s[12:15], 0 offset:480
	buffer_load_dword v4, off, s[12:15], 0 offset:484
	s_waitcnt vmcnt(0)
	flat_store_dwordx2 v[3:4], v[244:245]
	s_clause 0x1
	buffer_load_dword v3, off, s[12:15], 0 offset:488
	buffer_load_dword v4, off, s[12:15], 0 offset:492
	;; [unrolled: 5-line block ×3, first 2 shown]
	s_waitcnt vmcnt(0)
	flat_store_dwordx2 v[3:4], v[242:243]
	flat_store_dwordx2 v[80:81], v[222:223]
	;; [unrolled: 1-line block ×26, first 2 shown]
	s_clause 0x1
	buffer_load_dword v3, off, s[12:15], 0
	buffer_load_dword v4, off, s[12:15], 0 offset:4
	s_waitcnt vmcnt(0)
	flat_store_dwordx2 v[3:4], v[196:197]
	s_clause 0x1
	buffer_load_dword v3, off, s[12:15], 0 offset:8
	buffer_load_dword v4, off, s[12:15], 0 offset:12
	s_waitcnt vmcnt(0)
	flat_store_dwordx2 v[3:4], v[154:155]
	s_clause 0x1
	buffer_load_dword v3, off, s[12:15], 0 offset:16
	;; [unrolled: 5-line block ×30, first 2 shown]
	buffer_load_dword v4, off, s[12:15], 0 offset:244
	s_waitcnt vmcnt(0)
	flat_store_dwordx2 v[3:4], v[1:2]
.LBB121_308:
	s_endpgm
	.section	.rodata,"a",@progbits
	.p2align	6, 0x0
	.amdhsa_kernel _ZN9rocsolver6v33100L23getf2_npvt_small_kernelILi61EdiiPKPdEEvT1_T3_lS5_lPT2_S5_S5_
		.amdhsa_group_segment_fixed_size 0
		.amdhsa_private_segment_fixed_size 508
		.amdhsa_kernarg_size 312
		.amdhsa_user_sgpr_count 6
		.amdhsa_user_sgpr_private_segment_buffer 1
		.amdhsa_user_sgpr_dispatch_ptr 0
		.amdhsa_user_sgpr_queue_ptr 0
		.amdhsa_user_sgpr_kernarg_segment_ptr 1
		.amdhsa_user_sgpr_dispatch_id 0
		.amdhsa_user_sgpr_flat_scratch_init 0
		.amdhsa_user_sgpr_private_segment_size 0
		.amdhsa_wavefront_size32 1
		.amdhsa_uses_dynamic_stack 0
		.amdhsa_system_sgpr_private_segment_wavefront_offset 1
		.amdhsa_system_sgpr_workgroup_id_x 1
		.amdhsa_system_sgpr_workgroup_id_y 1
		.amdhsa_system_sgpr_workgroup_id_z 0
		.amdhsa_system_sgpr_workgroup_info 0
		.amdhsa_system_vgpr_workitem_id 1
		.amdhsa_next_free_vgpr 256
		.amdhsa_next_free_sgpr 16
		.amdhsa_reserve_vcc 1
		.amdhsa_reserve_flat_scratch 1
		.amdhsa_float_round_mode_32 0
		.amdhsa_float_round_mode_16_64 0
		.amdhsa_float_denorm_mode_32 3
		.amdhsa_float_denorm_mode_16_64 3
		.amdhsa_dx10_clamp 1
		.amdhsa_ieee_mode 1
		.amdhsa_fp16_overflow 0
		.amdhsa_workgroup_processor_mode 1
		.amdhsa_memory_ordered 1
		.amdhsa_forward_progress 1
		.amdhsa_shared_vgpr_count 0
		.amdhsa_exception_fp_ieee_invalid_op 0
		.amdhsa_exception_fp_denorm_src 0
		.amdhsa_exception_fp_ieee_div_zero 0
		.amdhsa_exception_fp_ieee_overflow 0
		.amdhsa_exception_fp_ieee_underflow 0
		.amdhsa_exception_fp_ieee_inexact 0
		.amdhsa_exception_int_div_zero 0
	.end_amdhsa_kernel
	.section	.text._ZN9rocsolver6v33100L23getf2_npvt_small_kernelILi61EdiiPKPdEEvT1_T3_lS5_lPT2_S5_S5_,"axG",@progbits,_ZN9rocsolver6v33100L23getf2_npvt_small_kernelILi61EdiiPKPdEEvT1_T3_lS5_lPT2_S5_S5_,comdat
.Lfunc_end121:
	.size	_ZN9rocsolver6v33100L23getf2_npvt_small_kernelILi61EdiiPKPdEEvT1_T3_lS5_lPT2_S5_S5_, .Lfunc_end121-_ZN9rocsolver6v33100L23getf2_npvt_small_kernelILi61EdiiPKPdEEvT1_T3_lS5_lPT2_S5_S5_
                                        ; -- End function
	.set _ZN9rocsolver6v33100L23getf2_npvt_small_kernelILi61EdiiPKPdEEvT1_T3_lS5_lPT2_S5_S5_.num_vgpr, 256
	.set _ZN9rocsolver6v33100L23getf2_npvt_small_kernelILi61EdiiPKPdEEvT1_T3_lS5_lPT2_S5_S5_.num_agpr, 0
	.set _ZN9rocsolver6v33100L23getf2_npvt_small_kernelILi61EdiiPKPdEEvT1_T3_lS5_lPT2_S5_S5_.numbered_sgpr, 16
	.set _ZN9rocsolver6v33100L23getf2_npvt_small_kernelILi61EdiiPKPdEEvT1_T3_lS5_lPT2_S5_S5_.num_named_barrier, 0
	.set _ZN9rocsolver6v33100L23getf2_npvt_small_kernelILi61EdiiPKPdEEvT1_T3_lS5_lPT2_S5_S5_.private_seg_size, 508
	.set _ZN9rocsolver6v33100L23getf2_npvt_small_kernelILi61EdiiPKPdEEvT1_T3_lS5_lPT2_S5_S5_.uses_vcc, 1
	.set _ZN9rocsolver6v33100L23getf2_npvt_small_kernelILi61EdiiPKPdEEvT1_T3_lS5_lPT2_S5_S5_.uses_flat_scratch, 1
	.set _ZN9rocsolver6v33100L23getf2_npvt_small_kernelILi61EdiiPKPdEEvT1_T3_lS5_lPT2_S5_S5_.has_dyn_sized_stack, 0
	.set _ZN9rocsolver6v33100L23getf2_npvt_small_kernelILi61EdiiPKPdEEvT1_T3_lS5_lPT2_S5_S5_.has_recursion, 0
	.set _ZN9rocsolver6v33100L23getf2_npvt_small_kernelILi61EdiiPKPdEEvT1_T3_lS5_lPT2_S5_S5_.has_indirect_call, 0
	.section	.AMDGPU.csdata,"",@progbits
; Kernel info:
; codeLenInByte = 61412
; TotalNumSgprs: 18
; NumVgprs: 256
; ScratchSize: 508
; MemoryBound: 0
; FloatMode: 240
; IeeeMode: 1
; LDSByteSize: 0 bytes/workgroup (compile time only)
; SGPRBlocks: 0
; VGPRBlocks: 31
; NumSGPRsForWavesPerEU: 18
; NumVGPRsForWavesPerEU: 256
; Occupancy: 4
; WaveLimiterHint : 1
; COMPUTE_PGM_RSRC2:SCRATCH_EN: 1
; COMPUTE_PGM_RSRC2:USER_SGPR: 6
; COMPUTE_PGM_RSRC2:TRAP_HANDLER: 0
; COMPUTE_PGM_RSRC2:TGID_X_EN: 1
; COMPUTE_PGM_RSRC2:TGID_Y_EN: 1
; COMPUTE_PGM_RSRC2:TGID_Z_EN: 0
; COMPUTE_PGM_RSRC2:TIDIG_COMP_CNT: 1
	.section	.text._ZN9rocsolver6v33100L18getf2_small_kernelILi62EdiiPKPdEEvT1_T3_lS5_lPS5_llPT2_S5_S5_S7_l,"axG",@progbits,_ZN9rocsolver6v33100L18getf2_small_kernelILi62EdiiPKPdEEvT1_T3_lS5_lPS5_llPT2_S5_S5_S7_l,comdat
	.globl	_ZN9rocsolver6v33100L18getf2_small_kernelILi62EdiiPKPdEEvT1_T3_lS5_lPS5_llPT2_S5_S5_S7_l ; -- Begin function _ZN9rocsolver6v33100L18getf2_small_kernelILi62EdiiPKPdEEvT1_T3_lS5_lPS5_llPT2_S5_S5_S7_l
	.p2align	8
	.type	_ZN9rocsolver6v33100L18getf2_small_kernelILi62EdiiPKPdEEvT1_T3_lS5_lPS5_llPT2_S5_S5_S7_l,@function
_ZN9rocsolver6v33100L18getf2_small_kernelILi62EdiiPKPdEEvT1_T3_lS5_lPS5_llPT2_S5_S5_S7_l: ; @_ZN9rocsolver6v33100L18getf2_small_kernelILi62EdiiPKPdEEvT1_T3_lS5_lPS5_llPT2_S5_S5_S7_l
; %bb.0:
	s_clause 0x1
	s_load_dword s0, s[4:5], 0x6c
	s_load_dwordx2 s[12:13], s[4:5], 0x48
	s_waitcnt lgkmcnt(0)
	s_lshr_b32 s0, s0, 16
	v_mad_u64_u32 v[2:3], null, s7, s0, v[1:2]
	s_mov_b32 s0, exec_lo
	v_cmpx_gt_i32_e64 s12, v2
	s_cbranch_execz .LBB122_1051
; %bb.1:
	s_clause 0x1
	s_load_dwordx4 s[0:3], s[4:5], 0x8
	s_load_dwordx4 s[8:11], s[4:5], 0x50
	v_ashrrev_i32_e32 v3, 31, v2
	v_lshlrev_b64 v[4:5], 3, v[2:3]
	s_waitcnt lgkmcnt(0)
	v_add_co_u32 v4, vcc_lo, s0, v4
	v_add_co_ci_u32_e64 v5, null, s1, v5, vcc_lo
	s_cmp_eq_u64 s[8:9], 0
	s_cselect_b32 s6, -1, 0
	global_load_dwordx2 v[6:7], v[4:5], off
	v_mov_b32_e32 v4, 0
	v_mov_b32_e32 v5, 0
	s_and_b32 vcc_lo, exec_lo, s6
	s_cbranch_vccnz .LBB122_3
; %bb.2:
	v_mul_lo_u32 v8, s11, v2
	v_mul_lo_u32 v9, s10, v3
	v_mad_u64_u32 v[4:5], null, s10, v2, 0
	v_add3_u32 v5, v5, v9, v8
	v_lshlrev_b64 v[4:5], 2, v[4:5]
	v_add_co_u32 v4, vcc_lo, s8, v4
	v_add_co_ci_u32_e64 v5, null, s9, v5, vcc_lo
.LBB122_3:
	s_clause 0x1
	s_load_dword s8, s[4:5], 0x18
	s_load_dword s7, s[4:5], 0x0
	s_lshl_b64 s[0:1], s[2:3], 3
	v_lshlrev_b32_e32 v190, 3, v0
	s_waitcnt vmcnt(0)
	v_add_co_u32 v134, vcc_lo, v6, s0
	v_add_co_ci_u32_e64 v135, null, s1, v7, vcc_lo
	s_waitcnt lgkmcnt(0)
	v_add3_u32 v8, s8, s8, v0
	s_ashr_i32 s9, s8, 31
	s_max_i32 s0, s7, 62
	s_lshl_b64 s[10:11], s[8:9], 3
	v_mul_lo_u32 v1, s0, v1
	v_add_nc_u32_e32 v10, s8, v8
	v_ashrrev_i32_e32 v9, 31, v8
	s_cmp_lt_i32 s7, 2
	v_ashrrev_i32_e32 v11, 31, v10
	v_add_nc_u32_e32 v12, s8, v10
	v_lshlrev_b64 v[8:9], 3, v[8:9]
	v_lshlrev_b64 v[6:7], 3, v[10:11]
	v_add_nc_u32_e32 v10, s8, v12
	v_ashrrev_i32_e32 v13, 31, v12
	v_add_co_u32 v8, vcc_lo, v134, v8
	v_add_co_ci_u32_e64 v9, null, v135, v9, vcc_lo
	v_add_nc_u32_e32 v14, s8, v10
	v_ashrrev_i32_e32 v11, 31, v10
	v_lshlrev_b64 v[12:13], 3, v[12:13]
	v_add_co_u32 v6, vcc_lo, v134, v6
	v_add_nc_u32_e32 v16, s8, v14
	v_ashrrev_i32_e32 v15, 31, v14
	v_lshlrev_b64 v[10:11], 3, v[10:11]
	v_add_co_ci_u32_e64 v7, null, v135, v7, vcc_lo
	v_add_nc_u32_e32 v18, s8, v16
	v_ashrrev_i32_e32 v17, 31, v16
	v_lshlrev_b64 v[14:15], 3, v[14:15]
	v_add_co_u32 v12, vcc_lo, v134, v12
	v_add_nc_u32_e32 v20, s8, v18
	v_ashrrev_i32_e32 v19, 31, v18
	v_lshlrev_b64 v[16:17], 3, v[16:17]
	v_add_co_ci_u32_e64 v13, null, v135, v13, vcc_lo
	v_add_nc_u32_e32 v22, s8, v20
	v_ashrrev_i32_e32 v21, 31, v20
	v_add_co_u32 v10, vcc_lo, v134, v10
	v_lshlrev_b64 v[18:19], 3, v[18:19]
	v_add_nc_u32_e32 v24, s8, v22
	v_ashrrev_i32_e32 v23, 31, v22
	v_add_co_ci_u32_e64 v11, null, v135, v11, vcc_lo
	v_add_co_u32 v14, vcc_lo, v134, v14
	v_add_nc_u32_e32 v26, s8, v24
	v_ashrrev_i32_e32 v25, 31, v24
	v_lshlrev_b64 v[20:21], 3, v[20:21]
	v_add_co_ci_u32_e64 v15, null, v135, v15, vcc_lo
	v_add_nc_u32_e32 v28, s8, v26
	v_ashrrev_i32_e32 v27, 31, v26
	v_add_co_u32 v16, vcc_lo, v134, v16
	v_lshlrev_b64 v[22:23], 3, v[22:23]
	v_add_nc_u32_e32 v30, s8, v28
	v_ashrrev_i32_e32 v29, 31, v28
	v_add_co_ci_u32_e64 v17, null, v135, v17, vcc_lo
	v_add_co_u32 v18, vcc_lo, v134, v18
	v_add_nc_u32_e32 v32, s8, v30
	v_lshlrev_b64 v[24:25], 3, v[24:25]
	v_ashrrev_i32_e32 v31, 31, v30
	v_add_co_ci_u32_e64 v19, null, v135, v19, vcc_lo
	v_add_nc_u32_e32 v34, s8, v32
	v_add_co_u32 v20, vcc_lo, v134, v20
	v_lshlrev_b64 v[26:27], 3, v[26:27]
	v_ashrrev_i32_e32 v33, 31, v32
	v_add_nc_u32_e32 v36, s8, v34
	v_add_co_ci_u32_e64 v21, null, v135, v21, vcc_lo
	v_add_co_u32 v22, vcc_lo, v134, v22
	v_add_nc_u32_e32 v38, s8, v36
	v_lshlrev_b64 v[28:29], 3, v[28:29]
	v_ashrrev_i32_e32 v35, 31, v34
	v_add_co_ci_u32_e64 v23, null, v135, v23, vcc_lo
	v_add_nc_u32_e32 v40, s8, v38
	v_add_co_u32 v24, vcc_lo, v134, v24
	v_lshlrev_b64 v[30:31], 3, v[30:31]
	v_ashrrev_i32_e32 v37, 31, v36
	v_add_nc_u32_e32 v42, s8, v40
	;; [unrolled: 11-line block ×5, first 2 shown]
	v_add_co_ci_u32_e64 v37, null, v135, v37, vcc_lo
	v_add_co_u32 v38, vcc_lo, v134, v38
	v_lshlrev_b64 v[44:45], 3, v[44:45]
	v_add_nc_u32_e32 v62, s8, v60
	v_ashrrev_i32_e32 v51, 31, v50
	v_add_co_ci_u32_e64 v39, null, v135, v39, vcc_lo
	v_add_co_u32 v40, vcc_lo, v134, v40
	v_lshlrev_b64 v[46:47], 3, v[46:47]
	v_ashrrev_i32_e32 v53, 31, v52
	v_add_co_ci_u32_e64 v41, null, v135, v41, vcc_lo
	v_add_co_u32 v42, vcc_lo, v134, v42
	v_lshlrev_b64 v[48:49], 3, v[48:49]
	v_ashrrev_i32_e32 v55, 31, v54
	v_add_nc_u32_e32 v64, s8, v62
	v_add_co_ci_u32_e64 v43, null, v135, v43, vcc_lo
	v_add_co_u32 v44, vcc_lo, v134, v44
	v_lshlrev_b64 v[50:51], 3, v[50:51]
	v_ashrrev_i32_e32 v57, 31, v56
	v_add_co_ci_u32_e64 v45, null, v135, v45, vcc_lo
	v_add_co_u32 v46, vcc_lo, v134, v46
	v_lshlrev_b64 v[52:53], 3, v[52:53]
	v_ashrrev_i32_e32 v59, 31, v58
	v_add_co_ci_u32_e64 v47, null, v135, v47, vcc_lo
	v_add_co_u32 v48, vcc_lo, v134, v48
	v_lshlrev_b64 v[54:55], 3, v[54:55]
	v_add_nc_u32_e32 v66, s8, v64
	v_ashrrev_i32_e32 v61, 31, v60
	v_add_co_ci_u32_e64 v49, null, v135, v49, vcc_lo
	v_add_co_u32 v50, vcc_lo, v134, v50
	v_lshlrev_b64 v[56:57], 3, v[56:57]
	v_ashrrev_i32_e32 v63, 31, v62
	v_add_co_ci_u32_e64 v51, null, v135, v51, vcc_lo
	v_add_co_u32 v52, vcc_lo, v134, v52
	v_lshlrev_b64 v[58:59], 3, v[58:59]
	v_ashrrev_i32_e32 v65, 31, v64
	v_add_nc_u32_e32 v68, s8, v66
	v_add_co_ci_u32_e64 v53, null, v135, v53, vcc_lo
	v_add_co_u32 v54, vcc_lo, v134, v54
	v_lshlrev_b64 v[60:61], 3, v[60:61]
	v_ashrrev_i32_e32 v67, 31, v66
	v_add_co_ci_u32_e64 v55, null, v135, v55, vcc_lo
	v_add_co_u32 v56, vcc_lo, v134, v56
	v_lshlrev_b64 v[62:63], 3, v[62:63]
	v_add_co_ci_u32_e64 v57, null, v135, v57, vcc_lo
	v_add_co_u32 v58, vcc_lo, v134, v58
	v_lshlrev_b64 v[64:65], 3, v[64:65]
	v_add_nc_u32_e32 v70, s8, v68
	v_add_co_ci_u32_e64 v59, null, v135, v59, vcc_lo
	v_add_co_u32 v60, vcc_lo, v134, v60
	v_lshlrev_b64 v[66:67], 3, v[66:67]
	v_ashrrev_i32_e32 v69, 31, v68
	v_add_co_ci_u32_e64 v61, null, v135, v61, vcc_lo
	v_add_co_u32 v62, vcc_lo, v134, v62
	v_ashrrev_i32_e32 v71, 31, v70
	v_add_nc_u32_e32 v72, s8, v70
	v_add_co_ci_u32_e64 v63, null, v135, v63, vcc_lo
	v_add_co_u32 v64, vcc_lo, v134, v64
	v_lshlrev_b64 v[68:69], 3, v[68:69]
	v_add_co_ci_u32_e64 v65, null, v135, v65, vcc_lo
	v_add_co_u32 v128, vcc_lo, v134, v66
	v_add_co_ci_u32_e64 v129, null, v135, v67, vcc_lo
	v_lshlrev_b64 v[66:67], 3, v[70:71]
	v_ashrrev_i32_e32 v73, 31, v72
	v_add_nc_u32_e32 v70, s8, v72
	v_add_co_u32 v130, vcc_lo, v134, v68
	v_add_co_ci_u32_e64 v131, null, v135, v69, vcc_lo
	v_lshlrev_b64 v[68:69], 3, v[72:73]
	v_ashrrev_i32_e32 v71, 31, v70
	v_add_nc_u32_e32 v72, s8, v70
	;; [unrolled: 5-line block ×24, first 2 shown]
	v_add_co_u32 v178, vcc_lo, v134, v66
	v_add_co_ci_u32_e64 v179, null, v135, v67, vcc_lo
	v_lshlrev_b64 v[66:67], 3, v[70:71]
	v_add_nc_u32_e32 v70, s8, v72
	v_ashrrev_i32_e32 v73, 31, v72
	v_add_co_u32 v180, vcc_lo, v134, v68
	v_add_co_ci_u32_e64 v181, null, v135, v69, vcc_lo
	v_ashrrev_i32_e32 v71, 31, v70
	v_lshlrev_b64 v[68:69], 3, v[72:73]
	v_add_co_u32 v182, vcc_lo, v134, v66
	v_add_co_ci_u32_e64 v183, null, v135, v67, vcc_lo
	v_lshlrev_b64 v[66:67], 3, v[70:71]
	v_add_nc_u32_e32 v70, s8, v70
	v_add_co_u32 v184, vcc_lo, v134, v68
	v_add_co_ci_u32_e64 v185, null, v135, v69, vcc_lo
	v_ashrrev_i32_e32 v71, 31, v70
	v_add_co_u32 v186, vcc_lo, v134, v66
	v_add_co_ci_u32_e64 v187, null, v135, v67, vcc_lo
	v_add_co_u32 v68, vcc_lo, v134, v190
	v_add_co_ci_u32_e64 v69, null, 0, v135, vcc_lo
	v_lshlrev_b64 v[66:67], 3, v[70:71]
	v_add_co_u32 v70, vcc_lo, v68, s10
	v_add_co_ci_u32_e64 v71, null, s11, v69, vcc_lo
	v_add_co_u32 v188, vcc_lo, v134, v66
	v_add_co_ci_u32_e64 v189, null, v135, v67, vcc_lo
	s_clause 0x3d
	flat_load_dwordx2 v[126:127], v[68:69]
	flat_load_dwordx2 v[124:125], v[70:71]
	;; [unrolled: 1-line block ×62, first 2 shown]
	v_lshl_add_u32 v136, v1, 3, 0
	v_lshlrev_b32_e32 v137, 3, v1
	v_mov_b32_e32 v132, 0
	v_add_nc_u32_e32 v130, v136, v190
	s_waitcnt vmcnt(61) lgkmcnt(61)
	ds_write_b64 v130, v[126:127]
	s_waitcnt vmcnt(0) lgkmcnt(0)
	s_barrier
	buffer_gl0_inv
	ds_read_b64 v[130:131], v136
	s_cbranch_scc1 .LBB122_6
; %bb.4:
	v_add3_u32 v1, v137, 0, 8
	v_mov_b32_e32 v132, 0
	s_mov_b32 s0, 1
.LBB122_5:                              ; =>This Inner Loop Header: Depth=1
	ds_read_b64 v[138:139], v1
	v_add_nc_u32_e32 v1, 8, v1
	s_waitcnt lgkmcnt(0)
	v_cmp_lt_f64_e64 vcc_lo, |v[130:131]|, |v[138:139]|
	v_cndmask_b32_e32 v131, v131, v139, vcc_lo
	v_cndmask_b32_e32 v130, v130, v138, vcc_lo
	v_cndmask_b32_e64 v132, v132, s0, vcc_lo
	s_add_i32 s0, s0, 1
	s_cmp_eq_u32 s7, s0
	s_cbranch_scc0 .LBB122_5
.LBB122_6:
	s_mov_b32 s0, exec_lo
                                        ; implicit-def: $vgpr139
	v_cmpx_ne_u32_e64 v0, v132
	s_xor_b32 s0, exec_lo, s0
	s_cbranch_execz .LBB122_12
; %bb.7:
	s_mov_b32 s1, exec_lo
	v_cmpx_eq_u32_e32 0, v0
	s_cbranch_execz .LBB122_11
; %bb.8:
	v_cmp_ne_u32_e32 vcc_lo, 0, v132
	s_xor_b32 s2, s6, -1
	s_and_b32 s3, s2, vcc_lo
	s_and_saveexec_b32 s2, s3
	s_cbranch_execz .LBB122_10
; %bb.9:
	v_ashrrev_i32_e32 v133, 31, v132
	v_lshlrev_b64 v[0:1], 2, v[132:133]
	v_add_co_u32 v0, vcc_lo, v4, v0
	v_add_co_ci_u32_e64 v1, null, v5, v1, vcc_lo
	s_clause 0x1
	global_load_dword v133, v[0:1], off
	global_load_dword v138, v[4:5], off
	s_waitcnt vmcnt(1)
	global_store_dword v[4:5], v133, off
	s_waitcnt vmcnt(0)
	global_store_dword v[0:1], v138, off
.LBB122_10:
	s_or_b32 exec_lo, exec_lo, s2
	v_mov_b32_e32 v0, v132
.LBB122_11:
	s_or_b32 exec_lo, exec_lo, s1
	v_mov_b32_e32 v139, v0
                                        ; implicit-def: $vgpr0
.LBB122_12:
	s_or_saveexec_b32 s0, s0
	v_mov_b32_e32 v138, v139
	s_xor_b32 exec_lo, exec_lo, s0
	s_cbranch_execz .LBB122_14
; %bb.13:
	v_mov_b32_e32 v139, 0
	v_mov_b32_e32 v138, v0
	ds_write2_b64 v136, v[124:125], v[122:123] offset0:1 offset1:2
	ds_write2_b64 v136, v[118:119], v[120:121] offset0:3 offset1:4
	;; [unrolled: 1-line block ×30, first 2 shown]
	ds_write_b64 v136, v[128:129] offset:488
.LBB122_14:
	s_or_b32 exec_lo, exec_lo, s0
	s_waitcnt lgkmcnt(0)
	v_cmp_eq_f64_e64 s0, 0, v[130:131]
	s_mov_b32 s1, exec_lo
	s_waitcnt_vscnt null, 0x0
	s_barrier
	buffer_gl0_inv
	v_cmpx_lt_i32_e32 0, v139
	s_cbranch_execz .LBB122_16
; %bb.15:
	v_div_scale_f64 v[0:1], null, v[130:131], v[130:131], 1.0
	v_div_scale_f64 v[142:143], vcc_lo, 1.0, v[130:131], 1.0
	v_rcp_f64_e32 v[132:133], v[0:1]
	v_fma_f64 v[140:141], -v[0:1], v[132:133], 1.0
	v_fma_f64 v[132:133], v[132:133], v[140:141], v[132:133]
	v_fma_f64 v[140:141], -v[0:1], v[132:133], 1.0
	v_fma_f64 v[132:133], v[132:133], v[140:141], v[132:133]
	v_mul_f64 v[140:141], v[142:143], v[132:133]
	v_fma_f64 v[0:1], -v[0:1], v[140:141], v[142:143]
	v_div_fmas_f64 v[0:1], v[0:1], v[132:133], v[140:141]
	v_div_fixup_f64 v[0:1], v[0:1], v[130:131], 1.0
	v_cndmask_b32_e64 v1, v1, v131, s0
	v_cndmask_b32_e64 v0, v0, v130, s0
	ds_read2_b64 v[130:133], v136 offset0:1 offset1:2
	ds_read2_b64 v[140:143], v136 offset0:3 offset1:4
	ds_read2_b64 v[144:147], v136 offset0:5 offset1:6
	ds_read2_b64 v[148:151], v136 offset0:7 offset1:8
	ds_read2_b64 v[152:155], v136 offset0:9 offset1:10
	ds_read2_b64 v[156:159], v136 offset0:11 offset1:12
	ds_read2_b64 v[160:163], v136 offset0:13 offset1:14
	ds_read2_b64 v[164:167], v136 offset0:15 offset1:16
	ds_read2_b64 v[168:171], v136 offset0:17 offset1:18
	ds_read2_b64 v[172:175], v136 offset0:19 offset1:20
	ds_read2_b64 v[176:179], v136 offset0:21 offset1:22
	ds_read2_b64 v[180:183], v136 offset0:23 offset1:24
	ds_read2_b64 v[184:187], v136 offset0:25 offset1:26
	ds_read2_b64 v[188:191], v136 offset0:27 offset1:28
	v_mul_f64 v[126:127], v[0:1], v[126:127]
	s_waitcnt lgkmcnt(13)
	v_fma_f64 v[124:125], -v[126:127], v[130:131], v[124:125]
	v_fma_f64 v[122:123], -v[126:127], v[132:133], v[122:123]
	ds_read2_b64 v[130:133], v136 offset0:29 offset1:30
	ds_read2_b64 v[192:195], v136 offset0:31 offset1:32
	s_waitcnt lgkmcnt(14)
	v_fma_f64 v[118:119], -v[126:127], v[140:141], v[118:119]
	v_fma_f64 v[120:121], -v[126:127], v[142:143], v[120:121]
	s_waitcnt lgkmcnt(13)
	v_fma_f64 v[114:115], -v[126:127], v[144:145], v[114:115]
	v_fma_f64 v[116:117], -v[126:127], v[146:147], v[116:117]
	ds_read2_b64 v[140:143], v136 offset0:33 offset1:34
	ds_read2_b64 v[144:147], v136 offset0:35 offset1:36
	s_waitcnt lgkmcnt(14)
	v_fma_f64 v[112:113], -v[126:127], v[148:149], v[112:113]
	v_fma_f64 v[110:111], -v[126:127], v[150:151], v[110:111]
	;; [unrolled: 8-line block ×7, first 2 shown]
	s_waitcnt lgkmcnt(13)
	v_fma_f64 v[68:69], -v[126:127], v[130:131], v[68:69]
	v_fma_f64 v[66:67], -v[126:127], v[132:133], v[66:67]
	ds_read2_b64 v[130:133], v136 offset0:57 offset1:58
	ds_read2_b64 v[188:191], v136 offset0:59 offset1:60
	ds_read_b64 v[0:1], v136 offset:488
	s_waitcnt lgkmcnt(15)
	v_fma_f64 v[64:65], -v[126:127], v[192:193], v[64:65]
	v_fma_f64 v[62:63], -v[126:127], v[194:195], v[62:63]
	s_waitcnt lgkmcnt(14)
	v_fma_f64 v[58:59], -v[126:127], v[140:141], v[58:59]
	v_fma_f64 v[60:61], -v[126:127], v[142:143], v[60:61]
	;; [unrolled: 3-line block ×15, first 2 shown]
	s_waitcnt lgkmcnt(0)
	v_fma_f64 v[128:129], -v[126:127], v[0:1], v[128:129]
.LBB122_16:
	s_or_b32 exec_lo, exec_lo, s1
	v_lshl_add_u32 v0, v139, 3, v136
	s_barrier
	buffer_gl0_inv
	v_mov_b32_e32 v130, 1
	ds_write_b64 v0, v[124:125]
	s_waitcnt lgkmcnt(0)
	s_barrier
	buffer_gl0_inv
	ds_read_b64 v[0:1], v136 offset:8
	s_cmp_lt_i32 s7, 3
	s_cbranch_scc1 .LBB122_19
; %bb.17:
	v_add3_u32 v131, v137, 0, 16
	v_mov_b32_e32 v130, 1
	s_mov_b32 s1, 2
.LBB122_18:                             ; =>This Inner Loop Header: Depth=1
	ds_read_b64 v[132:133], v131
	v_add_nc_u32_e32 v131, 8, v131
	s_waitcnt lgkmcnt(0)
	v_cmp_lt_f64_e64 vcc_lo, |v[0:1]|, |v[132:133]|
	v_cndmask_b32_e32 v1, v1, v133, vcc_lo
	v_cndmask_b32_e32 v0, v0, v132, vcc_lo
	v_cndmask_b32_e64 v130, v130, s1, vcc_lo
	s_add_i32 s1, s1, 1
	s_cmp_lg_u32 s7, s1
	s_cbranch_scc1 .LBB122_18
.LBB122_19:
	s_mov_b32 s1, exec_lo
	v_cmpx_ne_u32_e64 v139, v130
	s_xor_b32 s1, exec_lo, s1
	s_cbranch_execz .LBB122_25
; %bb.20:
	s_mov_b32 s2, exec_lo
	v_cmpx_eq_u32_e32 1, v139
	s_cbranch_execz .LBB122_24
; %bb.21:
	v_cmp_ne_u32_e32 vcc_lo, 1, v130
	s_xor_b32 s3, s6, -1
	s_and_b32 s9, s3, vcc_lo
	s_and_saveexec_b32 s3, s9
	s_cbranch_execz .LBB122_23
; %bb.22:
	v_ashrrev_i32_e32 v131, 31, v130
	v_lshlrev_b64 v[131:132], 2, v[130:131]
	v_add_co_u32 v131, vcc_lo, v4, v131
	v_add_co_ci_u32_e64 v132, null, v5, v132, vcc_lo
	s_clause 0x1
	global_load_dword v133, v[131:132], off
	global_load_dword v138, v[4:5], off offset:4
	s_waitcnt vmcnt(1)
	global_store_dword v[4:5], v133, off offset:4
	s_waitcnt vmcnt(0)
	global_store_dword v[131:132], v138, off
.LBB122_23:
	s_or_b32 exec_lo, exec_lo, s3
	v_mov_b32_e32 v138, v130
	v_mov_b32_e32 v139, v130
.LBB122_24:
	s_or_b32 exec_lo, exec_lo, s2
.LBB122_25:
	s_andn2_saveexec_b32 s1, s1
	s_cbranch_execz .LBB122_27
; %bb.26:
	v_mov_b32_e32 v130, v122
	v_mov_b32_e32 v131, v123
	;; [unrolled: 1-line block ×8, first 2 shown]
	ds_write2_b64 v136, v[130:131], v[132:133] offset0:2 offset1:3
	v_mov_b32_e32 v130, v114
	v_mov_b32_e32 v131, v115
	v_mov_b32_e32 v132, v116
	v_mov_b32_e32 v133, v117
	v_mov_b32_e32 v143, v110
	v_mov_b32_e32 v144, v111
	v_mov_b32_e32 v145, v108
	v_mov_b32_e32 v146, v109
	v_mov_b32_e32 v147, v106
	v_mov_b32_e32 v148, v107
	v_mov_b32_e32 v149, v104
	v_mov_b32_e32 v150, v105
	v_mov_b32_e32 v151, v102
	v_mov_b32_e32 v152, v103
	v_mov_b32_e32 v153, v98
	v_mov_b32_e32 v154, v99
	ds_write2_b64 v136, v[139:140], v[130:131] offset0:4 offset1:5
	ds_write2_b64 v136, v[132:133], v[141:142] offset0:6 offset1:7
	ds_write2_b64 v136, v[143:144], v[145:146] offset0:8 offset1:9
	ds_write2_b64 v136, v[147:148], v[149:150] offset0:10 offset1:11
	ds_write2_b64 v136, v[151:152], v[153:154] offset0:12 offset1:13
	v_mov_b32_e32 v130, v100
	v_mov_b32_e32 v131, v101
	v_mov_b32_e32 v132, v94
	v_mov_b32_e32 v133, v95
	v_mov_b32_e32 v139, v96
	v_mov_b32_e32 v140, v97
	v_mov_b32_e32 v141, v92
	v_mov_b32_e32 v142, v93
	v_mov_b32_e32 v143, v90
	v_mov_b32_e32 v144, v91
	v_mov_b32_e32 v145, v88
	v_mov_b32_e32 v146, v89
	v_mov_b32_e32 v147, v86
	v_mov_b32_e32 v148, v87
	v_mov_b32_e32 v149, v84
	v_mov_b32_e32 v150, v85
	v_mov_b32_e32 v151, v82
	v_mov_b32_e32 v152, v83
	v_mov_b32_e32 v153, v78
	v_mov_b32_e32 v154, v79
	ds_write2_b64 v136, v[130:131], v[132:133] offset0:14 offset1:15
	ds_write2_b64 v136, v[139:140], v[141:142] offset0:16 offset1:17
	ds_write2_b64 v136, v[143:144], v[145:146] offset0:18 offset1:19
	ds_write2_b64 v136, v[147:148], v[149:150] offset0:20 offset1:21
	ds_write2_b64 v136, v[151:152], v[153:154] offset0:22 offset1:23
	v_mov_b32_e32 v130, v80
	v_mov_b32_e32 v131, v81
	v_mov_b32_e32 v132, v74
	v_mov_b32_e32 v133, v75
	;; [unrolled: 25-line block ×5, first 2 shown]
	v_mov_b32_e32 v139, 1
	v_mov_b32_e32 v140, v14
	;; [unrolled: 1-line block ×11, first 2 shown]
	ds_write2_b64 v136, v[130:131], v[132:133] offset0:54 offset1:55
	ds_write2_b64 v136, v[140:141], v[142:143] offset0:56 offset1:57
	;; [unrolled: 1-line block ×4, first 2 shown]
.LBB122_27:
	s_or_b32 exec_lo, exec_lo, s1
	s_waitcnt lgkmcnt(0)
	v_cmp_neq_f64_e64 s1, 0, v[0:1]
	s_mov_b32 s2, exec_lo
	s_waitcnt_vscnt null, 0x0
	s_barrier
	buffer_gl0_inv
	v_cmpx_lt_i32_e32 1, v139
	s_cbranch_execz .LBB122_29
; %bb.28:
	v_div_scale_f64 v[130:131], null, v[0:1], v[0:1], 1.0
	v_div_scale_f64 v[142:143], vcc_lo, 1.0, v[0:1], 1.0
	v_rcp_f64_e32 v[132:133], v[130:131]
	v_fma_f64 v[140:141], -v[130:131], v[132:133], 1.0
	v_fma_f64 v[132:133], v[132:133], v[140:141], v[132:133]
	v_fma_f64 v[140:141], -v[130:131], v[132:133], 1.0
	v_fma_f64 v[132:133], v[132:133], v[140:141], v[132:133]
	v_mul_f64 v[140:141], v[142:143], v[132:133]
	v_fma_f64 v[130:131], -v[130:131], v[140:141], v[142:143]
	v_div_fmas_f64 v[130:131], v[130:131], v[132:133], v[140:141]
	v_div_fixup_f64 v[152:153], v[130:131], v[0:1], 1.0
	ds_read2_b64 v[130:133], v136 offset0:2 offset1:3
	ds_read2_b64 v[140:143], v136 offset0:4 offset1:5
	ds_read2_b64 v[144:147], v136 offset0:6 offset1:7
	ds_read2_b64 v[148:151], v136 offset0:8 offset1:9
	v_cndmask_b32_e64 v1, v1, v153, s1
	v_cndmask_b32_e64 v0, v0, v152, s1
	ds_read2_b64 v[152:155], v136 offset0:10 offset1:11
	ds_read2_b64 v[156:159], v136 offset0:12 offset1:13
	;; [unrolled: 1-line block ×26, first 2 shown]
	v_mul_f64 v[124:125], v[0:1], v[124:125]
	s_waitcnt lgkmcnt(29)
	v_fma_f64 v[122:123], -v[124:125], v[130:131], v[122:123]
	v_fma_f64 v[118:119], -v[124:125], v[132:133], v[118:119]
	s_waitcnt lgkmcnt(28)
	v_fma_f64 v[120:121], -v[124:125], v[140:141], v[120:121]
	v_fma_f64 v[114:115], -v[124:125], v[142:143], v[114:115]
	;; [unrolled: 3-line block ×30, first 2 shown]
.LBB122_29:
	s_or_b32 exec_lo, exec_lo, s2
	v_lshl_add_u32 v0, v139, 3, v136
	s_barrier
	buffer_gl0_inv
	v_mov_b32_e32 v130, 2
	ds_write_b64 v0, v[122:123]
	s_waitcnt lgkmcnt(0)
	s_barrier
	buffer_gl0_inv
	ds_read_b64 v[0:1], v136 offset:16
	s_cmp_lt_i32 s7, 4
	s_mov_b32 s2, 3
	s_cbranch_scc1 .LBB122_32
; %bb.30:
	v_add3_u32 v131, v137, 0, 24
	v_mov_b32_e32 v130, 2
.LBB122_31:                             ; =>This Inner Loop Header: Depth=1
	ds_read_b64 v[132:133], v131
	v_add_nc_u32_e32 v131, 8, v131
	s_waitcnt lgkmcnt(0)
	v_cmp_lt_f64_e64 vcc_lo, |v[0:1]|, |v[132:133]|
	v_cndmask_b32_e32 v1, v1, v133, vcc_lo
	v_cndmask_b32_e32 v0, v0, v132, vcc_lo
	v_cndmask_b32_e64 v130, v130, s2, vcc_lo
	s_add_i32 s2, s2, 1
	s_cmp_lg_u32 s7, s2
	s_cbranch_scc1 .LBB122_31
.LBB122_32:
	v_cndmask_b32_e64 v131, 2, 1, s0
	v_cndmask_b32_e64 v132, 0, 1, s0
	s_mov_b32 s0, exec_lo
	v_cndmask_b32_e64 v133, v131, v132, s1
	s_waitcnt lgkmcnt(0)
	v_cmpx_eq_f64_e32 0, v[0:1]
	s_xor_b32 s0, exec_lo, s0
; %bb.33:
	v_cmp_ne_u32_e32 vcc_lo, 0, v133
	v_cndmask_b32_e32 v133, 3, v133, vcc_lo
; %bb.34:
	s_andn2_saveexec_b32 s0, s0
	s_cbranch_execz .LBB122_36
; %bb.35:
	v_div_scale_f64 v[131:132], null, v[0:1], v[0:1], 1.0
	v_rcp_f64_e32 v[140:141], v[131:132]
	v_fma_f64 v[142:143], -v[131:132], v[140:141], 1.0
	v_fma_f64 v[140:141], v[140:141], v[142:143], v[140:141]
	v_fma_f64 v[142:143], -v[131:132], v[140:141], 1.0
	v_fma_f64 v[140:141], v[140:141], v[142:143], v[140:141]
	v_div_scale_f64 v[142:143], vcc_lo, 1.0, v[0:1], 1.0
	v_mul_f64 v[144:145], v[142:143], v[140:141]
	v_fma_f64 v[131:132], -v[131:132], v[144:145], v[142:143]
	v_div_fmas_f64 v[131:132], v[131:132], v[140:141], v[144:145]
	v_div_fixup_f64 v[0:1], v[131:132], v[0:1], 1.0
.LBB122_36:
	s_or_b32 exec_lo, exec_lo, s0
	s_mov_b32 s0, exec_lo
	v_cmpx_ne_u32_e64 v139, v130
	s_xor_b32 s0, exec_lo, s0
	s_cbranch_execz .LBB122_42
; %bb.37:
	s_mov_b32 s1, exec_lo
	v_cmpx_eq_u32_e32 2, v139
	s_cbranch_execz .LBB122_41
; %bb.38:
	v_cmp_ne_u32_e32 vcc_lo, 2, v130
	s_xor_b32 s2, s6, -1
	s_and_b32 s3, s2, vcc_lo
	s_and_saveexec_b32 s2, s3
	s_cbranch_execz .LBB122_40
; %bb.39:
	v_ashrrev_i32_e32 v131, 31, v130
	v_lshlrev_b64 v[131:132], 2, v[130:131]
	v_add_co_u32 v131, vcc_lo, v4, v131
	v_add_co_ci_u32_e64 v132, null, v5, v132, vcc_lo
	s_clause 0x1
	global_load_dword v138, v[131:132], off
	global_load_dword v139, v[4:5], off offset:8
	s_waitcnt vmcnt(1)
	global_store_dword v[4:5], v138, off offset:8
	s_waitcnt vmcnt(0)
	global_store_dword v[131:132], v139, off
.LBB122_40:
	s_or_b32 exec_lo, exec_lo, s2
	v_mov_b32_e32 v138, v130
	v_mov_b32_e32 v139, v130
.LBB122_41:
	s_or_b32 exec_lo, exec_lo, s1
.LBB122_42:
	s_andn2_saveexec_b32 s0, s0
	s_cbranch_execz .LBB122_44
; %bb.43:
	v_mov_b32_e32 v139, 2
	ds_write2_b64 v136, v[118:119], v[120:121] offset0:3 offset1:4
	ds_write2_b64 v136, v[114:115], v[116:117] offset0:5 offset1:6
	;; [unrolled: 1-line block ×29, first 2 shown]
	ds_write_b64 v136, v[128:129] offset:488
.LBB122_44:
	s_or_b32 exec_lo, exec_lo, s0
	s_mov_b32 s0, exec_lo
	s_waitcnt lgkmcnt(0)
	s_waitcnt_vscnt null, 0x0
	s_barrier
	buffer_gl0_inv
	v_cmpx_lt_i32_e32 2, v139
	s_cbranch_execz .LBB122_46
; %bb.45:
	v_mul_f64 v[122:123], v[0:1], v[122:123]
	ds_read2_b64 v[140:143], v136 offset0:3 offset1:4
	ds_read2_b64 v[144:147], v136 offset0:5 offset1:6
	;; [unrolled: 1-line block ×12, first 2 shown]
	ds_read_b64 v[0:1], v136 offset:488
	s_waitcnt lgkmcnt(12)
	v_fma_f64 v[118:119], -v[122:123], v[140:141], v[118:119]
	v_fma_f64 v[120:121], -v[122:123], v[142:143], v[120:121]
	s_waitcnt lgkmcnt(11)
	v_fma_f64 v[114:115], -v[122:123], v[144:145], v[114:115]
	v_fma_f64 v[116:117], -v[122:123], v[146:147], v[116:117]
	;; [unrolled: 3-line block ×5, first 2 shown]
	ds_read2_b64 v[140:143], v136 offset0:27 offset1:28
	ds_read2_b64 v[144:147], v136 offset0:29 offset1:30
	s_waitcnt lgkmcnt(9)
	v_fma_f64 v[98:99], -v[122:123], v[160:161], v[98:99]
	v_fma_f64 v[100:101], -v[122:123], v[162:163], v[100:101]
	s_waitcnt lgkmcnt(8)
	v_fma_f64 v[94:95], -v[122:123], v[164:165], v[94:95]
	v_fma_f64 v[96:97], -v[122:123], v[166:167], v[96:97]
	ds_read2_b64 v[148:151], v136 offset0:31 offset1:32
	ds_read2_b64 v[152:155], v136 offset0:33 offset1:34
	;; [unrolled: 1-line block ×5, first 2 shown]
	s_waitcnt lgkmcnt(12)
	v_fma_f64 v[92:93], -v[122:123], v[168:169], v[92:93]
	v_fma_f64 v[90:91], -v[122:123], v[170:171], v[90:91]
	s_waitcnt lgkmcnt(11)
	v_fma_f64 v[88:89], -v[122:123], v[172:173], v[88:89]
	v_fma_f64 v[86:87], -v[122:123], v[174:175], v[86:87]
	;; [unrolled: 3-line block ×3, first 2 shown]
	ds_read2_b64 v[168:171], v136 offset0:49 offset1:50
	ds_read2_b64 v[172:175], v136 offset0:53 offset1:54
	;; [unrolled: 1-line block ×3, first 2 shown]
	s_waitcnt lgkmcnt(9)
	v_fma_f64 v[72:73], -v[122:123], v[140:141], v[72:73]
	v_fma_f64 v[70:71], -v[122:123], v[142:143], v[70:71]
	s_waitcnt lgkmcnt(8)
	v_fma_f64 v[68:69], -v[122:123], v[144:145], v[68:69]
	v_fma_f64 v[66:67], -v[122:123], v[146:147], v[66:67]
	ds_read2_b64 v[140:143], v136 offset0:41 offset1:42
	ds_read2_b64 v[144:147], v136 offset0:43 offset1:44
	s_waitcnt lgkmcnt(9)
	v_fma_f64 v[64:65], -v[122:123], v[148:149], v[64:65]
	v_fma_f64 v[62:63], -v[122:123], v[150:151], v[62:63]
	s_waitcnt lgkmcnt(8)
	v_fma_f64 v[58:59], -v[122:123], v[152:153], v[58:59]
	ds_read2_b64 v[148:151], v136 offset0:45 offset1:46
	v_fma_f64 v[60:61], -v[122:123], v[154:155], v[60:61]
	ds_read2_b64 v[152:155], v136 offset0:47 offset1:48
	s_waitcnt lgkmcnt(9)
	v_fma_f64 v[54:55], -v[122:123], v[156:157], v[54:55]
	v_fma_f64 v[56:57], -v[122:123], v[158:159], v[56:57]
	ds_read2_b64 v[156:159], v136 offset0:51 offset1:52
	s_waitcnt lgkmcnt(9)
	v_fma_f64 v[52:53], -v[122:123], v[160:161], v[52:53]
	;; [unrolled: 4-line block ×3, first 2 shown]
	v_fma_f64 v[46:47], -v[122:123], v[166:167], v[46:47]
	ds_read2_b64 v[164:167], v136 offset0:59 offset1:60
	v_fma_f64 v[78:79], -v[122:123], v[180:181], v[78:79]
	v_fma_f64 v[80:81], -v[122:123], v[182:183], v[80:81]
	v_fma_f64 v[74:75], -v[122:123], v[184:185], v[74:75]
	v_fma_f64 v[76:77], -v[122:123], v[186:187], v[76:77]
	s_waitcnt lgkmcnt(6)
	v_fma_f64 v[44:45], -v[122:123], v[140:141], v[44:45]
	v_fma_f64 v[42:43], -v[122:123], v[142:143], v[42:43]
	s_waitcnt lgkmcnt(5)
	v_fma_f64 v[38:39], -v[122:123], v[144:145], v[38:39]
	v_fma_f64 v[40:41], -v[122:123], v[146:147], v[40:41]
	;; [unrolled: 3-line block ×4, first 2 shown]
	v_fma_f64 v[28:29], -v[122:123], v[168:169], v[28:29]
	v_fma_f64 v[26:27], -v[122:123], v[170:171], v[26:27]
	s_waitcnt lgkmcnt(2)
	v_fma_f64 v[24:25], -v[122:123], v[156:157], v[24:25]
	v_fma_f64 v[22:23], -v[122:123], v[158:159], v[22:23]
	v_fma_f64 v[18:19], -v[122:123], v[172:173], v[18:19]
	v_fma_f64 v[20:21], -v[122:123], v[174:175], v[20:21]
	s_waitcnt lgkmcnt(1)
	v_fma_f64 v[16:17], -v[122:123], v[160:161], v[16:17]
	v_fma_f64 v[14:15], -v[122:123], v[162:163], v[14:15]
	;; [unrolled: 5-line block ×3, first 2 shown]
	v_fma_f64 v[128:129], -v[122:123], v[0:1], v[128:129]
.LBB122_46:
	s_or_b32 exec_lo, exec_lo, s0
	v_lshl_add_u32 v0, v139, 3, v136
	s_barrier
	buffer_gl0_inv
	v_mov_b32_e32 v130, 3
	ds_write_b64 v0, v[118:119]
	s_waitcnt lgkmcnt(0)
	s_barrier
	buffer_gl0_inv
	ds_read_b64 v[0:1], v136 offset:24
	s_cmp_lt_i32 s7, 5
	s_cbranch_scc1 .LBB122_49
; %bb.47:
	v_mov_b32_e32 v130, 3
	v_add3_u32 v131, v137, 0, 32
	s_mov_b32 s0, 4
.LBB122_48:                             ; =>This Inner Loop Header: Depth=1
	ds_read_b64 v[140:141], v131
	v_add_nc_u32_e32 v131, 8, v131
	s_waitcnt lgkmcnt(0)
	v_cmp_lt_f64_e64 vcc_lo, |v[0:1]|, |v[140:141]|
	v_cndmask_b32_e32 v1, v1, v141, vcc_lo
	v_cndmask_b32_e32 v0, v0, v140, vcc_lo
	v_cndmask_b32_e64 v130, v130, s0, vcc_lo
	s_add_i32 s0, s0, 1
	s_cmp_lg_u32 s7, s0
	s_cbranch_scc1 .LBB122_48
.LBB122_49:
	s_mov_b32 s0, exec_lo
	s_waitcnt lgkmcnt(0)
	v_cmpx_eq_f64_e32 0, v[0:1]
	s_xor_b32 s0, exec_lo, s0
; %bb.50:
	v_cmp_ne_u32_e32 vcc_lo, 0, v133
	v_cndmask_b32_e32 v133, 4, v133, vcc_lo
; %bb.51:
	s_andn2_saveexec_b32 s0, s0
	s_cbranch_execz .LBB122_53
; %bb.52:
	v_div_scale_f64 v[131:132], null, v[0:1], v[0:1], 1.0
	v_rcp_f64_e32 v[140:141], v[131:132]
	v_fma_f64 v[142:143], -v[131:132], v[140:141], 1.0
	v_fma_f64 v[140:141], v[140:141], v[142:143], v[140:141]
	v_fma_f64 v[142:143], -v[131:132], v[140:141], 1.0
	v_fma_f64 v[140:141], v[140:141], v[142:143], v[140:141]
	v_div_scale_f64 v[142:143], vcc_lo, 1.0, v[0:1], 1.0
	v_mul_f64 v[144:145], v[142:143], v[140:141]
	v_fma_f64 v[131:132], -v[131:132], v[144:145], v[142:143]
	v_div_fmas_f64 v[131:132], v[131:132], v[140:141], v[144:145]
	v_div_fixup_f64 v[0:1], v[131:132], v[0:1], 1.0
.LBB122_53:
	s_or_b32 exec_lo, exec_lo, s0
	s_mov_b32 s0, exec_lo
	v_cmpx_ne_u32_e64 v139, v130
	s_xor_b32 s0, exec_lo, s0
	s_cbranch_execz .LBB122_59
; %bb.54:
	s_mov_b32 s1, exec_lo
	v_cmpx_eq_u32_e32 3, v139
	s_cbranch_execz .LBB122_58
; %bb.55:
	v_cmp_ne_u32_e32 vcc_lo, 3, v130
	s_xor_b32 s2, s6, -1
	s_and_b32 s3, s2, vcc_lo
	s_and_saveexec_b32 s2, s3
	s_cbranch_execz .LBB122_57
; %bb.56:
	v_ashrrev_i32_e32 v131, 31, v130
	v_lshlrev_b64 v[131:132], 2, v[130:131]
	v_add_co_u32 v131, vcc_lo, v4, v131
	v_add_co_ci_u32_e64 v132, null, v5, v132, vcc_lo
	s_clause 0x1
	global_load_dword v138, v[131:132], off
	global_load_dword v139, v[4:5], off offset:12
	s_waitcnt vmcnt(1)
	global_store_dword v[4:5], v138, off offset:12
	s_waitcnt vmcnt(0)
	global_store_dword v[131:132], v139, off
.LBB122_57:
	s_or_b32 exec_lo, exec_lo, s2
	v_mov_b32_e32 v138, v130
	v_mov_b32_e32 v139, v130
.LBB122_58:
	s_or_b32 exec_lo, exec_lo, s1
.LBB122_59:
	s_andn2_saveexec_b32 s0, s0
	s_cbranch_execz .LBB122_61
; %bb.60:
	v_mov_b32_e32 v130, v120
	v_mov_b32_e32 v131, v121
	v_mov_b32_e32 v139, v114
	v_mov_b32_e32 v140, v115
	v_mov_b32_e32 v141, v116
	v_mov_b32_e32 v142, v117
	v_mov_b32_e32 v143, v112
	v_mov_b32_e32 v144, v113
	v_mov_b32_e32 v145, v110
	v_mov_b32_e32 v146, v111
	v_mov_b32_e32 v147, v108
	v_mov_b32_e32 v148, v109
	v_mov_b32_e32 v149, v106
	v_mov_b32_e32 v150, v107
	v_mov_b32_e32 v151, v104
	v_mov_b32_e32 v152, v105
	v_mov_b32_e32 v153, v102
	v_mov_b32_e32 v154, v103
	v_mov_b32_e32 v155, v98
	v_mov_b32_e32 v156, v99
	ds_write2_b64 v136, v[130:131], v[139:140] offset0:4 offset1:5
	ds_write2_b64 v136, v[141:142], v[143:144] offset0:6 offset1:7
	ds_write2_b64 v136, v[145:146], v[147:148] offset0:8 offset1:9
	ds_write2_b64 v136, v[149:150], v[151:152] offset0:10 offset1:11
	ds_write2_b64 v136, v[153:154], v[155:156] offset0:12 offset1:13
	v_mov_b32_e32 v130, v100
	v_mov_b32_e32 v131, v101
	v_mov_b32_e32 v139, v94
	v_mov_b32_e32 v140, v95
	v_mov_b32_e32 v141, v96
	v_mov_b32_e32 v142, v97
	v_mov_b32_e32 v143, v92
	v_mov_b32_e32 v144, v93
	v_mov_b32_e32 v145, v90
	v_mov_b32_e32 v146, v91
	v_mov_b32_e32 v147, v88
	v_mov_b32_e32 v148, v89
	v_mov_b32_e32 v149, v86
	v_mov_b32_e32 v150, v87
	v_mov_b32_e32 v151, v84
	v_mov_b32_e32 v152, v85
	v_mov_b32_e32 v153, v82
	v_mov_b32_e32 v154, v83
	v_mov_b32_e32 v155, v78
	v_mov_b32_e32 v156, v79
	ds_write2_b64 v136, v[130:131], v[139:140] offset0:14 offset1:15
	ds_write2_b64 v136, v[141:142], v[143:144] offset0:16 offset1:17
	ds_write2_b64 v136, v[145:146], v[147:148] offset0:18 offset1:19
	ds_write2_b64 v136, v[149:150], v[151:152] offset0:20 offset1:21
	ds_write2_b64 v136, v[153:154], v[155:156] offset0:22 offset1:23
	;; [unrolled: 25-line block ×5, first 2 shown]
	v_mov_b32_e32 v130, v20
	v_mov_b32_e32 v131, v21
	;; [unrolled: 1-line block ×15, first 2 shown]
	ds_write2_b64 v136, v[130:131], v[140:141] offset0:54 offset1:55
	ds_write2_b64 v136, v[142:143], v[144:145] offset0:56 offset1:57
	;; [unrolled: 1-line block ×4, first 2 shown]
.LBB122_61:
	s_or_b32 exec_lo, exec_lo, s0
	s_mov_b32 s0, exec_lo
	s_waitcnt lgkmcnt(0)
	s_waitcnt_vscnt null, 0x0
	s_barrier
	buffer_gl0_inv
	v_cmpx_lt_i32_e32 3, v139
	s_cbranch_execz .LBB122_63
; %bb.62:
	v_mul_f64 v[118:119], v[0:1], v[118:119]
	ds_read2_b64 v[140:143], v136 offset0:4 offset1:5
	ds_read2_b64 v[144:147], v136 offset0:6 offset1:7
	;; [unrolled: 1-line block ×12, first 2 shown]
	s_waitcnt lgkmcnt(11)
	v_fma_f64 v[120:121], -v[118:119], v[140:141], v[120:121]
	v_fma_f64 v[114:115], -v[118:119], v[142:143], v[114:115]
	s_waitcnt lgkmcnt(10)
	v_fma_f64 v[116:117], -v[118:119], v[144:145], v[116:117]
	v_fma_f64 v[112:113], -v[118:119], v[146:147], v[112:113]
	;; [unrolled: 3-line block ×5, first 2 shown]
	ds_read2_b64 v[140:143], v136 offset0:28 offset1:29
	ds_read2_b64 v[144:147], v136 offset0:30 offset1:31
	s_waitcnt lgkmcnt(8)
	v_fma_f64 v[100:101], -v[118:119], v[160:161], v[100:101]
	v_fma_f64 v[94:95], -v[118:119], v[162:163], v[94:95]
	ds_read2_b64 v[148:151], v136 offset0:32 offset1:33
	ds_read2_b64 v[152:155], v136 offset0:34 offset1:35
	;; [unrolled: 1-line block ×4, first 2 shown]
	s_waitcnt lgkmcnt(11)
	v_fma_f64 v[96:97], -v[118:119], v[164:165], v[96:97]
	v_fma_f64 v[92:93], -v[118:119], v[166:167], v[92:93]
	s_waitcnt lgkmcnt(10)
	v_fma_f64 v[90:91], -v[118:119], v[168:169], v[90:91]
	v_fma_f64 v[88:89], -v[118:119], v[170:171], v[88:89]
	;; [unrolled: 3-line block ×5, first 2 shown]
	ds_read2_b64 v[164:167], v136 offset0:44 offset1:45
	ds_read2_b64 v[168:171], v136 offset0:48 offset1:49
	s_waitcnt lgkmcnt(7)
	v_fma_f64 v[70:71], -v[118:119], v[140:141], v[70:71]
	v_fma_f64 v[68:69], -v[118:119], v[142:143], v[68:69]
	ds_read2_b64 v[140:143], v136 offset0:40 offset1:41
	s_waitcnt lgkmcnt(7)
	v_fma_f64 v[66:67], -v[118:119], v[144:145], v[66:67]
	v_fma_f64 v[64:65], -v[118:119], v[146:147], v[64:65]
	;; [unrolled: 4-line block ×4, first 2 shown]
	ds_read2_b64 v[152:155], v136 offset0:50 offset1:51
	s_waitcnt lgkmcnt(7)
	v_fma_f64 v[56:57], -v[118:119], v[156:157], v[56:57]
	ds_read2_b64 v[172:175], v136 offset0:52 offset1:53
	v_fma_f64 v[52:53], -v[118:119], v[158:159], v[52:53]
	ds_read2_b64 v[156:159], v136 offset0:54 offset1:55
	s_waitcnt lgkmcnt(8)
	v_fma_f64 v[50:51], -v[118:119], v[160:161], v[50:51]
	ds_read2_b64 v[176:179], v136 offset0:56 offset1:57
	v_fma_f64 v[48:49], -v[118:119], v[162:163], v[48:49]
	ds_read2_b64 v[160:163], v136 offset0:58 offset1:59
	ds_read2_b64 v[180:183], v136 offset0:60 offset1:61
	v_fma_f64 v[76:77], -v[118:119], v[184:185], v[76:77]
	v_fma_f64 v[72:73], -v[118:119], v[186:187], v[72:73]
	s_waitcnt lgkmcnt(8)
	v_fma_f64 v[46:47], -v[118:119], v[140:141], v[46:47]
	v_fma_f64 v[44:45], -v[118:119], v[142:143], v[44:45]
	s_waitcnt lgkmcnt(7)
	v_fma_f64 v[42:43], -v[118:119], v[144:145], v[42:43]
	v_fma_f64 v[38:39], -v[118:119], v[146:147], v[38:39]
	v_fma_f64 v[40:41], -v[118:119], v[164:165], v[40:41]
	v_fma_f64 v[34:35], -v[118:119], v[166:167], v[34:35]
	s_waitcnt lgkmcnt(6)
	v_fma_f64 v[36:37], -v[118:119], v[148:149], v[36:37]
	v_fma_f64 v[32:33], -v[118:119], v[150:151], v[32:33]
	;; [unrolled: 5-line block ×3, first 2 shown]
	s_waitcnt lgkmcnt(4)
	v_fma_f64 v[22:23], -v[118:119], v[172:173], v[22:23]
	v_fma_f64 v[18:19], -v[118:119], v[174:175], v[18:19]
	s_waitcnt lgkmcnt(3)
	v_fma_f64 v[20:21], -v[118:119], v[156:157], v[20:21]
	v_fma_f64 v[16:17], -v[118:119], v[158:159], v[16:17]
	;; [unrolled: 3-line block ×5, first 2 shown]
.LBB122_63:
	s_or_b32 exec_lo, exec_lo, s0
	v_lshl_add_u32 v0, v139, 3, v136
	s_barrier
	buffer_gl0_inv
	v_mov_b32_e32 v130, 4
	ds_write_b64 v0, v[120:121]
	s_waitcnt lgkmcnt(0)
	s_barrier
	buffer_gl0_inv
	ds_read_b64 v[0:1], v136 offset:32
	s_cmp_lt_i32 s7, 6
	s_cbranch_scc1 .LBB122_66
; %bb.64:
	v_add3_u32 v131, v137, 0, 40
	v_mov_b32_e32 v130, 4
	s_mov_b32 s0, 5
.LBB122_65:                             ; =>This Inner Loop Header: Depth=1
	ds_read_b64 v[140:141], v131
	v_add_nc_u32_e32 v131, 8, v131
	s_waitcnt lgkmcnt(0)
	v_cmp_lt_f64_e64 vcc_lo, |v[0:1]|, |v[140:141]|
	v_cndmask_b32_e32 v1, v1, v141, vcc_lo
	v_cndmask_b32_e32 v0, v0, v140, vcc_lo
	v_cndmask_b32_e64 v130, v130, s0, vcc_lo
	s_add_i32 s0, s0, 1
	s_cmp_lg_u32 s7, s0
	s_cbranch_scc1 .LBB122_65
.LBB122_66:
	s_mov_b32 s0, exec_lo
	s_waitcnt lgkmcnt(0)
	v_cmpx_eq_f64_e32 0, v[0:1]
	s_xor_b32 s0, exec_lo, s0
; %bb.67:
	v_cmp_ne_u32_e32 vcc_lo, 0, v133
	v_cndmask_b32_e32 v133, 5, v133, vcc_lo
; %bb.68:
	s_andn2_saveexec_b32 s0, s0
	s_cbranch_execz .LBB122_70
; %bb.69:
	v_div_scale_f64 v[131:132], null, v[0:1], v[0:1], 1.0
	v_rcp_f64_e32 v[140:141], v[131:132]
	v_fma_f64 v[142:143], -v[131:132], v[140:141], 1.0
	v_fma_f64 v[140:141], v[140:141], v[142:143], v[140:141]
	v_fma_f64 v[142:143], -v[131:132], v[140:141], 1.0
	v_fma_f64 v[140:141], v[140:141], v[142:143], v[140:141]
	v_div_scale_f64 v[142:143], vcc_lo, 1.0, v[0:1], 1.0
	v_mul_f64 v[144:145], v[142:143], v[140:141]
	v_fma_f64 v[131:132], -v[131:132], v[144:145], v[142:143]
	v_div_fmas_f64 v[131:132], v[131:132], v[140:141], v[144:145]
	v_div_fixup_f64 v[0:1], v[131:132], v[0:1], 1.0
.LBB122_70:
	s_or_b32 exec_lo, exec_lo, s0
	s_mov_b32 s0, exec_lo
	v_cmpx_ne_u32_e64 v139, v130
	s_xor_b32 s0, exec_lo, s0
	s_cbranch_execz .LBB122_76
; %bb.71:
	s_mov_b32 s1, exec_lo
	v_cmpx_eq_u32_e32 4, v139
	s_cbranch_execz .LBB122_75
; %bb.72:
	v_cmp_ne_u32_e32 vcc_lo, 4, v130
	s_xor_b32 s2, s6, -1
	s_and_b32 s3, s2, vcc_lo
	s_and_saveexec_b32 s2, s3
	s_cbranch_execz .LBB122_74
; %bb.73:
	v_ashrrev_i32_e32 v131, 31, v130
	v_lshlrev_b64 v[131:132], 2, v[130:131]
	v_add_co_u32 v131, vcc_lo, v4, v131
	v_add_co_ci_u32_e64 v132, null, v5, v132, vcc_lo
	s_clause 0x1
	global_load_dword v138, v[131:132], off
	global_load_dword v139, v[4:5], off offset:16
	s_waitcnt vmcnt(1)
	global_store_dword v[4:5], v138, off offset:16
	s_waitcnt vmcnt(0)
	global_store_dword v[131:132], v139, off
.LBB122_74:
	s_or_b32 exec_lo, exec_lo, s2
	v_mov_b32_e32 v138, v130
	v_mov_b32_e32 v139, v130
.LBB122_75:
	s_or_b32 exec_lo, exec_lo, s1
.LBB122_76:
	s_andn2_saveexec_b32 s0, s0
	s_cbranch_execz .LBB122_78
; %bb.77:
	v_mov_b32_e32 v139, 4
	ds_write2_b64 v136, v[114:115], v[116:117] offset0:5 offset1:6
	ds_write2_b64 v136, v[112:113], v[110:111] offset0:7 offset1:8
	;; [unrolled: 1-line block ×28, first 2 shown]
	ds_write_b64 v136, v[128:129] offset:488
.LBB122_78:
	s_or_b32 exec_lo, exec_lo, s0
	s_mov_b32 s0, exec_lo
	s_waitcnt lgkmcnt(0)
	s_waitcnt_vscnt null, 0x0
	s_barrier
	buffer_gl0_inv
	v_cmpx_lt_i32_e32 4, v139
	s_cbranch_execz .LBB122_80
; %bb.79:
	v_mul_f64 v[120:121], v[0:1], v[120:121]
	ds_read2_b64 v[140:143], v136 offset0:5 offset1:6
	ds_read2_b64 v[144:147], v136 offset0:7 offset1:8
	;; [unrolled: 1-line block ×12, first 2 shown]
	ds_read_b64 v[0:1], v136 offset:488
	s_waitcnt lgkmcnt(12)
	v_fma_f64 v[114:115], -v[120:121], v[140:141], v[114:115]
	v_fma_f64 v[116:117], -v[120:121], v[142:143], v[116:117]
	s_waitcnt lgkmcnt(11)
	v_fma_f64 v[112:113], -v[120:121], v[144:145], v[112:113]
	v_fma_f64 v[110:111], -v[120:121], v[146:147], v[110:111]
	;; [unrolled: 3-line block ×5, first 2 shown]
	ds_read2_b64 v[140:143], v136 offset0:29 offset1:30
	ds_read2_b64 v[144:147], v136 offset0:31 offset1:32
	s_waitcnt lgkmcnt(9)
	v_fma_f64 v[94:95], -v[120:121], v[160:161], v[94:95]
	v_fma_f64 v[96:97], -v[120:121], v[162:163], v[96:97]
	ds_read2_b64 v[148:151], v136 offset0:33 offset1:34
	ds_read2_b64 v[152:155], v136 offset0:35 offset1:36
	;; [unrolled: 1-line block ×4, first 2 shown]
	s_waitcnt lgkmcnt(12)
	v_fma_f64 v[92:93], -v[120:121], v[164:165], v[92:93]
	v_fma_f64 v[90:91], -v[120:121], v[166:167], v[90:91]
	s_waitcnt lgkmcnt(11)
	v_fma_f64 v[88:89], -v[120:121], v[168:169], v[88:89]
	v_fma_f64 v[86:87], -v[120:121], v[170:171], v[86:87]
	;; [unrolled: 3-line block ×4, first 2 shown]
	ds_read2_b64 v[164:167], v136 offset0:45 offset1:46
	ds_read2_b64 v[168:171], v136 offset0:49 offset1:50
	;; [unrolled: 1-line block ×4, first 2 shown]
	s_waitcnt lgkmcnt(9)
	v_fma_f64 v[68:69], -v[120:121], v[140:141], v[68:69]
	v_fma_f64 v[66:67], -v[120:121], v[142:143], v[66:67]
	ds_read2_b64 v[140:143], v136 offset0:41 offset1:42
	s_waitcnt lgkmcnt(9)
	v_fma_f64 v[64:65], -v[120:121], v[144:145], v[64:65]
	v_fma_f64 v[62:63], -v[120:121], v[146:147], v[62:63]
	ds_read2_b64 v[144:147], v136 offset0:43 offset1:44
	;; [unrolled: 4-line block ×6, first 2 shown]
	v_fma_f64 v[74:75], -v[120:121], v[180:181], v[74:75]
	v_fma_f64 v[76:77], -v[120:121], v[182:183], v[76:77]
	;; [unrolled: 1-line block ×4, first 2 shown]
	s_waitcnt lgkmcnt(5)
	v_fma_f64 v[44:45], -v[120:121], v[140:141], v[44:45]
	v_fma_f64 v[42:43], -v[120:121], v[142:143], v[42:43]
	v_fma_f64 v[34:35], -v[120:121], v[164:165], v[34:35]
	s_waitcnt lgkmcnt(4)
	v_fma_f64 v[38:39], -v[120:121], v[144:145], v[38:39]
	v_fma_f64 v[40:41], -v[120:121], v[146:147], v[40:41]
	v_fma_f64 v[36:37], -v[120:121], v[166:167], v[36:37]
	;; [unrolled: 4-line block ×3, first 2 shown]
	v_fma_f64 v[26:27], -v[120:121], v[170:171], v[26:27]
	s_waitcnt lgkmcnt(2)
	v_fma_f64 v[24:25], -v[120:121], v[152:153], v[24:25]
	v_fma_f64 v[22:23], -v[120:121], v[154:155], v[22:23]
	v_fma_f64 v[18:19], -v[120:121], v[172:173], v[18:19]
	v_fma_f64 v[20:21], -v[120:121], v[174:175], v[20:21]
	s_waitcnt lgkmcnt(1)
	v_fma_f64 v[16:17], -v[120:121], v[156:157], v[16:17]
	v_fma_f64 v[14:15], -v[120:121], v[158:159], v[14:15]
	v_fma_f64 v[8:9], -v[120:121], v[176:177], v[8:9]
	;; [unrolled: 5-line block ×3, first 2 shown]
.LBB122_80:
	s_or_b32 exec_lo, exec_lo, s0
	v_lshl_add_u32 v0, v139, 3, v136
	s_barrier
	buffer_gl0_inv
	v_mov_b32_e32 v130, 5
	ds_write_b64 v0, v[114:115]
	s_waitcnt lgkmcnt(0)
	s_barrier
	buffer_gl0_inv
	ds_read_b64 v[0:1], v136 offset:40
	s_cmp_lt_i32 s7, 7
	s_cbranch_scc1 .LBB122_83
; %bb.81:
	v_add3_u32 v131, v137, 0, 48
	v_mov_b32_e32 v130, 5
	s_mov_b32 s0, 6
.LBB122_82:                             ; =>This Inner Loop Header: Depth=1
	ds_read_b64 v[140:141], v131
	v_add_nc_u32_e32 v131, 8, v131
	s_waitcnt lgkmcnt(0)
	v_cmp_lt_f64_e64 vcc_lo, |v[0:1]|, |v[140:141]|
	v_cndmask_b32_e32 v1, v1, v141, vcc_lo
	v_cndmask_b32_e32 v0, v0, v140, vcc_lo
	v_cndmask_b32_e64 v130, v130, s0, vcc_lo
	s_add_i32 s0, s0, 1
	s_cmp_lg_u32 s7, s0
	s_cbranch_scc1 .LBB122_82
.LBB122_83:
	s_mov_b32 s0, exec_lo
	s_waitcnt lgkmcnt(0)
	v_cmpx_eq_f64_e32 0, v[0:1]
	s_xor_b32 s0, exec_lo, s0
; %bb.84:
	v_cmp_ne_u32_e32 vcc_lo, 0, v133
	v_cndmask_b32_e32 v133, 6, v133, vcc_lo
; %bb.85:
	s_andn2_saveexec_b32 s0, s0
	s_cbranch_execz .LBB122_87
; %bb.86:
	v_div_scale_f64 v[131:132], null, v[0:1], v[0:1], 1.0
	v_rcp_f64_e32 v[140:141], v[131:132]
	v_fma_f64 v[142:143], -v[131:132], v[140:141], 1.0
	v_fma_f64 v[140:141], v[140:141], v[142:143], v[140:141]
	v_fma_f64 v[142:143], -v[131:132], v[140:141], 1.0
	v_fma_f64 v[140:141], v[140:141], v[142:143], v[140:141]
	v_div_scale_f64 v[142:143], vcc_lo, 1.0, v[0:1], 1.0
	v_mul_f64 v[144:145], v[142:143], v[140:141]
	v_fma_f64 v[131:132], -v[131:132], v[144:145], v[142:143]
	v_div_fmas_f64 v[131:132], v[131:132], v[140:141], v[144:145]
	v_div_fixup_f64 v[0:1], v[131:132], v[0:1], 1.0
.LBB122_87:
	s_or_b32 exec_lo, exec_lo, s0
	s_mov_b32 s0, exec_lo
	v_cmpx_ne_u32_e64 v139, v130
	s_xor_b32 s0, exec_lo, s0
	s_cbranch_execz .LBB122_93
; %bb.88:
	s_mov_b32 s1, exec_lo
	v_cmpx_eq_u32_e32 5, v139
	s_cbranch_execz .LBB122_92
; %bb.89:
	v_cmp_ne_u32_e32 vcc_lo, 5, v130
	s_xor_b32 s2, s6, -1
	s_and_b32 s3, s2, vcc_lo
	s_and_saveexec_b32 s2, s3
	s_cbranch_execz .LBB122_91
; %bb.90:
	v_ashrrev_i32_e32 v131, 31, v130
	v_lshlrev_b64 v[131:132], 2, v[130:131]
	v_add_co_u32 v131, vcc_lo, v4, v131
	v_add_co_ci_u32_e64 v132, null, v5, v132, vcc_lo
	s_clause 0x1
	global_load_dword v138, v[131:132], off
	global_load_dword v139, v[4:5], off offset:20
	s_waitcnt vmcnt(1)
	global_store_dword v[4:5], v138, off offset:20
	s_waitcnt vmcnt(0)
	global_store_dword v[131:132], v139, off
.LBB122_91:
	s_or_b32 exec_lo, exec_lo, s2
	v_mov_b32_e32 v138, v130
	v_mov_b32_e32 v139, v130
.LBB122_92:
	s_or_b32 exec_lo, exec_lo, s1
.LBB122_93:
	s_andn2_saveexec_b32 s0, s0
	s_cbranch_execz .LBB122_95
; %bb.94:
	v_mov_b32_e32 v130, v116
	v_mov_b32_e32 v131, v117
	;; [unrolled: 1-line block ×16, first 2 shown]
	ds_write2_b64 v136, v[130:131], v[139:140] offset0:6 offset1:7
	ds_write2_b64 v136, v[141:142], v[143:144] offset0:8 offset1:9
	ds_write2_b64 v136, v[145:146], v[147:148] offset0:10 offset1:11
	ds_write2_b64 v136, v[149:150], v[151:152] offset0:12 offset1:13
	v_mov_b32_e32 v130, v100
	v_mov_b32_e32 v131, v101
	v_mov_b32_e32 v139, v94
	v_mov_b32_e32 v140, v95
	v_mov_b32_e32 v141, v96
	v_mov_b32_e32 v142, v97
	v_mov_b32_e32 v143, v92
	v_mov_b32_e32 v144, v93
	v_mov_b32_e32 v145, v90
	v_mov_b32_e32 v146, v91
	v_mov_b32_e32 v147, v88
	v_mov_b32_e32 v148, v89
	v_mov_b32_e32 v149, v86
	v_mov_b32_e32 v150, v87
	v_mov_b32_e32 v151, v84
	v_mov_b32_e32 v152, v85
	v_mov_b32_e32 v153, v82
	v_mov_b32_e32 v154, v83
	v_mov_b32_e32 v155, v78
	v_mov_b32_e32 v156, v79
	ds_write2_b64 v136, v[130:131], v[139:140] offset0:14 offset1:15
	ds_write2_b64 v136, v[141:142], v[143:144] offset0:16 offset1:17
	ds_write2_b64 v136, v[145:146], v[147:148] offset0:18 offset1:19
	ds_write2_b64 v136, v[149:150], v[151:152] offset0:20 offset1:21
	ds_write2_b64 v136, v[153:154], v[155:156] offset0:22 offset1:23
	v_mov_b32_e32 v130, v80
	v_mov_b32_e32 v131, v81
	v_mov_b32_e32 v139, v74
	v_mov_b32_e32 v140, v75
	v_mov_b32_e32 v141, v76
	v_mov_b32_e32 v142, v77
	v_mov_b32_e32 v143, v72
	v_mov_b32_e32 v144, v73
	v_mov_b32_e32 v145, v70
	v_mov_b32_e32 v146, v71
	v_mov_b32_e32 v147, v68
	v_mov_b32_e32 v148, v69
	v_mov_b32_e32 v149, v66
	v_mov_b32_e32 v150, v67
	v_mov_b32_e32 v151, v64
	v_mov_b32_e32 v152, v65
	v_mov_b32_e32 v153, v62
	v_mov_b32_e32 v154, v63
	v_mov_b32_e32 v155, v58
	v_mov_b32_e32 v156, v59
	ds_write2_b64 v136, v[130:131], v[139:140] offset0:24 offset1:25
	;; [unrolled: 25-line block ×4, first 2 shown]
	ds_write2_b64 v136, v[141:142], v[143:144] offset0:46 offset1:47
	ds_write2_b64 v136, v[145:146], v[147:148] offset0:48 offset1:49
	;; [unrolled: 1-line block ×4, first 2 shown]
	v_mov_b32_e32 v130, v20
	v_mov_b32_e32 v131, v21
	;; [unrolled: 1-line block ×15, first 2 shown]
	ds_write2_b64 v136, v[130:131], v[140:141] offset0:54 offset1:55
	ds_write2_b64 v136, v[142:143], v[144:145] offset0:56 offset1:57
	;; [unrolled: 1-line block ×4, first 2 shown]
.LBB122_95:
	s_or_b32 exec_lo, exec_lo, s0
	s_mov_b32 s0, exec_lo
	s_waitcnt lgkmcnt(0)
	s_waitcnt_vscnt null, 0x0
	s_barrier
	buffer_gl0_inv
	v_cmpx_lt_i32_e32 5, v139
	s_cbranch_execz .LBB122_97
; %bb.96:
	v_mul_f64 v[114:115], v[0:1], v[114:115]
	ds_read2_b64 v[140:143], v136 offset0:6 offset1:7
	ds_read2_b64 v[144:147], v136 offset0:8 offset1:9
	ds_read2_b64 v[148:151], v136 offset0:10 offset1:11
	ds_read2_b64 v[152:155], v136 offset0:12 offset1:13
	ds_read2_b64 v[156:159], v136 offset0:14 offset1:15
	ds_read2_b64 v[160:163], v136 offset0:16 offset1:17
	ds_read2_b64 v[164:167], v136 offset0:18 offset1:19
	ds_read2_b64 v[168:171], v136 offset0:20 offset1:21
	ds_read2_b64 v[172:175], v136 offset0:22 offset1:23
	ds_read2_b64 v[176:179], v136 offset0:24 offset1:25
	ds_read2_b64 v[180:183], v136 offset0:26 offset1:27
	ds_read2_b64 v[184:187], v136 offset0:28 offset1:29
	s_waitcnt lgkmcnt(11)
	v_fma_f64 v[116:117], -v[114:115], v[140:141], v[116:117]
	v_fma_f64 v[112:113], -v[114:115], v[142:143], v[112:113]
	s_waitcnt lgkmcnt(10)
	v_fma_f64 v[110:111], -v[114:115], v[144:145], v[110:111]
	v_fma_f64 v[108:109], -v[114:115], v[146:147], v[108:109]
	;; [unrolled: 3-line block ×5, first 2 shown]
	ds_read2_b64 v[140:143], v136 offset0:30 offset1:31
	ds_read2_b64 v[144:147], v136 offset0:32 offset1:33
	;; [unrolled: 1-line block ×5, first 2 shown]
	s_waitcnt lgkmcnt(11)
	v_fma_f64 v[96:97], -v[114:115], v[160:161], v[96:97]
	v_fma_f64 v[92:93], -v[114:115], v[162:163], v[92:93]
	s_waitcnt lgkmcnt(10)
	v_fma_f64 v[90:91], -v[114:115], v[164:165], v[90:91]
	v_fma_f64 v[88:89], -v[114:115], v[166:167], v[88:89]
	;; [unrolled: 3-line block ×6, first 2 shown]
	ds_read2_b64 v[160:163], v136 offset0:40 offset1:41
	ds_read2_b64 v[164:167], v136 offset0:44 offset1:45
	;; [unrolled: 1-line block ×3, first 2 shown]
	s_waitcnt lgkmcnt(7)
	v_fma_f64 v[66:67], -v[114:115], v[140:141], v[66:67]
	v_fma_f64 v[64:65], -v[114:115], v[142:143], v[64:65]
	ds_read2_b64 v[140:143], v136 offset0:42 offset1:43
	s_waitcnt lgkmcnt(7)
	v_fma_f64 v[62:63], -v[114:115], v[144:145], v[62:63]
	v_fma_f64 v[58:59], -v[114:115], v[146:147], v[58:59]
	ds_read2_b64 v[144:147], v136 offset0:46 offset1:47
	;; [unrolled: 4-line block ×3, first 2 shown]
	ds_read2_b64 v[172:175], v136 offset0:52 offset1:53
	s_waitcnt lgkmcnt(8)
	v_fma_f64 v[56:57], -v[114:115], v[152:153], v[56:57]
	v_fma_f64 v[52:53], -v[114:115], v[154:155], v[52:53]
	ds_read2_b64 v[152:155], v136 offset0:54 offset1:55
	ds_read2_b64 v[176:179], v136 offset0:56 offset1:57
	s_waitcnt lgkmcnt(9)
	v_fma_f64 v[50:51], -v[114:115], v[156:157], v[50:51]
	v_fma_f64 v[48:49], -v[114:115], v[158:159], v[48:49]
	ds_read2_b64 v[156:159], v136 offset0:58 offset1:59
	ds_read2_b64 v[180:183], v136 offset0:60 offset1:61
	v_fma_f64 v[70:71], -v[114:115], v[184:185], v[70:71]
	v_fma_f64 v[68:69], -v[114:115], v[186:187], v[68:69]
	s_waitcnt lgkmcnt(10)
	v_fma_f64 v[46:47], -v[114:115], v[160:161], v[46:47]
	v_fma_f64 v[44:45], -v[114:115], v[162:163], v[44:45]
	s_waitcnt lgkmcnt(7)
	v_fma_f64 v[42:43], -v[114:115], v[140:141], v[42:43]
	v_fma_f64 v[38:39], -v[114:115], v[142:143], v[38:39]
	v_fma_f64 v[40:41], -v[114:115], v[164:165], v[40:41]
	v_fma_f64 v[34:35], -v[114:115], v[166:167], v[34:35]
	s_waitcnt lgkmcnt(6)
	v_fma_f64 v[36:37], -v[114:115], v[144:145], v[36:37]
	v_fma_f64 v[32:33], -v[114:115], v[146:147], v[32:33]
	v_fma_f64 v[30:31], -v[114:115], v[168:169], v[30:31]
	v_fma_f64 v[28:29], -v[114:115], v[170:171], v[28:29]
	s_waitcnt lgkmcnt(5)
	v_fma_f64 v[26:27], -v[114:115], v[148:149], v[26:27]
	v_fma_f64 v[24:25], -v[114:115], v[150:151], v[24:25]
	s_waitcnt lgkmcnt(4)
	v_fma_f64 v[22:23], -v[114:115], v[172:173], v[22:23]
	v_fma_f64 v[18:19], -v[114:115], v[174:175], v[18:19]
	s_waitcnt lgkmcnt(3)
	v_fma_f64 v[20:21], -v[114:115], v[152:153], v[20:21]
	v_fma_f64 v[16:17], -v[114:115], v[154:155], v[16:17]
	;; [unrolled: 3-line block ×5, first 2 shown]
.LBB122_97:
	s_or_b32 exec_lo, exec_lo, s0
	v_lshl_add_u32 v0, v139, 3, v136
	s_barrier
	buffer_gl0_inv
	v_mov_b32_e32 v130, 6
	ds_write_b64 v0, v[116:117]
	s_waitcnt lgkmcnt(0)
	s_barrier
	buffer_gl0_inv
	ds_read_b64 v[0:1], v136 offset:48
	s_cmp_lt_i32 s7, 8
	s_cbranch_scc1 .LBB122_100
; %bb.98:
	v_add3_u32 v131, v137, 0, 56
	v_mov_b32_e32 v130, 6
	s_mov_b32 s0, 7
.LBB122_99:                             ; =>This Inner Loop Header: Depth=1
	ds_read_b64 v[140:141], v131
	v_add_nc_u32_e32 v131, 8, v131
	s_waitcnt lgkmcnt(0)
	v_cmp_lt_f64_e64 vcc_lo, |v[0:1]|, |v[140:141]|
	v_cndmask_b32_e32 v1, v1, v141, vcc_lo
	v_cndmask_b32_e32 v0, v0, v140, vcc_lo
	v_cndmask_b32_e64 v130, v130, s0, vcc_lo
	s_add_i32 s0, s0, 1
	s_cmp_lg_u32 s7, s0
	s_cbranch_scc1 .LBB122_99
.LBB122_100:
	s_mov_b32 s0, exec_lo
	s_waitcnt lgkmcnt(0)
	v_cmpx_eq_f64_e32 0, v[0:1]
	s_xor_b32 s0, exec_lo, s0
; %bb.101:
	v_cmp_ne_u32_e32 vcc_lo, 0, v133
	v_cndmask_b32_e32 v133, 7, v133, vcc_lo
; %bb.102:
	s_andn2_saveexec_b32 s0, s0
	s_cbranch_execz .LBB122_104
; %bb.103:
	v_div_scale_f64 v[131:132], null, v[0:1], v[0:1], 1.0
	v_rcp_f64_e32 v[140:141], v[131:132]
	v_fma_f64 v[142:143], -v[131:132], v[140:141], 1.0
	v_fma_f64 v[140:141], v[140:141], v[142:143], v[140:141]
	v_fma_f64 v[142:143], -v[131:132], v[140:141], 1.0
	v_fma_f64 v[140:141], v[140:141], v[142:143], v[140:141]
	v_div_scale_f64 v[142:143], vcc_lo, 1.0, v[0:1], 1.0
	v_mul_f64 v[144:145], v[142:143], v[140:141]
	v_fma_f64 v[131:132], -v[131:132], v[144:145], v[142:143]
	v_div_fmas_f64 v[131:132], v[131:132], v[140:141], v[144:145]
	v_div_fixup_f64 v[0:1], v[131:132], v[0:1], 1.0
.LBB122_104:
	s_or_b32 exec_lo, exec_lo, s0
	s_mov_b32 s0, exec_lo
	v_cmpx_ne_u32_e64 v139, v130
	s_xor_b32 s0, exec_lo, s0
	s_cbranch_execz .LBB122_110
; %bb.105:
	s_mov_b32 s1, exec_lo
	v_cmpx_eq_u32_e32 6, v139
	s_cbranch_execz .LBB122_109
; %bb.106:
	v_cmp_ne_u32_e32 vcc_lo, 6, v130
	s_xor_b32 s2, s6, -1
	s_and_b32 s3, s2, vcc_lo
	s_and_saveexec_b32 s2, s3
	s_cbranch_execz .LBB122_108
; %bb.107:
	v_ashrrev_i32_e32 v131, 31, v130
	v_lshlrev_b64 v[131:132], 2, v[130:131]
	v_add_co_u32 v131, vcc_lo, v4, v131
	v_add_co_ci_u32_e64 v132, null, v5, v132, vcc_lo
	s_clause 0x1
	global_load_dword v138, v[131:132], off
	global_load_dword v139, v[4:5], off offset:24
	s_waitcnt vmcnt(1)
	global_store_dword v[4:5], v138, off offset:24
	s_waitcnt vmcnt(0)
	global_store_dword v[131:132], v139, off
.LBB122_108:
	s_or_b32 exec_lo, exec_lo, s2
	v_mov_b32_e32 v138, v130
	v_mov_b32_e32 v139, v130
.LBB122_109:
	s_or_b32 exec_lo, exec_lo, s1
.LBB122_110:
	s_andn2_saveexec_b32 s0, s0
	s_cbranch_execz .LBB122_112
; %bb.111:
	v_mov_b32_e32 v139, 6
	ds_write2_b64 v136, v[112:113], v[110:111] offset0:7 offset1:8
	ds_write2_b64 v136, v[108:109], v[106:107] offset0:9 offset1:10
	;; [unrolled: 1-line block ×27, first 2 shown]
	ds_write_b64 v136, v[128:129] offset:488
.LBB122_112:
	s_or_b32 exec_lo, exec_lo, s0
	s_mov_b32 s0, exec_lo
	s_waitcnt lgkmcnt(0)
	s_waitcnt_vscnt null, 0x0
	s_barrier
	buffer_gl0_inv
	v_cmpx_lt_i32_e32 6, v139
	s_cbranch_execz .LBB122_114
; %bb.113:
	v_mul_f64 v[116:117], v[0:1], v[116:117]
	ds_read2_b64 v[140:143], v136 offset0:7 offset1:8
	ds_read2_b64 v[144:147], v136 offset0:9 offset1:10
	;; [unrolled: 1-line block ×12, first 2 shown]
	ds_read_b64 v[0:1], v136 offset:488
	s_waitcnt lgkmcnt(12)
	v_fma_f64 v[112:113], -v[116:117], v[140:141], v[112:113]
	v_fma_f64 v[110:111], -v[116:117], v[142:143], v[110:111]
	s_waitcnt lgkmcnt(11)
	v_fma_f64 v[108:109], -v[116:117], v[144:145], v[108:109]
	v_fma_f64 v[106:107], -v[116:117], v[146:147], v[106:107]
	;; [unrolled: 3-line block ×5, first 2 shown]
	ds_read2_b64 v[140:143], v136 offset0:31 offset1:32
	ds_read2_b64 v[144:147], v136 offset0:33 offset1:34
	;; [unrolled: 1-line block ×5, first 2 shown]
	s_waitcnt lgkmcnt(12)
	v_fma_f64 v[92:93], -v[116:117], v[160:161], v[92:93]
	v_fma_f64 v[90:91], -v[116:117], v[162:163], v[90:91]
	s_waitcnt lgkmcnt(11)
	v_fma_f64 v[88:89], -v[116:117], v[164:165], v[88:89]
	v_fma_f64 v[86:87], -v[116:117], v[166:167], v[86:87]
	;; [unrolled: 3-line block ×5, first 2 shown]
	ds_read2_b64 v[160:163], v136 offset0:41 offset1:42
	ds_read2_b64 v[164:167], v136 offset0:45 offset1:46
	;; [unrolled: 1-line block ×5, first 2 shown]
	s_waitcnt lgkmcnt(9)
	v_fma_f64 v[64:65], -v[116:117], v[140:141], v[64:65]
	v_fma_f64 v[62:63], -v[116:117], v[142:143], v[62:63]
	ds_read2_b64 v[140:143], v136 offset0:43 offset1:44
	s_waitcnt lgkmcnt(9)
	v_fma_f64 v[58:59], -v[116:117], v[144:145], v[58:59]
	v_fma_f64 v[60:61], -v[116:117], v[146:147], v[60:61]
	ds_read2_b64 v[144:147], v136 offset0:47 offset1:48
	;; [unrolled: 4-line block ×5, first 2 shown]
	v_fma_f64 v[72:73], -v[116:117], v[180:181], v[72:73]
	v_fma_f64 v[70:71], -v[116:117], v[182:183], v[70:71]
	;; [unrolled: 1-line block ×4, first 2 shown]
	s_waitcnt lgkmcnt(9)
	v_fma_f64 v[44:45], -v[116:117], v[160:161], v[44:45]
	v_fma_f64 v[42:43], -v[116:117], v[162:163], v[42:43]
	s_waitcnt lgkmcnt(8)
	v_fma_f64 v[34:35], -v[116:117], v[164:165], v[34:35]
	s_waitcnt lgkmcnt(4)
	v_fma_f64 v[38:39], -v[116:117], v[140:141], v[38:39]
	v_fma_f64 v[40:41], -v[116:117], v[142:143], v[40:41]
	v_fma_f64 v[36:37], -v[116:117], v[166:167], v[36:37]
	s_waitcnt lgkmcnt(3)
	v_fma_f64 v[32:33], -v[116:117], v[144:145], v[32:33]
	v_fma_f64 v[30:31], -v[116:117], v[146:147], v[30:31]
	v_fma_f64 v[28:29], -v[116:117], v[168:169], v[28:29]
	v_fma_f64 v[26:27], -v[116:117], v[170:171], v[26:27]
	s_waitcnt lgkmcnt(2)
	v_fma_f64 v[24:25], -v[116:117], v[148:149], v[24:25]
	;; [unrolled: 5-line block ×4, first 2 shown]
	v_fma_f64 v[10:11], -v[116:117], v[158:159], v[10:11]
	v_fma_f64 v[128:129], -v[116:117], v[0:1], v[128:129]
.LBB122_114:
	s_or_b32 exec_lo, exec_lo, s0
	v_lshl_add_u32 v0, v139, 3, v136
	s_barrier
	buffer_gl0_inv
	v_mov_b32_e32 v130, 7
	ds_write_b64 v0, v[112:113]
	s_waitcnt lgkmcnt(0)
	s_barrier
	buffer_gl0_inv
	ds_read_b64 v[0:1], v136 offset:56
	s_cmp_lt_i32 s7, 9
	s_cbranch_scc1 .LBB122_117
; %bb.115:
	v_add3_u32 v131, v137, 0, 64
	v_mov_b32_e32 v130, 7
	s_mov_b32 s0, 8
.LBB122_116:                            ; =>This Inner Loop Header: Depth=1
	ds_read_b64 v[140:141], v131
	v_add_nc_u32_e32 v131, 8, v131
	s_waitcnt lgkmcnt(0)
	v_cmp_lt_f64_e64 vcc_lo, |v[0:1]|, |v[140:141]|
	v_cndmask_b32_e32 v1, v1, v141, vcc_lo
	v_cndmask_b32_e32 v0, v0, v140, vcc_lo
	v_cndmask_b32_e64 v130, v130, s0, vcc_lo
	s_add_i32 s0, s0, 1
	s_cmp_lg_u32 s7, s0
	s_cbranch_scc1 .LBB122_116
.LBB122_117:
	s_mov_b32 s0, exec_lo
	s_waitcnt lgkmcnt(0)
	v_cmpx_eq_f64_e32 0, v[0:1]
	s_xor_b32 s0, exec_lo, s0
; %bb.118:
	v_cmp_ne_u32_e32 vcc_lo, 0, v133
	v_cndmask_b32_e32 v133, 8, v133, vcc_lo
; %bb.119:
	s_andn2_saveexec_b32 s0, s0
	s_cbranch_execz .LBB122_121
; %bb.120:
	v_div_scale_f64 v[131:132], null, v[0:1], v[0:1], 1.0
	v_rcp_f64_e32 v[140:141], v[131:132]
	v_fma_f64 v[142:143], -v[131:132], v[140:141], 1.0
	v_fma_f64 v[140:141], v[140:141], v[142:143], v[140:141]
	v_fma_f64 v[142:143], -v[131:132], v[140:141], 1.0
	v_fma_f64 v[140:141], v[140:141], v[142:143], v[140:141]
	v_div_scale_f64 v[142:143], vcc_lo, 1.0, v[0:1], 1.0
	v_mul_f64 v[144:145], v[142:143], v[140:141]
	v_fma_f64 v[131:132], -v[131:132], v[144:145], v[142:143]
	v_div_fmas_f64 v[131:132], v[131:132], v[140:141], v[144:145]
	v_div_fixup_f64 v[0:1], v[131:132], v[0:1], 1.0
.LBB122_121:
	s_or_b32 exec_lo, exec_lo, s0
	s_mov_b32 s0, exec_lo
	v_cmpx_ne_u32_e64 v139, v130
	s_xor_b32 s0, exec_lo, s0
	s_cbranch_execz .LBB122_127
; %bb.122:
	s_mov_b32 s1, exec_lo
	v_cmpx_eq_u32_e32 7, v139
	s_cbranch_execz .LBB122_126
; %bb.123:
	v_cmp_ne_u32_e32 vcc_lo, 7, v130
	s_xor_b32 s2, s6, -1
	s_and_b32 s3, s2, vcc_lo
	s_and_saveexec_b32 s2, s3
	s_cbranch_execz .LBB122_125
; %bb.124:
	v_ashrrev_i32_e32 v131, 31, v130
	v_lshlrev_b64 v[131:132], 2, v[130:131]
	v_add_co_u32 v131, vcc_lo, v4, v131
	v_add_co_ci_u32_e64 v132, null, v5, v132, vcc_lo
	s_clause 0x1
	global_load_dword v138, v[131:132], off
	global_load_dword v139, v[4:5], off offset:28
	s_waitcnt vmcnt(1)
	global_store_dword v[4:5], v138, off offset:28
	s_waitcnt vmcnt(0)
	global_store_dword v[131:132], v139, off
.LBB122_125:
	s_or_b32 exec_lo, exec_lo, s2
	v_mov_b32_e32 v138, v130
	v_mov_b32_e32 v139, v130
.LBB122_126:
	s_or_b32 exec_lo, exec_lo, s1
.LBB122_127:
	s_andn2_saveexec_b32 s0, s0
	s_cbranch_execz .LBB122_129
; %bb.128:
	v_mov_b32_e32 v130, v110
	v_mov_b32_e32 v131, v111
	;; [unrolled: 1-line block ×12, first 2 shown]
	ds_write2_b64 v136, v[130:131], v[139:140] offset0:8 offset1:9
	ds_write2_b64 v136, v[141:142], v[143:144] offset0:10 offset1:11
	ds_write2_b64 v136, v[145:146], v[147:148] offset0:12 offset1:13
	v_mov_b32_e32 v130, v100
	v_mov_b32_e32 v131, v101
	v_mov_b32_e32 v139, v94
	v_mov_b32_e32 v140, v95
	v_mov_b32_e32 v141, v96
	v_mov_b32_e32 v142, v97
	v_mov_b32_e32 v143, v92
	v_mov_b32_e32 v144, v93
	v_mov_b32_e32 v145, v90
	v_mov_b32_e32 v146, v91
	v_mov_b32_e32 v147, v88
	v_mov_b32_e32 v148, v89
	v_mov_b32_e32 v149, v86
	v_mov_b32_e32 v150, v87
	v_mov_b32_e32 v151, v84
	v_mov_b32_e32 v152, v85
	v_mov_b32_e32 v153, v82
	v_mov_b32_e32 v154, v83
	v_mov_b32_e32 v155, v78
	v_mov_b32_e32 v156, v79
	ds_write2_b64 v136, v[130:131], v[139:140] offset0:14 offset1:15
	ds_write2_b64 v136, v[141:142], v[143:144] offset0:16 offset1:17
	ds_write2_b64 v136, v[145:146], v[147:148] offset0:18 offset1:19
	ds_write2_b64 v136, v[149:150], v[151:152] offset0:20 offset1:21
	ds_write2_b64 v136, v[153:154], v[155:156] offset0:22 offset1:23
	v_mov_b32_e32 v130, v80
	v_mov_b32_e32 v131, v81
	v_mov_b32_e32 v139, v74
	v_mov_b32_e32 v140, v75
	v_mov_b32_e32 v141, v76
	v_mov_b32_e32 v142, v77
	v_mov_b32_e32 v143, v72
	v_mov_b32_e32 v144, v73
	v_mov_b32_e32 v145, v70
	v_mov_b32_e32 v146, v71
	v_mov_b32_e32 v147, v68
	v_mov_b32_e32 v148, v69
	v_mov_b32_e32 v149, v66
	v_mov_b32_e32 v150, v67
	v_mov_b32_e32 v151, v64
	v_mov_b32_e32 v152, v65
	v_mov_b32_e32 v153, v62
	v_mov_b32_e32 v154, v63
	v_mov_b32_e32 v155, v58
	v_mov_b32_e32 v156, v59
	ds_write2_b64 v136, v[130:131], v[139:140] offset0:24 offset1:25
	ds_write2_b64 v136, v[141:142], v[143:144] offset0:26 offset1:27
	;; [unrolled: 25-line block ×4, first 2 shown]
	ds_write2_b64 v136, v[145:146], v[147:148] offset0:48 offset1:49
	ds_write2_b64 v136, v[149:150], v[151:152] offset0:50 offset1:51
	ds_write2_b64 v136, v[153:154], v[155:156] offset0:52 offset1:53
	v_mov_b32_e32 v130, v20
	v_mov_b32_e32 v131, v21
	;; [unrolled: 1-line block ×15, first 2 shown]
	ds_write2_b64 v136, v[130:131], v[140:141] offset0:54 offset1:55
	ds_write2_b64 v136, v[142:143], v[144:145] offset0:56 offset1:57
	;; [unrolled: 1-line block ×4, first 2 shown]
.LBB122_129:
	s_or_b32 exec_lo, exec_lo, s0
	s_mov_b32 s0, exec_lo
	s_waitcnt lgkmcnt(0)
	s_waitcnt_vscnt null, 0x0
	s_barrier
	buffer_gl0_inv
	v_cmpx_lt_i32_e32 7, v139
	s_cbranch_execz .LBB122_131
; %bb.130:
	v_mul_f64 v[112:113], v[0:1], v[112:113]
	ds_read2_b64 v[140:143], v136 offset0:8 offset1:9
	ds_read2_b64 v[144:147], v136 offset0:10 offset1:11
	;; [unrolled: 1-line block ×12, first 2 shown]
	s_waitcnt lgkmcnt(11)
	v_fma_f64 v[110:111], -v[112:113], v[140:141], v[110:111]
	v_fma_f64 v[108:109], -v[112:113], v[142:143], v[108:109]
	s_waitcnt lgkmcnt(10)
	v_fma_f64 v[106:107], -v[112:113], v[144:145], v[106:107]
	v_fma_f64 v[104:105], -v[112:113], v[146:147], v[104:105]
	;; [unrolled: 3-line block ×4, first 2 shown]
	ds_read2_b64 v[140:143], v136 offset0:32 offset1:33
	ds_read2_b64 v[144:147], v136 offset0:34 offset1:35
	;; [unrolled: 1-line block ×4, first 2 shown]
	s_waitcnt lgkmcnt(11)
	v_fma_f64 v[96:97], -v[112:113], v[156:157], v[96:97]
	v_fma_f64 v[92:93], -v[112:113], v[158:159], v[92:93]
	s_waitcnt lgkmcnt(10)
	v_fma_f64 v[90:91], -v[112:113], v[160:161], v[90:91]
	v_fma_f64 v[88:89], -v[112:113], v[162:163], v[88:89]
	;; [unrolled: 3-line block ×7, first 2 shown]
	ds_read2_b64 v[156:159], v136 offset0:40 offset1:41
	ds_read2_b64 v[160:163], v136 offset0:42 offset1:43
	s_waitcnt lgkmcnt(5)
	v_fma_f64 v[62:63], -v[112:113], v[140:141], v[62:63]
	ds_read2_b64 v[164:167], v136 offset0:44 offset1:45
	v_fma_f64 v[58:59], -v[112:113], v[142:143], v[58:59]
	ds_read2_b64 v[140:143], v136 offset0:46 offset1:47
	s_waitcnt lgkmcnt(6)
	v_fma_f64 v[60:61], -v[112:113], v[144:145], v[60:61]
	ds_read2_b64 v[168:171], v136 offset0:48 offset1:49
	v_fma_f64 v[54:55], -v[112:113], v[146:147], v[54:55]
	;; [unrolled: 5-line block ×4, first 2 shown]
	ds_read2_b64 v[152:155], v136 offset0:58 offset1:59
	ds_read2_b64 v[180:183], v136 offset0:60 offset1:61
	v_fma_f64 v[66:67], -v[112:113], v[184:185], v[66:67]
	v_fma_f64 v[64:65], -v[112:113], v[186:187], v[64:65]
	s_waitcnt lgkmcnt(10)
	v_fma_f64 v[46:47], -v[112:113], v[156:157], v[46:47]
	v_fma_f64 v[44:45], -v[112:113], v[158:159], v[44:45]
	s_waitcnt lgkmcnt(9)
	;; [unrolled: 3-line block ×11, first 2 shown]
	v_fma_f64 v[10:11], -v[112:113], v[180:181], v[10:11]
	v_fma_f64 v[128:129], -v[112:113], v[182:183], v[128:129]
.LBB122_131:
	s_or_b32 exec_lo, exec_lo, s0
	v_lshl_add_u32 v0, v139, 3, v136
	s_barrier
	buffer_gl0_inv
	v_mov_b32_e32 v130, 8
	ds_write_b64 v0, v[110:111]
	s_waitcnt lgkmcnt(0)
	s_barrier
	buffer_gl0_inv
	ds_read_b64 v[0:1], v136 offset:64
	s_cmp_lt_i32 s7, 10
	s_cbranch_scc1 .LBB122_134
; %bb.132:
	v_add3_u32 v131, v137, 0, 0x48
	v_mov_b32_e32 v130, 8
	s_mov_b32 s0, 9
.LBB122_133:                            ; =>This Inner Loop Header: Depth=1
	ds_read_b64 v[140:141], v131
	v_add_nc_u32_e32 v131, 8, v131
	s_waitcnt lgkmcnt(0)
	v_cmp_lt_f64_e64 vcc_lo, |v[0:1]|, |v[140:141]|
	v_cndmask_b32_e32 v1, v1, v141, vcc_lo
	v_cndmask_b32_e32 v0, v0, v140, vcc_lo
	v_cndmask_b32_e64 v130, v130, s0, vcc_lo
	s_add_i32 s0, s0, 1
	s_cmp_lg_u32 s7, s0
	s_cbranch_scc1 .LBB122_133
.LBB122_134:
	s_mov_b32 s0, exec_lo
	s_waitcnt lgkmcnt(0)
	v_cmpx_eq_f64_e32 0, v[0:1]
	s_xor_b32 s0, exec_lo, s0
; %bb.135:
	v_cmp_ne_u32_e32 vcc_lo, 0, v133
	v_cndmask_b32_e32 v133, 9, v133, vcc_lo
; %bb.136:
	s_andn2_saveexec_b32 s0, s0
	s_cbranch_execz .LBB122_138
; %bb.137:
	v_div_scale_f64 v[131:132], null, v[0:1], v[0:1], 1.0
	v_rcp_f64_e32 v[140:141], v[131:132]
	v_fma_f64 v[142:143], -v[131:132], v[140:141], 1.0
	v_fma_f64 v[140:141], v[140:141], v[142:143], v[140:141]
	v_fma_f64 v[142:143], -v[131:132], v[140:141], 1.0
	v_fma_f64 v[140:141], v[140:141], v[142:143], v[140:141]
	v_div_scale_f64 v[142:143], vcc_lo, 1.0, v[0:1], 1.0
	v_mul_f64 v[144:145], v[142:143], v[140:141]
	v_fma_f64 v[131:132], -v[131:132], v[144:145], v[142:143]
	v_div_fmas_f64 v[131:132], v[131:132], v[140:141], v[144:145]
	v_div_fixup_f64 v[0:1], v[131:132], v[0:1], 1.0
.LBB122_138:
	s_or_b32 exec_lo, exec_lo, s0
	s_mov_b32 s0, exec_lo
	v_cmpx_ne_u32_e64 v139, v130
	s_xor_b32 s0, exec_lo, s0
	s_cbranch_execz .LBB122_144
; %bb.139:
	s_mov_b32 s1, exec_lo
	v_cmpx_eq_u32_e32 8, v139
	s_cbranch_execz .LBB122_143
; %bb.140:
	v_cmp_ne_u32_e32 vcc_lo, 8, v130
	s_xor_b32 s2, s6, -1
	s_and_b32 s3, s2, vcc_lo
	s_and_saveexec_b32 s2, s3
	s_cbranch_execz .LBB122_142
; %bb.141:
	v_ashrrev_i32_e32 v131, 31, v130
	v_lshlrev_b64 v[131:132], 2, v[130:131]
	v_add_co_u32 v131, vcc_lo, v4, v131
	v_add_co_ci_u32_e64 v132, null, v5, v132, vcc_lo
	s_clause 0x1
	global_load_dword v138, v[131:132], off
	global_load_dword v139, v[4:5], off offset:32
	s_waitcnt vmcnt(1)
	global_store_dword v[4:5], v138, off offset:32
	s_waitcnt vmcnt(0)
	global_store_dword v[131:132], v139, off
.LBB122_142:
	s_or_b32 exec_lo, exec_lo, s2
	v_mov_b32_e32 v138, v130
	v_mov_b32_e32 v139, v130
.LBB122_143:
	s_or_b32 exec_lo, exec_lo, s1
.LBB122_144:
	s_andn2_saveexec_b32 s0, s0
	s_cbranch_execz .LBB122_146
; %bb.145:
	v_mov_b32_e32 v139, 8
	ds_write2_b64 v136, v[108:109], v[106:107] offset0:9 offset1:10
	ds_write2_b64 v136, v[104:105], v[102:103] offset0:11 offset1:12
	;; [unrolled: 1-line block ×26, first 2 shown]
	ds_write_b64 v136, v[128:129] offset:488
.LBB122_146:
	s_or_b32 exec_lo, exec_lo, s0
	s_mov_b32 s0, exec_lo
	s_waitcnt lgkmcnt(0)
	s_waitcnt_vscnt null, 0x0
	s_barrier
	buffer_gl0_inv
	v_cmpx_lt_i32_e32 8, v139
	s_cbranch_execz .LBB122_148
; %bb.147:
	v_mul_f64 v[110:111], v[0:1], v[110:111]
	ds_read2_b64 v[140:143], v136 offset0:9 offset1:10
	ds_read2_b64 v[144:147], v136 offset0:11 offset1:12
	;; [unrolled: 1-line block ×12, first 2 shown]
	ds_read_b64 v[0:1], v136 offset:488
	s_waitcnt lgkmcnt(12)
	v_fma_f64 v[108:109], -v[110:111], v[140:141], v[108:109]
	v_fma_f64 v[106:107], -v[110:111], v[142:143], v[106:107]
	s_waitcnt lgkmcnt(11)
	v_fma_f64 v[104:105], -v[110:111], v[144:145], v[104:105]
	v_fma_f64 v[102:103], -v[110:111], v[146:147], v[102:103]
	;; [unrolled: 3-line block ×4, first 2 shown]
	ds_read2_b64 v[140:143], v136 offset0:33 offset1:34
	ds_read2_b64 v[144:147], v136 offset0:35 offset1:36
	;; [unrolled: 1-line block ×4, first 2 shown]
	s_waitcnt lgkmcnt(12)
	v_fma_f64 v[92:93], -v[110:111], v[156:157], v[92:93]
	v_fma_f64 v[90:91], -v[110:111], v[158:159], v[90:91]
	s_waitcnt lgkmcnt(11)
	v_fma_f64 v[88:89], -v[110:111], v[160:161], v[88:89]
	v_fma_f64 v[86:87], -v[110:111], v[162:163], v[86:87]
	s_waitcnt lgkmcnt(10)
	v_fma_f64 v[84:85], -v[110:111], v[164:165], v[84:85]
	v_fma_f64 v[82:83], -v[110:111], v[166:167], v[82:83]
	s_waitcnt lgkmcnt(9)
	v_fma_f64 v[78:79], -v[110:111], v[168:169], v[78:79]
	v_fma_f64 v[80:81], -v[110:111], v[170:171], v[80:81]
	s_waitcnt lgkmcnt(8)
	v_fma_f64 v[74:75], -v[110:111], v[172:173], v[74:75]
	v_fma_f64 v[76:77], -v[110:111], v[174:175], v[76:77]
	s_waitcnt lgkmcnt(7)
	v_fma_f64 v[72:73], -v[110:111], v[176:177], v[72:73]
	v_fma_f64 v[70:71], -v[110:111], v[178:179], v[70:71]
	ds_read2_b64 v[156:159], v136 offset0:41 offset1:42
	ds_read2_b64 v[160:163], v136 offset0:43 offset1:44
	ds_read2_b64 v[164:167], v136 offset0:45 offset1:46
	ds_read2_b64 v[168:171], v136 offset0:49 offset1:50
	s_waitcnt lgkmcnt(7)
	v_fma_f64 v[58:59], -v[110:111], v[140:141], v[58:59]
	v_fma_f64 v[60:61], -v[110:111], v[142:143], v[60:61]
	ds_read2_b64 v[140:143], v136 offset0:47 offset1:48
	s_waitcnt lgkmcnt(7)
	v_fma_f64 v[54:55], -v[110:111], v[144:145], v[54:55]
	v_fma_f64 v[56:57], -v[110:111], v[146:147], v[56:57]
	ds_read2_b64 v[144:147], v136 offset0:51 offset1:52
	s_waitcnt lgkmcnt(7)
	v_fma_f64 v[52:53], -v[110:111], v[148:149], v[52:53]
	ds_read2_b64 v[172:175], v136 offset0:53 offset1:54
	v_fma_f64 v[50:51], -v[110:111], v[150:151], v[50:51]
	ds_read2_b64 v[148:151], v136 offset0:55 offset1:56
	s_waitcnt lgkmcnt(8)
	v_fma_f64 v[48:49], -v[110:111], v[152:153], v[48:49]
	ds_read2_b64 v[176:179], v136 offset0:57 offset1:58
	v_fma_f64 v[46:47], -v[110:111], v[154:155], v[46:47]
	ds_read2_b64 v[152:155], v136 offset0:59 offset1:60
	v_fma_f64 v[68:69], -v[110:111], v[180:181], v[68:69]
	v_fma_f64 v[66:67], -v[110:111], v[182:183], v[66:67]
	;; [unrolled: 1-line block ×4, first 2 shown]
	s_waitcnt lgkmcnt(9)
	v_fma_f64 v[44:45], -v[110:111], v[156:157], v[44:45]
	v_fma_f64 v[42:43], -v[110:111], v[158:159], v[42:43]
	s_waitcnt lgkmcnt(8)
	v_fma_f64 v[38:39], -v[110:111], v[160:161], v[38:39]
	v_fma_f64 v[40:41], -v[110:111], v[162:163], v[40:41]
	;; [unrolled: 3-line block ×4, first 2 shown]
	v_fma_f64 v[28:29], -v[110:111], v[168:169], v[28:29]
	v_fma_f64 v[26:27], -v[110:111], v[170:171], v[26:27]
	s_waitcnt lgkmcnt(4)
	v_fma_f64 v[24:25], -v[110:111], v[144:145], v[24:25]
	v_fma_f64 v[22:23], -v[110:111], v[146:147], v[22:23]
	s_waitcnt lgkmcnt(3)
	;; [unrolled: 3-line block ×5, first 2 shown]
	v_fma_f64 v[6:7], -v[110:111], v[152:153], v[6:7]
	v_fma_f64 v[10:11], -v[110:111], v[154:155], v[10:11]
	;; [unrolled: 1-line block ×3, first 2 shown]
.LBB122_148:
	s_or_b32 exec_lo, exec_lo, s0
	v_lshl_add_u32 v0, v139, 3, v136
	s_barrier
	buffer_gl0_inv
	v_mov_b32_e32 v130, 9
	ds_write_b64 v0, v[108:109]
	s_waitcnt lgkmcnt(0)
	s_barrier
	buffer_gl0_inv
	ds_read_b64 v[0:1], v136 offset:72
	s_cmp_lt_i32 s7, 11
	s_cbranch_scc1 .LBB122_151
; %bb.149:
	v_add3_u32 v131, v137, 0, 0x50
	v_mov_b32_e32 v130, 9
	s_mov_b32 s0, 10
.LBB122_150:                            ; =>This Inner Loop Header: Depth=1
	ds_read_b64 v[140:141], v131
	v_add_nc_u32_e32 v131, 8, v131
	s_waitcnt lgkmcnt(0)
	v_cmp_lt_f64_e64 vcc_lo, |v[0:1]|, |v[140:141]|
	v_cndmask_b32_e32 v1, v1, v141, vcc_lo
	v_cndmask_b32_e32 v0, v0, v140, vcc_lo
	v_cndmask_b32_e64 v130, v130, s0, vcc_lo
	s_add_i32 s0, s0, 1
	s_cmp_lg_u32 s7, s0
	s_cbranch_scc1 .LBB122_150
.LBB122_151:
	s_mov_b32 s0, exec_lo
	s_waitcnt lgkmcnt(0)
	v_cmpx_eq_f64_e32 0, v[0:1]
	s_xor_b32 s0, exec_lo, s0
; %bb.152:
	v_cmp_ne_u32_e32 vcc_lo, 0, v133
	v_cndmask_b32_e32 v133, 10, v133, vcc_lo
; %bb.153:
	s_andn2_saveexec_b32 s0, s0
	s_cbranch_execz .LBB122_155
; %bb.154:
	v_div_scale_f64 v[131:132], null, v[0:1], v[0:1], 1.0
	v_rcp_f64_e32 v[140:141], v[131:132]
	v_fma_f64 v[142:143], -v[131:132], v[140:141], 1.0
	v_fma_f64 v[140:141], v[140:141], v[142:143], v[140:141]
	v_fma_f64 v[142:143], -v[131:132], v[140:141], 1.0
	v_fma_f64 v[140:141], v[140:141], v[142:143], v[140:141]
	v_div_scale_f64 v[142:143], vcc_lo, 1.0, v[0:1], 1.0
	v_mul_f64 v[144:145], v[142:143], v[140:141]
	v_fma_f64 v[131:132], -v[131:132], v[144:145], v[142:143]
	v_div_fmas_f64 v[131:132], v[131:132], v[140:141], v[144:145]
	v_div_fixup_f64 v[0:1], v[131:132], v[0:1], 1.0
.LBB122_155:
	s_or_b32 exec_lo, exec_lo, s0
	s_mov_b32 s0, exec_lo
	v_cmpx_ne_u32_e64 v139, v130
	s_xor_b32 s0, exec_lo, s0
	s_cbranch_execz .LBB122_161
; %bb.156:
	s_mov_b32 s1, exec_lo
	v_cmpx_eq_u32_e32 9, v139
	s_cbranch_execz .LBB122_160
; %bb.157:
	v_cmp_ne_u32_e32 vcc_lo, 9, v130
	s_xor_b32 s2, s6, -1
	s_and_b32 s3, s2, vcc_lo
	s_and_saveexec_b32 s2, s3
	s_cbranch_execz .LBB122_159
; %bb.158:
	v_ashrrev_i32_e32 v131, 31, v130
	v_lshlrev_b64 v[131:132], 2, v[130:131]
	v_add_co_u32 v131, vcc_lo, v4, v131
	v_add_co_ci_u32_e64 v132, null, v5, v132, vcc_lo
	s_clause 0x1
	global_load_dword v138, v[131:132], off
	global_load_dword v139, v[4:5], off offset:36
	s_waitcnt vmcnt(1)
	global_store_dword v[4:5], v138, off offset:36
	s_waitcnt vmcnt(0)
	global_store_dword v[131:132], v139, off
.LBB122_159:
	s_or_b32 exec_lo, exec_lo, s2
	v_mov_b32_e32 v138, v130
	v_mov_b32_e32 v139, v130
.LBB122_160:
	s_or_b32 exec_lo, exec_lo, s1
.LBB122_161:
	s_andn2_saveexec_b32 s0, s0
	s_cbranch_execz .LBB122_163
; %bb.162:
	v_mov_b32_e32 v130, v106
	v_mov_b32_e32 v131, v107
	;; [unrolled: 1-line block ×8, first 2 shown]
	ds_write2_b64 v136, v[130:131], v[139:140] offset0:10 offset1:11
	ds_write2_b64 v136, v[141:142], v[143:144] offset0:12 offset1:13
	v_mov_b32_e32 v130, v100
	v_mov_b32_e32 v131, v101
	v_mov_b32_e32 v139, v94
	v_mov_b32_e32 v140, v95
	v_mov_b32_e32 v141, v96
	v_mov_b32_e32 v142, v97
	v_mov_b32_e32 v143, v92
	v_mov_b32_e32 v144, v93
	v_mov_b32_e32 v145, v90
	v_mov_b32_e32 v146, v91
	v_mov_b32_e32 v147, v88
	v_mov_b32_e32 v148, v89
	v_mov_b32_e32 v149, v86
	v_mov_b32_e32 v150, v87
	v_mov_b32_e32 v151, v84
	v_mov_b32_e32 v152, v85
	v_mov_b32_e32 v153, v82
	v_mov_b32_e32 v154, v83
	v_mov_b32_e32 v155, v78
	v_mov_b32_e32 v156, v79
	ds_write2_b64 v136, v[130:131], v[139:140] offset0:14 offset1:15
	ds_write2_b64 v136, v[141:142], v[143:144] offset0:16 offset1:17
	ds_write2_b64 v136, v[145:146], v[147:148] offset0:18 offset1:19
	ds_write2_b64 v136, v[149:150], v[151:152] offset0:20 offset1:21
	ds_write2_b64 v136, v[153:154], v[155:156] offset0:22 offset1:23
	v_mov_b32_e32 v130, v80
	v_mov_b32_e32 v131, v81
	v_mov_b32_e32 v139, v74
	v_mov_b32_e32 v140, v75
	v_mov_b32_e32 v141, v76
	v_mov_b32_e32 v142, v77
	v_mov_b32_e32 v143, v72
	v_mov_b32_e32 v144, v73
	v_mov_b32_e32 v145, v70
	v_mov_b32_e32 v146, v71
	v_mov_b32_e32 v147, v68
	v_mov_b32_e32 v148, v69
	v_mov_b32_e32 v149, v66
	v_mov_b32_e32 v150, v67
	v_mov_b32_e32 v151, v64
	v_mov_b32_e32 v152, v65
	v_mov_b32_e32 v153, v62
	v_mov_b32_e32 v154, v63
	v_mov_b32_e32 v155, v58
	v_mov_b32_e32 v156, v59
	ds_write2_b64 v136, v[130:131], v[139:140] offset0:24 offset1:25
	ds_write2_b64 v136, v[141:142], v[143:144] offset0:26 offset1:27
	ds_write2_b64 v136, v[145:146], v[147:148] offset0:28 offset1:29
	;; [unrolled: 25-line block ×4, first 2 shown]
	ds_write2_b64 v136, v[149:150], v[151:152] offset0:50 offset1:51
	ds_write2_b64 v136, v[153:154], v[155:156] offset0:52 offset1:53
	v_mov_b32_e32 v130, v20
	v_mov_b32_e32 v131, v21
	;; [unrolled: 1-line block ×15, first 2 shown]
	ds_write2_b64 v136, v[130:131], v[140:141] offset0:54 offset1:55
	ds_write2_b64 v136, v[142:143], v[144:145] offset0:56 offset1:57
	;; [unrolled: 1-line block ×4, first 2 shown]
.LBB122_163:
	s_or_b32 exec_lo, exec_lo, s0
	s_mov_b32 s0, exec_lo
	s_waitcnt lgkmcnt(0)
	s_waitcnt_vscnt null, 0x0
	s_barrier
	buffer_gl0_inv
	v_cmpx_lt_i32_e32 9, v139
	s_cbranch_execz .LBB122_165
; %bb.164:
	v_mul_f64 v[108:109], v[0:1], v[108:109]
	ds_read2_b64 v[140:143], v136 offset0:10 offset1:11
	ds_read2_b64 v[144:147], v136 offset0:12 offset1:13
	;; [unrolled: 1-line block ×12, first 2 shown]
	s_waitcnt lgkmcnt(11)
	v_fma_f64 v[106:107], -v[108:109], v[140:141], v[106:107]
	v_fma_f64 v[104:105], -v[108:109], v[142:143], v[104:105]
	s_waitcnt lgkmcnt(10)
	v_fma_f64 v[102:103], -v[108:109], v[144:145], v[102:103]
	v_fma_f64 v[98:99], -v[108:109], v[146:147], v[98:99]
	;; [unrolled: 3-line block ×3, first 2 shown]
	ds_read2_b64 v[140:143], v136 offset0:34 offset1:35
	ds_read2_b64 v[144:147], v136 offset0:36 offset1:37
	;; [unrolled: 1-line block ×3, first 2 shown]
	s_waitcnt lgkmcnt(11)
	v_fma_f64 v[96:97], -v[108:109], v[152:153], v[96:97]
	v_fma_f64 v[92:93], -v[108:109], v[154:155], v[92:93]
	s_waitcnt lgkmcnt(10)
	v_fma_f64 v[90:91], -v[108:109], v[156:157], v[90:91]
	v_fma_f64 v[88:89], -v[108:109], v[158:159], v[88:89]
	;; [unrolled: 3-line block ×7, first 2 shown]
	ds_read2_b64 v[152:155], v136 offset0:40 offset1:41
	s_waitcnt lgkmcnt(5)
	v_fma_f64 v[66:67], -v[108:109], v[180:181], v[66:67]
	v_fma_f64 v[64:65], -v[108:109], v[182:183], v[64:65]
	ds_read2_b64 v[156:159], v136 offset0:42 offset1:43
	ds_read2_b64 v[160:163], v136 offset0:44 offset1:45
	;; [unrolled: 1-line block ×4, first 2 shown]
	s_waitcnt lgkmcnt(7)
	v_fma_f64 v[60:61], -v[108:109], v[140:141], v[60:61]
	v_fma_f64 v[54:55], -v[108:109], v[142:143], v[54:55]
	ds_read2_b64 v[140:143], v136 offset0:50 offset1:51
	ds_read2_b64 v[172:175], v136 offset0:52 offset1:53
	s_waitcnt lgkmcnt(8)
	v_fma_f64 v[56:57], -v[108:109], v[144:145], v[56:57]
	v_fma_f64 v[52:53], -v[108:109], v[146:147], v[52:53]
	ds_read2_b64 v[144:147], v136 offset0:54 offset1:55
	ds_read2_b64 v[176:179], v136 offset0:56 offset1:57
	;; [unrolled: 5-line block ×3, first 2 shown]
	v_fma_f64 v[62:63], -v[108:109], v[184:185], v[62:63]
	v_fma_f64 v[58:59], -v[108:109], v[186:187], v[58:59]
	s_waitcnt lgkmcnt(10)
	v_fma_f64 v[46:47], -v[108:109], v[152:153], v[46:47]
	v_fma_f64 v[44:45], -v[108:109], v[154:155], v[44:45]
	s_waitcnt lgkmcnt(9)
	;; [unrolled: 3-line block ×11, first 2 shown]
	v_fma_f64 v[10:11], -v[108:109], v[180:181], v[10:11]
	v_fma_f64 v[128:129], -v[108:109], v[182:183], v[128:129]
.LBB122_165:
	s_or_b32 exec_lo, exec_lo, s0
	v_lshl_add_u32 v0, v139, 3, v136
	s_barrier
	buffer_gl0_inv
	v_mov_b32_e32 v130, 10
	ds_write_b64 v0, v[106:107]
	s_waitcnt lgkmcnt(0)
	s_barrier
	buffer_gl0_inv
	ds_read_b64 v[0:1], v136 offset:80
	s_cmp_lt_i32 s7, 12
	s_cbranch_scc1 .LBB122_168
; %bb.166:
	v_add3_u32 v131, v137, 0, 0x58
	v_mov_b32_e32 v130, 10
	s_mov_b32 s0, 11
.LBB122_167:                            ; =>This Inner Loop Header: Depth=1
	ds_read_b64 v[140:141], v131
	v_add_nc_u32_e32 v131, 8, v131
	s_waitcnt lgkmcnt(0)
	v_cmp_lt_f64_e64 vcc_lo, |v[0:1]|, |v[140:141]|
	v_cndmask_b32_e32 v1, v1, v141, vcc_lo
	v_cndmask_b32_e32 v0, v0, v140, vcc_lo
	v_cndmask_b32_e64 v130, v130, s0, vcc_lo
	s_add_i32 s0, s0, 1
	s_cmp_lg_u32 s7, s0
	s_cbranch_scc1 .LBB122_167
.LBB122_168:
	s_mov_b32 s0, exec_lo
	s_waitcnt lgkmcnt(0)
	v_cmpx_eq_f64_e32 0, v[0:1]
	s_xor_b32 s0, exec_lo, s0
; %bb.169:
	v_cmp_ne_u32_e32 vcc_lo, 0, v133
	v_cndmask_b32_e32 v133, 11, v133, vcc_lo
; %bb.170:
	s_andn2_saveexec_b32 s0, s0
	s_cbranch_execz .LBB122_172
; %bb.171:
	v_div_scale_f64 v[131:132], null, v[0:1], v[0:1], 1.0
	v_rcp_f64_e32 v[140:141], v[131:132]
	v_fma_f64 v[142:143], -v[131:132], v[140:141], 1.0
	v_fma_f64 v[140:141], v[140:141], v[142:143], v[140:141]
	v_fma_f64 v[142:143], -v[131:132], v[140:141], 1.0
	v_fma_f64 v[140:141], v[140:141], v[142:143], v[140:141]
	v_div_scale_f64 v[142:143], vcc_lo, 1.0, v[0:1], 1.0
	v_mul_f64 v[144:145], v[142:143], v[140:141]
	v_fma_f64 v[131:132], -v[131:132], v[144:145], v[142:143]
	v_div_fmas_f64 v[131:132], v[131:132], v[140:141], v[144:145]
	v_div_fixup_f64 v[0:1], v[131:132], v[0:1], 1.0
.LBB122_172:
	s_or_b32 exec_lo, exec_lo, s0
	s_mov_b32 s0, exec_lo
	v_cmpx_ne_u32_e64 v139, v130
	s_xor_b32 s0, exec_lo, s0
	s_cbranch_execz .LBB122_178
; %bb.173:
	s_mov_b32 s1, exec_lo
	v_cmpx_eq_u32_e32 10, v139
	s_cbranch_execz .LBB122_177
; %bb.174:
	v_cmp_ne_u32_e32 vcc_lo, 10, v130
	s_xor_b32 s2, s6, -1
	s_and_b32 s3, s2, vcc_lo
	s_and_saveexec_b32 s2, s3
	s_cbranch_execz .LBB122_176
; %bb.175:
	v_ashrrev_i32_e32 v131, 31, v130
	v_lshlrev_b64 v[131:132], 2, v[130:131]
	v_add_co_u32 v131, vcc_lo, v4, v131
	v_add_co_ci_u32_e64 v132, null, v5, v132, vcc_lo
	s_clause 0x1
	global_load_dword v138, v[131:132], off
	global_load_dword v139, v[4:5], off offset:40
	s_waitcnt vmcnt(1)
	global_store_dword v[4:5], v138, off offset:40
	s_waitcnt vmcnt(0)
	global_store_dword v[131:132], v139, off
.LBB122_176:
	s_or_b32 exec_lo, exec_lo, s2
	v_mov_b32_e32 v138, v130
	v_mov_b32_e32 v139, v130
.LBB122_177:
	s_or_b32 exec_lo, exec_lo, s1
.LBB122_178:
	s_andn2_saveexec_b32 s0, s0
	s_cbranch_execz .LBB122_180
; %bb.179:
	v_mov_b32_e32 v139, 10
	ds_write2_b64 v136, v[104:105], v[102:103] offset0:11 offset1:12
	ds_write2_b64 v136, v[98:99], v[100:101] offset0:13 offset1:14
	ds_write2_b64 v136, v[94:95], v[96:97] offset0:15 offset1:16
	ds_write2_b64 v136, v[92:93], v[90:91] offset0:17 offset1:18
	ds_write2_b64 v136, v[88:89], v[86:87] offset0:19 offset1:20
	ds_write2_b64 v136, v[84:85], v[82:83] offset0:21 offset1:22
	ds_write2_b64 v136, v[78:79], v[80:81] offset0:23 offset1:24
	ds_write2_b64 v136, v[74:75], v[76:77] offset0:25 offset1:26
	ds_write2_b64 v136, v[72:73], v[70:71] offset0:27 offset1:28
	ds_write2_b64 v136, v[68:69], v[66:67] offset0:29 offset1:30
	ds_write2_b64 v136, v[64:65], v[62:63] offset0:31 offset1:32
	ds_write2_b64 v136, v[58:59], v[60:61] offset0:33 offset1:34
	ds_write2_b64 v136, v[54:55], v[56:57] offset0:35 offset1:36
	ds_write2_b64 v136, v[52:53], v[50:51] offset0:37 offset1:38
	ds_write2_b64 v136, v[48:49], v[46:47] offset0:39 offset1:40
	ds_write2_b64 v136, v[44:45], v[42:43] offset0:41 offset1:42
	ds_write2_b64 v136, v[38:39], v[40:41] offset0:43 offset1:44
	ds_write2_b64 v136, v[34:35], v[36:37] offset0:45 offset1:46
	ds_write2_b64 v136, v[32:33], v[30:31] offset0:47 offset1:48
	ds_write2_b64 v136, v[28:29], v[26:27] offset0:49 offset1:50
	ds_write2_b64 v136, v[24:25], v[22:23] offset0:51 offset1:52
	ds_write2_b64 v136, v[18:19], v[20:21] offset0:53 offset1:54
	ds_write2_b64 v136, v[16:17], v[14:15] offset0:55 offset1:56
	ds_write2_b64 v136, v[8:9], v[12:13] offset0:57 offset1:58
	ds_write2_b64 v136, v[6:7], v[10:11] offset0:59 offset1:60
	ds_write_b64 v136, v[128:129] offset:488
.LBB122_180:
	s_or_b32 exec_lo, exec_lo, s0
	s_mov_b32 s0, exec_lo
	s_waitcnt lgkmcnt(0)
	s_waitcnt_vscnt null, 0x0
	s_barrier
	buffer_gl0_inv
	v_cmpx_lt_i32_e32 10, v139
	s_cbranch_execz .LBB122_182
; %bb.181:
	v_mul_f64 v[106:107], v[0:1], v[106:107]
	ds_read2_b64 v[140:143], v136 offset0:11 offset1:12
	ds_read2_b64 v[144:147], v136 offset0:13 offset1:14
	;; [unrolled: 1-line block ×12, first 2 shown]
	ds_read_b64 v[0:1], v136 offset:488
	s_waitcnt lgkmcnt(12)
	v_fma_f64 v[104:105], -v[106:107], v[140:141], v[104:105]
	v_fma_f64 v[102:103], -v[106:107], v[142:143], v[102:103]
	s_waitcnt lgkmcnt(11)
	v_fma_f64 v[98:99], -v[106:107], v[144:145], v[98:99]
	v_fma_f64 v[100:101], -v[106:107], v[146:147], v[100:101]
	;; [unrolled: 3-line block ×3, first 2 shown]
	ds_read2_b64 v[140:143], v136 offset0:35 offset1:36
	ds_read2_b64 v[144:147], v136 offset0:37 offset1:38
	ds_read2_b64 v[148:151], v136 offset0:39 offset1:40
	s_waitcnt lgkmcnt(12)
	v_fma_f64 v[92:93], -v[106:107], v[152:153], v[92:93]
	v_fma_f64 v[90:91], -v[106:107], v[154:155], v[90:91]
	s_waitcnt lgkmcnt(11)
	v_fma_f64 v[88:89], -v[106:107], v[156:157], v[88:89]
	v_fma_f64 v[86:87], -v[106:107], v[158:159], v[86:87]
	;; [unrolled: 3-line block ×7, first 2 shown]
	ds_read2_b64 v[152:155], v136 offset0:41 offset1:42
	ds_read2_b64 v[156:159], v136 offset0:43 offset1:44
	;; [unrolled: 1-line block ×5, first 2 shown]
	s_waitcnt lgkmcnt(7)
	v_fma_f64 v[54:55], -v[106:107], v[140:141], v[54:55]
	v_fma_f64 v[56:57], -v[106:107], v[142:143], v[56:57]
	ds_read2_b64 v[140:143], v136 offset0:51 offset1:52
	ds_read2_b64 v[172:175], v136 offset0:53 offset1:54
	s_waitcnt lgkmcnt(8)
	v_fma_f64 v[52:53], -v[106:107], v[144:145], v[52:53]
	v_fma_f64 v[50:51], -v[106:107], v[146:147], v[50:51]
	ds_read2_b64 v[144:147], v136 offset0:55 offset1:56
	ds_read2_b64 v[176:179], v136 offset0:57 offset1:58
	s_waitcnt lgkmcnt(9)
	v_fma_f64 v[48:49], -v[106:107], v[148:149], v[48:49]
	v_fma_f64 v[46:47], -v[106:107], v[150:151], v[46:47]
	ds_read2_b64 v[148:151], v136 offset0:59 offset1:60
	v_fma_f64 v[64:65], -v[106:107], v[180:181], v[64:65]
	v_fma_f64 v[62:63], -v[106:107], v[182:183], v[62:63]
	;; [unrolled: 1-line block ×4, first 2 shown]
	s_waitcnt lgkmcnt(9)
	v_fma_f64 v[44:45], -v[106:107], v[152:153], v[44:45]
	v_fma_f64 v[42:43], -v[106:107], v[154:155], v[42:43]
	s_waitcnt lgkmcnt(8)
	v_fma_f64 v[38:39], -v[106:107], v[156:157], v[38:39]
	v_fma_f64 v[40:41], -v[106:107], v[158:159], v[40:41]
	;; [unrolled: 3-line block ×10, first 2 shown]
	v_fma_f64 v[128:129], -v[106:107], v[0:1], v[128:129]
.LBB122_182:
	s_or_b32 exec_lo, exec_lo, s0
	v_lshl_add_u32 v0, v139, 3, v136
	s_barrier
	buffer_gl0_inv
	v_mov_b32_e32 v130, 11
	ds_write_b64 v0, v[104:105]
	s_waitcnt lgkmcnt(0)
	s_barrier
	buffer_gl0_inv
	ds_read_b64 v[0:1], v136 offset:88
	s_cmp_lt_i32 s7, 13
	s_cbranch_scc1 .LBB122_185
; %bb.183:
	v_add3_u32 v131, v137, 0, 0x60
	v_mov_b32_e32 v130, 11
	s_mov_b32 s0, 12
.LBB122_184:                            ; =>This Inner Loop Header: Depth=1
	ds_read_b64 v[140:141], v131
	v_add_nc_u32_e32 v131, 8, v131
	s_waitcnt lgkmcnt(0)
	v_cmp_lt_f64_e64 vcc_lo, |v[0:1]|, |v[140:141]|
	v_cndmask_b32_e32 v1, v1, v141, vcc_lo
	v_cndmask_b32_e32 v0, v0, v140, vcc_lo
	v_cndmask_b32_e64 v130, v130, s0, vcc_lo
	s_add_i32 s0, s0, 1
	s_cmp_lg_u32 s7, s0
	s_cbranch_scc1 .LBB122_184
.LBB122_185:
	s_mov_b32 s0, exec_lo
	s_waitcnt lgkmcnt(0)
	v_cmpx_eq_f64_e32 0, v[0:1]
	s_xor_b32 s0, exec_lo, s0
; %bb.186:
	v_cmp_ne_u32_e32 vcc_lo, 0, v133
	v_cndmask_b32_e32 v133, 12, v133, vcc_lo
; %bb.187:
	s_andn2_saveexec_b32 s0, s0
	s_cbranch_execz .LBB122_189
; %bb.188:
	v_div_scale_f64 v[131:132], null, v[0:1], v[0:1], 1.0
	v_rcp_f64_e32 v[140:141], v[131:132]
	v_fma_f64 v[142:143], -v[131:132], v[140:141], 1.0
	v_fma_f64 v[140:141], v[140:141], v[142:143], v[140:141]
	v_fma_f64 v[142:143], -v[131:132], v[140:141], 1.0
	v_fma_f64 v[140:141], v[140:141], v[142:143], v[140:141]
	v_div_scale_f64 v[142:143], vcc_lo, 1.0, v[0:1], 1.0
	v_mul_f64 v[144:145], v[142:143], v[140:141]
	v_fma_f64 v[131:132], -v[131:132], v[144:145], v[142:143]
	v_div_fmas_f64 v[131:132], v[131:132], v[140:141], v[144:145]
	v_div_fixup_f64 v[0:1], v[131:132], v[0:1], 1.0
.LBB122_189:
	s_or_b32 exec_lo, exec_lo, s0
	s_mov_b32 s0, exec_lo
	v_cmpx_ne_u32_e64 v139, v130
	s_xor_b32 s0, exec_lo, s0
	s_cbranch_execz .LBB122_195
; %bb.190:
	s_mov_b32 s1, exec_lo
	v_cmpx_eq_u32_e32 11, v139
	s_cbranch_execz .LBB122_194
; %bb.191:
	v_cmp_ne_u32_e32 vcc_lo, 11, v130
	s_xor_b32 s2, s6, -1
	s_and_b32 s3, s2, vcc_lo
	s_and_saveexec_b32 s2, s3
	s_cbranch_execz .LBB122_193
; %bb.192:
	v_ashrrev_i32_e32 v131, 31, v130
	v_lshlrev_b64 v[131:132], 2, v[130:131]
	v_add_co_u32 v131, vcc_lo, v4, v131
	v_add_co_ci_u32_e64 v132, null, v5, v132, vcc_lo
	s_clause 0x1
	global_load_dword v138, v[131:132], off
	global_load_dword v139, v[4:5], off offset:44
	s_waitcnt vmcnt(1)
	global_store_dword v[4:5], v138, off offset:44
	s_waitcnt vmcnt(0)
	global_store_dword v[131:132], v139, off
.LBB122_193:
	s_or_b32 exec_lo, exec_lo, s2
	v_mov_b32_e32 v138, v130
	v_mov_b32_e32 v139, v130
.LBB122_194:
	s_or_b32 exec_lo, exec_lo, s1
.LBB122_195:
	s_andn2_saveexec_b32 s0, s0
	s_cbranch_execz .LBB122_197
; %bb.196:
	v_mov_b32_e32 v130, v102
	v_mov_b32_e32 v131, v103
	;; [unrolled: 1-line block ×8, first 2 shown]
	ds_write2_b64 v136, v[130:131], v[139:140] offset0:12 offset1:13
	v_mov_b32_e32 v130, v94
	v_mov_b32_e32 v131, v95
	v_mov_b32_e32 v139, v96
	v_mov_b32_e32 v140, v97
	v_mov_b32_e32 v145, v90
	v_mov_b32_e32 v146, v91
	v_mov_b32_e32 v147, v88
	v_mov_b32_e32 v148, v89
	v_mov_b32_e32 v149, v86
	v_mov_b32_e32 v150, v87
	v_mov_b32_e32 v151, v84
	v_mov_b32_e32 v152, v85
	v_mov_b32_e32 v153, v82
	v_mov_b32_e32 v154, v83
	v_mov_b32_e32 v155, v78
	v_mov_b32_e32 v156, v79
	ds_write2_b64 v136, v[141:142], v[130:131] offset0:14 offset1:15
	ds_write2_b64 v136, v[139:140], v[143:144] offset0:16 offset1:17
	ds_write2_b64 v136, v[145:146], v[147:148] offset0:18 offset1:19
	ds_write2_b64 v136, v[149:150], v[151:152] offset0:20 offset1:21
	ds_write2_b64 v136, v[153:154], v[155:156] offset0:22 offset1:23
	v_mov_b32_e32 v130, v80
	v_mov_b32_e32 v131, v81
	v_mov_b32_e32 v139, v74
	v_mov_b32_e32 v140, v75
	v_mov_b32_e32 v141, v76
	v_mov_b32_e32 v142, v77
	v_mov_b32_e32 v143, v72
	v_mov_b32_e32 v144, v73
	v_mov_b32_e32 v145, v70
	v_mov_b32_e32 v146, v71
	v_mov_b32_e32 v147, v68
	v_mov_b32_e32 v148, v69
	v_mov_b32_e32 v149, v66
	v_mov_b32_e32 v150, v67
	v_mov_b32_e32 v151, v64
	v_mov_b32_e32 v152, v65
	v_mov_b32_e32 v153, v62
	v_mov_b32_e32 v154, v63
	v_mov_b32_e32 v155, v58
	v_mov_b32_e32 v156, v59
	ds_write2_b64 v136, v[130:131], v[139:140] offset0:24 offset1:25
	ds_write2_b64 v136, v[141:142], v[143:144] offset0:26 offset1:27
	ds_write2_b64 v136, v[145:146], v[147:148] offset0:28 offset1:29
	ds_write2_b64 v136, v[149:150], v[151:152] offset0:30 offset1:31
	ds_write2_b64 v136, v[153:154], v[155:156] offset0:32 offset1:33
	v_mov_b32_e32 v130, v60
	v_mov_b32_e32 v131, v61
	v_mov_b32_e32 v139, v54
	v_mov_b32_e32 v140, v55
	;; [unrolled: 25-line block ×4, first 2 shown]
	v_mov_b32_e32 v139, 11
	v_mov_b32_e32 v142, v14
	;; [unrolled: 1-line block ×11, first 2 shown]
	ds_write2_b64 v136, v[130:131], v[140:141] offset0:54 offset1:55
	ds_write2_b64 v136, v[142:143], v[144:145] offset0:56 offset1:57
	;; [unrolled: 1-line block ×4, first 2 shown]
.LBB122_197:
	s_or_b32 exec_lo, exec_lo, s0
	s_mov_b32 s0, exec_lo
	s_waitcnt lgkmcnt(0)
	s_waitcnt_vscnt null, 0x0
	s_barrier
	buffer_gl0_inv
	v_cmpx_lt_i32_e32 11, v139
	s_cbranch_execz .LBB122_199
; %bb.198:
	v_mul_f64 v[104:105], v[0:1], v[104:105]
	ds_read2_b64 v[140:143], v136 offset0:12 offset1:13
	ds_read2_b64 v[144:147], v136 offset0:14 offset1:15
	ds_read2_b64 v[148:151], v136 offset0:16 offset1:17
	ds_read2_b64 v[152:155], v136 offset0:18 offset1:19
	ds_read2_b64 v[156:159], v136 offset0:20 offset1:21
	ds_read2_b64 v[160:163], v136 offset0:22 offset1:23
	ds_read2_b64 v[164:167], v136 offset0:24 offset1:25
	ds_read2_b64 v[168:171], v136 offset0:26 offset1:27
	ds_read2_b64 v[172:175], v136 offset0:28 offset1:29
	ds_read2_b64 v[176:179], v136 offset0:30 offset1:31
	ds_read2_b64 v[180:183], v136 offset0:32 offset1:33
	ds_read2_b64 v[184:187], v136 offset0:34 offset1:35
	s_waitcnt lgkmcnt(11)
	v_fma_f64 v[102:103], -v[104:105], v[140:141], v[102:103]
	v_fma_f64 v[98:99], -v[104:105], v[142:143], v[98:99]
	s_waitcnt lgkmcnt(10)
	v_fma_f64 v[100:101], -v[104:105], v[144:145], v[100:101]
	v_fma_f64 v[94:95], -v[104:105], v[146:147], v[94:95]
	ds_read2_b64 v[140:143], v136 offset0:36 offset1:37
	ds_read2_b64 v[144:147], v136 offset0:38 offset1:39
	s_waitcnt lgkmcnt(11)
	v_fma_f64 v[96:97], -v[104:105], v[148:149], v[96:97]
	v_fma_f64 v[92:93], -v[104:105], v[150:151], v[92:93]
	s_waitcnt lgkmcnt(10)
	v_fma_f64 v[90:91], -v[104:105], v[152:153], v[90:91]
	v_fma_f64 v[88:89], -v[104:105], v[154:155], v[88:89]
	;; [unrolled: 3-line block ×7, first 2 shown]
	ds_read2_b64 v[148:151], v136 offset0:40 offset1:41
	ds_read2_b64 v[152:155], v136 offset0:42 offset1:43
	s_waitcnt lgkmcnt(6)
	v_fma_f64 v[66:67], -v[104:105], v[176:177], v[66:67]
	v_fma_f64 v[64:65], -v[104:105], v[178:179], v[64:65]
	s_waitcnt lgkmcnt(5)
	v_fma_f64 v[62:63], -v[104:105], v[180:181], v[62:63]
	ds_read2_b64 v[156:159], v136 offset0:44 offset1:45
	ds_read2_b64 v[160:163], v136 offset0:46 offset1:47
	v_fma_f64 v[58:59], -v[104:105], v[182:183], v[58:59]
	ds_read2_b64 v[164:167], v136 offset0:48 offset1:49
	ds_read2_b64 v[168:171], v136 offset0:50 offset1:51
	s_waitcnt lgkmcnt(7)
	v_fma_f64 v[56:57], -v[104:105], v[140:141], v[56:57]
	ds_read2_b64 v[172:175], v136 offset0:52 offset1:53
	v_fma_f64 v[52:53], -v[104:105], v[142:143], v[52:53]
	ds_read2_b64 v[140:143], v136 offset0:54 offset1:55
	s_waitcnt lgkmcnt(8)
	v_fma_f64 v[50:51], -v[104:105], v[144:145], v[50:51]
	ds_read2_b64 v[176:179], v136 offset0:56 offset1:57
	v_fma_f64 v[48:49], -v[104:105], v[146:147], v[48:49]
	ds_read2_b64 v[144:147], v136 offset0:58 offset1:59
	ds_read2_b64 v[180:183], v136 offset0:60 offset1:61
	v_fma_f64 v[60:61], -v[104:105], v[184:185], v[60:61]
	v_fma_f64 v[54:55], -v[104:105], v[186:187], v[54:55]
	s_waitcnt lgkmcnt(10)
	v_fma_f64 v[46:47], -v[104:105], v[148:149], v[46:47]
	v_fma_f64 v[44:45], -v[104:105], v[150:151], v[44:45]
	s_waitcnt lgkmcnt(9)
	;; [unrolled: 3-line block ×11, first 2 shown]
	v_fma_f64 v[10:11], -v[104:105], v[180:181], v[10:11]
	v_fma_f64 v[128:129], -v[104:105], v[182:183], v[128:129]
.LBB122_199:
	s_or_b32 exec_lo, exec_lo, s0
	v_lshl_add_u32 v0, v139, 3, v136
	s_barrier
	buffer_gl0_inv
	v_mov_b32_e32 v130, 12
	ds_write_b64 v0, v[102:103]
	s_waitcnt lgkmcnt(0)
	s_barrier
	buffer_gl0_inv
	ds_read_b64 v[0:1], v136 offset:96
	s_cmp_lt_i32 s7, 14
	s_cbranch_scc1 .LBB122_202
; %bb.200:
	v_add3_u32 v131, v137, 0, 0x68
	v_mov_b32_e32 v130, 12
	s_mov_b32 s0, 13
.LBB122_201:                            ; =>This Inner Loop Header: Depth=1
	ds_read_b64 v[140:141], v131
	v_add_nc_u32_e32 v131, 8, v131
	s_waitcnt lgkmcnt(0)
	v_cmp_lt_f64_e64 vcc_lo, |v[0:1]|, |v[140:141]|
	v_cndmask_b32_e32 v1, v1, v141, vcc_lo
	v_cndmask_b32_e32 v0, v0, v140, vcc_lo
	v_cndmask_b32_e64 v130, v130, s0, vcc_lo
	s_add_i32 s0, s0, 1
	s_cmp_lg_u32 s7, s0
	s_cbranch_scc1 .LBB122_201
.LBB122_202:
	s_mov_b32 s0, exec_lo
	s_waitcnt lgkmcnt(0)
	v_cmpx_eq_f64_e32 0, v[0:1]
	s_xor_b32 s0, exec_lo, s0
; %bb.203:
	v_cmp_ne_u32_e32 vcc_lo, 0, v133
	v_cndmask_b32_e32 v133, 13, v133, vcc_lo
; %bb.204:
	s_andn2_saveexec_b32 s0, s0
	s_cbranch_execz .LBB122_206
; %bb.205:
	v_div_scale_f64 v[131:132], null, v[0:1], v[0:1], 1.0
	v_rcp_f64_e32 v[140:141], v[131:132]
	v_fma_f64 v[142:143], -v[131:132], v[140:141], 1.0
	v_fma_f64 v[140:141], v[140:141], v[142:143], v[140:141]
	v_fma_f64 v[142:143], -v[131:132], v[140:141], 1.0
	v_fma_f64 v[140:141], v[140:141], v[142:143], v[140:141]
	v_div_scale_f64 v[142:143], vcc_lo, 1.0, v[0:1], 1.0
	v_mul_f64 v[144:145], v[142:143], v[140:141]
	v_fma_f64 v[131:132], -v[131:132], v[144:145], v[142:143]
	v_div_fmas_f64 v[131:132], v[131:132], v[140:141], v[144:145]
	v_div_fixup_f64 v[0:1], v[131:132], v[0:1], 1.0
.LBB122_206:
	s_or_b32 exec_lo, exec_lo, s0
	s_mov_b32 s0, exec_lo
	v_cmpx_ne_u32_e64 v139, v130
	s_xor_b32 s0, exec_lo, s0
	s_cbranch_execz .LBB122_212
; %bb.207:
	s_mov_b32 s1, exec_lo
	v_cmpx_eq_u32_e32 12, v139
	s_cbranch_execz .LBB122_211
; %bb.208:
	v_cmp_ne_u32_e32 vcc_lo, 12, v130
	s_xor_b32 s2, s6, -1
	s_and_b32 s3, s2, vcc_lo
	s_and_saveexec_b32 s2, s3
	s_cbranch_execz .LBB122_210
; %bb.209:
	v_ashrrev_i32_e32 v131, 31, v130
	v_lshlrev_b64 v[131:132], 2, v[130:131]
	v_add_co_u32 v131, vcc_lo, v4, v131
	v_add_co_ci_u32_e64 v132, null, v5, v132, vcc_lo
	s_clause 0x1
	global_load_dword v138, v[131:132], off
	global_load_dword v139, v[4:5], off offset:48
	s_waitcnt vmcnt(1)
	global_store_dword v[4:5], v138, off offset:48
	s_waitcnt vmcnt(0)
	global_store_dword v[131:132], v139, off
.LBB122_210:
	s_or_b32 exec_lo, exec_lo, s2
	v_mov_b32_e32 v138, v130
	v_mov_b32_e32 v139, v130
.LBB122_211:
	s_or_b32 exec_lo, exec_lo, s1
.LBB122_212:
	s_andn2_saveexec_b32 s0, s0
	s_cbranch_execz .LBB122_214
; %bb.213:
	v_mov_b32_e32 v139, 12
	ds_write2_b64 v136, v[98:99], v[100:101] offset0:13 offset1:14
	ds_write2_b64 v136, v[94:95], v[96:97] offset0:15 offset1:16
	;; [unrolled: 1-line block ×24, first 2 shown]
	ds_write_b64 v136, v[128:129] offset:488
.LBB122_214:
	s_or_b32 exec_lo, exec_lo, s0
	s_mov_b32 s0, exec_lo
	s_waitcnt lgkmcnt(0)
	s_waitcnt_vscnt null, 0x0
	s_barrier
	buffer_gl0_inv
	v_cmpx_lt_i32_e32 12, v139
	s_cbranch_execz .LBB122_216
; %bb.215:
	v_mul_f64 v[102:103], v[0:1], v[102:103]
	ds_read2_b64 v[140:143], v136 offset0:13 offset1:14
	ds_read2_b64 v[144:147], v136 offset0:15 offset1:16
	;; [unrolled: 1-line block ×12, first 2 shown]
	ds_read_b64 v[0:1], v136 offset:488
	s_waitcnt lgkmcnt(12)
	v_fma_f64 v[98:99], -v[102:103], v[140:141], v[98:99]
	v_fma_f64 v[100:101], -v[102:103], v[142:143], v[100:101]
	s_waitcnt lgkmcnt(11)
	v_fma_f64 v[94:95], -v[102:103], v[144:145], v[94:95]
	v_fma_f64 v[96:97], -v[102:103], v[146:147], v[96:97]
	ds_read2_b64 v[140:143], v136 offset0:37 offset1:38
	ds_read2_b64 v[144:147], v136 offset0:39 offset1:40
	s_waitcnt lgkmcnt(12)
	v_fma_f64 v[92:93], -v[102:103], v[148:149], v[92:93]
	v_fma_f64 v[90:91], -v[102:103], v[150:151], v[90:91]
	s_waitcnt lgkmcnt(11)
	v_fma_f64 v[88:89], -v[102:103], v[152:153], v[88:89]
	v_fma_f64 v[86:87], -v[102:103], v[154:155], v[86:87]
	;; [unrolled: 3-line block ×7, first 2 shown]
	ds_read2_b64 v[148:151], v136 offset0:41 offset1:42
	ds_read2_b64 v[152:155], v136 offset0:43 offset1:44
	s_waitcnt lgkmcnt(7)
	v_fma_f64 v[64:65], -v[102:103], v[176:177], v[64:65]
	v_fma_f64 v[62:63], -v[102:103], v[178:179], v[62:63]
	ds_read2_b64 v[156:159], v136 offset0:45 offset1:46
	ds_read2_b64 v[160:163], v136 offset0:47 offset1:48
	;; [unrolled: 1-line block ×4, first 2 shown]
	s_waitcnt lgkmcnt(7)
	v_fma_f64 v[52:53], -v[102:103], v[140:141], v[52:53]
	ds_read2_b64 v[172:175], v136 offset0:53 offset1:54
	v_fma_f64 v[50:51], -v[102:103], v[142:143], v[50:51]
	ds_read2_b64 v[140:143], v136 offset0:55 offset1:56
	s_waitcnt lgkmcnt(8)
	v_fma_f64 v[48:49], -v[102:103], v[144:145], v[48:49]
	ds_read2_b64 v[176:179], v136 offset0:57 offset1:58
	v_fma_f64 v[46:47], -v[102:103], v[146:147], v[46:47]
	ds_read2_b64 v[144:147], v136 offset0:59 offset1:60
	v_fma_f64 v[58:59], -v[102:103], v[180:181], v[58:59]
	v_fma_f64 v[60:61], -v[102:103], v[182:183], v[60:61]
	;; [unrolled: 1-line block ×4, first 2 shown]
	s_waitcnt lgkmcnt(9)
	v_fma_f64 v[44:45], -v[102:103], v[148:149], v[44:45]
	v_fma_f64 v[42:43], -v[102:103], v[150:151], v[42:43]
	s_waitcnt lgkmcnt(8)
	v_fma_f64 v[38:39], -v[102:103], v[152:153], v[38:39]
	v_fma_f64 v[40:41], -v[102:103], v[154:155], v[40:41]
	s_waitcnt lgkmcnt(7)
	v_fma_f64 v[34:35], -v[102:103], v[156:157], v[34:35]
	v_fma_f64 v[36:37], -v[102:103], v[158:159], v[36:37]
	s_waitcnt lgkmcnt(6)
	v_fma_f64 v[32:33], -v[102:103], v[160:161], v[32:33]
	v_fma_f64 v[30:31], -v[102:103], v[162:163], v[30:31]
	s_waitcnt lgkmcnt(5)
	v_fma_f64 v[28:29], -v[102:103], v[164:165], v[28:29]
	v_fma_f64 v[26:27], -v[102:103], v[166:167], v[26:27]
	s_waitcnt lgkmcnt(4)
	v_fma_f64 v[24:25], -v[102:103], v[168:169], v[24:25]
	v_fma_f64 v[22:23], -v[102:103], v[170:171], v[22:23]
	s_waitcnt lgkmcnt(3)
	v_fma_f64 v[18:19], -v[102:103], v[172:173], v[18:19]
	v_fma_f64 v[20:21], -v[102:103], v[174:175], v[20:21]
	s_waitcnt lgkmcnt(2)
	v_fma_f64 v[16:17], -v[102:103], v[140:141], v[16:17]
	v_fma_f64 v[14:15], -v[102:103], v[142:143], v[14:15]
	s_waitcnt lgkmcnt(1)
	v_fma_f64 v[8:9], -v[102:103], v[176:177], v[8:9]
	v_fma_f64 v[12:13], -v[102:103], v[178:179], v[12:13]
	s_waitcnt lgkmcnt(0)
	v_fma_f64 v[6:7], -v[102:103], v[144:145], v[6:7]
	v_fma_f64 v[10:11], -v[102:103], v[146:147], v[10:11]
	v_fma_f64 v[128:129], -v[102:103], v[0:1], v[128:129]
.LBB122_216:
	s_or_b32 exec_lo, exec_lo, s0
	v_lshl_add_u32 v0, v139, 3, v136
	s_barrier
	buffer_gl0_inv
	v_mov_b32_e32 v130, 13
	ds_write_b64 v0, v[98:99]
	s_waitcnt lgkmcnt(0)
	s_barrier
	buffer_gl0_inv
	ds_read_b64 v[0:1], v136 offset:104
	s_cmp_lt_i32 s7, 15
	s_cbranch_scc1 .LBB122_219
; %bb.217:
	v_add3_u32 v131, v137, 0, 0x70
	v_mov_b32_e32 v130, 13
	s_mov_b32 s0, 14
.LBB122_218:                            ; =>This Inner Loop Header: Depth=1
	ds_read_b64 v[140:141], v131
	v_add_nc_u32_e32 v131, 8, v131
	s_waitcnt lgkmcnt(0)
	v_cmp_lt_f64_e64 vcc_lo, |v[0:1]|, |v[140:141]|
	v_cndmask_b32_e32 v1, v1, v141, vcc_lo
	v_cndmask_b32_e32 v0, v0, v140, vcc_lo
	v_cndmask_b32_e64 v130, v130, s0, vcc_lo
	s_add_i32 s0, s0, 1
	s_cmp_lg_u32 s7, s0
	s_cbranch_scc1 .LBB122_218
.LBB122_219:
	s_mov_b32 s0, exec_lo
	s_waitcnt lgkmcnt(0)
	v_cmpx_eq_f64_e32 0, v[0:1]
	s_xor_b32 s0, exec_lo, s0
; %bb.220:
	v_cmp_ne_u32_e32 vcc_lo, 0, v133
	v_cndmask_b32_e32 v133, 14, v133, vcc_lo
; %bb.221:
	s_andn2_saveexec_b32 s0, s0
	s_cbranch_execz .LBB122_223
; %bb.222:
	v_div_scale_f64 v[131:132], null, v[0:1], v[0:1], 1.0
	v_rcp_f64_e32 v[140:141], v[131:132]
	v_fma_f64 v[142:143], -v[131:132], v[140:141], 1.0
	v_fma_f64 v[140:141], v[140:141], v[142:143], v[140:141]
	v_fma_f64 v[142:143], -v[131:132], v[140:141], 1.0
	v_fma_f64 v[140:141], v[140:141], v[142:143], v[140:141]
	v_div_scale_f64 v[142:143], vcc_lo, 1.0, v[0:1], 1.0
	v_mul_f64 v[144:145], v[142:143], v[140:141]
	v_fma_f64 v[131:132], -v[131:132], v[144:145], v[142:143]
	v_div_fmas_f64 v[131:132], v[131:132], v[140:141], v[144:145]
	v_div_fixup_f64 v[0:1], v[131:132], v[0:1], 1.0
.LBB122_223:
	s_or_b32 exec_lo, exec_lo, s0
	s_mov_b32 s0, exec_lo
	v_cmpx_ne_u32_e64 v139, v130
	s_xor_b32 s0, exec_lo, s0
	s_cbranch_execz .LBB122_229
; %bb.224:
	s_mov_b32 s1, exec_lo
	v_cmpx_eq_u32_e32 13, v139
	s_cbranch_execz .LBB122_228
; %bb.225:
	v_cmp_ne_u32_e32 vcc_lo, 13, v130
	s_xor_b32 s2, s6, -1
	s_and_b32 s3, s2, vcc_lo
	s_and_saveexec_b32 s2, s3
	s_cbranch_execz .LBB122_227
; %bb.226:
	v_ashrrev_i32_e32 v131, 31, v130
	v_lshlrev_b64 v[131:132], 2, v[130:131]
	v_add_co_u32 v131, vcc_lo, v4, v131
	v_add_co_ci_u32_e64 v132, null, v5, v132, vcc_lo
	s_clause 0x1
	global_load_dword v138, v[131:132], off
	global_load_dword v139, v[4:5], off offset:52
	s_waitcnt vmcnt(1)
	global_store_dword v[4:5], v138, off offset:52
	s_waitcnt vmcnt(0)
	global_store_dword v[131:132], v139, off
.LBB122_227:
	s_or_b32 exec_lo, exec_lo, s2
	v_mov_b32_e32 v138, v130
	v_mov_b32_e32 v139, v130
.LBB122_228:
	s_or_b32 exec_lo, exec_lo, s1
.LBB122_229:
	s_andn2_saveexec_b32 s0, s0
	s_cbranch_execz .LBB122_231
; %bb.230:
	v_mov_b32_e32 v130, v100
	v_mov_b32_e32 v131, v101
	v_mov_b32_e32 v139, v94
	v_mov_b32_e32 v140, v95
	v_mov_b32_e32 v141, v96
	v_mov_b32_e32 v142, v97
	v_mov_b32_e32 v143, v92
	v_mov_b32_e32 v144, v93
	v_mov_b32_e32 v145, v90
	v_mov_b32_e32 v146, v91
	v_mov_b32_e32 v147, v88
	v_mov_b32_e32 v148, v89
	v_mov_b32_e32 v149, v86
	v_mov_b32_e32 v150, v87
	v_mov_b32_e32 v151, v84
	v_mov_b32_e32 v152, v85
	v_mov_b32_e32 v153, v82
	v_mov_b32_e32 v154, v83
	v_mov_b32_e32 v155, v78
	v_mov_b32_e32 v156, v79
	ds_write2_b64 v136, v[130:131], v[139:140] offset0:14 offset1:15
	ds_write2_b64 v136, v[141:142], v[143:144] offset0:16 offset1:17
	ds_write2_b64 v136, v[145:146], v[147:148] offset0:18 offset1:19
	ds_write2_b64 v136, v[149:150], v[151:152] offset0:20 offset1:21
	ds_write2_b64 v136, v[153:154], v[155:156] offset0:22 offset1:23
	v_mov_b32_e32 v130, v80
	v_mov_b32_e32 v131, v81
	v_mov_b32_e32 v139, v74
	v_mov_b32_e32 v140, v75
	v_mov_b32_e32 v141, v76
	v_mov_b32_e32 v142, v77
	v_mov_b32_e32 v143, v72
	v_mov_b32_e32 v144, v73
	v_mov_b32_e32 v145, v70
	v_mov_b32_e32 v146, v71
	v_mov_b32_e32 v147, v68
	v_mov_b32_e32 v148, v69
	v_mov_b32_e32 v149, v66
	v_mov_b32_e32 v150, v67
	v_mov_b32_e32 v151, v64
	v_mov_b32_e32 v152, v65
	v_mov_b32_e32 v153, v62
	v_mov_b32_e32 v154, v63
	v_mov_b32_e32 v155, v58
	v_mov_b32_e32 v156, v59
	ds_write2_b64 v136, v[130:131], v[139:140] offset0:24 offset1:25
	ds_write2_b64 v136, v[141:142], v[143:144] offset0:26 offset1:27
	ds_write2_b64 v136, v[145:146], v[147:148] offset0:28 offset1:29
	ds_write2_b64 v136, v[149:150], v[151:152] offset0:30 offset1:31
	ds_write2_b64 v136, v[153:154], v[155:156] offset0:32 offset1:33
	;; [unrolled: 25-line block ×4, first 2 shown]
	v_mov_b32_e32 v130, v20
	v_mov_b32_e32 v131, v21
	;; [unrolled: 1-line block ×15, first 2 shown]
	ds_write2_b64 v136, v[130:131], v[140:141] offset0:54 offset1:55
	ds_write2_b64 v136, v[142:143], v[144:145] offset0:56 offset1:57
	ds_write2_b64 v136, v[146:147], v[148:149] offset0:58 offset1:59
	ds_write2_b64 v136, v[150:151], v[128:129] offset0:60 offset1:61
.LBB122_231:
	s_or_b32 exec_lo, exec_lo, s0
	s_mov_b32 s0, exec_lo
	s_waitcnt lgkmcnt(0)
	s_waitcnt_vscnt null, 0x0
	s_barrier
	buffer_gl0_inv
	v_cmpx_lt_i32_e32 13, v139
	s_cbranch_execz .LBB122_233
; %bb.232:
	v_mul_f64 v[98:99], v[0:1], v[98:99]
	ds_read2_b64 v[140:143], v136 offset0:14 offset1:15
	ds_read2_b64 v[144:147], v136 offset0:16 offset1:17
	;; [unrolled: 1-line block ×12, first 2 shown]
	s_waitcnt lgkmcnt(11)
	v_fma_f64 v[100:101], -v[98:99], v[140:141], v[100:101]
	v_fma_f64 v[94:95], -v[98:99], v[142:143], v[94:95]
	ds_read2_b64 v[140:143], v136 offset0:38 offset1:39
	s_waitcnt lgkmcnt(11)
	v_fma_f64 v[96:97], -v[98:99], v[144:145], v[96:97]
	v_fma_f64 v[92:93], -v[98:99], v[146:147], v[92:93]
	s_waitcnt lgkmcnt(10)
	v_fma_f64 v[90:91], -v[98:99], v[148:149], v[90:91]
	v_fma_f64 v[88:89], -v[98:99], v[150:151], v[88:89]
	;; [unrolled: 3-line block ×7, first 2 shown]
	ds_read2_b64 v[144:147], v136 offset0:40 offset1:41
	s_waitcnt lgkmcnt(5)
	v_fma_f64 v[66:67], -v[98:99], v[172:173], v[66:67]
	v_fma_f64 v[64:65], -v[98:99], v[174:175], v[64:65]
	ds_read2_b64 v[148:151], v136 offset0:42 offset1:43
	ds_read2_b64 v[152:155], v136 offset0:44 offset1:45
	s_waitcnt lgkmcnt(6)
	v_fma_f64 v[62:63], -v[98:99], v[176:177], v[62:63]
	v_fma_f64 v[58:59], -v[98:99], v[178:179], v[58:59]
	ds_read2_b64 v[156:159], v136 offset0:46 offset1:47
	ds_read2_b64 v[160:163], v136 offset0:48 offset1:49
	s_waitcnt lgkmcnt(7)
	v_fma_f64 v[60:61], -v[98:99], v[180:181], v[60:61]
	v_fma_f64 v[54:55], -v[98:99], v[182:183], v[54:55]
	ds_read2_b64 v[164:167], v136 offset0:50 offset1:51
	ds_read2_b64 v[168:171], v136 offset0:52 offset1:53
	ds_read2_b64 v[172:175], v136 offset0:54 offset1:55
	;; [unrolled: 1-line block ×3, first 2 shown]
	s_waitcnt lgkmcnt(9)
	v_fma_f64 v[50:51], -v[98:99], v[140:141], v[50:51]
	v_fma_f64 v[48:49], -v[98:99], v[142:143], v[48:49]
	ds_read2_b64 v[140:143], v136 offset0:58 offset1:59
	ds_read2_b64 v[180:183], v136 offset0:60 offset1:61
	v_fma_f64 v[56:57], -v[98:99], v[184:185], v[56:57]
	v_fma_f64 v[52:53], -v[98:99], v[186:187], v[52:53]
	s_waitcnt lgkmcnt(10)
	v_fma_f64 v[46:47], -v[98:99], v[144:145], v[46:47]
	v_fma_f64 v[44:45], -v[98:99], v[146:147], v[44:45]
	s_waitcnt lgkmcnt(9)
	;; [unrolled: 3-line block ×11, first 2 shown]
	v_fma_f64 v[10:11], -v[98:99], v[180:181], v[10:11]
	v_fma_f64 v[128:129], -v[98:99], v[182:183], v[128:129]
.LBB122_233:
	s_or_b32 exec_lo, exec_lo, s0
	v_lshl_add_u32 v0, v139, 3, v136
	s_barrier
	buffer_gl0_inv
	v_mov_b32_e32 v130, 14
	ds_write_b64 v0, v[100:101]
	s_waitcnt lgkmcnt(0)
	s_barrier
	buffer_gl0_inv
	ds_read_b64 v[0:1], v136 offset:112
	s_cmp_lt_i32 s7, 16
	s_cbranch_scc1 .LBB122_236
; %bb.234:
	v_add3_u32 v131, v137, 0, 0x78
	v_mov_b32_e32 v130, 14
	s_mov_b32 s0, 15
.LBB122_235:                            ; =>This Inner Loop Header: Depth=1
	ds_read_b64 v[140:141], v131
	v_add_nc_u32_e32 v131, 8, v131
	s_waitcnt lgkmcnt(0)
	v_cmp_lt_f64_e64 vcc_lo, |v[0:1]|, |v[140:141]|
	v_cndmask_b32_e32 v1, v1, v141, vcc_lo
	v_cndmask_b32_e32 v0, v0, v140, vcc_lo
	v_cndmask_b32_e64 v130, v130, s0, vcc_lo
	s_add_i32 s0, s0, 1
	s_cmp_lg_u32 s7, s0
	s_cbranch_scc1 .LBB122_235
.LBB122_236:
	s_mov_b32 s0, exec_lo
	s_waitcnt lgkmcnt(0)
	v_cmpx_eq_f64_e32 0, v[0:1]
	s_xor_b32 s0, exec_lo, s0
; %bb.237:
	v_cmp_ne_u32_e32 vcc_lo, 0, v133
	v_cndmask_b32_e32 v133, 15, v133, vcc_lo
; %bb.238:
	s_andn2_saveexec_b32 s0, s0
	s_cbranch_execz .LBB122_240
; %bb.239:
	v_div_scale_f64 v[131:132], null, v[0:1], v[0:1], 1.0
	v_rcp_f64_e32 v[140:141], v[131:132]
	v_fma_f64 v[142:143], -v[131:132], v[140:141], 1.0
	v_fma_f64 v[140:141], v[140:141], v[142:143], v[140:141]
	v_fma_f64 v[142:143], -v[131:132], v[140:141], 1.0
	v_fma_f64 v[140:141], v[140:141], v[142:143], v[140:141]
	v_div_scale_f64 v[142:143], vcc_lo, 1.0, v[0:1], 1.0
	v_mul_f64 v[144:145], v[142:143], v[140:141]
	v_fma_f64 v[131:132], -v[131:132], v[144:145], v[142:143]
	v_div_fmas_f64 v[131:132], v[131:132], v[140:141], v[144:145]
	v_div_fixup_f64 v[0:1], v[131:132], v[0:1], 1.0
.LBB122_240:
	s_or_b32 exec_lo, exec_lo, s0
	s_mov_b32 s0, exec_lo
	v_cmpx_ne_u32_e64 v139, v130
	s_xor_b32 s0, exec_lo, s0
	s_cbranch_execz .LBB122_246
; %bb.241:
	s_mov_b32 s1, exec_lo
	v_cmpx_eq_u32_e32 14, v139
	s_cbranch_execz .LBB122_245
; %bb.242:
	v_cmp_ne_u32_e32 vcc_lo, 14, v130
	s_xor_b32 s2, s6, -1
	s_and_b32 s3, s2, vcc_lo
	s_and_saveexec_b32 s2, s3
	s_cbranch_execz .LBB122_244
; %bb.243:
	v_ashrrev_i32_e32 v131, 31, v130
	v_lshlrev_b64 v[131:132], 2, v[130:131]
	v_add_co_u32 v131, vcc_lo, v4, v131
	v_add_co_ci_u32_e64 v132, null, v5, v132, vcc_lo
	s_clause 0x1
	global_load_dword v138, v[131:132], off
	global_load_dword v139, v[4:5], off offset:56
	s_waitcnt vmcnt(1)
	global_store_dword v[4:5], v138, off offset:56
	s_waitcnt vmcnt(0)
	global_store_dword v[131:132], v139, off
.LBB122_244:
	s_or_b32 exec_lo, exec_lo, s2
	v_mov_b32_e32 v138, v130
	v_mov_b32_e32 v139, v130
.LBB122_245:
	s_or_b32 exec_lo, exec_lo, s1
.LBB122_246:
	s_andn2_saveexec_b32 s0, s0
	s_cbranch_execz .LBB122_248
; %bb.247:
	v_mov_b32_e32 v139, 14
	ds_write2_b64 v136, v[94:95], v[96:97] offset0:15 offset1:16
	ds_write2_b64 v136, v[92:93], v[90:91] offset0:17 offset1:18
	;; [unrolled: 1-line block ×23, first 2 shown]
	ds_write_b64 v136, v[128:129] offset:488
.LBB122_248:
	s_or_b32 exec_lo, exec_lo, s0
	s_mov_b32 s0, exec_lo
	s_waitcnt lgkmcnt(0)
	s_waitcnt_vscnt null, 0x0
	s_barrier
	buffer_gl0_inv
	v_cmpx_lt_i32_e32 14, v139
	s_cbranch_execz .LBB122_250
; %bb.249:
	v_mul_f64 v[100:101], v[0:1], v[100:101]
	ds_read2_b64 v[140:143], v136 offset0:15 offset1:16
	ds_read2_b64 v[144:147], v136 offset0:17 offset1:18
	;; [unrolled: 1-line block ×12, first 2 shown]
	ds_read_b64 v[0:1], v136 offset:488
	s_waitcnt lgkmcnt(12)
	v_fma_f64 v[94:95], -v[100:101], v[140:141], v[94:95]
	v_fma_f64 v[96:97], -v[100:101], v[142:143], v[96:97]
	ds_read2_b64 v[140:143], v136 offset0:39 offset1:40
	s_waitcnt lgkmcnt(12)
	v_fma_f64 v[92:93], -v[100:101], v[144:145], v[92:93]
	v_fma_f64 v[90:91], -v[100:101], v[146:147], v[90:91]
	s_waitcnt lgkmcnt(11)
	v_fma_f64 v[88:89], -v[100:101], v[148:149], v[88:89]
	v_fma_f64 v[86:87], -v[100:101], v[150:151], v[86:87]
	;; [unrolled: 3-line block ×7, first 2 shown]
	ds_read2_b64 v[144:147], v136 offset0:41 offset1:42
	s_waitcnt lgkmcnt(6)
	v_fma_f64 v[64:65], -v[100:101], v[172:173], v[64:65]
	v_fma_f64 v[62:63], -v[100:101], v[174:175], v[62:63]
	ds_read2_b64 v[148:151], v136 offset0:43 offset1:44
	ds_read2_b64 v[152:155], v136 offset0:45 offset1:46
	s_waitcnt lgkmcnt(7)
	v_fma_f64 v[58:59], -v[100:101], v[176:177], v[58:59]
	v_fma_f64 v[60:61], -v[100:101], v[178:179], v[60:61]
	ds_read2_b64 v[156:159], v136 offset0:47 offset1:48
	ds_read2_b64 v[160:163], v136 offset0:49 offset1:50
	;; [unrolled: 1-line block ×6, first 2 shown]
	s_waitcnt lgkmcnt(9)
	v_fma_f64 v[48:49], -v[100:101], v[140:141], v[48:49]
	v_fma_f64 v[46:47], -v[100:101], v[142:143], v[46:47]
	ds_read2_b64 v[140:143], v136 offset0:59 offset1:60
	v_fma_f64 v[54:55], -v[100:101], v[180:181], v[54:55]
	v_fma_f64 v[56:57], -v[100:101], v[182:183], v[56:57]
	;; [unrolled: 1-line block ×4, first 2 shown]
	s_waitcnt lgkmcnt(9)
	v_fma_f64 v[44:45], -v[100:101], v[144:145], v[44:45]
	v_fma_f64 v[42:43], -v[100:101], v[146:147], v[42:43]
	;; [unrolled: 1-line block ×3, first 2 shown]
	s_waitcnt lgkmcnt(8)
	v_fma_f64 v[38:39], -v[100:101], v[148:149], v[38:39]
	v_fma_f64 v[40:41], -v[100:101], v[150:151], v[40:41]
	s_waitcnt lgkmcnt(7)
	v_fma_f64 v[34:35], -v[100:101], v[152:153], v[34:35]
	v_fma_f64 v[36:37], -v[100:101], v[154:155], v[36:37]
	;; [unrolled: 3-line block ×9, first 2 shown]
.LBB122_250:
	s_or_b32 exec_lo, exec_lo, s0
	v_lshl_add_u32 v0, v139, 3, v136
	s_barrier
	buffer_gl0_inv
	v_mov_b32_e32 v130, 15
	ds_write_b64 v0, v[94:95]
	s_waitcnt lgkmcnt(0)
	s_barrier
	buffer_gl0_inv
	ds_read_b64 v[0:1], v136 offset:120
	s_cmp_lt_i32 s7, 17
	s_cbranch_scc1 .LBB122_253
; %bb.251:
	v_add3_u32 v131, v137, 0, 0x80
	v_mov_b32_e32 v130, 15
	s_mov_b32 s0, 16
.LBB122_252:                            ; =>This Inner Loop Header: Depth=1
	ds_read_b64 v[140:141], v131
	v_add_nc_u32_e32 v131, 8, v131
	s_waitcnt lgkmcnt(0)
	v_cmp_lt_f64_e64 vcc_lo, |v[0:1]|, |v[140:141]|
	v_cndmask_b32_e32 v1, v1, v141, vcc_lo
	v_cndmask_b32_e32 v0, v0, v140, vcc_lo
	v_cndmask_b32_e64 v130, v130, s0, vcc_lo
	s_add_i32 s0, s0, 1
	s_cmp_lg_u32 s7, s0
	s_cbranch_scc1 .LBB122_252
.LBB122_253:
	s_mov_b32 s0, exec_lo
	s_waitcnt lgkmcnt(0)
	v_cmpx_eq_f64_e32 0, v[0:1]
	s_xor_b32 s0, exec_lo, s0
; %bb.254:
	v_cmp_ne_u32_e32 vcc_lo, 0, v133
	v_cndmask_b32_e32 v133, 16, v133, vcc_lo
; %bb.255:
	s_andn2_saveexec_b32 s0, s0
	s_cbranch_execz .LBB122_257
; %bb.256:
	v_div_scale_f64 v[131:132], null, v[0:1], v[0:1], 1.0
	v_rcp_f64_e32 v[140:141], v[131:132]
	v_fma_f64 v[142:143], -v[131:132], v[140:141], 1.0
	v_fma_f64 v[140:141], v[140:141], v[142:143], v[140:141]
	v_fma_f64 v[142:143], -v[131:132], v[140:141], 1.0
	v_fma_f64 v[140:141], v[140:141], v[142:143], v[140:141]
	v_div_scale_f64 v[142:143], vcc_lo, 1.0, v[0:1], 1.0
	v_mul_f64 v[144:145], v[142:143], v[140:141]
	v_fma_f64 v[131:132], -v[131:132], v[144:145], v[142:143]
	v_div_fmas_f64 v[131:132], v[131:132], v[140:141], v[144:145]
	v_div_fixup_f64 v[0:1], v[131:132], v[0:1], 1.0
.LBB122_257:
	s_or_b32 exec_lo, exec_lo, s0
	s_mov_b32 s0, exec_lo
	v_cmpx_ne_u32_e64 v139, v130
	s_xor_b32 s0, exec_lo, s0
	s_cbranch_execz .LBB122_263
; %bb.258:
	s_mov_b32 s1, exec_lo
	v_cmpx_eq_u32_e32 15, v139
	s_cbranch_execz .LBB122_262
; %bb.259:
	v_cmp_ne_u32_e32 vcc_lo, 15, v130
	s_xor_b32 s2, s6, -1
	s_and_b32 s3, s2, vcc_lo
	s_and_saveexec_b32 s2, s3
	s_cbranch_execz .LBB122_261
; %bb.260:
	v_ashrrev_i32_e32 v131, 31, v130
	v_lshlrev_b64 v[131:132], 2, v[130:131]
	v_add_co_u32 v131, vcc_lo, v4, v131
	v_add_co_ci_u32_e64 v132, null, v5, v132, vcc_lo
	s_clause 0x1
	global_load_dword v138, v[131:132], off
	global_load_dword v139, v[4:5], off offset:60
	s_waitcnt vmcnt(1)
	global_store_dword v[4:5], v138, off offset:60
	s_waitcnt vmcnt(0)
	global_store_dword v[131:132], v139, off
.LBB122_261:
	s_or_b32 exec_lo, exec_lo, s2
	v_mov_b32_e32 v138, v130
	v_mov_b32_e32 v139, v130
.LBB122_262:
	s_or_b32 exec_lo, exec_lo, s1
.LBB122_263:
	s_andn2_saveexec_b32 s0, s0
	s_cbranch_execz .LBB122_265
; %bb.264:
	v_mov_b32_e32 v130, v96
	v_mov_b32_e32 v131, v97
	;; [unrolled: 1-line block ×16, first 2 shown]
	ds_write2_b64 v136, v[130:131], v[139:140] offset0:16 offset1:17
	ds_write2_b64 v136, v[141:142], v[143:144] offset0:18 offset1:19
	ds_write2_b64 v136, v[145:146], v[147:148] offset0:20 offset1:21
	ds_write2_b64 v136, v[149:150], v[151:152] offset0:22 offset1:23
	v_mov_b32_e32 v130, v80
	v_mov_b32_e32 v131, v81
	v_mov_b32_e32 v139, v74
	v_mov_b32_e32 v140, v75
	v_mov_b32_e32 v141, v76
	v_mov_b32_e32 v142, v77
	v_mov_b32_e32 v143, v72
	v_mov_b32_e32 v144, v73
	v_mov_b32_e32 v145, v70
	v_mov_b32_e32 v146, v71
	v_mov_b32_e32 v147, v68
	v_mov_b32_e32 v148, v69
	v_mov_b32_e32 v149, v66
	v_mov_b32_e32 v150, v67
	v_mov_b32_e32 v151, v64
	v_mov_b32_e32 v152, v65
	v_mov_b32_e32 v153, v62
	v_mov_b32_e32 v154, v63
	v_mov_b32_e32 v155, v58
	v_mov_b32_e32 v156, v59
	ds_write2_b64 v136, v[130:131], v[139:140] offset0:24 offset1:25
	ds_write2_b64 v136, v[141:142], v[143:144] offset0:26 offset1:27
	ds_write2_b64 v136, v[145:146], v[147:148] offset0:28 offset1:29
	ds_write2_b64 v136, v[149:150], v[151:152] offset0:30 offset1:31
	ds_write2_b64 v136, v[153:154], v[155:156] offset0:32 offset1:33
	v_mov_b32_e32 v130, v60
	v_mov_b32_e32 v131, v61
	v_mov_b32_e32 v139, v54
	v_mov_b32_e32 v140, v55
	v_mov_b32_e32 v141, v56
	v_mov_b32_e32 v142, v57
	v_mov_b32_e32 v143, v52
	v_mov_b32_e32 v144, v53
	v_mov_b32_e32 v145, v50
	v_mov_b32_e32 v146, v51
	v_mov_b32_e32 v147, v48
	v_mov_b32_e32 v148, v49
	v_mov_b32_e32 v149, v46
	v_mov_b32_e32 v150, v47
	v_mov_b32_e32 v151, v44
	v_mov_b32_e32 v152, v45
	v_mov_b32_e32 v153, v42
	v_mov_b32_e32 v154, v43
	v_mov_b32_e32 v155, v38
	v_mov_b32_e32 v156, v39
	ds_write2_b64 v136, v[130:131], v[139:140] offset0:34 offset1:35
	;; [unrolled: 25-line block ×3, first 2 shown]
	ds_write2_b64 v136, v[141:142], v[143:144] offset0:46 offset1:47
	ds_write2_b64 v136, v[145:146], v[147:148] offset0:48 offset1:49
	;; [unrolled: 1-line block ×4, first 2 shown]
	v_mov_b32_e32 v130, v20
	v_mov_b32_e32 v131, v21
	;; [unrolled: 1-line block ×15, first 2 shown]
	ds_write2_b64 v136, v[130:131], v[140:141] offset0:54 offset1:55
	ds_write2_b64 v136, v[142:143], v[144:145] offset0:56 offset1:57
	ds_write2_b64 v136, v[146:147], v[148:149] offset0:58 offset1:59
	ds_write2_b64 v136, v[150:151], v[128:129] offset0:60 offset1:61
.LBB122_265:
	s_or_b32 exec_lo, exec_lo, s0
	s_mov_b32 s0, exec_lo
	s_waitcnt lgkmcnt(0)
	s_waitcnt_vscnt null, 0x0
	s_barrier
	buffer_gl0_inv
	v_cmpx_lt_i32_e32 15, v139
	s_cbranch_execz .LBB122_267
; %bb.266:
	v_mul_f64 v[94:95], v[0:1], v[94:95]
	ds_read2_b64 v[140:143], v136 offset0:16 offset1:17
	ds_read2_b64 v[144:147], v136 offset0:18 offset1:19
	ds_read2_b64 v[148:151], v136 offset0:20 offset1:21
	ds_read2_b64 v[152:155], v136 offset0:22 offset1:23
	ds_read2_b64 v[156:159], v136 offset0:24 offset1:25
	ds_read2_b64 v[160:163], v136 offset0:26 offset1:27
	ds_read2_b64 v[164:167], v136 offset0:28 offset1:29
	ds_read2_b64 v[168:171], v136 offset0:30 offset1:31
	ds_read2_b64 v[172:175], v136 offset0:32 offset1:33
	ds_read2_b64 v[176:179], v136 offset0:34 offset1:35
	ds_read2_b64 v[180:183], v136 offset0:36 offset1:37
	s_waitcnt lgkmcnt(10)
	v_fma_f64 v[96:97], -v[94:95], v[140:141], v[96:97]
	v_fma_f64 v[92:93], -v[94:95], v[142:143], v[92:93]
	ds_read2_b64 v[140:143], v136 offset0:38 offset1:39
	s_waitcnt lgkmcnt(10)
	v_fma_f64 v[90:91], -v[94:95], v[144:145], v[90:91]
	v_fma_f64 v[88:89], -v[94:95], v[146:147], v[88:89]
	s_waitcnt lgkmcnt(9)
	v_fma_f64 v[86:87], -v[94:95], v[148:149], v[86:87]
	v_fma_f64 v[84:85], -v[94:95], v[150:151], v[84:85]
	;; [unrolled: 3-line block ×6, first 2 shown]
	ds_read2_b64 v[144:147], v136 offset0:40 offset1:41
	s_waitcnt lgkmcnt(5)
	v_fma_f64 v[66:67], -v[94:95], v[168:169], v[66:67]
	v_fma_f64 v[64:65], -v[94:95], v[170:171], v[64:65]
	ds_read2_b64 v[148:151], v136 offset0:42 offset1:43
	ds_read2_b64 v[152:155], v136 offset0:44 offset1:45
	s_waitcnt lgkmcnt(6)
	v_fma_f64 v[62:63], -v[94:95], v[172:173], v[62:63]
	v_fma_f64 v[58:59], -v[94:95], v[174:175], v[58:59]
	ds_read2_b64 v[156:159], v136 offset0:46 offset1:47
	;; [unrolled: 5-line block ×5, first 2 shown]
	ds_read2_b64 v[180:183], v136 offset0:60 offset1:61
	s_waitcnt lgkmcnt(10)
	v_fma_f64 v[46:47], -v[94:95], v[144:145], v[46:47]
	v_fma_f64 v[44:45], -v[94:95], v[146:147], v[44:45]
	s_waitcnt lgkmcnt(9)
	v_fma_f64 v[42:43], -v[94:95], v[148:149], v[42:43]
	v_fma_f64 v[38:39], -v[94:95], v[150:151], v[38:39]
	;; [unrolled: 3-line block ×11, first 2 shown]
.LBB122_267:
	s_or_b32 exec_lo, exec_lo, s0
	v_lshl_add_u32 v0, v139, 3, v136
	s_barrier
	buffer_gl0_inv
	v_mov_b32_e32 v130, 16
	ds_write_b64 v0, v[96:97]
	s_waitcnt lgkmcnt(0)
	s_barrier
	buffer_gl0_inv
	ds_read_b64 v[0:1], v136 offset:128
	s_cmp_lt_i32 s7, 18
	s_cbranch_scc1 .LBB122_270
; %bb.268:
	v_add3_u32 v131, v137, 0, 0x88
	v_mov_b32_e32 v130, 16
	s_mov_b32 s0, 17
.LBB122_269:                            ; =>This Inner Loop Header: Depth=1
	ds_read_b64 v[140:141], v131
	v_add_nc_u32_e32 v131, 8, v131
	s_waitcnt lgkmcnt(0)
	v_cmp_lt_f64_e64 vcc_lo, |v[0:1]|, |v[140:141]|
	v_cndmask_b32_e32 v1, v1, v141, vcc_lo
	v_cndmask_b32_e32 v0, v0, v140, vcc_lo
	v_cndmask_b32_e64 v130, v130, s0, vcc_lo
	s_add_i32 s0, s0, 1
	s_cmp_lg_u32 s7, s0
	s_cbranch_scc1 .LBB122_269
.LBB122_270:
	s_mov_b32 s0, exec_lo
	s_waitcnt lgkmcnt(0)
	v_cmpx_eq_f64_e32 0, v[0:1]
	s_xor_b32 s0, exec_lo, s0
; %bb.271:
	v_cmp_ne_u32_e32 vcc_lo, 0, v133
	v_cndmask_b32_e32 v133, 17, v133, vcc_lo
; %bb.272:
	s_andn2_saveexec_b32 s0, s0
	s_cbranch_execz .LBB122_274
; %bb.273:
	v_div_scale_f64 v[131:132], null, v[0:1], v[0:1], 1.0
	v_rcp_f64_e32 v[140:141], v[131:132]
	v_fma_f64 v[142:143], -v[131:132], v[140:141], 1.0
	v_fma_f64 v[140:141], v[140:141], v[142:143], v[140:141]
	v_fma_f64 v[142:143], -v[131:132], v[140:141], 1.0
	v_fma_f64 v[140:141], v[140:141], v[142:143], v[140:141]
	v_div_scale_f64 v[142:143], vcc_lo, 1.0, v[0:1], 1.0
	v_mul_f64 v[144:145], v[142:143], v[140:141]
	v_fma_f64 v[131:132], -v[131:132], v[144:145], v[142:143]
	v_div_fmas_f64 v[131:132], v[131:132], v[140:141], v[144:145]
	v_div_fixup_f64 v[0:1], v[131:132], v[0:1], 1.0
.LBB122_274:
	s_or_b32 exec_lo, exec_lo, s0
	s_mov_b32 s0, exec_lo
	v_cmpx_ne_u32_e64 v139, v130
	s_xor_b32 s0, exec_lo, s0
	s_cbranch_execz .LBB122_280
; %bb.275:
	s_mov_b32 s1, exec_lo
	v_cmpx_eq_u32_e32 16, v139
	s_cbranch_execz .LBB122_279
; %bb.276:
	v_cmp_ne_u32_e32 vcc_lo, 16, v130
	s_xor_b32 s2, s6, -1
	s_and_b32 s3, s2, vcc_lo
	s_and_saveexec_b32 s2, s3
	s_cbranch_execz .LBB122_278
; %bb.277:
	v_ashrrev_i32_e32 v131, 31, v130
	v_lshlrev_b64 v[131:132], 2, v[130:131]
	v_add_co_u32 v131, vcc_lo, v4, v131
	v_add_co_ci_u32_e64 v132, null, v5, v132, vcc_lo
	s_clause 0x1
	global_load_dword v138, v[131:132], off
	global_load_dword v139, v[4:5], off offset:64
	s_waitcnt vmcnt(1)
	global_store_dword v[4:5], v138, off offset:64
	s_waitcnt vmcnt(0)
	global_store_dword v[131:132], v139, off
.LBB122_278:
	s_or_b32 exec_lo, exec_lo, s2
	v_mov_b32_e32 v138, v130
	v_mov_b32_e32 v139, v130
.LBB122_279:
	s_or_b32 exec_lo, exec_lo, s1
.LBB122_280:
	s_andn2_saveexec_b32 s0, s0
	s_cbranch_execz .LBB122_282
; %bb.281:
	v_mov_b32_e32 v139, 16
	ds_write2_b64 v136, v[92:93], v[90:91] offset0:17 offset1:18
	ds_write2_b64 v136, v[88:89], v[86:87] offset0:19 offset1:20
	;; [unrolled: 1-line block ×22, first 2 shown]
	ds_write_b64 v136, v[128:129] offset:488
.LBB122_282:
	s_or_b32 exec_lo, exec_lo, s0
	s_mov_b32 s0, exec_lo
	s_waitcnt lgkmcnt(0)
	s_waitcnt_vscnt null, 0x0
	s_barrier
	buffer_gl0_inv
	v_cmpx_lt_i32_e32 16, v139
	s_cbranch_execz .LBB122_284
; %bb.283:
	v_mul_f64 v[96:97], v[0:1], v[96:97]
	ds_read2_b64 v[140:143], v136 offset0:17 offset1:18
	ds_read2_b64 v[144:147], v136 offset0:19 offset1:20
	;; [unrolled: 1-line block ×11, first 2 shown]
	ds_read_b64 v[0:1], v136 offset:488
	s_waitcnt lgkmcnt(11)
	v_fma_f64 v[92:93], -v[96:97], v[140:141], v[92:93]
	v_fma_f64 v[90:91], -v[96:97], v[142:143], v[90:91]
	ds_read2_b64 v[140:143], v136 offset0:39 offset1:40
	s_waitcnt lgkmcnt(11)
	v_fma_f64 v[88:89], -v[96:97], v[144:145], v[88:89]
	v_fma_f64 v[86:87], -v[96:97], v[146:147], v[86:87]
	s_waitcnt lgkmcnt(10)
	v_fma_f64 v[84:85], -v[96:97], v[148:149], v[84:85]
	v_fma_f64 v[82:83], -v[96:97], v[150:151], v[82:83]
	;; [unrolled: 3-line block ×6, first 2 shown]
	ds_read2_b64 v[144:147], v136 offset0:41 offset1:42
	s_waitcnt lgkmcnt(6)
	v_fma_f64 v[64:65], -v[96:97], v[168:169], v[64:65]
	v_fma_f64 v[62:63], -v[96:97], v[170:171], v[62:63]
	ds_read2_b64 v[148:151], v136 offset0:43 offset1:44
	ds_read2_b64 v[152:155], v136 offset0:45 offset1:46
	s_waitcnt lgkmcnt(7)
	v_fma_f64 v[58:59], -v[96:97], v[172:173], v[58:59]
	v_fma_f64 v[60:61], -v[96:97], v[174:175], v[60:61]
	ds_read2_b64 v[156:159], v136 offset0:47 offset1:48
	;; [unrolled: 5-line block ×3, first 2 shown]
	ds_read2_b64 v[168:171], v136 offset0:53 offset1:54
	ds_read2_b64 v[172:175], v136 offset0:55 offset1:56
	;; [unrolled: 1-line block ×3, first 2 shown]
	s_waitcnt lgkmcnt(9)
	v_fma_f64 v[48:49], -v[96:97], v[140:141], v[48:49]
	v_fma_f64 v[46:47], -v[96:97], v[142:143], v[46:47]
	ds_read2_b64 v[140:143], v136 offset0:59 offset1:60
	v_fma_f64 v[52:53], -v[96:97], v[180:181], v[52:53]
	v_fma_f64 v[50:51], -v[96:97], v[182:183], v[50:51]
	s_waitcnt lgkmcnt(9)
	v_fma_f64 v[44:45], -v[96:97], v[144:145], v[44:45]
	v_fma_f64 v[42:43], -v[96:97], v[146:147], v[42:43]
	;; [unrolled: 1-line block ×3, first 2 shown]
	s_waitcnt lgkmcnt(8)
	v_fma_f64 v[38:39], -v[96:97], v[148:149], v[38:39]
	v_fma_f64 v[40:41], -v[96:97], v[150:151], v[40:41]
	s_waitcnt lgkmcnt(7)
	v_fma_f64 v[34:35], -v[96:97], v[152:153], v[34:35]
	v_fma_f64 v[36:37], -v[96:97], v[154:155], v[36:37]
	;; [unrolled: 3-line block ×9, first 2 shown]
.LBB122_284:
	s_or_b32 exec_lo, exec_lo, s0
	v_lshl_add_u32 v0, v139, 3, v136
	s_barrier
	buffer_gl0_inv
	v_mov_b32_e32 v130, 17
	ds_write_b64 v0, v[92:93]
	s_waitcnt lgkmcnt(0)
	s_barrier
	buffer_gl0_inv
	ds_read_b64 v[0:1], v136 offset:136
	s_cmp_lt_i32 s7, 19
	s_cbranch_scc1 .LBB122_287
; %bb.285:
	v_add3_u32 v131, v137, 0, 0x90
	v_mov_b32_e32 v130, 17
	s_mov_b32 s0, 18
.LBB122_286:                            ; =>This Inner Loop Header: Depth=1
	ds_read_b64 v[140:141], v131
	v_add_nc_u32_e32 v131, 8, v131
	s_waitcnt lgkmcnt(0)
	v_cmp_lt_f64_e64 vcc_lo, |v[0:1]|, |v[140:141]|
	v_cndmask_b32_e32 v1, v1, v141, vcc_lo
	v_cndmask_b32_e32 v0, v0, v140, vcc_lo
	v_cndmask_b32_e64 v130, v130, s0, vcc_lo
	s_add_i32 s0, s0, 1
	s_cmp_lg_u32 s7, s0
	s_cbranch_scc1 .LBB122_286
.LBB122_287:
	s_mov_b32 s0, exec_lo
	s_waitcnt lgkmcnt(0)
	v_cmpx_eq_f64_e32 0, v[0:1]
	s_xor_b32 s0, exec_lo, s0
; %bb.288:
	v_cmp_ne_u32_e32 vcc_lo, 0, v133
	v_cndmask_b32_e32 v133, 18, v133, vcc_lo
; %bb.289:
	s_andn2_saveexec_b32 s0, s0
	s_cbranch_execz .LBB122_291
; %bb.290:
	v_div_scale_f64 v[131:132], null, v[0:1], v[0:1], 1.0
	v_rcp_f64_e32 v[140:141], v[131:132]
	v_fma_f64 v[142:143], -v[131:132], v[140:141], 1.0
	v_fma_f64 v[140:141], v[140:141], v[142:143], v[140:141]
	v_fma_f64 v[142:143], -v[131:132], v[140:141], 1.0
	v_fma_f64 v[140:141], v[140:141], v[142:143], v[140:141]
	v_div_scale_f64 v[142:143], vcc_lo, 1.0, v[0:1], 1.0
	v_mul_f64 v[144:145], v[142:143], v[140:141]
	v_fma_f64 v[131:132], -v[131:132], v[144:145], v[142:143]
	v_div_fmas_f64 v[131:132], v[131:132], v[140:141], v[144:145]
	v_div_fixup_f64 v[0:1], v[131:132], v[0:1], 1.0
.LBB122_291:
	s_or_b32 exec_lo, exec_lo, s0
	s_mov_b32 s0, exec_lo
	v_cmpx_ne_u32_e64 v139, v130
	s_xor_b32 s0, exec_lo, s0
	s_cbranch_execz .LBB122_297
; %bb.292:
	s_mov_b32 s1, exec_lo
	v_cmpx_eq_u32_e32 17, v139
	s_cbranch_execz .LBB122_296
; %bb.293:
	v_cmp_ne_u32_e32 vcc_lo, 17, v130
	s_xor_b32 s2, s6, -1
	s_and_b32 s3, s2, vcc_lo
	s_and_saveexec_b32 s2, s3
	s_cbranch_execz .LBB122_295
; %bb.294:
	v_ashrrev_i32_e32 v131, 31, v130
	v_lshlrev_b64 v[131:132], 2, v[130:131]
	v_add_co_u32 v131, vcc_lo, v4, v131
	v_add_co_ci_u32_e64 v132, null, v5, v132, vcc_lo
	s_clause 0x1
	global_load_dword v138, v[131:132], off
	global_load_dword v139, v[4:5], off offset:68
	s_waitcnt vmcnt(1)
	global_store_dword v[4:5], v138, off offset:68
	s_waitcnt vmcnt(0)
	global_store_dword v[131:132], v139, off
.LBB122_295:
	s_or_b32 exec_lo, exec_lo, s2
	v_mov_b32_e32 v138, v130
	v_mov_b32_e32 v139, v130
.LBB122_296:
	s_or_b32 exec_lo, exec_lo, s1
.LBB122_297:
	s_andn2_saveexec_b32 s0, s0
	s_cbranch_execz .LBB122_299
; %bb.298:
	v_mov_b32_e32 v130, v90
	v_mov_b32_e32 v131, v91
	v_mov_b32_e32 v139, v88
	v_mov_b32_e32 v140, v89
	v_mov_b32_e32 v141, v86
	v_mov_b32_e32 v142, v87
	v_mov_b32_e32 v143, v84
	v_mov_b32_e32 v144, v85
	v_mov_b32_e32 v145, v82
	v_mov_b32_e32 v146, v83
	v_mov_b32_e32 v147, v78
	v_mov_b32_e32 v148, v79
	ds_write2_b64 v136, v[130:131], v[139:140] offset0:18 offset1:19
	ds_write2_b64 v136, v[141:142], v[143:144] offset0:20 offset1:21
	ds_write2_b64 v136, v[145:146], v[147:148] offset0:22 offset1:23
	v_mov_b32_e32 v130, v80
	v_mov_b32_e32 v131, v81
	v_mov_b32_e32 v139, v74
	v_mov_b32_e32 v140, v75
	v_mov_b32_e32 v141, v76
	v_mov_b32_e32 v142, v77
	v_mov_b32_e32 v143, v72
	v_mov_b32_e32 v144, v73
	v_mov_b32_e32 v145, v70
	v_mov_b32_e32 v146, v71
	v_mov_b32_e32 v147, v68
	v_mov_b32_e32 v148, v69
	v_mov_b32_e32 v149, v66
	v_mov_b32_e32 v150, v67
	v_mov_b32_e32 v151, v64
	v_mov_b32_e32 v152, v65
	v_mov_b32_e32 v153, v62
	v_mov_b32_e32 v154, v63
	v_mov_b32_e32 v155, v58
	v_mov_b32_e32 v156, v59
	ds_write2_b64 v136, v[130:131], v[139:140] offset0:24 offset1:25
	ds_write2_b64 v136, v[141:142], v[143:144] offset0:26 offset1:27
	ds_write2_b64 v136, v[145:146], v[147:148] offset0:28 offset1:29
	ds_write2_b64 v136, v[149:150], v[151:152] offset0:30 offset1:31
	ds_write2_b64 v136, v[153:154], v[155:156] offset0:32 offset1:33
	v_mov_b32_e32 v130, v60
	v_mov_b32_e32 v131, v61
	v_mov_b32_e32 v139, v54
	v_mov_b32_e32 v140, v55
	v_mov_b32_e32 v141, v56
	v_mov_b32_e32 v142, v57
	v_mov_b32_e32 v143, v52
	v_mov_b32_e32 v144, v53
	v_mov_b32_e32 v145, v50
	v_mov_b32_e32 v146, v51
	v_mov_b32_e32 v147, v48
	v_mov_b32_e32 v148, v49
	v_mov_b32_e32 v149, v46
	v_mov_b32_e32 v150, v47
	v_mov_b32_e32 v151, v44
	v_mov_b32_e32 v152, v45
	v_mov_b32_e32 v153, v42
	v_mov_b32_e32 v154, v43
	v_mov_b32_e32 v155, v38
	v_mov_b32_e32 v156, v39
	ds_write2_b64 v136, v[130:131], v[139:140] offset0:34 offset1:35
	ds_write2_b64 v136, v[141:142], v[143:144] offset0:36 offset1:37
	;; [unrolled: 25-line block ×3, first 2 shown]
	ds_write2_b64 v136, v[145:146], v[147:148] offset0:48 offset1:49
	ds_write2_b64 v136, v[149:150], v[151:152] offset0:50 offset1:51
	;; [unrolled: 1-line block ×3, first 2 shown]
	v_mov_b32_e32 v130, v20
	v_mov_b32_e32 v131, v21
	;; [unrolled: 1-line block ×15, first 2 shown]
	ds_write2_b64 v136, v[130:131], v[140:141] offset0:54 offset1:55
	ds_write2_b64 v136, v[142:143], v[144:145] offset0:56 offset1:57
	;; [unrolled: 1-line block ×4, first 2 shown]
.LBB122_299:
	s_or_b32 exec_lo, exec_lo, s0
	s_mov_b32 s0, exec_lo
	s_waitcnt lgkmcnt(0)
	s_waitcnt_vscnt null, 0x0
	s_barrier
	buffer_gl0_inv
	v_cmpx_lt_i32_e32 17, v139
	s_cbranch_execz .LBB122_301
; %bb.300:
	v_mul_f64 v[92:93], v[0:1], v[92:93]
	ds_read2_b64 v[140:143], v136 offset0:18 offset1:19
	ds_read2_b64 v[144:147], v136 offset0:20 offset1:21
	;; [unrolled: 1-line block ×11, first 2 shown]
	s_waitcnt lgkmcnt(10)
	v_fma_f64 v[90:91], -v[92:93], v[140:141], v[90:91]
	v_fma_f64 v[88:89], -v[92:93], v[142:143], v[88:89]
	s_waitcnt lgkmcnt(9)
	v_fma_f64 v[86:87], -v[92:93], v[144:145], v[86:87]
	v_fma_f64 v[84:85], -v[92:93], v[146:147], v[84:85]
	;; [unrolled: 3-line block ×6, first 2 shown]
	ds_read2_b64 v[140:143], v136 offset0:40 offset1:41
	ds_read2_b64 v[144:147], v136 offset0:42 offset1:43
	s_waitcnt lgkmcnt(6)
	v_fma_f64 v[66:67], -v[92:93], v[164:165], v[66:67]
	v_fma_f64 v[64:65], -v[92:93], v[166:167], v[64:65]
	s_waitcnt lgkmcnt(5)
	v_fma_f64 v[62:63], -v[92:93], v[168:169], v[62:63]
	ds_read2_b64 v[148:151], v136 offset0:44 offset1:45
	ds_read2_b64 v[152:155], v136 offset0:46 offset1:47
	v_fma_f64 v[58:59], -v[92:93], v[170:171], v[58:59]
	s_waitcnt lgkmcnt(6)
	v_fma_f64 v[60:61], -v[92:93], v[172:173], v[60:61]
	ds_read2_b64 v[156:159], v136 offset0:48 offset1:49
	ds_read2_b64 v[160:163], v136 offset0:50 offset1:51
	;; [unrolled: 5-line block ×4, first 2 shown]
	v_fma_f64 v[48:49], -v[92:93], v[182:183], v[48:49]
	ds_read2_b64 v[180:183], v136 offset0:60 offset1:61
	s_waitcnt lgkmcnt(10)
	v_fma_f64 v[46:47], -v[92:93], v[140:141], v[46:47]
	v_fma_f64 v[44:45], -v[92:93], v[142:143], v[44:45]
	s_waitcnt lgkmcnt(9)
	v_fma_f64 v[42:43], -v[92:93], v[144:145], v[42:43]
	v_fma_f64 v[38:39], -v[92:93], v[146:147], v[38:39]
	;; [unrolled: 3-line block ×11, first 2 shown]
.LBB122_301:
	s_or_b32 exec_lo, exec_lo, s0
	v_lshl_add_u32 v0, v139, 3, v136
	s_barrier
	buffer_gl0_inv
	v_mov_b32_e32 v130, 18
	ds_write_b64 v0, v[90:91]
	s_waitcnt lgkmcnt(0)
	s_barrier
	buffer_gl0_inv
	ds_read_b64 v[0:1], v136 offset:144
	s_cmp_lt_i32 s7, 20
	s_cbranch_scc1 .LBB122_304
; %bb.302:
	v_add3_u32 v131, v137, 0, 0x98
	v_mov_b32_e32 v130, 18
	s_mov_b32 s0, 19
.LBB122_303:                            ; =>This Inner Loop Header: Depth=1
	ds_read_b64 v[140:141], v131
	v_add_nc_u32_e32 v131, 8, v131
	s_waitcnt lgkmcnt(0)
	v_cmp_lt_f64_e64 vcc_lo, |v[0:1]|, |v[140:141]|
	v_cndmask_b32_e32 v1, v1, v141, vcc_lo
	v_cndmask_b32_e32 v0, v0, v140, vcc_lo
	v_cndmask_b32_e64 v130, v130, s0, vcc_lo
	s_add_i32 s0, s0, 1
	s_cmp_lg_u32 s7, s0
	s_cbranch_scc1 .LBB122_303
.LBB122_304:
	s_mov_b32 s0, exec_lo
	s_waitcnt lgkmcnt(0)
	v_cmpx_eq_f64_e32 0, v[0:1]
	s_xor_b32 s0, exec_lo, s0
; %bb.305:
	v_cmp_ne_u32_e32 vcc_lo, 0, v133
	v_cndmask_b32_e32 v133, 19, v133, vcc_lo
; %bb.306:
	s_andn2_saveexec_b32 s0, s0
	s_cbranch_execz .LBB122_308
; %bb.307:
	v_div_scale_f64 v[131:132], null, v[0:1], v[0:1], 1.0
	v_rcp_f64_e32 v[140:141], v[131:132]
	v_fma_f64 v[142:143], -v[131:132], v[140:141], 1.0
	v_fma_f64 v[140:141], v[140:141], v[142:143], v[140:141]
	v_fma_f64 v[142:143], -v[131:132], v[140:141], 1.0
	v_fma_f64 v[140:141], v[140:141], v[142:143], v[140:141]
	v_div_scale_f64 v[142:143], vcc_lo, 1.0, v[0:1], 1.0
	v_mul_f64 v[144:145], v[142:143], v[140:141]
	v_fma_f64 v[131:132], -v[131:132], v[144:145], v[142:143]
	v_div_fmas_f64 v[131:132], v[131:132], v[140:141], v[144:145]
	v_div_fixup_f64 v[0:1], v[131:132], v[0:1], 1.0
.LBB122_308:
	s_or_b32 exec_lo, exec_lo, s0
	s_mov_b32 s0, exec_lo
	v_cmpx_ne_u32_e64 v139, v130
	s_xor_b32 s0, exec_lo, s0
	s_cbranch_execz .LBB122_314
; %bb.309:
	s_mov_b32 s1, exec_lo
	v_cmpx_eq_u32_e32 18, v139
	s_cbranch_execz .LBB122_313
; %bb.310:
	v_cmp_ne_u32_e32 vcc_lo, 18, v130
	s_xor_b32 s2, s6, -1
	s_and_b32 s3, s2, vcc_lo
	s_and_saveexec_b32 s2, s3
	s_cbranch_execz .LBB122_312
; %bb.311:
	v_ashrrev_i32_e32 v131, 31, v130
	v_lshlrev_b64 v[131:132], 2, v[130:131]
	v_add_co_u32 v131, vcc_lo, v4, v131
	v_add_co_ci_u32_e64 v132, null, v5, v132, vcc_lo
	s_clause 0x1
	global_load_dword v138, v[131:132], off
	global_load_dword v139, v[4:5], off offset:72
	s_waitcnt vmcnt(1)
	global_store_dword v[4:5], v138, off offset:72
	s_waitcnt vmcnt(0)
	global_store_dword v[131:132], v139, off
.LBB122_312:
	s_or_b32 exec_lo, exec_lo, s2
	v_mov_b32_e32 v138, v130
	v_mov_b32_e32 v139, v130
.LBB122_313:
	s_or_b32 exec_lo, exec_lo, s1
.LBB122_314:
	s_andn2_saveexec_b32 s0, s0
	s_cbranch_execz .LBB122_316
; %bb.315:
	v_mov_b32_e32 v139, 18
	ds_write2_b64 v136, v[88:89], v[86:87] offset0:19 offset1:20
	ds_write2_b64 v136, v[84:85], v[82:83] offset0:21 offset1:22
	;; [unrolled: 1-line block ×21, first 2 shown]
	ds_write_b64 v136, v[128:129] offset:488
.LBB122_316:
	s_or_b32 exec_lo, exec_lo, s0
	s_mov_b32 s0, exec_lo
	s_waitcnt lgkmcnt(0)
	s_waitcnt_vscnt null, 0x0
	s_barrier
	buffer_gl0_inv
	v_cmpx_lt_i32_e32 18, v139
	s_cbranch_execz .LBB122_318
; %bb.317:
	v_mul_f64 v[90:91], v[0:1], v[90:91]
	ds_read2_b64 v[140:143], v136 offset0:19 offset1:20
	ds_read2_b64 v[144:147], v136 offset0:21 offset1:22
	;; [unrolled: 1-line block ×11, first 2 shown]
	ds_read_b64 v[0:1], v136 offset:488
	s_waitcnt lgkmcnt(11)
	v_fma_f64 v[88:89], -v[90:91], v[140:141], v[88:89]
	v_fma_f64 v[86:87], -v[90:91], v[142:143], v[86:87]
	s_waitcnt lgkmcnt(10)
	v_fma_f64 v[84:85], -v[90:91], v[144:145], v[84:85]
	v_fma_f64 v[82:83], -v[90:91], v[146:147], v[82:83]
	;; [unrolled: 3-line block ×6, first 2 shown]
	ds_read2_b64 v[140:143], v136 offset0:41 offset1:42
	ds_read2_b64 v[144:147], v136 offset0:43 offset1:44
	s_waitcnt lgkmcnt(7)
	v_fma_f64 v[64:65], -v[90:91], v[164:165], v[64:65]
	v_fma_f64 v[62:63], -v[90:91], v[166:167], v[62:63]
	s_waitcnt lgkmcnt(6)
	v_fma_f64 v[58:59], -v[90:91], v[168:169], v[58:59]
	ds_read2_b64 v[148:151], v136 offset0:45 offset1:46
	ds_read2_b64 v[152:155], v136 offset0:47 offset1:48
	v_fma_f64 v[60:61], -v[90:91], v[170:171], v[60:61]
	s_waitcnt lgkmcnt(7)
	v_fma_f64 v[54:55], -v[90:91], v[172:173], v[54:55]
	ds_read2_b64 v[156:159], v136 offset0:49 offset1:50
	ds_read2_b64 v[160:163], v136 offset0:51 offset1:52
	;; [unrolled: 5-line block ×3, first 2 shown]
	v_fma_f64 v[50:51], -v[90:91], v[178:179], v[50:51]
	ds_read2_b64 v[172:175], v136 offset0:57 offset1:58
	ds_read2_b64 v[176:179], v136 offset0:59 offset1:60
	s_waitcnt lgkmcnt(11)
	v_fma_f64 v[48:49], -v[90:91], v[180:181], v[48:49]
	v_fma_f64 v[46:47], -v[90:91], v[182:183], v[46:47]
	s_waitcnt lgkmcnt(9)
	v_fma_f64 v[44:45], -v[90:91], v[140:141], v[44:45]
	v_fma_f64 v[42:43], -v[90:91], v[142:143], v[42:43]
	;; [unrolled: 3-line block ×3, first 2 shown]
	v_fma_f64 v[128:129], -v[90:91], v[0:1], v[128:129]
	s_waitcnt lgkmcnt(7)
	v_fma_f64 v[34:35], -v[90:91], v[148:149], v[34:35]
	v_fma_f64 v[36:37], -v[90:91], v[150:151], v[36:37]
	s_waitcnt lgkmcnt(6)
	v_fma_f64 v[32:33], -v[90:91], v[152:153], v[32:33]
	;; [unrolled: 3-line block ×8, first 2 shown]
	v_fma_f64 v[10:11], -v[90:91], v[178:179], v[10:11]
.LBB122_318:
	s_or_b32 exec_lo, exec_lo, s0
	v_lshl_add_u32 v0, v139, 3, v136
	s_barrier
	buffer_gl0_inv
	v_mov_b32_e32 v130, 19
	ds_write_b64 v0, v[88:89]
	s_waitcnt lgkmcnt(0)
	s_barrier
	buffer_gl0_inv
	ds_read_b64 v[0:1], v136 offset:152
	s_cmp_lt_i32 s7, 21
	s_cbranch_scc1 .LBB122_321
; %bb.319:
	v_add3_u32 v131, v137, 0, 0xa0
	v_mov_b32_e32 v130, 19
	s_mov_b32 s0, 20
.LBB122_320:                            ; =>This Inner Loop Header: Depth=1
	ds_read_b64 v[140:141], v131
	v_add_nc_u32_e32 v131, 8, v131
	s_waitcnt lgkmcnt(0)
	v_cmp_lt_f64_e64 vcc_lo, |v[0:1]|, |v[140:141]|
	v_cndmask_b32_e32 v1, v1, v141, vcc_lo
	v_cndmask_b32_e32 v0, v0, v140, vcc_lo
	v_cndmask_b32_e64 v130, v130, s0, vcc_lo
	s_add_i32 s0, s0, 1
	s_cmp_lg_u32 s7, s0
	s_cbranch_scc1 .LBB122_320
.LBB122_321:
	s_mov_b32 s0, exec_lo
	s_waitcnt lgkmcnt(0)
	v_cmpx_eq_f64_e32 0, v[0:1]
	s_xor_b32 s0, exec_lo, s0
; %bb.322:
	v_cmp_ne_u32_e32 vcc_lo, 0, v133
	v_cndmask_b32_e32 v133, 20, v133, vcc_lo
; %bb.323:
	s_andn2_saveexec_b32 s0, s0
	s_cbranch_execz .LBB122_325
; %bb.324:
	v_div_scale_f64 v[131:132], null, v[0:1], v[0:1], 1.0
	v_rcp_f64_e32 v[140:141], v[131:132]
	v_fma_f64 v[142:143], -v[131:132], v[140:141], 1.0
	v_fma_f64 v[140:141], v[140:141], v[142:143], v[140:141]
	v_fma_f64 v[142:143], -v[131:132], v[140:141], 1.0
	v_fma_f64 v[140:141], v[140:141], v[142:143], v[140:141]
	v_div_scale_f64 v[142:143], vcc_lo, 1.0, v[0:1], 1.0
	v_mul_f64 v[144:145], v[142:143], v[140:141]
	v_fma_f64 v[131:132], -v[131:132], v[144:145], v[142:143]
	v_div_fmas_f64 v[131:132], v[131:132], v[140:141], v[144:145]
	v_div_fixup_f64 v[0:1], v[131:132], v[0:1], 1.0
.LBB122_325:
	s_or_b32 exec_lo, exec_lo, s0
	s_mov_b32 s0, exec_lo
	v_cmpx_ne_u32_e64 v139, v130
	s_xor_b32 s0, exec_lo, s0
	s_cbranch_execz .LBB122_331
; %bb.326:
	s_mov_b32 s1, exec_lo
	v_cmpx_eq_u32_e32 19, v139
	s_cbranch_execz .LBB122_330
; %bb.327:
	v_cmp_ne_u32_e32 vcc_lo, 19, v130
	s_xor_b32 s2, s6, -1
	s_and_b32 s3, s2, vcc_lo
	s_and_saveexec_b32 s2, s3
	s_cbranch_execz .LBB122_329
; %bb.328:
	v_ashrrev_i32_e32 v131, 31, v130
	v_lshlrev_b64 v[131:132], 2, v[130:131]
	v_add_co_u32 v131, vcc_lo, v4, v131
	v_add_co_ci_u32_e64 v132, null, v5, v132, vcc_lo
	s_clause 0x1
	global_load_dword v138, v[131:132], off
	global_load_dword v139, v[4:5], off offset:76
	s_waitcnt vmcnt(1)
	global_store_dword v[4:5], v138, off offset:76
	s_waitcnt vmcnt(0)
	global_store_dword v[131:132], v139, off
.LBB122_329:
	s_or_b32 exec_lo, exec_lo, s2
	v_mov_b32_e32 v138, v130
	v_mov_b32_e32 v139, v130
.LBB122_330:
	s_or_b32 exec_lo, exec_lo, s1
.LBB122_331:
	s_andn2_saveexec_b32 s0, s0
	s_cbranch_execz .LBB122_333
; %bb.332:
	v_mov_b32_e32 v130, v86
	v_mov_b32_e32 v131, v87
	;; [unrolled: 1-line block ×8, first 2 shown]
	ds_write2_b64 v136, v[130:131], v[139:140] offset0:20 offset1:21
	ds_write2_b64 v136, v[141:142], v[143:144] offset0:22 offset1:23
	v_mov_b32_e32 v130, v80
	v_mov_b32_e32 v131, v81
	v_mov_b32_e32 v139, v74
	v_mov_b32_e32 v140, v75
	v_mov_b32_e32 v141, v76
	v_mov_b32_e32 v142, v77
	v_mov_b32_e32 v143, v72
	v_mov_b32_e32 v144, v73
	v_mov_b32_e32 v145, v70
	v_mov_b32_e32 v146, v71
	v_mov_b32_e32 v147, v68
	v_mov_b32_e32 v148, v69
	v_mov_b32_e32 v149, v66
	v_mov_b32_e32 v150, v67
	v_mov_b32_e32 v151, v64
	v_mov_b32_e32 v152, v65
	v_mov_b32_e32 v153, v62
	v_mov_b32_e32 v154, v63
	v_mov_b32_e32 v155, v58
	v_mov_b32_e32 v156, v59
	ds_write2_b64 v136, v[130:131], v[139:140] offset0:24 offset1:25
	ds_write2_b64 v136, v[141:142], v[143:144] offset0:26 offset1:27
	ds_write2_b64 v136, v[145:146], v[147:148] offset0:28 offset1:29
	ds_write2_b64 v136, v[149:150], v[151:152] offset0:30 offset1:31
	ds_write2_b64 v136, v[153:154], v[155:156] offset0:32 offset1:33
	v_mov_b32_e32 v130, v60
	v_mov_b32_e32 v131, v61
	v_mov_b32_e32 v139, v54
	v_mov_b32_e32 v140, v55
	v_mov_b32_e32 v141, v56
	v_mov_b32_e32 v142, v57
	v_mov_b32_e32 v143, v52
	v_mov_b32_e32 v144, v53
	v_mov_b32_e32 v145, v50
	v_mov_b32_e32 v146, v51
	v_mov_b32_e32 v147, v48
	v_mov_b32_e32 v148, v49
	v_mov_b32_e32 v149, v46
	v_mov_b32_e32 v150, v47
	v_mov_b32_e32 v151, v44
	v_mov_b32_e32 v152, v45
	v_mov_b32_e32 v153, v42
	v_mov_b32_e32 v154, v43
	v_mov_b32_e32 v155, v38
	v_mov_b32_e32 v156, v39
	ds_write2_b64 v136, v[130:131], v[139:140] offset0:34 offset1:35
	ds_write2_b64 v136, v[141:142], v[143:144] offset0:36 offset1:37
	ds_write2_b64 v136, v[145:146], v[147:148] offset0:38 offset1:39
	;; [unrolled: 25-line block ×3, first 2 shown]
	ds_write2_b64 v136, v[149:150], v[151:152] offset0:50 offset1:51
	ds_write2_b64 v136, v[153:154], v[155:156] offset0:52 offset1:53
	v_mov_b32_e32 v130, v20
	v_mov_b32_e32 v131, v21
	;; [unrolled: 1-line block ×15, first 2 shown]
	ds_write2_b64 v136, v[130:131], v[140:141] offset0:54 offset1:55
	ds_write2_b64 v136, v[142:143], v[144:145] offset0:56 offset1:57
	;; [unrolled: 1-line block ×4, first 2 shown]
.LBB122_333:
	s_or_b32 exec_lo, exec_lo, s0
	s_mov_b32 s0, exec_lo
	s_waitcnt lgkmcnt(0)
	s_waitcnt_vscnt null, 0x0
	s_barrier
	buffer_gl0_inv
	v_cmpx_lt_i32_e32 19, v139
	s_cbranch_execz .LBB122_335
; %bb.334:
	v_mul_f64 v[88:89], v[0:1], v[88:89]
	ds_read2_b64 v[140:143], v136 offset0:20 offset1:21
	ds_read2_b64 v[144:147], v136 offset0:22 offset1:23
	;; [unrolled: 1-line block ×11, first 2 shown]
	s_waitcnt lgkmcnt(10)
	v_fma_f64 v[86:87], -v[88:89], v[140:141], v[86:87]
	v_fma_f64 v[84:85], -v[88:89], v[142:143], v[84:85]
	s_waitcnt lgkmcnt(9)
	v_fma_f64 v[82:83], -v[88:89], v[144:145], v[82:83]
	v_fma_f64 v[78:79], -v[88:89], v[146:147], v[78:79]
	;; [unrolled: 3-line block ×6, first 2 shown]
	ds_read2_b64 v[140:143], v136 offset0:42 offset1:43
	ds_read2_b64 v[144:147], v136 offset0:44 offset1:45
	s_waitcnt lgkmcnt(6)
	v_fma_f64 v[62:63], -v[88:89], v[164:165], v[62:63]
	v_fma_f64 v[58:59], -v[88:89], v[166:167], v[58:59]
	ds_read2_b64 v[148:151], v136 offset0:46 offset1:47
	ds_read2_b64 v[152:155], v136 offset0:48 offset1:49
	s_waitcnt lgkmcnt(7)
	v_fma_f64 v[60:61], -v[88:89], v[168:169], v[60:61]
	v_fma_f64 v[54:55], -v[88:89], v[170:171], v[54:55]
	;; [unrolled: 5-line block ×5, first 2 shown]
	s_waitcnt lgkmcnt(9)
	v_fma_f64 v[42:43], -v[88:89], v[140:141], v[42:43]
	v_fma_f64 v[38:39], -v[88:89], v[142:143], v[38:39]
	s_waitcnt lgkmcnt(8)
	v_fma_f64 v[40:41], -v[88:89], v[144:145], v[40:41]
	v_fma_f64 v[34:35], -v[88:89], v[146:147], v[34:35]
	;; [unrolled: 3-line block ×10, first 2 shown]
.LBB122_335:
	s_or_b32 exec_lo, exec_lo, s0
	v_lshl_add_u32 v0, v139, 3, v136
	s_barrier
	buffer_gl0_inv
	v_mov_b32_e32 v130, 20
	ds_write_b64 v0, v[86:87]
	s_waitcnt lgkmcnt(0)
	s_barrier
	buffer_gl0_inv
	ds_read_b64 v[0:1], v136 offset:160
	s_cmp_lt_i32 s7, 22
	s_cbranch_scc1 .LBB122_338
; %bb.336:
	v_add3_u32 v131, v137, 0, 0xa8
	v_mov_b32_e32 v130, 20
	s_mov_b32 s0, 21
.LBB122_337:                            ; =>This Inner Loop Header: Depth=1
	ds_read_b64 v[140:141], v131
	v_add_nc_u32_e32 v131, 8, v131
	s_waitcnt lgkmcnt(0)
	v_cmp_lt_f64_e64 vcc_lo, |v[0:1]|, |v[140:141]|
	v_cndmask_b32_e32 v1, v1, v141, vcc_lo
	v_cndmask_b32_e32 v0, v0, v140, vcc_lo
	v_cndmask_b32_e64 v130, v130, s0, vcc_lo
	s_add_i32 s0, s0, 1
	s_cmp_lg_u32 s7, s0
	s_cbranch_scc1 .LBB122_337
.LBB122_338:
	s_mov_b32 s0, exec_lo
	s_waitcnt lgkmcnt(0)
	v_cmpx_eq_f64_e32 0, v[0:1]
	s_xor_b32 s0, exec_lo, s0
; %bb.339:
	v_cmp_ne_u32_e32 vcc_lo, 0, v133
	v_cndmask_b32_e32 v133, 21, v133, vcc_lo
; %bb.340:
	s_andn2_saveexec_b32 s0, s0
	s_cbranch_execz .LBB122_342
; %bb.341:
	v_div_scale_f64 v[131:132], null, v[0:1], v[0:1], 1.0
	v_rcp_f64_e32 v[140:141], v[131:132]
	v_fma_f64 v[142:143], -v[131:132], v[140:141], 1.0
	v_fma_f64 v[140:141], v[140:141], v[142:143], v[140:141]
	v_fma_f64 v[142:143], -v[131:132], v[140:141], 1.0
	v_fma_f64 v[140:141], v[140:141], v[142:143], v[140:141]
	v_div_scale_f64 v[142:143], vcc_lo, 1.0, v[0:1], 1.0
	v_mul_f64 v[144:145], v[142:143], v[140:141]
	v_fma_f64 v[131:132], -v[131:132], v[144:145], v[142:143]
	v_div_fmas_f64 v[131:132], v[131:132], v[140:141], v[144:145]
	v_div_fixup_f64 v[0:1], v[131:132], v[0:1], 1.0
.LBB122_342:
	s_or_b32 exec_lo, exec_lo, s0
	s_mov_b32 s0, exec_lo
	v_cmpx_ne_u32_e64 v139, v130
	s_xor_b32 s0, exec_lo, s0
	s_cbranch_execz .LBB122_348
; %bb.343:
	s_mov_b32 s1, exec_lo
	v_cmpx_eq_u32_e32 20, v139
	s_cbranch_execz .LBB122_347
; %bb.344:
	v_cmp_ne_u32_e32 vcc_lo, 20, v130
	s_xor_b32 s2, s6, -1
	s_and_b32 s3, s2, vcc_lo
	s_and_saveexec_b32 s2, s3
	s_cbranch_execz .LBB122_346
; %bb.345:
	v_ashrrev_i32_e32 v131, 31, v130
	v_lshlrev_b64 v[131:132], 2, v[130:131]
	v_add_co_u32 v131, vcc_lo, v4, v131
	v_add_co_ci_u32_e64 v132, null, v5, v132, vcc_lo
	s_clause 0x1
	global_load_dword v138, v[131:132], off
	global_load_dword v139, v[4:5], off offset:80
	s_waitcnt vmcnt(1)
	global_store_dword v[4:5], v138, off offset:80
	s_waitcnt vmcnt(0)
	global_store_dword v[131:132], v139, off
.LBB122_346:
	s_or_b32 exec_lo, exec_lo, s2
	v_mov_b32_e32 v138, v130
	v_mov_b32_e32 v139, v130
.LBB122_347:
	s_or_b32 exec_lo, exec_lo, s1
.LBB122_348:
	s_andn2_saveexec_b32 s0, s0
	s_cbranch_execz .LBB122_350
; %bb.349:
	v_mov_b32_e32 v139, 20
	ds_write2_b64 v136, v[84:85], v[82:83] offset0:21 offset1:22
	ds_write2_b64 v136, v[78:79], v[80:81] offset0:23 offset1:24
	;; [unrolled: 1-line block ×20, first 2 shown]
	ds_write_b64 v136, v[128:129] offset:488
.LBB122_350:
	s_or_b32 exec_lo, exec_lo, s0
	s_mov_b32 s0, exec_lo
	s_waitcnt lgkmcnt(0)
	s_waitcnt_vscnt null, 0x0
	s_barrier
	buffer_gl0_inv
	v_cmpx_lt_i32_e32 20, v139
	s_cbranch_execz .LBB122_352
; %bb.351:
	v_mul_f64 v[86:87], v[0:1], v[86:87]
	ds_read2_b64 v[140:143], v136 offset0:21 offset1:22
	ds_read2_b64 v[144:147], v136 offset0:23 offset1:24
	ds_read2_b64 v[148:151], v136 offset0:25 offset1:26
	ds_read2_b64 v[152:155], v136 offset0:27 offset1:28
	ds_read2_b64 v[156:159], v136 offset0:29 offset1:30
	ds_read2_b64 v[160:163], v136 offset0:31 offset1:32
	ds_read2_b64 v[164:167], v136 offset0:33 offset1:34
	ds_read2_b64 v[168:171], v136 offset0:35 offset1:36
	ds_read2_b64 v[172:175], v136 offset0:37 offset1:38
	ds_read2_b64 v[176:179], v136 offset0:39 offset1:40
	ds_read2_b64 v[180:183], v136 offset0:41 offset1:42
	ds_read_b64 v[0:1], v136 offset:488
	s_waitcnt lgkmcnt(11)
	v_fma_f64 v[84:85], -v[86:87], v[140:141], v[84:85]
	v_fma_f64 v[82:83], -v[86:87], v[142:143], v[82:83]
	s_waitcnt lgkmcnt(10)
	v_fma_f64 v[78:79], -v[86:87], v[144:145], v[78:79]
	v_fma_f64 v[80:81], -v[86:87], v[146:147], v[80:81]
	;; [unrolled: 3-line block ×6, first 2 shown]
	ds_read2_b64 v[140:143], v136 offset0:43 offset1:44
	ds_read2_b64 v[144:147], v136 offset0:45 offset1:46
	s_waitcnt lgkmcnt(7)
	v_fma_f64 v[58:59], -v[86:87], v[164:165], v[58:59]
	v_fma_f64 v[60:61], -v[86:87], v[166:167], v[60:61]
	ds_read2_b64 v[148:151], v136 offset0:47 offset1:48
	ds_read2_b64 v[152:155], v136 offset0:49 offset1:50
	s_waitcnt lgkmcnt(8)
	v_fma_f64 v[54:55], -v[86:87], v[168:169], v[54:55]
	v_fma_f64 v[56:57], -v[86:87], v[170:171], v[56:57]
	;; [unrolled: 5-line block ×3, first 2 shown]
	ds_read2_b64 v[164:167], v136 offset0:55 offset1:56
	ds_read2_b64 v[168:171], v136 offset0:57 offset1:58
	;; [unrolled: 1-line block ×3, first 2 shown]
	s_waitcnt lgkmcnt(11)
	v_fma_f64 v[48:49], -v[86:87], v[176:177], v[48:49]
	v_fma_f64 v[46:47], -v[86:87], v[178:179], v[46:47]
	s_waitcnt lgkmcnt(10)
	v_fma_f64 v[44:45], -v[86:87], v[180:181], v[44:45]
	v_fma_f64 v[42:43], -v[86:87], v[182:183], v[42:43]
	s_waitcnt lgkmcnt(9)
	v_fma_f64 v[128:129], -v[86:87], v[0:1], v[128:129]
	s_waitcnt lgkmcnt(8)
	v_fma_f64 v[38:39], -v[86:87], v[140:141], v[38:39]
	v_fma_f64 v[40:41], -v[86:87], v[142:143], v[40:41]
	s_waitcnt lgkmcnt(7)
	v_fma_f64 v[34:35], -v[86:87], v[144:145], v[34:35]
	;; [unrolled: 3-line block ×9, first 2 shown]
	v_fma_f64 v[10:11], -v[86:87], v[174:175], v[10:11]
.LBB122_352:
	s_or_b32 exec_lo, exec_lo, s0
	v_lshl_add_u32 v0, v139, 3, v136
	s_barrier
	buffer_gl0_inv
	v_mov_b32_e32 v130, 21
	ds_write_b64 v0, v[84:85]
	s_waitcnt lgkmcnt(0)
	s_barrier
	buffer_gl0_inv
	ds_read_b64 v[0:1], v136 offset:168
	s_cmp_lt_i32 s7, 23
	s_cbranch_scc1 .LBB122_355
; %bb.353:
	v_add3_u32 v131, v137, 0, 0xb0
	v_mov_b32_e32 v130, 21
	s_mov_b32 s0, 22
.LBB122_354:                            ; =>This Inner Loop Header: Depth=1
	ds_read_b64 v[140:141], v131
	v_add_nc_u32_e32 v131, 8, v131
	s_waitcnt lgkmcnt(0)
	v_cmp_lt_f64_e64 vcc_lo, |v[0:1]|, |v[140:141]|
	v_cndmask_b32_e32 v1, v1, v141, vcc_lo
	v_cndmask_b32_e32 v0, v0, v140, vcc_lo
	v_cndmask_b32_e64 v130, v130, s0, vcc_lo
	s_add_i32 s0, s0, 1
	s_cmp_lg_u32 s7, s0
	s_cbranch_scc1 .LBB122_354
.LBB122_355:
	s_mov_b32 s0, exec_lo
	s_waitcnt lgkmcnt(0)
	v_cmpx_eq_f64_e32 0, v[0:1]
	s_xor_b32 s0, exec_lo, s0
; %bb.356:
	v_cmp_ne_u32_e32 vcc_lo, 0, v133
	v_cndmask_b32_e32 v133, 22, v133, vcc_lo
; %bb.357:
	s_andn2_saveexec_b32 s0, s0
	s_cbranch_execz .LBB122_359
; %bb.358:
	v_div_scale_f64 v[131:132], null, v[0:1], v[0:1], 1.0
	v_rcp_f64_e32 v[140:141], v[131:132]
	v_fma_f64 v[142:143], -v[131:132], v[140:141], 1.0
	v_fma_f64 v[140:141], v[140:141], v[142:143], v[140:141]
	v_fma_f64 v[142:143], -v[131:132], v[140:141], 1.0
	v_fma_f64 v[140:141], v[140:141], v[142:143], v[140:141]
	v_div_scale_f64 v[142:143], vcc_lo, 1.0, v[0:1], 1.0
	v_mul_f64 v[144:145], v[142:143], v[140:141]
	v_fma_f64 v[131:132], -v[131:132], v[144:145], v[142:143]
	v_div_fmas_f64 v[131:132], v[131:132], v[140:141], v[144:145]
	v_div_fixup_f64 v[0:1], v[131:132], v[0:1], 1.0
.LBB122_359:
	s_or_b32 exec_lo, exec_lo, s0
	s_mov_b32 s0, exec_lo
	v_cmpx_ne_u32_e64 v139, v130
	s_xor_b32 s0, exec_lo, s0
	s_cbranch_execz .LBB122_365
; %bb.360:
	s_mov_b32 s1, exec_lo
	v_cmpx_eq_u32_e32 21, v139
	s_cbranch_execz .LBB122_364
; %bb.361:
	v_cmp_ne_u32_e32 vcc_lo, 21, v130
	s_xor_b32 s2, s6, -1
	s_and_b32 s3, s2, vcc_lo
	s_and_saveexec_b32 s2, s3
	s_cbranch_execz .LBB122_363
; %bb.362:
	v_ashrrev_i32_e32 v131, 31, v130
	v_lshlrev_b64 v[131:132], 2, v[130:131]
	v_add_co_u32 v131, vcc_lo, v4, v131
	v_add_co_ci_u32_e64 v132, null, v5, v132, vcc_lo
	s_clause 0x1
	global_load_dword v138, v[131:132], off
	global_load_dword v139, v[4:5], off offset:84
	s_waitcnt vmcnt(1)
	global_store_dword v[4:5], v138, off offset:84
	s_waitcnt vmcnt(0)
	global_store_dword v[131:132], v139, off
.LBB122_363:
	s_or_b32 exec_lo, exec_lo, s2
	v_mov_b32_e32 v138, v130
	v_mov_b32_e32 v139, v130
.LBB122_364:
	s_or_b32 exec_lo, exec_lo, s1
.LBB122_365:
	s_andn2_saveexec_b32 s0, s0
	s_cbranch_execz .LBB122_367
; %bb.366:
	v_mov_b32_e32 v130, v82
	v_mov_b32_e32 v131, v83
	;; [unrolled: 1-line block ×8, first 2 shown]
	ds_write2_b64 v136, v[130:131], v[139:140] offset0:22 offset1:23
	v_mov_b32_e32 v130, v74
	v_mov_b32_e32 v131, v75
	v_mov_b32_e32 v139, v76
	v_mov_b32_e32 v140, v77
	v_mov_b32_e32 v145, v70
	v_mov_b32_e32 v146, v71
	v_mov_b32_e32 v147, v68
	v_mov_b32_e32 v148, v69
	v_mov_b32_e32 v149, v66
	v_mov_b32_e32 v150, v67
	v_mov_b32_e32 v151, v64
	v_mov_b32_e32 v152, v65
	v_mov_b32_e32 v153, v62
	v_mov_b32_e32 v154, v63
	v_mov_b32_e32 v155, v58
	v_mov_b32_e32 v156, v59
	ds_write2_b64 v136, v[141:142], v[130:131] offset0:24 offset1:25
	ds_write2_b64 v136, v[139:140], v[143:144] offset0:26 offset1:27
	ds_write2_b64 v136, v[145:146], v[147:148] offset0:28 offset1:29
	ds_write2_b64 v136, v[149:150], v[151:152] offset0:30 offset1:31
	ds_write2_b64 v136, v[153:154], v[155:156] offset0:32 offset1:33
	v_mov_b32_e32 v130, v60
	v_mov_b32_e32 v131, v61
	v_mov_b32_e32 v139, v54
	v_mov_b32_e32 v140, v55
	v_mov_b32_e32 v141, v56
	v_mov_b32_e32 v142, v57
	v_mov_b32_e32 v143, v52
	v_mov_b32_e32 v144, v53
	v_mov_b32_e32 v145, v50
	v_mov_b32_e32 v146, v51
	v_mov_b32_e32 v147, v48
	v_mov_b32_e32 v148, v49
	v_mov_b32_e32 v149, v46
	v_mov_b32_e32 v150, v47
	v_mov_b32_e32 v151, v44
	v_mov_b32_e32 v152, v45
	v_mov_b32_e32 v153, v42
	v_mov_b32_e32 v154, v43
	v_mov_b32_e32 v155, v38
	v_mov_b32_e32 v156, v39
	ds_write2_b64 v136, v[130:131], v[139:140] offset0:34 offset1:35
	ds_write2_b64 v136, v[141:142], v[143:144] offset0:36 offset1:37
	ds_write2_b64 v136, v[145:146], v[147:148] offset0:38 offset1:39
	ds_write2_b64 v136, v[149:150], v[151:152] offset0:40 offset1:41
	ds_write2_b64 v136, v[153:154], v[155:156] offset0:42 offset1:43
	v_mov_b32_e32 v130, v40
	v_mov_b32_e32 v131, v41
	v_mov_b32_e32 v139, v34
	v_mov_b32_e32 v140, v35
	v_mov_b32_e32 v141, v36
	v_mov_b32_e32 v142, v37
	v_mov_b32_e32 v143, v32
	v_mov_b32_e32 v144, v33
	v_mov_b32_e32 v145, v30
	v_mov_b32_e32 v146, v31
	v_mov_b32_e32 v147, v28
	v_mov_b32_e32 v148, v29
	v_mov_b32_e32 v149, v26
	v_mov_b32_e32 v150, v27
	v_mov_b32_e32 v151, v24
	v_mov_b32_e32 v152, v25
	v_mov_b32_e32 v153, v22
	v_mov_b32_e32 v154, v23
	v_mov_b32_e32 v155, v18
	v_mov_b32_e32 v156, v19
	ds_write2_b64 v136, v[130:131], v[139:140] offset0:44 offset1:45
	ds_write2_b64 v136, v[141:142], v[143:144] offset0:46 offset1:47
	ds_write2_b64 v136, v[145:146], v[147:148] offset0:48 offset1:49
	ds_write2_b64 v136, v[149:150], v[151:152] offset0:50 offset1:51
	ds_write2_b64 v136, v[153:154], v[155:156] offset0:52 offset1:53
	v_mov_b32_e32 v130, v20
	v_mov_b32_e32 v131, v21
	v_mov_b32_e32 v140, v16
	v_mov_b32_e32 v141, v17
	v_mov_b32_e32 v139, 21
	v_mov_b32_e32 v142, v14
	;; [unrolled: 1-line block ×11, first 2 shown]
	ds_write2_b64 v136, v[130:131], v[140:141] offset0:54 offset1:55
	ds_write2_b64 v136, v[142:143], v[144:145] offset0:56 offset1:57
	;; [unrolled: 1-line block ×4, first 2 shown]
.LBB122_367:
	s_or_b32 exec_lo, exec_lo, s0
	s_mov_b32 s0, exec_lo
	s_waitcnt lgkmcnt(0)
	s_waitcnt_vscnt null, 0x0
	s_barrier
	buffer_gl0_inv
	v_cmpx_lt_i32_e32 21, v139
	s_cbranch_execz .LBB122_369
; %bb.368:
	v_mul_f64 v[84:85], v[0:1], v[84:85]
	ds_read2_b64 v[140:143], v136 offset0:22 offset1:23
	ds_read2_b64 v[144:147], v136 offset0:24 offset1:25
	;; [unrolled: 1-line block ×11, first 2 shown]
	s_waitcnt lgkmcnt(10)
	v_fma_f64 v[82:83], -v[84:85], v[140:141], v[82:83]
	v_fma_f64 v[78:79], -v[84:85], v[142:143], v[78:79]
	s_waitcnt lgkmcnt(9)
	v_fma_f64 v[80:81], -v[84:85], v[144:145], v[80:81]
	v_fma_f64 v[74:75], -v[84:85], v[146:147], v[74:75]
	;; [unrolled: 3-line block ×5, first 2 shown]
	s_waitcnt lgkmcnt(5)
	v_fma_f64 v[62:63], -v[84:85], v[160:161], v[62:63]
	ds_read2_b64 v[140:143], v136 offset0:44 offset1:45
	ds_read2_b64 v[144:147], v136 offset0:46 offset1:47
	v_fma_f64 v[58:59], -v[84:85], v[162:163], v[58:59]
	s_waitcnt lgkmcnt(6)
	v_fma_f64 v[60:61], -v[84:85], v[164:165], v[60:61]
	ds_read2_b64 v[148:151], v136 offset0:48 offset1:49
	ds_read2_b64 v[152:155], v136 offset0:50 offset1:51
	v_fma_f64 v[54:55], -v[84:85], v[166:167], v[54:55]
	;; [unrolled: 5-line block ×4, first 2 shown]
	ds_read2_b64 v[172:175], v136 offset0:60 offset1:61
	s_waitcnt lgkmcnt(10)
	v_fma_f64 v[46:47], -v[84:85], v[176:177], v[46:47]
	v_fma_f64 v[44:45], -v[84:85], v[178:179], v[44:45]
	s_waitcnt lgkmcnt(9)
	v_fma_f64 v[42:43], -v[84:85], v[180:181], v[42:43]
	v_fma_f64 v[38:39], -v[84:85], v[182:183], v[38:39]
	;; [unrolled: 3-line block ×11, first 2 shown]
.LBB122_369:
	s_or_b32 exec_lo, exec_lo, s0
	v_lshl_add_u32 v0, v139, 3, v136
	s_barrier
	buffer_gl0_inv
	v_mov_b32_e32 v130, 22
	ds_write_b64 v0, v[82:83]
	s_waitcnt lgkmcnt(0)
	s_barrier
	buffer_gl0_inv
	ds_read_b64 v[0:1], v136 offset:176
	s_cmp_lt_i32 s7, 24
	s_cbranch_scc1 .LBB122_372
; %bb.370:
	v_add3_u32 v131, v137, 0, 0xb8
	v_mov_b32_e32 v130, 22
	s_mov_b32 s0, 23
.LBB122_371:                            ; =>This Inner Loop Header: Depth=1
	ds_read_b64 v[140:141], v131
	v_add_nc_u32_e32 v131, 8, v131
	s_waitcnt lgkmcnt(0)
	v_cmp_lt_f64_e64 vcc_lo, |v[0:1]|, |v[140:141]|
	v_cndmask_b32_e32 v1, v1, v141, vcc_lo
	v_cndmask_b32_e32 v0, v0, v140, vcc_lo
	v_cndmask_b32_e64 v130, v130, s0, vcc_lo
	s_add_i32 s0, s0, 1
	s_cmp_lg_u32 s7, s0
	s_cbranch_scc1 .LBB122_371
.LBB122_372:
	s_mov_b32 s0, exec_lo
	s_waitcnt lgkmcnt(0)
	v_cmpx_eq_f64_e32 0, v[0:1]
	s_xor_b32 s0, exec_lo, s0
; %bb.373:
	v_cmp_ne_u32_e32 vcc_lo, 0, v133
	v_cndmask_b32_e32 v133, 23, v133, vcc_lo
; %bb.374:
	s_andn2_saveexec_b32 s0, s0
	s_cbranch_execz .LBB122_376
; %bb.375:
	v_div_scale_f64 v[131:132], null, v[0:1], v[0:1], 1.0
	v_rcp_f64_e32 v[140:141], v[131:132]
	v_fma_f64 v[142:143], -v[131:132], v[140:141], 1.0
	v_fma_f64 v[140:141], v[140:141], v[142:143], v[140:141]
	v_fma_f64 v[142:143], -v[131:132], v[140:141], 1.0
	v_fma_f64 v[140:141], v[140:141], v[142:143], v[140:141]
	v_div_scale_f64 v[142:143], vcc_lo, 1.0, v[0:1], 1.0
	v_mul_f64 v[144:145], v[142:143], v[140:141]
	v_fma_f64 v[131:132], -v[131:132], v[144:145], v[142:143]
	v_div_fmas_f64 v[131:132], v[131:132], v[140:141], v[144:145]
	v_div_fixup_f64 v[0:1], v[131:132], v[0:1], 1.0
.LBB122_376:
	s_or_b32 exec_lo, exec_lo, s0
	s_mov_b32 s0, exec_lo
	v_cmpx_ne_u32_e64 v139, v130
	s_xor_b32 s0, exec_lo, s0
	s_cbranch_execz .LBB122_382
; %bb.377:
	s_mov_b32 s1, exec_lo
	v_cmpx_eq_u32_e32 22, v139
	s_cbranch_execz .LBB122_381
; %bb.378:
	v_cmp_ne_u32_e32 vcc_lo, 22, v130
	s_xor_b32 s2, s6, -1
	s_and_b32 s3, s2, vcc_lo
	s_and_saveexec_b32 s2, s3
	s_cbranch_execz .LBB122_380
; %bb.379:
	v_ashrrev_i32_e32 v131, 31, v130
	v_lshlrev_b64 v[131:132], 2, v[130:131]
	v_add_co_u32 v131, vcc_lo, v4, v131
	v_add_co_ci_u32_e64 v132, null, v5, v132, vcc_lo
	s_clause 0x1
	global_load_dword v138, v[131:132], off
	global_load_dword v139, v[4:5], off offset:88
	s_waitcnt vmcnt(1)
	global_store_dword v[4:5], v138, off offset:88
	s_waitcnt vmcnt(0)
	global_store_dword v[131:132], v139, off
.LBB122_380:
	s_or_b32 exec_lo, exec_lo, s2
	v_mov_b32_e32 v138, v130
	v_mov_b32_e32 v139, v130
.LBB122_381:
	s_or_b32 exec_lo, exec_lo, s1
.LBB122_382:
	s_andn2_saveexec_b32 s0, s0
	s_cbranch_execz .LBB122_384
; %bb.383:
	v_mov_b32_e32 v139, 22
	ds_write2_b64 v136, v[78:79], v[80:81] offset0:23 offset1:24
	ds_write2_b64 v136, v[74:75], v[76:77] offset0:25 offset1:26
	;; [unrolled: 1-line block ×19, first 2 shown]
	ds_write_b64 v136, v[128:129] offset:488
.LBB122_384:
	s_or_b32 exec_lo, exec_lo, s0
	s_mov_b32 s0, exec_lo
	s_waitcnt lgkmcnt(0)
	s_waitcnt_vscnt null, 0x0
	s_barrier
	buffer_gl0_inv
	v_cmpx_lt_i32_e32 22, v139
	s_cbranch_execz .LBB122_386
; %bb.385:
	v_mul_f64 v[82:83], v[0:1], v[82:83]
	ds_read2_b64 v[140:143], v136 offset0:23 offset1:24
	ds_read2_b64 v[144:147], v136 offset0:25 offset1:26
	;; [unrolled: 1-line block ×11, first 2 shown]
	ds_read_b64 v[0:1], v136 offset:488
	s_waitcnt lgkmcnt(11)
	v_fma_f64 v[78:79], -v[82:83], v[140:141], v[78:79]
	v_fma_f64 v[80:81], -v[82:83], v[142:143], v[80:81]
	s_waitcnt lgkmcnt(10)
	v_fma_f64 v[74:75], -v[82:83], v[144:145], v[74:75]
	v_fma_f64 v[76:77], -v[82:83], v[146:147], v[76:77]
	;; [unrolled: 3-line block ×5, first 2 shown]
	s_waitcnt lgkmcnt(6)
	v_fma_f64 v[58:59], -v[82:83], v[160:161], v[58:59]
	ds_read2_b64 v[140:143], v136 offset0:45 offset1:46
	ds_read2_b64 v[144:147], v136 offset0:47 offset1:48
	v_fma_f64 v[60:61], -v[82:83], v[162:163], v[60:61]
	s_waitcnt lgkmcnt(7)
	v_fma_f64 v[54:55], -v[82:83], v[164:165], v[54:55]
	ds_read2_b64 v[148:151], v136 offset0:49 offset1:50
	ds_read2_b64 v[152:155], v136 offset0:51 offset1:52
	v_fma_f64 v[56:57], -v[82:83], v[166:167], v[56:57]
	s_waitcnt lgkmcnt(8)
	v_fma_f64 v[52:53], -v[82:83], v[168:169], v[52:53]
	ds_read2_b64 v[156:159], v136 offset0:53 offset1:54
	ds_read2_b64 v[160:163], v136 offset0:55 offset1:56
	v_fma_f64 v[50:51], -v[82:83], v[170:171], v[50:51]
	ds_read2_b64 v[164:167], v136 offset0:57 offset1:58
	ds_read2_b64 v[168:171], v136 offset0:59 offset1:60
	s_waitcnt lgkmcnt(11)
	v_fma_f64 v[48:49], -v[82:83], v[172:173], v[48:49]
	v_fma_f64 v[46:47], -v[82:83], v[174:175], v[46:47]
	s_waitcnt lgkmcnt(10)
	v_fma_f64 v[44:45], -v[82:83], v[176:177], v[44:45]
	v_fma_f64 v[42:43], -v[82:83], v[178:179], v[42:43]
	;; [unrolled: 3-line block ×3, first 2 shown]
	s_waitcnt lgkmcnt(8)
	v_fma_f64 v[128:129], -v[82:83], v[0:1], v[128:129]
	s_waitcnt lgkmcnt(7)
	v_fma_f64 v[34:35], -v[82:83], v[140:141], v[34:35]
	v_fma_f64 v[36:37], -v[82:83], v[142:143], v[36:37]
	s_waitcnt lgkmcnt(6)
	v_fma_f64 v[32:33], -v[82:83], v[144:145], v[32:33]
	;; [unrolled: 3-line block ×8, first 2 shown]
	v_fma_f64 v[10:11], -v[82:83], v[170:171], v[10:11]
.LBB122_386:
	s_or_b32 exec_lo, exec_lo, s0
	v_lshl_add_u32 v0, v139, 3, v136
	s_barrier
	buffer_gl0_inv
	v_mov_b32_e32 v130, 23
	ds_write_b64 v0, v[78:79]
	s_waitcnt lgkmcnt(0)
	s_barrier
	buffer_gl0_inv
	ds_read_b64 v[0:1], v136 offset:184
	s_cmp_lt_i32 s7, 25
	s_cbranch_scc1 .LBB122_389
; %bb.387:
	v_add3_u32 v131, v137, 0, 0xc0
	v_mov_b32_e32 v130, 23
	s_mov_b32 s0, 24
.LBB122_388:                            ; =>This Inner Loop Header: Depth=1
	ds_read_b64 v[140:141], v131
	v_add_nc_u32_e32 v131, 8, v131
	s_waitcnt lgkmcnt(0)
	v_cmp_lt_f64_e64 vcc_lo, |v[0:1]|, |v[140:141]|
	v_cndmask_b32_e32 v1, v1, v141, vcc_lo
	v_cndmask_b32_e32 v0, v0, v140, vcc_lo
	v_cndmask_b32_e64 v130, v130, s0, vcc_lo
	s_add_i32 s0, s0, 1
	s_cmp_lg_u32 s7, s0
	s_cbranch_scc1 .LBB122_388
.LBB122_389:
	s_mov_b32 s0, exec_lo
	s_waitcnt lgkmcnt(0)
	v_cmpx_eq_f64_e32 0, v[0:1]
	s_xor_b32 s0, exec_lo, s0
; %bb.390:
	v_cmp_ne_u32_e32 vcc_lo, 0, v133
	v_cndmask_b32_e32 v133, 24, v133, vcc_lo
; %bb.391:
	s_andn2_saveexec_b32 s0, s0
	s_cbranch_execz .LBB122_393
; %bb.392:
	v_div_scale_f64 v[131:132], null, v[0:1], v[0:1], 1.0
	v_rcp_f64_e32 v[140:141], v[131:132]
	v_fma_f64 v[142:143], -v[131:132], v[140:141], 1.0
	v_fma_f64 v[140:141], v[140:141], v[142:143], v[140:141]
	v_fma_f64 v[142:143], -v[131:132], v[140:141], 1.0
	v_fma_f64 v[140:141], v[140:141], v[142:143], v[140:141]
	v_div_scale_f64 v[142:143], vcc_lo, 1.0, v[0:1], 1.0
	v_mul_f64 v[144:145], v[142:143], v[140:141]
	v_fma_f64 v[131:132], -v[131:132], v[144:145], v[142:143]
	v_div_fmas_f64 v[131:132], v[131:132], v[140:141], v[144:145]
	v_div_fixup_f64 v[0:1], v[131:132], v[0:1], 1.0
.LBB122_393:
	s_or_b32 exec_lo, exec_lo, s0
	s_mov_b32 s0, exec_lo
	v_cmpx_ne_u32_e64 v139, v130
	s_xor_b32 s0, exec_lo, s0
	s_cbranch_execz .LBB122_399
; %bb.394:
	s_mov_b32 s1, exec_lo
	v_cmpx_eq_u32_e32 23, v139
	s_cbranch_execz .LBB122_398
; %bb.395:
	v_cmp_ne_u32_e32 vcc_lo, 23, v130
	s_xor_b32 s2, s6, -1
	s_and_b32 s3, s2, vcc_lo
	s_and_saveexec_b32 s2, s3
	s_cbranch_execz .LBB122_397
; %bb.396:
	v_ashrrev_i32_e32 v131, 31, v130
	v_lshlrev_b64 v[131:132], 2, v[130:131]
	v_add_co_u32 v131, vcc_lo, v4, v131
	v_add_co_ci_u32_e64 v132, null, v5, v132, vcc_lo
	s_clause 0x1
	global_load_dword v138, v[131:132], off
	global_load_dword v139, v[4:5], off offset:92
	s_waitcnt vmcnt(1)
	global_store_dword v[4:5], v138, off offset:92
	s_waitcnt vmcnt(0)
	global_store_dword v[131:132], v139, off
.LBB122_397:
	s_or_b32 exec_lo, exec_lo, s2
	v_mov_b32_e32 v138, v130
	v_mov_b32_e32 v139, v130
.LBB122_398:
	s_or_b32 exec_lo, exec_lo, s1
.LBB122_399:
	s_andn2_saveexec_b32 s0, s0
	s_cbranch_execz .LBB122_401
; %bb.400:
	v_mov_b32_e32 v130, v80
	v_mov_b32_e32 v131, v81
	v_mov_b32_e32 v139, v74
	v_mov_b32_e32 v140, v75
	v_mov_b32_e32 v141, v76
	v_mov_b32_e32 v142, v77
	v_mov_b32_e32 v143, v72
	v_mov_b32_e32 v144, v73
	v_mov_b32_e32 v145, v70
	v_mov_b32_e32 v146, v71
	v_mov_b32_e32 v147, v68
	v_mov_b32_e32 v148, v69
	v_mov_b32_e32 v149, v66
	v_mov_b32_e32 v150, v67
	v_mov_b32_e32 v151, v64
	v_mov_b32_e32 v152, v65
	v_mov_b32_e32 v153, v62
	v_mov_b32_e32 v154, v63
	v_mov_b32_e32 v155, v58
	v_mov_b32_e32 v156, v59
	ds_write2_b64 v136, v[130:131], v[139:140] offset0:24 offset1:25
	ds_write2_b64 v136, v[141:142], v[143:144] offset0:26 offset1:27
	ds_write2_b64 v136, v[145:146], v[147:148] offset0:28 offset1:29
	ds_write2_b64 v136, v[149:150], v[151:152] offset0:30 offset1:31
	ds_write2_b64 v136, v[153:154], v[155:156] offset0:32 offset1:33
	v_mov_b32_e32 v130, v60
	v_mov_b32_e32 v131, v61
	v_mov_b32_e32 v139, v54
	v_mov_b32_e32 v140, v55
	v_mov_b32_e32 v141, v56
	v_mov_b32_e32 v142, v57
	v_mov_b32_e32 v143, v52
	v_mov_b32_e32 v144, v53
	v_mov_b32_e32 v145, v50
	v_mov_b32_e32 v146, v51
	v_mov_b32_e32 v147, v48
	v_mov_b32_e32 v148, v49
	v_mov_b32_e32 v149, v46
	v_mov_b32_e32 v150, v47
	v_mov_b32_e32 v151, v44
	v_mov_b32_e32 v152, v45
	v_mov_b32_e32 v153, v42
	v_mov_b32_e32 v154, v43
	v_mov_b32_e32 v155, v38
	v_mov_b32_e32 v156, v39
	ds_write2_b64 v136, v[130:131], v[139:140] offset0:34 offset1:35
	ds_write2_b64 v136, v[141:142], v[143:144] offset0:36 offset1:37
	ds_write2_b64 v136, v[145:146], v[147:148] offset0:38 offset1:39
	ds_write2_b64 v136, v[149:150], v[151:152] offset0:40 offset1:41
	ds_write2_b64 v136, v[153:154], v[155:156] offset0:42 offset1:43
	;; [unrolled: 25-line block ×3, first 2 shown]
	v_mov_b32_e32 v130, v20
	v_mov_b32_e32 v131, v21
	;; [unrolled: 1-line block ×15, first 2 shown]
	ds_write2_b64 v136, v[130:131], v[140:141] offset0:54 offset1:55
	ds_write2_b64 v136, v[142:143], v[144:145] offset0:56 offset1:57
	;; [unrolled: 1-line block ×4, first 2 shown]
.LBB122_401:
	s_or_b32 exec_lo, exec_lo, s0
	s_mov_b32 s0, exec_lo
	s_waitcnt lgkmcnt(0)
	s_waitcnt_vscnt null, 0x0
	s_barrier
	buffer_gl0_inv
	v_cmpx_lt_i32_e32 23, v139
	s_cbranch_execz .LBB122_403
; %bb.402:
	v_mul_f64 v[78:79], v[0:1], v[78:79]
	ds_read2_b64 v[140:143], v136 offset0:24 offset1:25
	ds_read2_b64 v[144:147], v136 offset0:26 offset1:27
	;; [unrolled: 1-line block ×12, first 2 shown]
	s_waitcnt lgkmcnt(11)
	v_fma_f64 v[80:81], -v[78:79], v[140:141], v[80:81]
	v_fma_f64 v[74:75], -v[78:79], v[142:143], v[74:75]
	s_waitcnt lgkmcnt(10)
	v_fma_f64 v[76:77], -v[78:79], v[144:145], v[76:77]
	v_fma_f64 v[72:73], -v[78:79], v[146:147], v[72:73]
	;; [unrolled: 3-line block ×5, first 2 shown]
	s_waitcnt lgkmcnt(6)
	v_fma_f64 v[60:61], -v[78:79], v[160:161], v[60:61]
	ds_read2_b64 v[140:143], v136 offset0:48 offset1:49
	ds_read2_b64 v[144:147], v136 offset0:50 offset1:51
	v_fma_f64 v[54:55], -v[78:79], v[162:163], v[54:55]
	s_waitcnt lgkmcnt(7)
	v_fma_f64 v[56:57], -v[78:79], v[164:165], v[56:57]
	ds_read2_b64 v[148:151], v136 offset0:52 offset1:53
	ds_read2_b64 v[152:155], v136 offset0:54 offset1:55
	v_fma_f64 v[52:53], -v[78:79], v[166:167], v[52:53]
	ds_read2_b64 v[156:159], v136 offset0:56 offset1:57
	ds_read2_b64 v[160:163], v136 offset0:58 offset1:59
	;; [unrolled: 1-line block ×3, first 2 shown]
	s_waitcnt lgkmcnt(11)
	v_fma_f64 v[50:51], -v[78:79], v[168:169], v[50:51]
	v_fma_f64 v[48:49], -v[78:79], v[170:171], v[48:49]
	s_waitcnt lgkmcnt(10)
	v_fma_f64 v[46:47], -v[78:79], v[172:173], v[46:47]
	v_fma_f64 v[44:45], -v[78:79], v[174:175], v[44:45]
	;; [unrolled: 3-line block ×12, first 2 shown]
.LBB122_403:
	s_or_b32 exec_lo, exec_lo, s0
	v_lshl_add_u32 v0, v139, 3, v136
	s_barrier
	buffer_gl0_inv
	v_mov_b32_e32 v130, 24
	ds_write_b64 v0, v[80:81]
	s_waitcnt lgkmcnt(0)
	s_barrier
	buffer_gl0_inv
	ds_read_b64 v[0:1], v136 offset:192
	s_cmp_lt_i32 s7, 26
	s_cbranch_scc1 .LBB122_406
; %bb.404:
	v_add3_u32 v131, v137, 0, 0xc8
	v_mov_b32_e32 v130, 24
	s_mov_b32 s0, 25
.LBB122_405:                            ; =>This Inner Loop Header: Depth=1
	ds_read_b64 v[140:141], v131
	v_add_nc_u32_e32 v131, 8, v131
	s_waitcnt lgkmcnt(0)
	v_cmp_lt_f64_e64 vcc_lo, |v[0:1]|, |v[140:141]|
	v_cndmask_b32_e32 v1, v1, v141, vcc_lo
	v_cndmask_b32_e32 v0, v0, v140, vcc_lo
	v_cndmask_b32_e64 v130, v130, s0, vcc_lo
	s_add_i32 s0, s0, 1
	s_cmp_lg_u32 s7, s0
	s_cbranch_scc1 .LBB122_405
.LBB122_406:
	s_mov_b32 s0, exec_lo
	s_waitcnt lgkmcnt(0)
	v_cmpx_eq_f64_e32 0, v[0:1]
	s_xor_b32 s0, exec_lo, s0
; %bb.407:
	v_cmp_ne_u32_e32 vcc_lo, 0, v133
	v_cndmask_b32_e32 v133, 25, v133, vcc_lo
; %bb.408:
	s_andn2_saveexec_b32 s0, s0
	s_cbranch_execz .LBB122_410
; %bb.409:
	v_div_scale_f64 v[131:132], null, v[0:1], v[0:1], 1.0
	v_rcp_f64_e32 v[140:141], v[131:132]
	v_fma_f64 v[142:143], -v[131:132], v[140:141], 1.0
	v_fma_f64 v[140:141], v[140:141], v[142:143], v[140:141]
	v_fma_f64 v[142:143], -v[131:132], v[140:141], 1.0
	v_fma_f64 v[140:141], v[140:141], v[142:143], v[140:141]
	v_div_scale_f64 v[142:143], vcc_lo, 1.0, v[0:1], 1.0
	v_mul_f64 v[144:145], v[142:143], v[140:141]
	v_fma_f64 v[131:132], -v[131:132], v[144:145], v[142:143]
	v_div_fmas_f64 v[131:132], v[131:132], v[140:141], v[144:145]
	v_div_fixup_f64 v[0:1], v[131:132], v[0:1], 1.0
.LBB122_410:
	s_or_b32 exec_lo, exec_lo, s0
	s_mov_b32 s0, exec_lo
	v_cmpx_ne_u32_e64 v139, v130
	s_xor_b32 s0, exec_lo, s0
	s_cbranch_execz .LBB122_416
; %bb.411:
	s_mov_b32 s1, exec_lo
	v_cmpx_eq_u32_e32 24, v139
	s_cbranch_execz .LBB122_415
; %bb.412:
	v_cmp_ne_u32_e32 vcc_lo, 24, v130
	s_xor_b32 s2, s6, -1
	s_and_b32 s3, s2, vcc_lo
	s_and_saveexec_b32 s2, s3
	s_cbranch_execz .LBB122_414
; %bb.413:
	v_ashrrev_i32_e32 v131, 31, v130
	v_lshlrev_b64 v[131:132], 2, v[130:131]
	v_add_co_u32 v131, vcc_lo, v4, v131
	v_add_co_ci_u32_e64 v132, null, v5, v132, vcc_lo
	s_clause 0x1
	global_load_dword v138, v[131:132], off
	global_load_dword v139, v[4:5], off offset:96
	s_waitcnt vmcnt(1)
	global_store_dword v[4:5], v138, off offset:96
	s_waitcnt vmcnt(0)
	global_store_dword v[131:132], v139, off
.LBB122_414:
	s_or_b32 exec_lo, exec_lo, s2
	v_mov_b32_e32 v138, v130
	v_mov_b32_e32 v139, v130
.LBB122_415:
	s_or_b32 exec_lo, exec_lo, s1
.LBB122_416:
	s_andn2_saveexec_b32 s0, s0
	s_cbranch_execz .LBB122_418
; %bb.417:
	v_mov_b32_e32 v139, 24
	ds_write2_b64 v136, v[74:75], v[76:77] offset0:25 offset1:26
	ds_write2_b64 v136, v[72:73], v[70:71] offset0:27 offset1:28
	;; [unrolled: 1-line block ×18, first 2 shown]
	ds_write_b64 v136, v[128:129] offset:488
.LBB122_418:
	s_or_b32 exec_lo, exec_lo, s0
	s_mov_b32 s0, exec_lo
	s_waitcnt lgkmcnt(0)
	s_waitcnt_vscnt null, 0x0
	s_barrier
	buffer_gl0_inv
	v_cmpx_lt_i32_e32 24, v139
	s_cbranch_execz .LBB122_420
; %bb.419:
	v_mul_f64 v[80:81], v[0:1], v[80:81]
	ds_read2_b64 v[140:143], v136 offset0:25 offset1:26
	ds_read2_b64 v[144:147], v136 offset0:27 offset1:28
	;; [unrolled: 1-line block ×12, first 2 shown]
	ds_read_b64 v[0:1], v136 offset:488
	s_waitcnt lgkmcnt(12)
	v_fma_f64 v[74:75], -v[80:81], v[140:141], v[74:75]
	v_fma_f64 v[76:77], -v[80:81], v[142:143], v[76:77]
	s_waitcnt lgkmcnt(11)
	v_fma_f64 v[72:73], -v[80:81], v[144:145], v[72:73]
	v_fma_f64 v[70:71], -v[80:81], v[146:147], v[70:71]
	;; [unrolled: 3-line block ×5, first 2 shown]
	s_waitcnt lgkmcnt(7)
	v_fma_f64 v[54:55], -v[80:81], v[160:161], v[54:55]
	ds_read2_b64 v[140:143], v136 offset0:49 offset1:50
	ds_read2_b64 v[144:147], v136 offset0:51 offset1:52
	v_fma_f64 v[56:57], -v[80:81], v[162:163], v[56:57]
	ds_read2_b64 v[148:151], v136 offset0:53 offset1:54
	ds_read2_b64 v[152:155], v136 offset0:55 offset1:56
	;; [unrolled: 1-line block ×4, first 2 shown]
	s_waitcnt lgkmcnt(12)
	v_fma_f64 v[52:53], -v[80:81], v[164:165], v[52:53]
	v_fma_f64 v[50:51], -v[80:81], v[166:167], v[50:51]
	s_waitcnt lgkmcnt(11)
	v_fma_f64 v[48:49], -v[80:81], v[168:169], v[48:49]
	v_fma_f64 v[46:47], -v[80:81], v[170:171], v[46:47]
	;; [unrolled: 3-line block ×6, first 2 shown]
	s_waitcnt lgkmcnt(6)
	v_fma_f64 v[128:129], -v[80:81], v[0:1], v[128:129]
	s_waitcnt lgkmcnt(5)
	v_fma_f64 v[28:29], -v[80:81], v[140:141], v[28:29]
	v_fma_f64 v[26:27], -v[80:81], v[142:143], v[26:27]
	s_waitcnt lgkmcnt(4)
	v_fma_f64 v[24:25], -v[80:81], v[144:145], v[24:25]
	;; [unrolled: 3-line block ×6, first 2 shown]
	v_fma_f64 v[10:11], -v[80:81], v[162:163], v[10:11]
.LBB122_420:
	s_or_b32 exec_lo, exec_lo, s0
	v_lshl_add_u32 v0, v139, 3, v136
	s_barrier
	buffer_gl0_inv
	v_mov_b32_e32 v130, 25
	ds_write_b64 v0, v[74:75]
	s_waitcnt lgkmcnt(0)
	s_barrier
	buffer_gl0_inv
	ds_read_b64 v[0:1], v136 offset:200
	s_cmp_lt_i32 s7, 27
	s_cbranch_scc1 .LBB122_423
; %bb.421:
	v_add3_u32 v131, v137, 0, 0xd0
	v_mov_b32_e32 v130, 25
	s_mov_b32 s0, 26
.LBB122_422:                            ; =>This Inner Loop Header: Depth=1
	ds_read_b64 v[140:141], v131
	v_add_nc_u32_e32 v131, 8, v131
	s_waitcnt lgkmcnt(0)
	v_cmp_lt_f64_e64 vcc_lo, |v[0:1]|, |v[140:141]|
	v_cndmask_b32_e32 v1, v1, v141, vcc_lo
	v_cndmask_b32_e32 v0, v0, v140, vcc_lo
	v_cndmask_b32_e64 v130, v130, s0, vcc_lo
	s_add_i32 s0, s0, 1
	s_cmp_lg_u32 s7, s0
	s_cbranch_scc1 .LBB122_422
.LBB122_423:
	s_mov_b32 s0, exec_lo
	s_waitcnt lgkmcnt(0)
	v_cmpx_eq_f64_e32 0, v[0:1]
	s_xor_b32 s0, exec_lo, s0
; %bb.424:
	v_cmp_ne_u32_e32 vcc_lo, 0, v133
	v_cndmask_b32_e32 v133, 26, v133, vcc_lo
; %bb.425:
	s_andn2_saveexec_b32 s0, s0
	s_cbranch_execz .LBB122_427
; %bb.426:
	v_div_scale_f64 v[131:132], null, v[0:1], v[0:1], 1.0
	v_rcp_f64_e32 v[140:141], v[131:132]
	v_fma_f64 v[142:143], -v[131:132], v[140:141], 1.0
	v_fma_f64 v[140:141], v[140:141], v[142:143], v[140:141]
	v_fma_f64 v[142:143], -v[131:132], v[140:141], 1.0
	v_fma_f64 v[140:141], v[140:141], v[142:143], v[140:141]
	v_div_scale_f64 v[142:143], vcc_lo, 1.0, v[0:1], 1.0
	v_mul_f64 v[144:145], v[142:143], v[140:141]
	v_fma_f64 v[131:132], -v[131:132], v[144:145], v[142:143]
	v_div_fmas_f64 v[131:132], v[131:132], v[140:141], v[144:145]
	v_div_fixup_f64 v[0:1], v[131:132], v[0:1], 1.0
.LBB122_427:
	s_or_b32 exec_lo, exec_lo, s0
	s_mov_b32 s0, exec_lo
	v_cmpx_ne_u32_e64 v139, v130
	s_xor_b32 s0, exec_lo, s0
	s_cbranch_execz .LBB122_433
; %bb.428:
	s_mov_b32 s1, exec_lo
	v_cmpx_eq_u32_e32 25, v139
	s_cbranch_execz .LBB122_432
; %bb.429:
	v_cmp_ne_u32_e32 vcc_lo, 25, v130
	s_xor_b32 s2, s6, -1
	s_and_b32 s3, s2, vcc_lo
	s_and_saveexec_b32 s2, s3
	s_cbranch_execz .LBB122_431
; %bb.430:
	v_ashrrev_i32_e32 v131, 31, v130
	v_lshlrev_b64 v[131:132], 2, v[130:131]
	v_add_co_u32 v131, vcc_lo, v4, v131
	v_add_co_ci_u32_e64 v132, null, v5, v132, vcc_lo
	s_clause 0x1
	global_load_dword v138, v[131:132], off
	global_load_dword v139, v[4:5], off offset:100
	s_waitcnt vmcnt(1)
	global_store_dword v[4:5], v138, off offset:100
	s_waitcnt vmcnt(0)
	global_store_dword v[131:132], v139, off
.LBB122_431:
	s_or_b32 exec_lo, exec_lo, s2
	v_mov_b32_e32 v138, v130
	v_mov_b32_e32 v139, v130
.LBB122_432:
	s_or_b32 exec_lo, exec_lo, s1
.LBB122_433:
	s_andn2_saveexec_b32 s0, s0
	s_cbranch_execz .LBB122_435
; %bb.434:
	v_mov_b32_e32 v130, v76
	v_mov_b32_e32 v131, v77
	;; [unrolled: 1-line block ×16, first 2 shown]
	ds_write2_b64 v136, v[130:131], v[139:140] offset0:26 offset1:27
	ds_write2_b64 v136, v[141:142], v[143:144] offset0:28 offset1:29
	;; [unrolled: 1-line block ×4, first 2 shown]
	v_mov_b32_e32 v130, v60
	v_mov_b32_e32 v131, v61
	;; [unrolled: 1-line block ×20, first 2 shown]
	ds_write2_b64 v136, v[130:131], v[139:140] offset0:34 offset1:35
	ds_write2_b64 v136, v[141:142], v[143:144] offset0:36 offset1:37
	;; [unrolled: 1-line block ×5, first 2 shown]
	v_mov_b32_e32 v130, v40
	v_mov_b32_e32 v131, v41
	;; [unrolled: 1-line block ×20, first 2 shown]
	ds_write2_b64 v136, v[130:131], v[139:140] offset0:44 offset1:45
	ds_write2_b64 v136, v[141:142], v[143:144] offset0:46 offset1:47
	;; [unrolled: 1-line block ×5, first 2 shown]
	v_mov_b32_e32 v130, v20
	v_mov_b32_e32 v131, v21
	v_mov_b32_e32 v140, v16
	v_mov_b32_e32 v141, v17
	v_mov_b32_e32 v139, 25
	v_mov_b32_e32 v142, v14
	v_mov_b32_e32 v143, v15
	v_mov_b32_e32 v144, v8
	v_mov_b32_e32 v145, v9
	v_mov_b32_e32 v146, v12
	v_mov_b32_e32 v147, v13
	v_mov_b32_e32 v148, v6
	v_mov_b32_e32 v149, v7
	v_mov_b32_e32 v150, v10
	v_mov_b32_e32 v151, v11
	ds_write2_b64 v136, v[130:131], v[140:141] offset0:54 offset1:55
	ds_write2_b64 v136, v[142:143], v[144:145] offset0:56 offset1:57
	;; [unrolled: 1-line block ×4, first 2 shown]
.LBB122_435:
	s_or_b32 exec_lo, exec_lo, s0
	s_mov_b32 s0, exec_lo
	s_waitcnt lgkmcnt(0)
	s_waitcnt_vscnt null, 0x0
	s_barrier
	buffer_gl0_inv
	v_cmpx_lt_i32_e32 25, v139
	s_cbranch_execz .LBB122_437
; %bb.436:
	v_mul_f64 v[74:75], v[0:1], v[74:75]
	ds_read2_b64 v[140:143], v136 offset0:26 offset1:27
	ds_read2_b64 v[144:147], v136 offset0:28 offset1:29
	;; [unrolled: 1-line block ×12, first 2 shown]
	s_waitcnt lgkmcnt(11)
	v_fma_f64 v[76:77], -v[74:75], v[140:141], v[76:77]
	v_fma_f64 v[72:73], -v[74:75], v[142:143], v[72:73]
	s_waitcnt lgkmcnt(10)
	v_fma_f64 v[70:71], -v[74:75], v[144:145], v[70:71]
	v_fma_f64 v[68:69], -v[74:75], v[146:147], v[68:69]
	;; [unrolled: 3-line block ×5, first 2 shown]
	ds_read2_b64 v[140:143], v136 offset0:50 offset1:51
	ds_read2_b64 v[144:147], v136 offset0:52 offset1:53
	s_waitcnt lgkmcnt(8)
	v_fma_f64 v[56:57], -v[74:75], v[160:161], v[56:57]
	v_fma_f64 v[52:53], -v[74:75], v[162:163], v[52:53]
	ds_read2_b64 v[148:151], v136 offset0:54 offset1:55
	ds_read2_b64 v[152:155], v136 offset0:56 offset1:57
	;; [unrolled: 1-line block ×4, first 2 shown]
	s_waitcnt lgkmcnt(11)
	v_fma_f64 v[50:51], -v[74:75], v[164:165], v[50:51]
	v_fma_f64 v[48:49], -v[74:75], v[166:167], v[48:49]
	s_waitcnt lgkmcnt(10)
	v_fma_f64 v[46:47], -v[74:75], v[168:169], v[46:47]
	v_fma_f64 v[44:45], -v[74:75], v[170:171], v[44:45]
	;; [unrolled: 3-line block ×12, first 2 shown]
.LBB122_437:
	s_or_b32 exec_lo, exec_lo, s0
	v_lshl_add_u32 v0, v139, 3, v136
	s_barrier
	buffer_gl0_inv
	v_mov_b32_e32 v130, 26
	ds_write_b64 v0, v[76:77]
	s_waitcnt lgkmcnt(0)
	s_barrier
	buffer_gl0_inv
	ds_read_b64 v[0:1], v136 offset:208
	s_cmp_lt_i32 s7, 28
	s_cbranch_scc1 .LBB122_440
; %bb.438:
	v_add3_u32 v131, v137, 0, 0xd8
	v_mov_b32_e32 v130, 26
	s_mov_b32 s0, 27
.LBB122_439:                            ; =>This Inner Loop Header: Depth=1
	ds_read_b64 v[140:141], v131
	v_add_nc_u32_e32 v131, 8, v131
	s_waitcnt lgkmcnt(0)
	v_cmp_lt_f64_e64 vcc_lo, |v[0:1]|, |v[140:141]|
	v_cndmask_b32_e32 v1, v1, v141, vcc_lo
	v_cndmask_b32_e32 v0, v0, v140, vcc_lo
	v_cndmask_b32_e64 v130, v130, s0, vcc_lo
	s_add_i32 s0, s0, 1
	s_cmp_lg_u32 s7, s0
	s_cbranch_scc1 .LBB122_439
.LBB122_440:
	s_mov_b32 s0, exec_lo
	s_waitcnt lgkmcnt(0)
	v_cmpx_eq_f64_e32 0, v[0:1]
	s_xor_b32 s0, exec_lo, s0
; %bb.441:
	v_cmp_ne_u32_e32 vcc_lo, 0, v133
	v_cndmask_b32_e32 v133, 27, v133, vcc_lo
; %bb.442:
	s_andn2_saveexec_b32 s0, s0
	s_cbranch_execz .LBB122_444
; %bb.443:
	v_div_scale_f64 v[131:132], null, v[0:1], v[0:1], 1.0
	v_rcp_f64_e32 v[140:141], v[131:132]
	v_fma_f64 v[142:143], -v[131:132], v[140:141], 1.0
	v_fma_f64 v[140:141], v[140:141], v[142:143], v[140:141]
	v_fma_f64 v[142:143], -v[131:132], v[140:141], 1.0
	v_fma_f64 v[140:141], v[140:141], v[142:143], v[140:141]
	v_div_scale_f64 v[142:143], vcc_lo, 1.0, v[0:1], 1.0
	v_mul_f64 v[144:145], v[142:143], v[140:141]
	v_fma_f64 v[131:132], -v[131:132], v[144:145], v[142:143]
	v_div_fmas_f64 v[131:132], v[131:132], v[140:141], v[144:145]
	v_div_fixup_f64 v[0:1], v[131:132], v[0:1], 1.0
.LBB122_444:
	s_or_b32 exec_lo, exec_lo, s0
	s_mov_b32 s0, exec_lo
	v_cmpx_ne_u32_e64 v139, v130
	s_xor_b32 s0, exec_lo, s0
	s_cbranch_execz .LBB122_450
; %bb.445:
	s_mov_b32 s1, exec_lo
	v_cmpx_eq_u32_e32 26, v139
	s_cbranch_execz .LBB122_449
; %bb.446:
	v_cmp_ne_u32_e32 vcc_lo, 26, v130
	s_xor_b32 s2, s6, -1
	s_and_b32 s3, s2, vcc_lo
	s_and_saveexec_b32 s2, s3
	s_cbranch_execz .LBB122_448
; %bb.447:
	v_ashrrev_i32_e32 v131, 31, v130
	v_lshlrev_b64 v[131:132], 2, v[130:131]
	v_add_co_u32 v131, vcc_lo, v4, v131
	v_add_co_ci_u32_e64 v132, null, v5, v132, vcc_lo
	s_clause 0x1
	global_load_dword v138, v[131:132], off
	global_load_dword v139, v[4:5], off offset:104
	s_waitcnt vmcnt(1)
	global_store_dword v[4:5], v138, off offset:104
	s_waitcnt vmcnt(0)
	global_store_dword v[131:132], v139, off
.LBB122_448:
	s_or_b32 exec_lo, exec_lo, s2
	v_mov_b32_e32 v138, v130
	v_mov_b32_e32 v139, v130
.LBB122_449:
	s_or_b32 exec_lo, exec_lo, s1
.LBB122_450:
	s_andn2_saveexec_b32 s0, s0
	s_cbranch_execz .LBB122_452
; %bb.451:
	v_mov_b32_e32 v139, 26
	ds_write2_b64 v136, v[72:73], v[70:71] offset0:27 offset1:28
	ds_write2_b64 v136, v[68:69], v[66:67] offset0:29 offset1:30
	;; [unrolled: 1-line block ×17, first 2 shown]
	ds_write_b64 v136, v[128:129] offset:488
.LBB122_452:
	s_or_b32 exec_lo, exec_lo, s0
	s_mov_b32 s0, exec_lo
	s_waitcnt lgkmcnt(0)
	s_waitcnt_vscnt null, 0x0
	s_barrier
	buffer_gl0_inv
	v_cmpx_lt_i32_e32 26, v139
	s_cbranch_execz .LBB122_454
; %bb.453:
	v_mul_f64 v[76:77], v[0:1], v[76:77]
	ds_read2_b64 v[140:143], v136 offset0:27 offset1:28
	ds_read2_b64 v[144:147], v136 offset0:29 offset1:30
	;; [unrolled: 1-line block ×12, first 2 shown]
	ds_read_b64 v[0:1], v136 offset:488
	s_waitcnt lgkmcnt(12)
	v_fma_f64 v[72:73], -v[76:77], v[140:141], v[72:73]
	v_fma_f64 v[70:71], -v[76:77], v[142:143], v[70:71]
	s_waitcnt lgkmcnt(11)
	v_fma_f64 v[68:69], -v[76:77], v[144:145], v[68:69]
	v_fma_f64 v[66:67], -v[76:77], v[146:147], v[66:67]
	;; [unrolled: 3-line block ×5, first 2 shown]
	ds_read2_b64 v[140:143], v136 offset0:51 offset1:52
	ds_read2_b64 v[144:147], v136 offset0:53 offset1:54
	;; [unrolled: 1-line block ×5, first 2 shown]
	s_waitcnt lgkmcnt(12)
	v_fma_f64 v[52:53], -v[76:77], v[160:161], v[52:53]
	v_fma_f64 v[50:51], -v[76:77], v[162:163], v[50:51]
	s_waitcnt lgkmcnt(11)
	v_fma_f64 v[48:49], -v[76:77], v[164:165], v[48:49]
	v_fma_f64 v[46:47], -v[76:77], v[166:167], v[46:47]
	;; [unrolled: 3-line block ×7, first 2 shown]
	s_waitcnt lgkmcnt(5)
	v_fma_f64 v[128:129], -v[76:77], v[0:1], v[128:129]
	s_waitcnt lgkmcnt(4)
	v_fma_f64 v[24:25], -v[76:77], v[140:141], v[24:25]
	v_fma_f64 v[22:23], -v[76:77], v[142:143], v[22:23]
	s_waitcnt lgkmcnt(3)
	v_fma_f64 v[18:19], -v[76:77], v[144:145], v[18:19]
	;; [unrolled: 3-line block ×5, first 2 shown]
	v_fma_f64 v[10:11], -v[76:77], v[158:159], v[10:11]
.LBB122_454:
	s_or_b32 exec_lo, exec_lo, s0
	v_lshl_add_u32 v0, v139, 3, v136
	s_barrier
	buffer_gl0_inv
	v_mov_b32_e32 v130, 27
	ds_write_b64 v0, v[72:73]
	s_waitcnt lgkmcnt(0)
	s_barrier
	buffer_gl0_inv
	ds_read_b64 v[0:1], v136 offset:216
	s_cmp_lt_i32 s7, 29
	s_cbranch_scc1 .LBB122_457
; %bb.455:
	v_add3_u32 v131, v137, 0, 0xe0
	v_mov_b32_e32 v130, 27
	s_mov_b32 s0, 28
.LBB122_456:                            ; =>This Inner Loop Header: Depth=1
	ds_read_b64 v[140:141], v131
	v_add_nc_u32_e32 v131, 8, v131
	s_waitcnt lgkmcnt(0)
	v_cmp_lt_f64_e64 vcc_lo, |v[0:1]|, |v[140:141]|
	v_cndmask_b32_e32 v1, v1, v141, vcc_lo
	v_cndmask_b32_e32 v0, v0, v140, vcc_lo
	v_cndmask_b32_e64 v130, v130, s0, vcc_lo
	s_add_i32 s0, s0, 1
	s_cmp_lg_u32 s7, s0
	s_cbranch_scc1 .LBB122_456
.LBB122_457:
	s_mov_b32 s0, exec_lo
	s_waitcnt lgkmcnt(0)
	v_cmpx_eq_f64_e32 0, v[0:1]
	s_xor_b32 s0, exec_lo, s0
; %bb.458:
	v_cmp_ne_u32_e32 vcc_lo, 0, v133
	v_cndmask_b32_e32 v133, 28, v133, vcc_lo
; %bb.459:
	s_andn2_saveexec_b32 s0, s0
	s_cbranch_execz .LBB122_461
; %bb.460:
	v_div_scale_f64 v[131:132], null, v[0:1], v[0:1], 1.0
	v_rcp_f64_e32 v[140:141], v[131:132]
	v_fma_f64 v[142:143], -v[131:132], v[140:141], 1.0
	v_fma_f64 v[140:141], v[140:141], v[142:143], v[140:141]
	v_fma_f64 v[142:143], -v[131:132], v[140:141], 1.0
	v_fma_f64 v[140:141], v[140:141], v[142:143], v[140:141]
	v_div_scale_f64 v[142:143], vcc_lo, 1.0, v[0:1], 1.0
	v_mul_f64 v[144:145], v[142:143], v[140:141]
	v_fma_f64 v[131:132], -v[131:132], v[144:145], v[142:143]
	v_div_fmas_f64 v[131:132], v[131:132], v[140:141], v[144:145]
	v_div_fixup_f64 v[0:1], v[131:132], v[0:1], 1.0
.LBB122_461:
	s_or_b32 exec_lo, exec_lo, s0
	s_mov_b32 s0, exec_lo
	v_cmpx_ne_u32_e64 v139, v130
	s_xor_b32 s0, exec_lo, s0
	s_cbranch_execz .LBB122_467
; %bb.462:
	s_mov_b32 s1, exec_lo
	v_cmpx_eq_u32_e32 27, v139
	s_cbranch_execz .LBB122_466
; %bb.463:
	v_cmp_ne_u32_e32 vcc_lo, 27, v130
	s_xor_b32 s2, s6, -1
	s_and_b32 s3, s2, vcc_lo
	s_and_saveexec_b32 s2, s3
	s_cbranch_execz .LBB122_465
; %bb.464:
	v_ashrrev_i32_e32 v131, 31, v130
	v_lshlrev_b64 v[131:132], 2, v[130:131]
	v_add_co_u32 v131, vcc_lo, v4, v131
	v_add_co_ci_u32_e64 v132, null, v5, v132, vcc_lo
	s_clause 0x1
	global_load_dword v138, v[131:132], off
	global_load_dword v139, v[4:5], off offset:108
	s_waitcnt vmcnt(1)
	global_store_dword v[4:5], v138, off offset:108
	s_waitcnt vmcnt(0)
	global_store_dword v[131:132], v139, off
.LBB122_465:
	s_or_b32 exec_lo, exec_lo, s2
	v_mov_b32_e32 v138, v130
	v_mov_b32_e32 v139, v130
.LBB122_466:
	s_or_b32 exec_lo, exec_lo, s1
.LBB122_467:
	s_andn2_saveexec_b32 s0, s0
	s_cbranch_execz .LBB122_469
; %bb.468:
	v_mov_b32_e32 v130, v70
	v_mov_b32_e32 v131, v71
	;; [unrolled: 1-line block ×12, first 2 shown]
	ds_write2_b64 v136, v[130:131], v[139:140] offset0:28 offset1:29
	ds_write2_b64 v136, v[141:142], v[143:144] offset0:30 offset1:31
	;; [unrolled: 1-line block ×3, first 2 shown]
	v_mov_b32_e32 v130, v60
	v_mov_b32_e32 v131, v61
	;; [unrolled: 1-line block ×20, first 2 shown]
	ds_write2_b64 v136, v[130:131], v[139:140] offset0:34 offset1:35
	ds_write2_b64 v136, v[141:142], v[143:144] offset0:36 offset1:37
	;; [unrolled: 1-line block ×5, first 2 shown]
	v_mov_b32_e32 v130, v40
	v_mov_b32_e32 v131, v41
	;; [unrolled: 1-line block ×20, first 2 shown]
	ds_write2_b64 v136, v[130:131], v[139:140] offset0:44 offset1:45
	ds_write2_b64 v136, v[141:142], v[143:144] offset0:46 offset1:47
	;; [unrolled: 1-line block ×5, first 2 shown]
	v_mov_b32_e32 v130, v20
	v_mov_b32_e32 v131, v21
	;; [unrolled: 1-line block ×15, first 2 shown]
	ds_write2_b64 v136, v[130:131], v[140:141] offset0:54 offset1:55
	ds_write2_b64 v136, v[142:143], v[144:145] offset0:56 offset1:57
	ds_write2_b64 v136, v[146:147], v[148:149] offset0:58 offset1:59
	ds_write2_b64 v136, v[150:151], v[128:129] offset0:60 offset1:61
.LBB122_469:
	s_or_b32 exec_lo, exec_lo, s0
	s_mov_b32 s0, exec_lo
	s_waitcnt lgkmcnt(0)
	s_waitcnt_vscnt null, 0x0
	s_barrier
	buffer_gl0_inv
	v_cmpx_lt_i32_e32 27, v139
	s_cbranch_execz .LBB122_471
; %bb.470:
	v_mul_f64 v[72:73], v[0:1], v[72:73]
	ds_read2_b64 v[140:143], v136 offset0:28 offset1:29
	ds_read2_b64 v[144:147], v136 offset0:30 offset1:31
	ds_read2_b64 v[148:151], v136 offset0:32 offset1:33
	ds_read2_b64 v[152:155], v136 offset0:34 offset1:35
	ds_read2_b64 v[156:159], v136 offset0:36 offset1:37
	ds_read2_b64 v[160:163], v136 offset0:38 offset1:39
	ds_read2_b64 v[164:167], v136 offset0:40 offset1:41
	ds_read2_b64 v[168:171], v136 offset0:42 offset1:43
	ds_read2_b64 v[172:175], v136 offset0:44 offset1:45
	ds_read2_b64 v[176:179], v136 offset0:46 offset1:47
	ds_read2_b64 v[180:183], v136 offset0:48 offset1:49
	ds_read2_b64 v[184:187], v136 offset0:50 offset1:51
	ds_read2_b64 v[188:191], v136 offset0:52 offset1:53
	s_waitcnt lgkmcnt(12)
	v_fma_f64 v[70:71], -v[72:73], v[140:141], v[70:71]
	v_fma_f64 v[68:69], -v[72:73], v[142:143], v[68:69]
	s_waitcnt lgkmcnt(11)
	v_fma_f64 v[66:67], -v[72:73], v[144:145], v[66:67]
	v_fma_f64 v[64:65], -v[72:73], v[146:147], v[64:65]
	;; [unrolled: 3-line block ×4, first 2 shown]
	ds_read2_b64 v[140:143], v136 offset0:54 offset1:55
	ds_read2_b64 v[144:147], v136 offset0:56 offset1:57
	;; [unrolled: 1-line block ×4, first 2 shown]
	s_waitcnt lgkmcnt(12)
	v_fma_f64 v[56:57], -v[72:73], v[156:157], v[56:57]
	v_fma_f64 v[52:53], -v[72:73], v[158:159], v[52:53]
	s_waitcnt lgkmcnt(11)
	v_fma_f64 v[50:51], -v[72:73], v[160:161], v[50:51]
	v_fma_f64 v[48:49], -v[72:73], v[162:163], v[48:49]
	;; [unrolled: 3-line block ×13, first 2 shown]
.LBB122_471:
	s_or_b32 exec_lo, exec_lo, s0
	v_lshl_add_u32 v0, v139, 3, v136
	s_barrier
	buffer_gl0_inv
	v_mov_b32_e32 v130, 28
	ds_write_b64 v0, v[70:71]
	s_waitcnt lgkmcnt(0)
	s_barrier
	buffer_gl0_inv
	ds_read_b64 v[0:1], v136 offset:224
	s_cmp_lt_i32 s7, 30
	s_cbranch_scc1 .LBB122_474
; %bb.472:
	v_add3_u32 v131, v137, 0, 0xe8
	v_mov_b32_e32 v130, 28
	s_mov_b32 s0, 29
.LBB122_473:                            ; =>This Inner Loop Header: Depth=1
	ds_read_b64 v[140:141], v131
	v_add_nc_u32_e32 v131, 8, v131
	s_waitcnt lgkmcnt(0)
	v_cmp_lt_f64_e64 vcc_lo, |v[0:1]|, |v[140:141]|
	v_cndmask_b32_e32 v1, v1, v141, vcc_lo
	v_cndmask_b32_e32 v0, v0, v140, vcc_lo
	v_cndmask_b32_e64 v130, v130, s0, vcc_lo
	s_add_i32 s0, s0, 1
	s_cmp_lg_u32 s7, s0
	s_cbranch_scc1 .LBB122_473
.LBB122_474:
	s_mov_b32 s0, exec_lo
	s_waitcnt lgkmcnt(0)
	v_cmpx_eq_f64_e32 0, v[0:1]
	s_xor_b32 s0, exec_lo, s0
; %bb.475:
	v_cmp_ne_u32_e32 vcc_lo, 0, v133
	v_cndmask_b32_e32 v133, 29, v133, vcc_lo
; %bb.476:
	s_andn2_saveexec_b32 s0, s0
	s_cbranch_execz .LBB122_478
; %bb.477:
	v_div_scale_f64 v[131:132], null, v[0:1], v[0:1], 1.0
	v_rcp_f64_e32 v[140:141], v[131:132]
	v_fma_f64 v[142:143], -v[131:132], v[140:141], 1.0
	v_fma_f64 v[140:141], v[140:141], v[142:143], v[140:141]
	v_fma_f64 v[142:143], -v[131:132], v[140:141], 1.0
	v_fma_f64 v[140:141], v[140:141], v[142:143], v[140:141]
	v_div_scale_f64 v[142:143], vcc_lo, 1.0, v[0:1], 1.0
	v_mul_f64 v[144:145], v[142:143], v[140:141]
	v_fma_f64 v[131:132], -v[131:132], v[144:145], v[142:143]
	v_div_fmas_f64 v[131:132], v[131:132], v[140:141], v[144:145]
	v_div_fixup_f64 v[0:1], v[131:132], v[0:1], 1.0
.LBB122_478:
	s_or_b32 exec_lo, exec_lo, s0
	s_mov_b32 s0, exec_lo
	v_cmpx_ne_u32_e64 v139, v130
	s_xor_b32 s0, exec_lo, s0
	s_cbranch_execz .LBB122_484
; %bb.479:
	s_mov_b32 s1, exec_lo
	v_cmpx_eq_u32_e32 28, v139
	s_cbranch_execz .LBB122_483
; %bb.480:
	v_cmp_ne_u32_e32 vcc_lo, 28, v130
	s_xor_b32 s2, s6, -1
	s_and_b32 s3, s2, vcc_lo
	s_and_saveexec_b32 s2, s3
	s_cbranch_execz .LBB122_482
; %bb.481:
	v_ashrrev_i32_e32 v131, 31, v130
	v_lshlrev_b64 v[131:132], 2, v[130:131]
	v_add_co_u32 v131, vcc_lo, v4, v131
	v_add_co_ci_u32_e64 v132, null, v5, v132, vcc_lo
	s_clause 0x1
	global_load_dword v138, v[131:132], off
	global_load_dword v139, v[4:5], off offset:112
	s_waitcnt vmcnt(1)
	global_store_dword v[4:5], v138, off offset:112
	s_waitcnt vmcnt(0)
	global_store_dword v[131:132], v139, off
.LBB122_482:
	s_or_b32 exec_lo, exec_lo, s2
	v_mov_b32_e32 v138, v130
	v_mov_b32_e32 v139, v130
.LBB122_483:
	s_or_b32 exec_lo, exec_lo, s1
.LBB122_484:
	s_andn2_saveexec_b32 s0, s0
	s_cbranch_execz .LBB122_486
; %bb.485:
	v_mov_b32_e32 v139, 28
	ds_write2_b64 v136, v[68:69], v[66:67] offset0:29 offset1:30
	ds_write2_b64 v136, v[64:65], v[62:63] offset0:31 offset1:32
	;; [unrolled: 1-line block ×16, first 2 shown]
	ds_write_b64 v136, v[128:129] offset:488
.LBB122_486:
	s_or_b32 exec_lo, exec_lo, s0
	s_mov_b32 s0, exec_lo
	s_waitcnt lgkmcnt(0)
	s_waitcnt_vscnt null, 0x0
	s_barrier
	buffer_gl0_inv
	v_cmpx_lt_i32_e32 28, v139
	s_cbranch_execz .LBB122_488
; %bb.487:
	v_mul_f64 v[70:71], v[0:1], v[70:71]
	ds_read2_b64 v[140:143], v136 offset0:29 offset1:30
	ds_read2_b64 v[144:147], v136 offset0:31 offset1:32
	;; [unrolled: 1-line block ×13, first 2 shown]
	ds_read_b64 v[0:1], v136 offset:488
	s_waitcnt lgkmcnt(13)
	v_fma_f64 v[68:69], -v[70:71], v[140:141], v[68:69]
	v_fma_f64 v[66:67], -v[70:71], v[142:143], v[66:67]
	s_waitcnt lgkmcnt(12)
	v_fma_f64 v[64:65], -v[70:71], v[144:145], v[64:65]
	v_fma_f64 v[62:63], -v[70:71], v[146:147], v[62:63]
	;; [unrolled: 3-line block ×3, first 2 shown]
	ds_read2_b64 v[140:143], v136 offset0:55 offset1:56
	ds_read2_b64 v[144:147], v136 offset0:57 offset1:58
	ds_read2_b64 v[148:151], v136 offset0:59 offset1:60
	s_waitcnt lgkmcnt(13)
	v_fma_f64 v[54:55], -v[70:71], v[152:153], v[54:55]
	v_fma_f64 v[56:57], -v[70:71], v[154:155], v[56:57]
	s_waitcnt lgkmcnt(12)
	v_fma_f64 v[52:53], -v[70:71], v[156:157], v[52:53]
	v_fma_f64 v[50:51], -v[70:71], v[158:159], v[50:51]
	;; [unrolled: 3-line block ×13, first 2 shown]
	v_fma_f64 v[128:129], -v[70:71], v[0:1], v[128:129]
.LBB122_488:
	s_or_b32 exec_lo, exec_lo, s0
	v_lshl_add_u32 v0, v139, 3, v136
	s_barrier
	buffer_gl0_inv
	v_mov_b32_e32 v130, 29
	ds_write_b64 v0, v[68:69]
	s_waitcnt lgkmcnt(0)
	s_barrier
	buffer_gl0_inv
	ds_read_b64 v[0:1], v136 offset:232
	s_cmp_lt_i32 s7, 31
	s_cbranch_scc1 .LBB122_491
; %bb.489:
	v_add3_u32 v131, v137, 0, 0xf0
	v_mov_b32_e32 v130, 29
	s_mov_b32 s0, 30
.LBB122_490:                            ; =>This Inner Loop Header: Depth=1
	ds_read_b64 v[140:141], v131
	v_add_nc_u32_e32 v131, 8, v131
	s_waitcnt lgkmcnt(0)
	v_cmp_lt_f64_e64 vcc_lo, |v[0:1]|, |v[140:141]|
	v_cndmask_b32_e32 v1, v1, v141, vcc_lo
	v_cndmask_b32_e32 v0, v0, v140, vcc_lo
	v_cndmask_b32_e64 v130, v130, s0, vcc_lo
	s_add_i32 s0, s0, 1
	s_cmp_lg_u32 s7, s0
	s_cbranch_scc1 .LBB122_490
.LBB122_491:
	s_mov_b32 s0, exec_lo
	s_waitcnt lgkmcnt(0)
	v_cmpx_eq_f64_e32 0, v[0:1]
	s_xor_b32 s0, exec_lo, s0
; %bb.492:
	v_cmp_ne_u32_e32 vcc_lo, 0, v133
	v_cndmask_b32_e32 v133, 30, v133, vcc_lo
; %bb.493:
	s_andn2_saveexec_b32 s0, s0
	s_cbranch_execz .LBB122_495
; %bb.494:
	v_div_scale_f64 v[131:132], null, v[0:1], v[0:1], 1.0
	v_rcp_f64_e32 v[140:141], v[131:132]
	v_fma_f64 v[142:143], -v[131:132], v[140:141], 1.0
	v_fma_f64 v[140:141], v[140:141], v[142:143], v[140:141]
	v_fma_f64 v[142:143], -v[131:132], v[140:141], 1.0
	v_fma_f64 v[140:141], v[140:141], v[142:143], v[140:141]
	v_div_scale_f64 v[142:143], vcc_lo, 1.0, v[0:1], 1.0
	v_mul_f64 v[144:145], v[142:143], v[140:141]
	v_fma_f64 v[131:132], -v[131:132], v[144:145], v[142:143]
	v_div_fmas_f64 v[131:132], v[131:132], v[140:141], v[144:145]
	v_div_fixup_f64 v[0:1], v[131:132], v[0:1], 1.0
.LBB122_495:
	s_or_b32 exec_lo, exec_lo, s0
	s_mov_b32 s0, exec_lo
	v_cmpx_ne_u32_e64 v139, v130
	s_xor_b32 s0, exec_lo, s0
	s_cbranch_execz .LBB122_501
; %bb.496:
	s_mov_b32 s1, exec_lo
	v_cmpx_eq_u32_e32 29, v139
	s_cbranch_execz .LBB122_500
; %bb.497:
	v_cmp_ne_u32_e32 vcc_lo, 29, v130
	s_xor_b32 s2, s6, -1
	s_and_b32 s3, s2, vcc_lo
	s_and_saveexec_b32 s2, s3
	s_cbranch_execz .LBB122_499
; %bb.498:
	v_ashrrev_i32_e32 v131, 31, v130
	v_lshlrev_b64 v[131:132], 2, v[130:131]
	v_add_co_u32 v131, vcc_lo, v4, v131
	v_add_co_ci_u32_e64 v132, null, v5, v132, vcc_lo
	s_clause 0x1
	global_load_dword v138, v[131:132], off
	global_load_dword v139, v[4:5], off offset:116
	s_waitcnt vmcnt(1)
	global_store_dword v[4:5], v138, off offset:116
	s_waitcnt vmcnt(0)
	global_store_dword v[131:132], v139, off
.LBB122_499:
	s_or_b32 exec_lo, exec_lo, s2
	v_mov_b32_e32 v138, v130
	v_mov_b32_e32 v139, v130
.LBB122_500:
	s_or_b32 exec_lo, exec_lo, s1
.LBB122_501:
	s_andn2_saveexec_b32 s0, s0
	s_cbranch_execz .LBB122_503
; %bb.502:
	v_mov_b32_e32 v130, v66
	v_mov_b32_e32 v131, v67
	;; [unrolled: 1-line block ×8, first 2 shown]
	ds_write2_b64 v136, v[130:131], v[139:140] offset0:30 offset1:31
	ds_write2_b64 v136, v[141:142], v[143:144] offset0:32 offset1:33
	v_mov_b32_e32 v130, v60
	v_mov_b32_e32 v131, v61
	;; [unrolled: 1-line block ×20, first 2 shown]
	ds_write2_b64 v136, v[130:131], v[139:140] offset0:34 offset1:35
	ds_write2_b64 v136, v[141:142], v[143:144] offset0:36 offset1:37
	ds_write2_b64 v136, v[145:146], v[147:148] offset0:38 offset1:39
	ds_write2_b64 v136, v[149:150], v[151:152] offset0:40 offset1:41
	ds_write2_b64 v136, v[153:154], v[155:156] offset0:42 offset1:43
	v_mov_b32_e32 v130, v40
	v_mov_b32_e32 v131, v41
	;; [unrolled: 1-line block ×20, first 2 shown]
	ds_write2_b64 v136, v[130:131], v[139:140] offset0:44 offset1:45
	ds_write2_b64 v136, v[141:142], v[143:144] offset0:46 offset1:47
	;; [unrolled: 1-line block ×5, first 2 shown]
	v_mov_b32_e32 v130, v20
	v_mov_b32_e32 v131, v21
	;; [unrolled: 1-line block ×15, first 2 shown]
	ds_write2_b64 v136, v[130:131], v[140:141] offset0:54 offset1:55
	ds_write2_b64 v136, v[142:143], v[144:145] offset0:56 offset1:57
	;; [unrolled: 1-line block ×4, first 2 shown]
.LBB122_503:
	s_or_b32 exec_lo, exec_lo, s0
	s_mov_b32 s0, exec_lo
	s_waitcnt lgkmcnt(0)
	s_waitcnt_vscnt null, 0x0
	s_barrier
	buffer_gl0_inv
	v_cmpx_lt_i32_e32 29, v139
	s_cbranch_execz .LBB122_505
; %bb.504:
	v_mul_f64 v[68:69], v[0:1], v[68:69]
	ds_read2_b64 v[140:143], v136 offset0:30 offset1:31
	ds_read2_b64 v[144:147], v136 offset0:32 offset1:33
	;; [unrolled: 1-line block ×13, first 2 shown]
	s_waitcnt lgkmcnt(12)
	v_fma_f64 v[66:67], -v[68:69], v[140:141], v[66:67]
	v_fma_f64 v[64:65], -v[68:69], v[142:143], v[64:65]
	s_waitcnt lgkmcnt(11)
	v_fma_f64 v[62:63], -v[68:69], v[144:145], v[62:63]
	v_fma_f64 v[58:59], -v[68:69], v[146:147], v[58:59]
	;; [unrolled: 3-line block ×3, first 2 shown]
	ds_read2_b64 v[140:143], v136 offset0:56 offset1:57
	ds_read2_b64 v[144:147], v136 offset0:58 offset1:59
	;; [unrolled: 1-line block ×3, first 2 shown]
	s_waitcnt lgkmcnt(12)
	v_fma_f64 v[56:57], -v[68:69], v[152:153], v[56:57]
	v_fma_f64 v[52:53], -v[68:69], v[154:155], v[52:53]
	s_waitcnt lgkmcnt(11)
	v_fma_f64 v[50:51], -v[68:69], v[156:157], v[50:51]
	v_fma_f64 v[48:49], -v[68:69], v[158:159], v[48:49]
	s_waitcnt lgkmcnt(10)
	v_fma_f64 v[46:47], -v[68:69], v[160:161], v[46:47]
	v_fma_f64 v[44:45], -v[68:69], v[162:163], v[44:45]
	s_waitcnt lgkmcnt(9)
	v_fma_f64 v[42:43], -v[68:69], v[164:165], v[42:43]
	v_fma_f64 v[38:39], -v[68:69], v[166:167], v[38:39]
	s_waitcnt lgkmcnt(8)
	v_fma_f64 v[40:41], -v[68:69], v[168:169], v[40:41]
	v_fma_f64 v[34:35], -v[68:69], v[170:171], v[34:35]
	s_waitcnt lgkmcnt(7)
	v_fma_f64 v[36:37], -v[68:69], v[172:173], v[36:37]
	v_fma_f64 v[32:33], -v[68:69], v[174:175], v[32:33]
	s_waitcnt lgkmcnt(6)
	v_fma_f64 v[30:31], -v[68:69], v[176:177], v[30:31]
	v_fma_f64 v[28:29], -v[68:69], v[178:179], v[28:29]
	s_waitcnt lgkmcnt(5)
	v_fma_f64 v[26:27], -v[68:69], v[180:181], v[26:27]
	v_fma_f64 v[24:25], -v[68:69], v[182:183], v[24:25]
	s_waitcnt lgkmcnt(4)
	v_fma_f64 v[22:23], -v[68:69], v[184:185], v[22:23]
	v_fma_f64 v[18:19], -v[68:69], v[186:187], v[18:19]
	s_waitcnt lgkmcnt(3)
	v_fma_f64 v[20:21], -v[68:69], v[188:189], v[20:21]
	v_fma_f64 v[16:17], -v[68:69], v[190:191], v[16:17]
	s_waitcnt lgkmcnt(2)
	v_fma_f64 v[14:15], -v[68:69], v[140:141], v[14:15]
	v_fma_f64 v[8:9], -v[68:69], v[142:143], v[8:9]
	s_waitcnt lgkmcnt(1)
	v_fma_f64 v[12:13], -v[68:69], v[144:145], v[12:13]
	v_fma_f64 v[6:7], -v[68:69], v[146:147], v[6:7]
	s_waitcnt lgkmcnt(0)
	v_fma_f64 v[10:11], -v[68:69], v[148:149], v[10:11]
	v_fma_f64 v[128:129], -v[68:69], v[150:151], v[128:129]
.LBB122_505:
	s_or_b32 exec_lo, exec_lo, s0
	v_lshl_add_u32 v0, v139, 3, v136
	s_barrier
	buffer_gl0_inv
	v_mov_b32_e32 v130, 30
	ds_write_b64 v0, v[66:67]
	s_waitcnt lgkmcnt(0)
	s_barrier
	buffer_gl0_inv
	ds_read_b64 v[0:1], v136 offset:240
	s_cmp_lt_i32 s7, 32
	s_cbranch_scc1 .LBB122_508
; %bb.506:
	v_add3_u32 v131, v137, 0, 0xf8
	v_mov_b32_e32 v130, 30
	s_mov_b32 s0, 31
.LBB122_507:                            ; =>This Inner Loop Header: Depth=1
	ds_read_b64 v[140:141], v131
	v_add_nc_u32_e32 v131, 8, v131
	s_waitcnt lgkmcnt(0)
	v_cmp_lt_f64_e64 vcc_lo, |v[0:1]|, |v[140:141]|
	v_cndmask_b32_e32 v1, v1, v141, vcc_lo
	v_cndmask_b32_e32 v0, v0, v140, vcc_lo
	v_cndmask_b32_e64 v130, v130, s0, vcc_lo
	s_add_i32 s0, s0, 1
	s_cmp_lg_u32 s7, s0
	s_cbranch_scc1 .LBB122_507
.LBB122_508:
	s_mov_b32 s0, exec_lo
	s_waitcnt lgkmcnt(0)
	v_cmpx_eq_f64_e32 0, v[0:1]
	s_xor_b32 s0, exec_lo, s0
; %bb.509:
	v_cmp_ne_u32_e32 vcc_lo, 0, v133
	v_cndmask_b32_e32 v133, 31, v133, vcc_lo
; %bb.510:
	s_andn2_saveexec_b32 s0, s0
	s_cbranch_execz .LBB122_512
; %bb.511:
	v_div_scale_f64 v[131:132], null, v[0:1], v[0:1], 1.0
	v_rcp_f64_e32 v[140:141], v[131:132]
	v_fma_f64 v[142:143], -v[131:132], v[140:141], 1.0
	v_fma_f64 v[140:141], v[140:141], v[142:143], v[140:141]
	v_fma_f64 v[142:143], -v[131:132], v[140:141], 1.0
	v_fma_f64 v[140:141], v[140:141], v[142:143], v[140:141]
	v_div_scale_f64 v[142:143], vcc_lo, 1.0, v[0:1], 1.0
	v_mul_f64 v[144:145], v[142:143], v[140:141]
	v_fma_f64 v[131:132], -v[131:132], v[144:145], v[142:143]
	v_div_fmas_f64 v[131:132], v[131:132], v[140:141], v[144:145]
	v_div_fixup_f64 v[0:1], v[131:132], v[0:1], 1.0
.LBB122_512:
	s_or_b32 exec_lo, exec_lo, s0
	s_mov_b32 s0, exec_lo
	v_cmpx_ne_u32_e64 v139, v130
	s_xor_b32 s0, exec_lo, s0
	s_cbranch_execz .LBB122_518
; %bb.513:
	s_mov_b32 s1, exec_lo
	v_cmpx_eq_u32_e32 30, v139
	s_cbranch_execz .LBB122_517
; %bb.514:
	v_cmp_ne_u32_e32 vcc_lo, 30, v130
	s_xor_b32 s2, s6, -1
	s_and_b32 s3, s2, vcc_lo
	s_and_saveexec_b32 s2, s3
	s_cbranch_execz .LBB122_516
; %bb.515:
	v_ashrrev_i32_e32 v131, 31, v130
	v_lshlrev_b64 v[131:132], 2, v[130:131]
	v_add_co_u32 v131, vcc_lo, v4, v131
	v_add_co_ci_u32_e64 v132, null, v5, v132, vcc_lo
	s_clause 0x1
	global_load_dword v138, v[131:132], off
	global_load_dword v139, v[4:5], off offset:120
	s_waitcnt vmcnt(1)
	global_store_dword v[4:5], v138, off offset:120
	s_waitcnt vmcnt(0)
	global_store_dword v[131:132], v139, off
.LBB122_516:
	s_or_b32 exec_lo, exec_lo, s2
	v_mov_b32_e32 v138, v130
	v_mov_b32_e32 v139, v130
.LBB122_517:
	s_or_b32 exec_lo, exec_lo, s1
.LBB122_518:
	s_andn2_saveexec_b32 s0, s0
	s_cbranch_execz .LBB122_520
; %bb.519:
	v_mov_b32_e32 v139, 30
	ds_write2_b64 v136, v[64:65], v[62:63] offset0:31 offset1:32
	ds_write2_b64 v136, v[58:59], v[60:61] offset0:33 offset1:34
	;; [unrolled: 1-line block ×15, first 2 shown]
	ds_write_b64 v136, v[128:129] offset:488
.LBB122_520:
	s_or_b32 exec_lo, exec_lo, s0
	s_mov_b32 s0, exec_lo
	s_waitcnt lgkmcnt(0)
	s_waitcnt_vscnt null, 0x0
	s_barrier
	buffer_gl0_inv
	v_cmpx_lt_i32_e32 30, v139
	s_cbranch_execz .LBB122_522
; %bb.521:
	v_mul_f64 v[66:67], v[0:1], v[66:67]
	ds_read2_b64 v[140:143], v136 offset0:31 offset1:32
	ds_read2_b64 v[144:147], v136 offset0:33 offset1:34
	;; [unrolled: 1-line block ×13, first 2 shown]
	ds_read_b64 v[0:1], v136 offset:488
	s_waitcnt lgkmcnt(13)
	v_fma_f64 v[64:65], -v[66:67], v[140:141], v[64:65]
	v_fma_f64 v[62:63], -v[66:67], v[142:143], v[62:63]
	s_waitcnt lgkmcnt(12)
	v_fma_f64 v[58:59], -v[66:67], v[144:145], v[58:59]
	v_fma_f64 v[60:61], -v[66:67], v[146:147], v[60:61]
	ds_read2_b64 v[140:143], v136 offset0:57 offset1:58
	ds_read2_b64 v[144:147], v136 offset0:59 offset1:60
	s_waitcnt lgkmcnt(13)
	v_fma_f64 v[54:55], -v[66:67], v[148:149], v[54:55]
	v_fma_f64 v[56:57], -v[66:67], v[150:151], v[56:57]
	s_waitcnt lgkmcnt(12)
	v_fma_f64 v[52:53], -v[66:67], v[152:153], v[52:53]
	v_fma_f64 v[50:51], -v[66:67], v[154:155], v[50:51]
	;; [unrolled: 3-line block ×13, first 2 shown]
	v_fma_f64 v[128:129], -v[66:67], v[0:1], v[128:129]
.LBB122_522:
	s_or_b32 exec_lo, exec_lo, s0
	v_lshl_add_u32 v0, v139, 3, v136
	s_barrier
	buffer_gl0_inv
	v_mov_b32_e32 v130, 31
	ds_write_b64 v0, v[64:65]
	s_waitcnt lgkmcnt(0)
	s_barrier
	buffer_gl0_inv
	ds_read_b64 v[0:1], v136 offset:248
	s_cmp_lt_i32 s7, 33
	s_cbranch_scc1 .LBB122_525
; %bb.523:
	v_add3_u32 v131, v137, 0, 0x100
	v_mov_b32_e32 v130, 31
	s_mov_b32 s0, 32
.LBB122_524:                            ; =>This Inner Loop Header: Depth=1
	ds_read_b64 v[140:141], v131
	v_add_nc_u32_e32 v131, 8, v131
	s_waitcnt lgkmcnt(0)
	v_cmp_lt_f64_e64 vcc_lo, |v[0:1]|, |v[140:141]|
	v_cndmask_b32_e32 v1, v1, v141, vcc_lo
	v_cndmask_b32_e32 v0, v0, v140, vcc_lo
	v_cndmask_b32_e64 v130, v130, s0, vcc_lo
	s_add_i32 s0, s0, 1
	s_cmp_lg_u32 s7, s0
	s_cbranch_scc1 .LBB122_524
.LBB122_525:
	s_mov_b32 s0, exec_lo
	s_waitcnt lgkmcnt(0)
	v_cmpx_eq_f64_e32 0, v[0:1]
	s_xor_b32 s0, exec_lo, s0
; %bb.526:
	v_cmp_ne_u32_e32 vcc_lo, 0, v133
	v_cndmask_b32_e32 v133, 32, v133, vcc_lo
; %bb.527:
	s_andn2_saveexec_b32 s0, s0
	s_cbranch_execz .LBB122_529
; %bb.528:
	v_div_scale_f64 v[131:132], null, v[0:1], v[0:1], 1.0
	v_rcp_f64_e32 v[140:141], v[131:132]
	v_fma_f64 v[142:143], -v[131:132], v[140:141], 1.0
	v_fma_f64 v[140:141], v[140:141], v[142:143], v[140:141]
	v_fma_f64 v[142:143], -v[131:132], v[140:141], 1.0
	v_fma_f64 v[140:141], v[140:141], v[142:143], v[140:141]
	v_div_scale_f64 v[142:143], vcc_lo, 1.0, v[0:1], 1.0
	v_mul_f64 v[144:145], v[142:143], v[140:141]
	v_fma_f64 v[131:132], -v[131:132], v[144:145], v[142:143]
	v_div_fmas_f64 v[131:132], v[131:132], v[140:141], v[144:145]
	v_div_fixup_f64 v[0:1], v[131:132], v[0:1], 1.0
.LBB122_529:
	s_or_b32 exec_lo, exec_lo, s0
	s_mov_b32 s0, exec_lo
	v_cmpx_ne_u32_e64 v139, v130
	s_xor_b32 s0, exec_lo, s0
	s_cbranch_execz .LBB122_535
; %bb.530:
	s_mov_b32 s1, exec_lo
	v_cmpx_eq_u32_e32 31, v139
	s_cbranch_execz .LBB122_534
; %bb.531:
	v_cmp_ne_u32_e32 vcc_lo, 31, v130
	s_xor_b32 s2, s6, -1
	s_and_b32 s3, s2, vcc_lo
	s_and_saveexec_b32 s2, s3
	s_cbranch_execz .LBB122_533
; %bb.532:
	v_ashrrev_i32_e32 v131, 31, v130
	v_lshlrev_b64 v[131:132], 2, v[130:131]
	v_add_co_u32 v131, vcc_lo, v4, v131
	v_add_co_ci_u32_e64 v132, null, v5, v132, vcc_lo
	s_clause 0x1
	global_load_dword v138, v[131:132], off
	global_load_dword v139, v[4:5], off offset:124
	s_waitcnt vmcnt(1)
	global_store_dword v[4:5], v138, off offset:124
	s_waitcnt vmcnt(0)
	global_store_dword v[131:132], v139, off
.LBB122_533:
	s_or_b32 exec_lo, exec_lo, s2
	v_mov_b32_e32 v138, v130
	v_mov_b32_e32 v139, v130
.LBB122_534:
	s_or_b32 exec_lo, exec_lo, s1
.LBB122_535:
	s_andn2_saveexec_b32 s0, s0
	s_cbranch_execz .LBB122_537
; %bb.536:
	v_mov_b32_e32 v130, v62
	v_mov_b32_e32 v131, v63
	;; [unrolled: 1-line block ×8, first 2 shown]
	ds_write2_b64 v136, v[130:131], v[139:140] offset0:32 offset1:33
	v_mov_b32_e32 v130, v54
	v_mov_b32_e32 v131, v55
	v_mov_b32_e32 v139, v56
	v_mov_b32_e32 v140, v57
	v_mov_b32_e32 v145, v50
	v_mov_b32_e32 v146, v51
	v_mov_b32_e32 v147, v48
	v_mov_b32_e32 v148, v49
	v_mov_b32_e32 v149, v46
	v_mov_b32_e32 v150, v47
	v_mov_b32_e32 v151, v44
	v_mov_b32_e32 v152, v45
	v_mov_b32_e32 v153, v42
	v_mov_b32_e32 v154, v43
	v_mov_b32_e32 v155, v38
	v_mov_b32_e32 v156, v39
	ds_write2_b64 v136, v[141:142], v[130:131] offset0:34 offset1:35
	ds_write2_b64 v136, v[139:140], v[143:144] offset0:36 offset1:37
	;; [unrolled: 1-line block ×5, first 2 shown]
	v_mov_b32_e32 v130, v40
	v_mov_b32_e32 v131, v41
	;; [unrolled: 1-line block ×20, first 2 shown]
	ds_write2_b64 v136, v[130:131], v[139:140] offset0:44 offset1:45
	ds_write2_b64 v136, v[141:142], v[143:144] offset0:46 offset1:47
	;; [unrolled: 1-line block ×5, first 2 shown]
	v_mov_b32_e32 v130, v20
	v_mov_b32_e32 v131, v21
	;; [unrolled: 1-line block ×15, first 2 shown]
	ds_write2_b64 v136, v[130:131], v[140:141] offset0:54 offset1:55
	ds_write2_b64 v136, v[142:143], v[144:145] offset0:56 offset1:57
	;; [unrolled: 1-line block ×4, first 2 shown]
.LBB122_537:
	s_or_b32 exec_lo, exec_lo, s0
	s_mov_b32 s0, exec_lo
	s_waitcnt lgkmcnt(0)
	s_waitcnt_vscnt null, 0x0
	s_barrier
	buffer_gl0_inv
	v_cmpx_lt_i32_e32 31, v139
	s_cbranch_execz .LBB122_539
; %bb.538:
	v_mul_f64 v[64:65], v[0:1], v[64:65]
	ds_read2_b64 v[140:143], v136 offset0:32 offset1:33
	ds_read2_b64 v[144:147], v136 offset0:34 offset1:35
	;; [unrolled: 1-line block ×14, first 2 shown]
	s_waitcnt lgkmcnt(13)
	v_fma_f64 v[62:63], -v[64:65], v[140:141], v[62:63]
	v_fma_f64 v[58:59], -v[64:65], v[142:143], v[58:59]
	ds_read2_b64 v[140:143], v136 offset0:60 offset1:61
	s_waitcnt lgkmcnt(13)
	v_fma_f64 v[60:61], -v[64:65], v[144:145], v[60:61]
	v_fma_f64 v[54:55], -v[64:65], v[146:147], v[54:55]
	s_waitcnt lgkmcnt(12)
	v_fma_f64 v[56:57], -v[64:65], v[148:149], v[56:57]
	v_fma_f64 v[52:53], -v[64:65], v[150:151], v[52:53]
	;; [unrolled: 3-line block ×14, first 2 shown]
.LBB122_539:
	s_or_b32 exec_lo, exec_lo, s0
	v_lshl_add_u32 v0, v139, 3, v136
	s_barrier
	buffer_gl0_inv
	v_mov_b32_e32 v130, 32
	ds_write_b64 v0, v[62:63]
	s_waitcnt lgkmcnt(0)
	s_barrier
	buffer_gl0_inv
	ds_read_b64 v[0:1], v136 offset:256
	s_cmp_lt_i32 s7, 34
	s_cbranch_scc1 .LBB122_542
; %bb.540:
	v_add3_u32 v131, v137, 0, 0x108
	v_mov_b32_e32 v130, 32
	s_mov_b32 s0, 33
.LBB122_541:                            ; =>This Inner Loop Header: Depth=1
	ds_read_b64 v[140:141], v131
	v_add_nc_u32_e32 v131, 8, v131
	s_waitcnt lgkmcnt(0)
	v_cmp_lt_f64_e64 vcc_lo, |v[0:1]|, |v[140:141]|
	v_cndmask_b32_e32 v1, v1, v141, vcc_lo
	v_cndmask_b32_e32 v0, v0, v140, vcc_lo
	v_cndmask_b32_e64 v130, v130, s0, vcc_lo
	s_add_i32 s0, s0, 1
	s_cmp_lg_u32 s7, s0
	s_cbranch_scc1 .LBB122_541
.LBB122_542:
	s_mov_b32 s0, exec_lo
	s_waitcnt lgkmcnt(0)
	v_cmpx_eq_f64_e32 0, v[0:1]
	s_xor_b32 s0, exec_lo, s0
; %bb.543:
	v_cmp_ne_u32_e32 vcc_lo, 0, v133
	v_cndmask_b32_e32 v133, 33, v133, vcc_lo
; %bb.544:
	s_andn2_saveexec_b32 s0, s0
	s_cbranch_execz .LBB122_546
; %bb.545:
	v_div_scale_f64 v[131:132], null, v[0:1], v[0:1], 1.0
	v_rcp_f64_e32 v[140:141], v[131:132]
	v_fma_f64 v[142:143], -v[131:132], v[140:141], 1.0
	v_fma_f64 v[140:141], v[140:141], v[142:143], v[140:141]
	v_fma_f64 v[142:143], -v[131:132], v[140:141], 1.0
	v_fma_f64 v[140:141], v[140:141], v[142:143], v[140:141]
	v_div_scale_f64 v[142:143], vcc_lo, 1.0, v[0:1], 1.0
	v_mul_f64 v[144:145], v[142:143], v[140:141]
	v_fma_f64 v[131:132], -v[131:132], v[144:145], v[142:143]
	v_div_fmas_f64 v[131:132], v[131:132], v[140:141], v[144:145]
	v_div_fixup_f64 v[0:1], v[131:132], v[0:1], 1.0
.LBB122_546:
	s_or_b32 exec_lo, exec_lo, s0
	s_mov_b32 s0, exec_lo
	v_cmpx_ne_u32_e64 v139, v130
	s_xor_b32 s0, exec_lo, s0
	s_cbranch_execz .LBB122_552
; %bb.547:
	s_mov_b32 s1, exec_lo
	v_cmpx_eq_u32_e32 32, v139
	s_cbranch_execz .LBB122_551
; %bb.548:
	v_cmp_ne_u32_e32 vcc_lo, 32, v130
	s_xor_b32 s2, s6, -1
	s_and_b32 s3, s2, vcc_lo
	s_and_saveexec_b32 s2, s3
	s_cbranch_execz .LBB122_550
; %bb.549:
	v_ashrrev_i32_e32 v131, 31, v130
	v_lshlrev_b64 v[131:132], 2, v[130:131]
	v_add_co_u32 v131, vcc_lo, v4, v131
	v_add_co_ci_u32_e64 v132, null, v5, v132, vcc_lo
	s_clause 0x1
	global_load_dword v138, v[131:132], off
	global_load_dword v139, v[4:5], off offset:128
	s_waitcnt vmcnt(1)
	global_store_dword v[4:5], v138, off offset:128
	s_waitcnt vmcnt(0)
	global_store_dword v[131:132], v139, off
.LBB122_550:
	s_or_b32 exec_lo, exec_lo, s2
	v_mov_b32_e32 v138, v130
	v_mov_b32_e32 v139, v130
.LBB122_551:
	s_or_b32 exec_lo, exec_lo, s1
.LBB122_552:
	s_andn2_saveexec_b32 s0, s0
	s_cbranch_execz .LBB122_554
; %bb.553:
	v_mov_b32_e32 v139, 32
	ds_write2_b64 v136, v[58:59], v[60:61] offset0:33 offset1:34
	ds_write2_b64 v136, v[54:55], v[56:57] offset0:35 offset1:36
	;; [unrolled: 1-line block ×14, first 2 shown]
	ds_write_b64 v136, v[128:129] offset:488
.LBB122_554:
	s_or_b32 exec_lo, exec_lo, s0
	s_mov_b32 s0, exec_lo
	s_waitcnt lgkmcnt(0)
	s_waitcnt_vscnt null, 0x0
	s_barrier
	buffer_gl0_inv
	v_cmpx_lt_i32_e32 32, v139
	s_cbranch_execz .LBB122_556
; %bb.555:
	v_mul_f64 v[62:63], v[0:1], v[62:63]
	ds_read2_b64 v[140:143], v136 offset0:33 offset1:34
	ds_read2_b64 v[144:147], v136 offset0:35 offset1:36
	ds_read2_b64 v[148:151], v136 offset0:37 offset1:38
	ds_read2_b64 v[152:155], v136 offset0:39 offset1:40
	ds_read2_b64 v[156:159], v136 offset0:41 offset1:42
	ds_read2_b64 v[160:163], v136 offset0:43 offset1:44
	ds_read2_b64 v[164:167], v136 offset0:45 offset1:46
	ds_read2_b64 v[168:171], v136 offset0:47 offset1:48
	ds_read2_b64 v[172:175], v136 offset0:49 offset1:50
	ds_read2_b64 v[176:179], v136 offset0:51 offset1:52
	ds_read2_b64 v[180:183], v136 offset0:53 offset1:54
	ds_read2_b64 v[184:187], v136 offset0:55 offset1:56
	ds_read2_b64 v[188:191], v136 offset0:57 offset1:58
	ds_read2_b64 v[192:195], v136 offset0:59 offset1:60
	ds_read_b64 v[0:1], v136 offset:488
	s_waitcnt lgkmcnt(14)
	v_fma_f64 v[58:59], -v[62:63], v[140:141], v[58:59]
	v_fma_f64 v[60:61], -v[62:63], v[142:143], v[60:61]
	s_waitcnt lgkmcnt(13)
	v_fma_f64 v[54:55], -v[62:63], v[144:145], v[54:55]
	v_fma_f64 v[56:57], -v[62:63], v[146:147], v[56:57]
	s_waitcnt lgkmcnt(12)
	v_fma_f64 v[52:53], -v[62:63], v[148:149], v[52:53]
	v_fma_f64 v[50:51], -v[62:63], v[150:151], v[50:51]
	s_waitcnt lgkmcnt(11)
	v_fma_f64 v[48:49], -v[62:63], v[152:153], v[48:49]
	v_fma_f64 v[46:47], -v[62:63], v[154:155], v[46:47]
	s_waitcnt lgkmcnt(10)
	v_fma_f64 v[44:45], -v[62:63], v[156:157], v[44:45]
	v_fma_f64 v[42:43], -v[62:63], v[158:159], v[42:43]
	s_waitcnt lgkmcnt(9)
	v_fma_f64 v[38:39], -v[62:63], v[160:161], v[38:39]
	v_fma_f64 v[40:41], -v[62:63], v[162:163], v[40:41]
	s_waitcnt lgkmcnt(8)
	v_fma_f64 v[34:35], -v[62:63], v[164:165], v[34:35]
	v_fma_f64 v[36:37], -v[62:63], v[166:167], v[36:37]
	s_waitcnt lgkmcnt(7)
	v_fma_f64 v[32:33], -v[62:63], v[168:169], v[32:33]
	v_fma_f64 v[30:31], -v[62:63], v[170:171], v[30:31]
	s_waitcnt lgkmcnt(6)
	v_fma_f64 v[28:29], -v[62:63], v[172:173], v[28:29]
	v_fma_f64 v[26:27], -v[62:63], v[174:175], v[26:27]
	s_waitcnt lgkmcnt(5)
	v_fma_f64 v[24:25], -v[62:63], v[176:177], v[24:25]
	v_fma_f64 v[22:23], -v[62:63], v[178:179], v[22:23]
	s_waitcnt lgkmcnt(4)
	v_fma_f64 v[18:19], -v[62:63], v[180:181], v[18:19]
	v_fma_f64 v[20:21], -v[62:63], v[182:183], v[20:21]
	s_waitcnt lgkmcnt(3)
	v_fma_f64 v[16:17], -v[62:63], v[184:185], v[16:17]
	v_fma_f64 v[14:15], -v[62:63], v[186:187], v[14:15]
	s_waitcnt lgkmcnt(2)
	v_fma_f64 v[8:9], -v[62:63], v[188:189], v[8:9]
	v_fma_f64 v[12:13], -v[62:63], v[190:191], v[12:13]
	s_waitcnt lgkmcnt(1)
	v_fma_f64 v[6:7], -v[62:63], v[192:193], v[6:7]
	v_fma_f64 v[10:11], -v[62:63], v[194:195], v[10:11]
	s_waitcnt lgkmcnt(0)
	v_fma_f64 v[128:129], -v[62:63], v[0:1], v[128:129]
.LBB122_556:
	s_or_b32 exec_lo, exec_lo, s0
	v_lshl_add_u32 v0, v139, 3, v136
	s_barrier
	buffer_gl0_inv
	v_mov_b32_e32 v130, 33
	ds_write_b64 v0, v[58:59]
	s_waitcnt lgkmcnt(0)
	s_barrier
	buffer_gl0_inv
	ds_read_b64 v[0:1], v136 offset:264
	s_cmp_lt_i32 s7, 35
	s_cbranch_scc1 .LBB122_559
; %bb.557:
	v_add3_u32 v131, v137, 0, 0x110
	v_mov_b32_e32 v130, 33
	s_mov_b32 s0, 34
.LBB122_558:                            ; =>This Inner Loop Header: Depth=1
	ds_read_b64 v[140:141], v131
	v_add_nc_u32_e32 v131, 8, v131
	s_waitcnt lgkmcnt(0)
	v_cmp_lt_f64_e64 vcc_lo, |v[0:1]|, |v[140:141]|
	v_cndmask_b32_e32 v1, v1, v141, vcc_lo
	v_cndmask_b32_e32 v0, v0, v140, vcc_lo
	v_cndmask_b32_e64 v130, v130, s0, vcc_lo
	s_add_i32 s0, s0, 1
	s_cmp_lg_u32 s7, s0
	s_cbranch_scc1 .LBB122_558
.LBB122_559:
	s_mov_b32 s0, exec_lo
	s_waitcnt lgkmcnt(0)
	v_cmpx_eq_f64_e32 0, v[0:1]
	s_xor_b32 s0, exec_lo, s0
; %bb.560:
	v_cmp_ne_u32_e32 vcc_lo, 0, v133
	v_cndmask_b32_e32 v133, 34, v133, vcc_lo
; %bb.561:
	s_andn2_saveexec_b32 s0, s0
	s_cbranch_execz .LBB122_563
; %bb.562:
	v_div_scale_f64 v[131:132], null, v[0:1], v[0:1], 1.0
	v_rcp_f64_e32 v[140:141], v[131:132]
	v_fma_f64 v[142:143], -v[131:132], v[140:141], 1.0
	v_fma_f64 v[140:141], v[140:141], v[142:143], v[140:141]
	v_fma_f64 v[142:143], -v[131:132], v[140:141], 1.0
	v_fma_f64 v[140:141], v[140:141], v[142:143], v[140:141]
	v_div_scale_f64 v[142:143], vcc_lo, 1.0, v[0:1], 1.0
	v_mul_f64 v[144:145], v[142:143], v[140:141]
	v_fma_f64 v[131:132], -v[131:132], v[144:145], v[142:143]
	v_div_fmas_f64 v[131:132], v[131:132], v[140:141], v[144:145]
	v_div_fixup_f64 v[0:1], v[131:132], v[0:1], 1.0
.LBB122_563:
	s_or_b32 exec_lo, exec_lo, s0
	s_mov_b32 s0, exec_lo
	v_cmpx_ne_u32_e64 v139, v130
	s_xor_b32 s0, exec_lo, s0
	s_cbranch_execz .LBB122_569
; %bb.564:
	s_mov_b32 s1, exec_lo
	v_cmpx_eq_u32_e32 33, v139
	s_cbranch_execz .LBB122_568
; %bb.565:
	v_cmp_ne_u32_e32 vcc_lo, 33, v130
	s_xor_b32 s2, s6, -1
	s_and_b32 s3, s2, vcc_lo
	s_and_saveexec_b32 s2, s3
	s_cbranch_execz .LBB122_567
; %bb.566:
	v_ashrrev_i32_e32 v131, 31, v130
	v_lshlrev_b64 v[131:132], 2, v[130:131]
	v_add_co_u32 v131, vcc_lo, v4, v131
	v_add_co_ci_u32_e64 v132, null, v5, v132, vcc_lo
	s_clause 0x1
	global_load_dword v138, v[131:132], off
	global_load_dword v139, v[4:5], off offset:132
	s_waitcnt vmcnt(1)
	global_store_dword v[4:5], v138, off offset:132
	s_waitcnt vmcnt(0)
	global_store_dword v[131:132], v139, off
.LBB122_567:
	s_or_b32 exec_lo, exec_lo, s2
	v_mov_b32_e32 v138, v130
	v_mov_b32_e32 v139, v130
.LBB122_568:
	s_or_b32 exec_lo, exec_lo, s1
.LBB122_569:
	s_andn2_saveexec_b32 s0, s0
	s_cbranch_execz .LBB122_571
; %bb.570:
	v_mov_b32_e32 v130, v60
	v_mov_b32_e32 v131, v61
	;; [unrolled: 1-line block ×20, first 2 shown]
	ds_write2_b64 v136, v[130:131], v[139:140] offset0:34 offset1:35
	ds_write2_b64 v136, v[141:142], v[143:144] offset0:36 offset1:37
	;; [unrolled: 1-line block ×5, first 2 shown]
	v_mov_b32_e32 v130, v40
	v_mov_b32_e32 v131, v41
	;; [unrolled: 1-line block ×20, first 2 shown]
	ds_write2_b64 v136, v[130:131], v[139:140] offset0:44 offset1:45
	ds_write2_b64 v136, v[141:142], v[143:144] offset0:46 offset1:47
	;; [unrolled: 1-line block ×5, first 2 shown]
	v_mov_b32_e32 v130, v20
	v_mov_b32_e32 v131, v21
	;; [unrolled: 1-line block ×15, first 2 shown]
	ds_write2_b64 v136, v[130:131], v[140:141] offset0:54 offset1:55
	ds_write2_b64 v136, v[142:143], v[144:145] offset0:56 offset1:57
	;; [unrolled: 1-line block ×4, first 2 shown]
.LBB122_571:
	s_or_b32 exec_lo, exec_lo, s0
	s_mov_b32 s0, exec_lo
	s_waitcnt lgkmcnt(0)
	s_waitcnt_vscnt null, 0x0
	s_barrier
	buffer_gl0_inv
	v_cmpx_lt_i32_e32 33, v139
	s_cbranch_execz .LBB122_573
; %bb.572:
	v_mul_f64 v[58:59], v[0:1], v[58:59]
	ds_read2_b64 v[140:143], v136 offset0:34 offset1:35
	ds_read2_b64 v[144:147], v136 offset0:36 offset1:37
	;; [unrolled: 1-line block ×14, first 2 shown]
	s_waitcnt lgkmcnt(13)
	v_fma_f64 v[60:61], -v[58:59], v[140:141], v[60:61]
	v_fma_f64 v[54:55], -v[58:59], v[142:143], v[54:55]
	s_waitcnt lgkmcnt(12)
	v_fma_f64 v[56:57], -v[58:59], v[144:145], v[56:57]
	v_fma_f64 v[52:53], -v[58:59], v[146:147], v[52:53]
	;; [unrolled: 3-line block ×14, first 2 shown]
.LBB122_573:
	s_or_b32 exec_lo, exec_lo, s0
	v_lshl_add_u32 v0, v139, 3, v136
	s_barrier
	buffer_gl0_inv
	v_mov_b32_e32 v130, 34
	ds_write_b64 v0, v[60:61]
	s_waitcnt lgkmcnt(0)
	s_barrier
	buffer_gl0_inv
	ds_read_b64 v[0:1], v136 offset:272
	s_cmp_lt_i32 s7, 36
	s_cbranch_scc1 .LBB122_576
; %bb.574:
	v_add3_u32 v131, v137, 0, 0x118
	v_mov_b32_e32 v130, 34
	s_mov_b32 s0, 35
.LBB122_575:                            ; =>This Inner Loop Header: Depth=1
	ds_read_b64 v[140:141], v131
	v_add_nc_u32_e32 v131, 8, v131
	s_waitcnt lgkmcnt(0)
	v_cmp_lt_f64_e64 vcc_lo, |v[0:1]|, |v[140:141]|
	v_cndmask_b32_e32 v1, v1, v141, vcc_lo
	v_cndmask_b32_e32 v0, v0, v140, vcc_lo
	v_cndmask_b32_e64 v130, v130, s0, vcc_lo
	s_add_i32 s0, s0, 1
	s_cmp_lg_u32 s7, s0
	s_cbranch_scc1 .LBB122_575
.LBB122_576:
	s_mov_b32 s0, exec_lo
	s_waitcnt lgkmcnt(0)
	v_cmpx_eq_f64_e32 0, v[0:1]
	s_xor_b32 s0, exec_lo, s0
; %bb.577:
	v_cmp_ne_u32_e32 vcc_lo, 0, v133
	v_cndmask_b32_e32 v133, 35, v133, vcc_lo
; %bb.578:
	s_andn2_saveexec_b32 s0, s0
	s_cbranch_execz .LBB122_580
; %bb.579:
	v_div_scale_f64 v[131:132], null, v[0:1], v[0:1], 1.0
	v_rcp_f64_e32 v[140:141], v[131:132]
	v_fma_f64 v[142:143], -v[131:132], v[140:141], 1.0
	v_fma_f64 v[140:141], v[140:141], v[142:143], v[140:141]
	v_fma_f64 v[142:143], -v[131:132], v[140:141], 1.0
	v_fma_f64 v[140:141], v[140:141], v[142:143], v[140:141]
	v_div_scale_f64 v[142:143], vcc_lo, 1.0, v[0:1], 1.0
	v_mul_f64 v[144:145], v[142:143], v[140:141]
	v_fma_f64 v[131:132], -v[131:132], v[144:145], v[142:143]
	v_div_fmas_f64 v[131:132], v[131:132], v[140:141], v[144:145]
	v_div_fixup_f64 v[0:1], v[131:132], v[0:1], 1.0
.LBB122_580:
	s_or_b32 exec_lo, exec_lo, s0
	s_mov_b32 s0, exec_lo
	v_cmpx_ne_u32_e64 v139, v130
	s_xor_b32 s0, exec_lo, s0
	s_cbranch_execz .LBB122_586
; %bb.581:
	s_mov_b32 s1, exec_lo
	v_cmpx_eq_u32_e32 34, v139
	s_cbranch_execz .LBB122_585
; %bb.582:
	v_cmp_ne_u32_e32 vcc_lo, 34, v130
	s_xor_b32 s2, s6, -1
	s_and_b32 s3, s2, vcc_lo
	s_and_saveexec_b32 s2, s3
	s_cbranch_execz .LBB122_584
; %bb.583:
	v_ashrrev_i32_e32 v131, 31, v130
	v_lshlrev_b64 v[131:132], 2, v[130:131]
	v_add_co_u32 v131, vcc_lo, v4, v131
	v_add_co_ci_u32_e64 v132, null, v5, v132, vcc_lo
	s_clause 0x1
	global_load_dword v138, v[131:132], off
	global_load_dword v139, v[4:5], off offset:136
	s_waitcnt vmcnt(1)
	global_store_dword v[4:5], v138, off offset:136
	s_waitcnt vmcnt(0)
	global_store_dword v[131:132], v139, off
.LBB122_584:
	s_or_b32 exec_lo, exec_lo, s2
	v_mov_b32_e32 v138, v130
	v_mov_b32_e32 v139, v130
.LBB122_585:
	s_or_b32 exec_lo, exec_lo, s1
.LBB122_586:
	s_andn2_saveexec_b32 s0, s0
	s_cbranch_execz .LBB122_588
; %bb.587:
	v_mov_b32_e32 v139, 34
	ds_write2_b64 v136, v[54:55], v[56:57] offset0:35 offset1:36
	ds_write2_b64 v136, v[52:53], v[50:51] offset0:37 offset1:38
	;; [unrolled: 1-line block ×13, first 2 shown]
	ds_write_b64 v136, v[128:129] offset:488
.LBB122_588:
	s_or_b32 exec_lo, exec_lo, s0
	s_mov_b32 s0, exec_lo
	s_waitcnt lgkmcnt(0)
	s_waitcnt_vscnt null, 0x0
	s_barrier
	buffer_gl0_inv
	v_cmpx_lt_i32_e32 34, v139
	s_cbranch_execz .LBB122_590
; %bb.589:
	v_mul_f64 v[60:61], v[0:1], v[60:61]
	ds_read2_b64 v[140:143], v136 offset0:35 offset1:36
	ds_read2_b64 v[144:147], v136 offset0:37 offset1:38
	;; [unrolled: 1-line block ×13, first 2 shown]
	ds_read_b64 v[0:1], v136 offset:488
	s_waitcnt lgkmcnt(13)
	v_fma_f64 v[54:55], -v[60:61], v[140:141], v[54:55]
	v_fma_f64 v[56:57], -v[60:61], v[142:143], v[56:57]
	s_waitcnt lgkmcnt(12)
	v_fma_f64 v[52:53], -v[60:61], v[144:145], v[52:53]
	v_fma_f64 v[50:51], -v[60:61], v[146:147], v[50:51]
	s_waitcnt lgkmcnt(11)
	v_fma_f64 v[48:49], -v[60:61], v[148:149], v[48:49]
	v_fma_f64 v[46:47], -v[60:61], v[150:151], v[46:47]
	s_waitcnt lgkmcnt(10)
	v_fma_f64 v[44:45], -v[60:61], v[152:153], v[44:45]
	v_fma_f64 v[42:43], -v[60:61], v[154:155], v[42:43]
	s_waitcnt lgkmcnt(9)
	v_fma_f64 v[38:39], -v[60:61], v[156:157], v[38:39]
	v_fma_f64 v[40:41], -v[60:61], v[158:159], v[40:41]
	s_waitcnt lgkmcnt(8)
	v_fma_f64 v[34:35], -v[60:61], v[160:161], v[34:35]
	v_fma_f64 v[36:37], -v[60:61], v[162:163], v[36:37]
	s_waitcnt lgkmcnt(7)
	v_fma_f64 v[32:33], -v[60:61], v[164:165], v[32:33]
	v_fma_f64 v[30:31], -v[60:61], v[166:167], v[30:31]
	s_waitcnt lgkmcnt(6)
	v_fma_f64 v[28:29], -v[60:61], v[168:169], v[28:29]
	v_fma_f64 v[26:27], -v[60:61], v[170:171], v[26:27]
	s_waitcnt lgkmcnt(5)
	v_fma_f64 v[24:25], -v[60:61], v[172:173], v[24:25]
	v_fma_f64 v[22:23], -v[60:61], v[174:175], v[22:23]
	s_waitcnt lgkmcnt(4)
	v_fma_f64 v[18:19], -v[60:61], v[176:177], v[18:19]
	v_fma_f64 v[20:21], -v[60:61], v[178:179], v[20:21]
	s_waitcnt lgkmcnt(3)
	v_fma_f64 v[16:17], -v[60:61], v[180:181], v[16:17]
	v_fma_f64 v[14:15], -v[60:61], v[182:183], v[14:15]
	s_waitcnt lgkmcnt(2)
	v_fma_f64 v[8:9], -v[60:61], v[184:185], v[8:9]
	v_fma_f64 v[12:13], -v[60:61], v[186:187], v[12:13]
	s_waitcnt lgkmcnt(1)
	v_fma_f64 v[6:7], -v[60:61], v[188:189], v[6:7]
	v_fma_f64 v[10:11], -v[60:61], v[190:191], v[10:11]
	s_waitcnt lgkmcnt(0)
	v_fma_f64 v[128:129], -v[60:61], v[0:1], v[128:129]
.LBB122_590:
	s_or_b32 exec_lo, exec_lo, s0
	v_lshl_add_u32 v0, v139, 3, v136
	s_barrier
	buffer_gl0_inv
	v_mov_b32_e32 v130, 35
	ds_write_b64 v0, v[54:55]
	s_waitcnt lgkmcnt(0)
	s_barrier
	buffer_gl0_inv
	ds_read_b64 v[0:1], v136 offset:280
	s_cmp_lt_i32 s7, 37
	s_cbranch_scc1 .LBB122_593
; %bb.591:
	v_add3_u32 v131, v137, 0, 0x120
	v_mov_b32_e32 v130, 35
	s_mov_b32 s0, 36
.LBB122_592:                            ; =>This Inner Loop Header: Depth=1
	ds_read_b64 v[140:141], v131
	v_add_nc_u32_e32 v131, 8, v131
	s_waitcnt lgkmcnt(0)
	v_cmp_lt_f64_e64 vcc_lo, |v[0:1]|, |v[140:141]|
	v_cndmask_b32_e32 v1, v1, v141, vcc_lo
	v_cndmask_b32_e32 v0, v0, v140, vcc_lo
	v_cndmask_b32_e64 v130, v130, s0, vcc_lo
	s_add_i32 s0, s0, 1
	s_cmp_lg_u32 s7, s0
	s_cbranch_scc1 .LBB122_592
.LBB122_593:
	s_mov_b32 s0, exec_lo
	s_waitcnt lgkmcnt(0)
	v_cmpx_eq_f64_e32 0, v[0:1]
	s_xor_b32 s0, exec_lo, s0
; %bb.594:
	v_cmp_ne_u32_e32 vcc_lo, 0, v133
	v_cndmask_b32_e32 v133, 36, v133, vcc_lo
; %bb.595:
	s_andn2_saveexec_b32 s0, s0
	s_cbranch_execz .LBB122_597
; %bb.596:
	v_div_scale_f64 v[131:132], null, v[0:1], v[0:1], 1.0
	v_rcp_f64_e32 v[140:141], v[131:132]
	v_fma_f64 v[142:143], -v[131:132], v[140:141], 1.0
	v_fma_f64 v[140:141], v[140:141], v[142:143], v[140:141]
	v_fma_f64 v[142:143], -v[131:132], v[140:141], 1.0
	v_fma_f64 v[140:141], v[140:141], v[142:143], v[140:141]
	v_div_scale_f64 v[142:143], vcc_lo, 1.0, v[0:1], 1.0
	v_mul_f64 v[144:145], v[142:143], v[140:141]
	v_fma_f64 v[131:132], -v[131:132], v[144:145], v[142:143]
	v_div_fmas_f64 v[131:132], v[131:132], v[140:141], v[144:145]
	v_div_fixup_f64 v[0:1], v[131:132], v[0:1], 1.0
.LBB122_597:
	s_or_b32 exec_lo, exec_lo, s0
	s_mov_b32 s0, exec_lo
	v_cmpx_ne_u32_e64 v139, v130
	s_xor_b32 s0, exec_lo, s0
	s_cbranch_execz .LBB122_603
; %bb.598:
	s_mov_b32 s1, exec_lo
	v_cmpx_eq_u32_e32 35, v139
	s_cbranch_execz .LBB122_602
; %bb.599:
	v_cmp_ne_u32_e32 vcc_lo, 35, v130
	s_xor_b32 s2, s6, -1
	s_and_b32 s3, s2, vcc_lo
	s_and_saveexec_b32 s2, s3
	s_cbranch_execz .LBB122_601
; %bb.600:
	v_ashrrev_i32_e32 v131, 31, v130
	v_lshlrev_b64 v[131:132], 2, v[130:131]
	v_add_co_u32 v131, vcc_lo, v4, v131
	v_add_co_ci_u32_e64 v132, null, v5, v132, vcc_lo
	s_clause 0x1
	global_load_dword v138, v[131:132], off
	global_load_dword v139, v[4:5], off offset:140
	s_waitcnt vmcnt(1)
	global_store_dword v[4:5], v138, off offset:140
	s_waitcnt vmcnt(0)
	global_store_dword v[131:132], v139, off
.LBB122_601:
	s_or_b32 exec_lo, exec_lo, s2
	v_mov_b32_e32 v138, v130
	v_mov_b32_e32 v139, v130
.LBB122_602:
	s_or_b32 exec_lo, exec_lo, s1
.LBB122_603:
	s_andn2_saveexec_b32 s0, s0
	s_cbranch_execz .LBB122_605
; %bb.604:
	v_mov_b32_e32 v130, v56
	v_mov_b32_e32 v131, v57
	v_mov_b32_e32 v139, v52
	v_mov_b32_e32 v140, v53
	v_mov_b32_e32 v141, v50
	v_mov_b32_e32 v142, v51
	v_mov_b32_e32 v143, v48
	v_mov_b32_e32 v144, v49
	v_mov_b32_e32 v145, v46
	v_mov_b32_e32 v146, v47
	v_mov_b32_e32 v147, v44
	v_mov_b32_e32 v148, v45
	v_mov_b32_e32 v149, v42
	v_mov_b32_e32 v150, v43
	v_mov_b32_e32 v151, v38
	v_mov_b32_e32 v152, v39
	ds_write2_b64 v136, v[130:131], v[139:140] offset0:36 offset1:37
	ds_write2_b64 v136, v[141:142], v[143:144] offset0:38 offset1:39
	;; [unrolled: 1-line block ×4, first 2 shown]
	v_mov_b32_e32 v130, v40
	v_mov_b32_e32 v131, v41
	;; [unrolled: 1-line block ×20, first 2 shown]
	ds_write2_b64 v136, v[130:131], v[139:140] offset0:44 offset1:45
	ds_write2_b64 v136, v[141:142], v[143:144] offset0:46 offset1:47
	;; [unrolled: 1-line block ×5, first 2 shown]
	v_mov_b32_e32 v130, v20
	v_mov_b32_e32 v131, v21
	;; [unrolled: 1-line block ×15, first 2 shown]
	ds_write2_b64 v136, v[130:131], v[140:141] offset0:54 offset1:55
	ds_write2_b64 v136, v[142:143], v[144:145] offset0:56 offset1:57
	;; [unrolled: 1-line block ×4, first 2 shown]
.LBB122_605:
	s_or_b32 exec_lo, exec_lo, s0
	s_mov_b32 s0, exec_lo
	s_waitcnt lgkmcnt(0)
	s_waitcnt_vscnt null, 0x0
	s_barrier
	buffer_gl0_inv
	v_cmpx_lt_i32_e32 35, v139
	s_cbranch_execz .LBB122_607
; %bb.606:
	v_mul_f64 v[54:55], v[0:1], v[54:55]
	ds_read2_b64 v[140:143], v136 offset0:36 offset1:37
	ds_read2_b64 v[144:147], v136 offset0:38 offset1:39
	;; [unrolled: 1-line block ×13, first 2 shown]
	s_waitcnt lgkmcnt(12)
	v_fma_f64 v[56:57], -v[54:55], v[140:141], v[56:57]
	v_fma_f64 v[52:53], -v[54:55], v[142:143], v[52:53]
	s_waitcnt lgkmcnt(11)
	v_fma_f64 v[50:51], -v[54:55], v[144:145], v[50:51]
	v_fma_f64 v[48:49], -v[54:55], v[146:147], v[48:49]
	;; [unrolled: 3-line block ×13, first 2 shown]
.LBB122_607:
	s_or_b32 exec_lo, exec_lo, s0
	v_lshl_add_u32 v0, v139, 3, v136
	s_barrier
	buffer_gl0_inv
	v_mov_b32_e32 v130, 36
	ds_write_b64 v0, v[56:57]
	s_waitcnt lgkmcnt(0)
	s_barrier
	buffer_gl0_inv
	ds_read_b64 v[0:1], v136 offset:288
	s_cmp_lt_i32 s7, 38
	s_cbranch_scc1 .LBB122_610
; %bb.608:
	v_add3_u32 v131, v137, 0, 0x128
	v_mov_b32_e32 v130, 36
	s_mov_b32 s0, 37
.LBB122_609:                            ; =>This Inner Loop Header: Depth=1
	ds_read_b64 v[140:141], v131
	v_add_nc_u32_e32 v131, 8, v131
	s_waitcnt lgkmcnt(0)
	v_cmp_lt_f64_e64 vcc_lo, |v[0:1]|, |v[140:141]|
	v_cndmask_b32_e32 v1, v1, v141, vcc_lo
	v_cndmask_b32_e32 v0, v0, v140, vcc_lo
	v_cndmask_b32_e64 v130, v130, s0, vcc_lo
	s_add_i32 s0, s0, 1
	s_cmp_lg_u32 s7, s0
	s_cbranch_scc1 .LBB122_609
.LBB122_610:
	s_mov_b32 s0, exec_lo
	s_waitcnt lgkmcnt(0)
	v_cmpx_eq_f64_e32 0, v[0:1]
	s_xor_b32 s0, exec_lo, s0
; %bb.611:
	v_cmp_ne_u32_e32 vcc_lo, 0, v133
	v_cndmask_b32_e32 v133, 37, v133, vcc_lo
; %bb.612:
	s_andn2_saveexec_b32 s0, s0
	s_cbranch_execz .LBB122_614
; %bb.613:
	v_div_scale_f64 v[131:132], null, v[0:1], v[0:1], 1.0
	v_rcp_f64_e32 v[140:141], v[131:132]
	v_fma_f64 v[142:143], -v[131:132], v[140:141], 1.0
	v_fma_f64 v[140:141], v[140:141], v[142:143], v[140:141]
	v_fma_f64 v[142:143], -v[131:132], v[140:141], 1.0
	v_fma_f64 v[140:141], v[140:141], v[142:143], v[140:141]
	v_div_scale_f64 v[142:143], vcc_lo, 1.0, v[0:1], 1.0
	v_mul_f64 v[144:145], v[142:143], v[140:141]
	v_fma_f64 v[131:132], -v[131:132], v[144:145], v[142:143]
	v_div_fmas_f64 v[131:132], v[131:132], v[140:141], v[144:145]
	v_div_fixup_f64 v[0:1], v[131:132], v[0:1], 1.0
.LBB122_614:
	s_or_b32 exec_lo, exec_lo, s0
	s_mov_b32 s0, exec_lo
	v_cmpx_ne_u32_e64 v139, v130
	s_xor_b32 s0, exec_lo, s0
	s_cbranch_execz .LBB122_620
; %bb.615:
	s_mov_b32 s1, exec_lo
	v_cmpx_eq_u32_e32 36, v139
	s_cbranch_execz .LBB122_619
; %bb.616:
	v_cmp_ne_u32_e32 vcc_lo, 36, v130
	s_xor_b32 s2, s6, -1
	s_and_b32 s3, s2, vcc_lo
	s_and_saveexec_b32 s2, s3
	s_cbranch_execz .LBB122_618
; %bb.617:
	v_ashrrev_i32_e32 v131, 31, v130
	v_lshlrev_b64 v[131:132], 2, v[130:131]
	v_add_co_u32 v131, vcc_lo, v4, v131
	v_add_co_ci_u32_e64 v132, null, v5, v132, vcc_lo
	s_clause 0x1
	global_load_dword v138, v[131:132], off
	global_load_dword v139, v[4:5], off offset:144
	s_waitcnt vmcnt(1)
	global_store_dword v[4:5], v138, off offset:144
	s_waitcnt vmcnt(0)
	global_store_dword v[131:132], v139, off
.LBB122_618:
	s_or_b32 exec_lo, exec_lo, s2
	v_mov_b32_e32 v138, v130
	v_mov_b32_e32 v139, v130
.LBB122_619:
	s_or_b32 exec_lo, exec_lo, s1
.LBB122_620:
	s_andn2_saveexec_b32 s0, s0
	s_cbranch_execz .LBB122_622
; %bb.621:
	v_mov_b32_e32 v139, 36
	ds_write2_b64 v136, v[52:53], v[50:51] offset0:37 offset1:38
	ds_write2_b64 v136, v[48:49], v[46:47] offset0:39 offset1:40
	;; [unrolled: 1-line block ×12, first 2 shown]
	ds_write_b64 v136, v[128:129] offset:488
.LBB122_622:
	s_or_b32 exec_lo, exec_lo, s0
	s_mov_b32 s0, exec_lo
	s_waitcnt lgkmcnt(0)
	s_waitcnt_vscnt null, 0x0
	s_barrier
	buffer_gl0_inv
	v_cmpx_lt_i32_e32 36, v139
	s_cbranch_execz .LBB122_624
; %bb.623:
	v_mul_f64 v[56:57], v[0:1], v[56:57]
	ds_read2_b64 v[140:143], v136 offset0:37 offset1:38
	ds_read2_b64 v[144:147], v136 offset0:39 offset1:40
	;; [unrolled: 1-line block ×12, first 2 shown]
	ds_read_b64 v[0:1], v136 offset:488
	s_waitcnt lgkmcnt(12)
	v_fma_f64 v[52:53], -v[56:57], v[140:141], v[52:53]
	v_fma_f64 v[50:51], -v[56:57], v[142:143], v[50:51]
	s_waitcnt lgkmcnt(11)
	v_fma_f64 v[48:49], -v[56:57], v[144:145], v[48:49]
	v_fma_f64 v[46:47], -v[56:57], v[146:147], v[46:47]
	;; [unrolled: 3-line block ×12, first 2 shown]
	s_waitcnt lgkmcnt(0)
	v_fma_f64 v[128:129], -v[56:57], v[0:1], v[128:129]
.LBB122_624:
	s_or_b32 exec_lo, exec_lo, s0
	v_lshl_add_u32 v0, v139, 3, v136
	s_barrier
	buffer_gl0_inv
	v_mov_b32_e32 v130, 37
	ds_write_b64 v0, v[52:53]
	s_waitcnt lgkmcnt(0)
	s_barrier
	buffer_gl0_inv
	ds_read_b64 v[0:1], v136 offset:296
	s_cmp_lt_i32 s7, 39
	s_cbranch_scc1 .LBB122_627
; %bb.625:
	v_add3_u32 v131, v137, 0, 0x130
	v_mov_b32_e32 v130, 37
	s_mov_b32 s0, 38
.LBB122_626:                            ; =>This Inner Loop Header: Depth=1
	ds_read_b64 v[140:141], v131
	v_add_nc_u32_e32 v131, 8, v131
	s_waitcnt lgkmcnt(0)
	v_cmp_lt_f64_e64 vcc_lo, |v[0:1]|, |v[140:141]|
	v_cndmask_b32_e32 v1, v1, v141, vcc_lo
	v_cndmask_b32_e32 v0, v0, v140, vcc_lo
	v_cndmask_b32_e64 v130, v130, s0, vcc_lo
	s_add_i32 s0, s0, 1
	s_cmp_lg_u32 s7, s0
	s_cbranch_scc1 .LBB122_626
.LBB122_627:
	s_mov_b32 s0, exec_lo
	s_waitcnt lgkmcnt(0)
	v_cmpx_eq_f64_e32 0, v[0:1]
	s_xor_b32 s0, exec_lo, s0
; %bb.628:
	v_cmp_ne_u32_e32 vcc_lo, 0, v133
	v_cndmask_b32_e32 v133, 38, v133, vcc_lo
; %bb.629:
	s_andn2_saveexec_b32 s0, s0
	s_cbranch_execz .LBB122_631
; %bb.630:
	v_div_scale_f64 v[131:132], null, v[0:1], v[0:1], 1.0
	v_rcp_f64_e32 v[140:141], v[131:132]
	v_fma_f64 v[142:143], -v[131:132], v[140:141], 1.0
	v_fma_f64 v[140:141], v[140:141], v[142:143], v[140:141]
	v_fma_f64 v[142:143], -v[131:132], v[140:141], 1.0
	v_fma_f64 v[140:141], v[140:141], v[142:143], v[140:141]
	v_div_scale_f64 v[142:143], vcc_lo, 1.0, v[0:1], 1.0
	v_mul_f64 v[144:145], v[142:143], v[140:141]
	v_fma_f64 v[131:132], -v[131:132], v[144:145], v[142:143]
	v_div_fmas_f64 v[131:132], v[131:132], v[140:141], v[144:145]
	v_div_fixup_f64 v[0:1], v[131:132], v[0:1], 1.0
.LBB122_631:
	s_or_b32 exec_lo, exec_lo, s0
	s_mov_b32 s0, exec_lo
	v_cmpx_ne_u32_e64 v139, v130
	s_xor_b32 s0, exec_lo, s0
	s_cbranch_execz .LBB122_637
; %bb.632:
	s_mov_b32 s1, exec_lo
	v_cmpx_eq_u32_e32 37, v139
	s_cbranch_execz .LBB122_636
; %bb.633:
	v_cmp_ne_u32_e32 vcc_lo, 37, v130
	s_xor_b32 s2, s6, -1
	s_and_b32 s3, s2, vcc_lo
	s_and_saveexec_b32 s2, s3
	s_cbranch_execz .LBB122_635
; %bb.634:
	v_ashrrev_i32_e32 v131, 31, v130
	v_lshlrev_b64 v[131:132], 2, v[130:131]
	v_add_co_u32 v131, vcc_lo, v4, v131
	v_add_co_ci_u32_e64 v132, null, v5, v132, vcc_lo
	s_clause 0x1
	global_load_dword v138, v[131:132], off
	global_load_dword v139, v[4:5], off offset:148
	s_waitcnt vmcnt(1)
	global_store_dword v[4:5], v138, off offset:148
	s_waitcnt vmcnt(0)
	global_store_dword v[131:132], v139, off
.LBB122_635:
	s_or_b32 exec_lo, exec_lo, s2
	v_mov_b32_e32 v138, v130
	v_mov_b32_e32 v139, v130
.LBB122_636:
	s_or_b32 exec_lo, exec_lo, s1
.LBB122_637:
	s_andn2_saveexec_b32 s0, s0
	s_cbranch_execz .LBB122_639
; %bb.638:
	v_mov_b32_e32 v130, v50
	v_mov_b32_e32 v131, v51
	;; [unrolled: 1-line block ×12, first 2 shown]
	ds_write2_b64 v136, v[130:131], v[139:140] offset0:38 offset1:39
	ds_write2_b64 v136, v[141:142], v[143:144] offset0:40 offset1:41
	;; [unrolled: 1-line block ×3, first 2 shown]
	v_mov_b32_e32 v130, v40
	v_mov_b32_e32 v131, v41
	v_mov_b32_e32 v139, v34
	v_mov_b32_e32 v140, v35
	v_mov_b32_e32 v141, v36
	v_mov_b32_e32 v142, v37
	v_mov_b32_e32 v143, v32
	v_mov_b32_e32 v144, v33
	v_mov_b32_e32 v145, v30
	v_mov_b32_e32 v146, v31
	v_mov_b32_e32 v147, v28
	v_mov_b32_e32 v148, v29
	v_mov_b32_e32 v149, v26
	v_mov_b32_e32 v150, v27
	v_mov_b32_e32 v151, v24
	v_mov_b32_e32 v152, v25
	v_mov_b32_e32 v153, v22
	v_mov_b32_e32 v154, v23
	v_mov_b32_e32 v155, v18
	v_mov_b32_e32 v156, v19
	ds_write2_b64 v136, v[130:131], v[139:140] offset0:44 offset1:45
	ds_write2_b64 v136, v[141:142], v[143:144] offset0:46 offset1:47
	;; [unrolled: 1-line block ×5, first 2 shown]
	v_mov_b32_e32 v130, v20
	v_mov_b32_e32 v131, v21
	;; [unrolled: 1-line block ×15, first 2 shown]
	ds_write2_b64 v136, v[130:131], v[140:141] offset0:54 offset1:55
	ds_write2_b64 v136, v[142:143], v[144:145] offset0:56 offset1:57
	;; [unrolled: 1-line block ×4, first 2 shown]
.LBB122_639:
	s_or_b32 exec_lo, exec_lo, s0
	s_mov_b32 s0, exec_lo
	s_waitcnt lgkmcnt(0)
	s_waitcnt_vscnt null, 0x0
	s_barrier
	buffer_gl0_inv
	v_cmpx_lt_i32_e32 37, v139
	s_cbranch_execz .LBB122_641
; %bb.640:
	v_mul_f64 v[52:53], v[0:1], v[52:53]
	ds_read2_b64 v[140:143], v136 offset0:38 offset1:39
	ds_read2_b64 v[144:147], v136 offset0:40 offset1:41
	ds_read2_b64 v[148:151], v136 offset0:42 offset1:43
	ds_read2_b64 v[152:155], v136 offset0:44 offset1:45
	ds_read2_b64 v[156:159], v136 offset0:46 offset1:47
	ds_read2_b64 v[160:163], v136 offset0:48 offset1:49
	ds_read2_b64 v[164:167], v136 offset0:50 offset1:51
	ds_read2_b64 v[168:171], v136 offset0:52 offset1:53
	ds_read2_b64 v[172:175], v136 offset0:54 offset1:55
	ds_read2_b64 v[176:179], v136 offset0:56 offset1:57
	ds_read2_b64 v[180:183], v136 offset0:58 offset1:59
	ds_read2_b64 v[184:187], v136 offset0:60 offset1:61
	s_waitcnt lgkmcnt(11)
	v_fma_f64 v[50:51], -v[52:53], v[140:141], v[50:51]
	v_fma_f64 v[48:49], -v[52:53], v[142:143], v[48:49]
	s_waitcnt lgkmcnt(10)
	v_fma_f64 v[46:47], -v[52:53], v[144:145], v[46:47]
	v_fma_f64 v[44:45], -v[52:53], v[146:147], v[44:45]
	;; [unrolled: 3-line block ×12, first 2 shown]
.LBB122_641:
	s_or_b32 exec_lo, exec_lo, s0
	v_lshl_add_u32 v0, v139, 3, v136
	s_barrier
	buffer_gl0_inv
	v_mov_b32_e32 v130, 38
	ds_write_b64 v0, v[50:51]
	s_waitcnt lgkmcnt(0)
	s_barrier
	buffer_gl0_inv
	ds_read_b64 v[0:1], v136 offset:304
	s_cmp_lt_i32 s7, 40
	s_cbranch_scc1 .LBB122_644
; %bb.642:
	v_add3_u32 v131, v137, 0, 0x138
	v_mov_b32_e32 v130, 38
	s_mov_b32 s0, 39
.LBB122_643:                            ; =>This Inner Loop Header: Depth=1
	ds_read_b64 v[140:141], v131
	v_add_nc_u32_e32 v131, 8, v131
	s_waitcnt lgkmcnt(0)
	v_cmp_lt_f64_e64 vcc_lo, |v[0:1]|, |v[140:141]|
	v_cndmask_b32_e32 v1, v1, v141, vcc_lo
	v_cndmask_b32_e32 v0, v0, v140, vcc_lo
	v_cndmask_b32_e64 v130, v130, s0, vcc_lo
	s_add_i32 s0, s0, 1
	s_cmp_lg_u32 s7, s0
	s_cbranch_scc1 .LBB122_643
.LBB122_644:
	s_mov_b32 s0, exec_lo
	s_waitcnt lgkmcnt(0)
	v_cmpx_eq_f64_e32 0, v[0:1]
	s_xor_b32 s0, exec_lo, s0
; %bb.645:
	v_cmp_ne_u32_e32 vcc_lo, 0, v133
	v_cndmask_b32_e32 v133, 39, v133, vcc_lo
; %bb.646:
	s_andn2_saveexec_b32 s0, s0
	s_cbranch_execz .LBB122_648
; %bb.647:
	v_div_scale_f64 v[131:132], null, v[0:1], v[0:1], 1.0
	v_rcp_f64_e32 v[140:141], v[131:132]
	v_fma_f64 v[142:143], -v[131:132], v[140:141], 1.0
	v_fma_f64 v[140:141], v[140:141], v[142:143], v[140:141]
	v_fma_f64 v[142:143], -v[131:132], v[140:141], 1.0
	v_fma_f64 v[140:141], v[140:141], v[142:143], v[140:141]
	v_div_scale_f64 v[142:143], vcc_lo, 1.0, v[0:1], 1.0
	v_mul_f64 v[144:145], v[142:143], v[140:141]
	v_fma_f64 v[131:132], -v[131:132], v[144:145], v[142:143]
	v_div_fmas_f64 v[131:132], v[131:132], v[140:141], v[144:145]
	v_div_fixup_f64 v[0:1], v[131:132], v[0:1], 1.0
.LBB122_648:
	s_or_b32 exec_lo, exec_lo, s0
	s_mov_b32 s0, exec_lo
	v_cmpx_ne_u32_e64 v139, v130
	s_xor_b32 s0, exec_lo, s0
	s_cbranch_execz .LBB122_654
; %bb.649:
	s_mov_b32 s1, exec_lo
	v_cmpx_eq_u32_e32 38, v139
	s_cbranch_execz .LBB122_653
; %bb.650:
	v_cmp_ne_u32_e32 vcc_lo, 38, v130
	s_xor_b32 s2, s6, -1
	s_and_b32 s3, s2, vcc_lo
	s_and_saveexec_b32 s2, s3
	s_cbranch_execz .LBB122_652
; %bb.651:
	v_ashrrev_i32_e32 v131, 31, v130
	v_lshlrev_b64 v[131:132], 2, v[130:131]
	v_add_co_u32 v131, vcc_lo, v4, v131
	v_add_co_ci_u32_e64 v132, null, v5, v132, vcc_lo
	s_clause 0x1
	global_load_dword v138, v[131:132], off
	global_load_dword v139, v[4:5], off offset:152
	s_waitcnt vmcnt(1)
	global_store_dword v[4:5], v138, off offset:152
	s_waitcnt vmcnt(0)
	global_store_dword v[131:132], v139, off
.LBB122_652:
	s_or_b32 exec_lo, exec_lo, s2
	v_mov_b32_e32 v138, v130
	v_mov_b32_e32 v139, v130
.LBB122_653:
	s_or_b32 exec_lo, exec_lo, s1
.LBB122_654:
	s_andn2_saveexec_b32 s0, s0
	s_cbranch_execz .LBB122_656
; %bb.655:
	v_mov_b32_e32 v139, 38
	ds_write2_b64 v136, v[48:49], v[46:47] offset0:39 offset1:40
	ds_write2_b64 v136, v[44:45], v[42:43] offset0:41 offset1:42
	;; [unrolled: 1-line block ×11, first 2 shown]
	ds_write_b64 v136, v[128:129] offset:488
.LBB122_656:
	s_or_b32 exec_lo, exec_lo, s0
	s_mov_b32 s0, exec_lo
	s_waitcnt lgkmcnt(0)
	s_waitcnt_vscnt null, 0x0
	s_barrier
	buffer_gl0_inv
	v_cmpx_lt_i32_e32 38, v139
	s_cbranch_execz .LBB122_658
; %bb.657:
	v_mul_f64 v[50:51], v[0:1], v[50:51]
	ds_read2_b64 v[140:143], v136 offset0:39 offset1:40
	ds_read2_b64 v[144:147], v136 offset0:41 offset1:42
	;; [unrolled: 1-line block ×11, first 2 shown]
	ds_read_b64 v[0:1], v136 offset:488
	s_waitcnt lgkmcnt(11)
	v_fma_f64 v[48:49], -v[50:51], v[140:141], v[48:49]
	v_fma_f64 v[46:47], -v[50:51], v[142:143], v[46:47]
	s_waitcnt lgkmcnt(10)
	v_fma_f64 v[44:45], -v[50:51], v[144:145], v[44:45]
	v_fma_f64 v[42:43], -v[50:51], v[146:147], v[42:43]
	;; [unrolled: 3-line block ×11, first 2 shown]
	s_waitcnt lgkmcnt(0)
	v_fma_f64 v[128:129], -v[50:51], v[0:1], v[128:129]
.LBB122_658:
	s_or_b32 exec_lo, exec_lo, s0
	v_lshl_add_u32 v0, v139, 3, v136
	s_barrier
	buffer_gl0_inv
	v_mov_b32_e32 v130, 39
	ds_write_b64 v0, v[48:49]
	s_waitcnt lgkmcnt(0)
	s_barrier
	buffer_gl0_inv
	ds_read_b64 v[0:1], v136 offset:312
	s_cmp_lt_i32 s7, 41
	s_cbranch_scc1 .LBB122_661
; %bb.659:
	v_add3_u32 v131, v137, 0, 0x140
	v_mov_b32_e32 v130, 39
	s_mov_b32 s0, 40
.LBB122_660:                            ; =>This Inner Loop Header: Depth=1
	ds_read_b64 v[140:141], v131
	v_add_nc_u32_e32 v131, 8, v131
	s_waitcnt lgkmcnt(0)
	v_cmp_lt_f64_e64 vcc_lo, |v[0:1]|, |v[140:141]|
	v_cndmask_b32_e32 v1, v1, v141, vcc_lo
	v_cndmask_b32_e32 v0, v0, v140, vcc_lo
	v_cndmask_b32_e64 v130, v130, s0, vcc_lo
	s_add_i32 s0, s0, 1
	s_cmp_lg_u32 s7, s0
	s_cbranch_scc1 .LBB122_660
.LBB122_661:
	s_mov_b32 s0, exec_lo
	s_waitcnt lgkmcnt(0)
	v_cmpx_eq_f64_e32 0, v[0:1]
	s_xor_b32 s0, exec_lo, s0
; %bb.662:
	v_cmp_ne_u32_e32 vcc_lo, 0, v133
	v_cndmask_b32_e32 v133, 40, v133, vcc_lo
; %bb.663:
	s_andn2_saveexec_b32 s0, s0
	s_cbranch_execz .LBB122_665
; %bb.664:
	v_div_scale_f64 v[131:132], null, v[0:1], v[0:1], 1.0
	v_rcp_f64_e32 v[140:141], v[131:132]
	v_fma_f64 v[142:143], -v[131:132], v[140:141], 1.0
	v_fma_f64 v[140:141], v[140:141], v[142:143], v[140:141]
	v_fma_f64 v[142:143], -v[131:132], v[140:141], 1.0
	v_fma_f64 v[140:141], v[140:141], v[142:143], v[140:141]
	v_div_scale_f64 v[142:143], vcc_lo, 1.0, v[0:1], 1.0
	v_mul_f64 v[144:145], v[142:143], v[140:141]
	v_fma_f64 v[131:132], -v[131:132], v[144:145], v[142:143]
	v_div_fmas_f64 v[131:132], v[131:132], v[140:141], v[144:145]
	v_div_fixup_f64 v[0:1], v[131:132], v[0:1], 1.0
.LBB122_665:
	s_or_b32 exec_lo, exec_lo, s0
	s_mov_b32 s0, exec_lo
	v_cmpx_ne_u32_e64 v139, v130
	s_xor_b32 s0, exec_lo, s0
	s_cbranch_execz .LBB122_671
; %bb.666:
	s_mov_b32 s1, exec_lo
	v_cmpx_eq_u32_e32 39, v139
	s_cbranch_execz .LBB122_670
; %bb.667:
	v_cmp_ne_u32_e32 vcc_lo, 39, v130
	s_xor_b32 s2, s6, -1
	s_and_b32 s3, s2, vcc_lo
	s_and_saveexec_b32 s2, s3
	s_cbranch_execz .LBB122_669
; %bb.668:
	v_ashrrev_i32_e32 v131, 31, v130
	v_lshlrev_b64 v[131:132], 2, v[130:131]
	v_add_co_u32 v131, vcc_lo, v4, v131
	v_add_co_ci_u32_e64 v132, null, v5, v132, vcc_lo
	s_clause 0x1
	global_load_dword v138, v[131:132], off
	global_load_dword v139, v[4:5], off offset:156
	s_waitcnt vmcnt(1)
	global_store_dword v[4:5], v138, off offset:156
	s_waitcnt vmcnt(0)
	global_store_dword v[131:132], v139, off
.LBB122_669:
	s_or_b32 exec_lo, exec_lo, s2
	v_mov_b32_e32 v138, v130
	v_mov_b32_e32 v139, v130
.LBB122_670:
	s_or_b32 exec_lo, exec_lo, s1
.LBB122_671:
	s_andn2_saveexec_b32 s0, s0
	s_cbranch_execz .LBB122_673
; %bb.672:
	v_mov_b32_e32 v130, v46
	v_mov_b32_e32 v131, v47
	;; [unrolled: 1-line block ×8, first 2 shown]
	ds_write2_b64 v136, v[130:131], v[139:140] offset0:40 offset1:41
	ds_write2_b64 v136, v[141:142], v[143:144] offset0:42 offset1:43
	v_mov_b32_e32 v130, v40
	v_mov_b32_e32 v131, v41
	;; [unrolled: 1-line block ×20, first 2 shown]
	ds_write2_b64 v136, v[130:131], v[139:140] offset0:44 offset1:45
	ds_write2_b64 v136, v[141:142], v[143:144] offset0:46 offset1:47
	;; [unrolled: 1-line block ×5, first 2 shown]
	v_mov_b32_e32 v130, v20
	v_mov_b32_e32 v131, v21
	;; [unrolled: 1-line block ×15, first 2 shown]
	ds_write2_b64 v136, v[130:131], v[140:141] offset0:54 offset1:55
	ds_write2_b64 v136, v[142:143], v[144:145] offset0:56 offset1:57
	;; [unrolled: 1-line block ×4, first 2 shown]
.LBB122_673:
	s_or_b32 exec_lo, exec_lo, s0
	s_mov_b32 s0, exec_lo
	s_waitcnt lgkmcnt(0)
	s_waitcnt_vscnt null, 0x0
	s_barrier
	buffer_gl0_inv
	v_cmpx_lt_i32_e32 39, v139
	s_cbranch_execz .LBB122_675
; %bb.674:
	v_mul_f64 v[48:49], v[0:1], v[48:49]
	ds_read2_b64 v[140:143], v136 offset0:40 offset1:41
	ds_read2_b64 v[144:147], v136 offset0:42 offset1:43
	;; [unrolled: 1-line block ×11, first 2 shown]
	s_waitcnt lgkmcnt(10)
	v_fma_f64 v[46:47], -v[48:49], v[140:141], v[46:47]
	v_fma_f64 v[44:45], -v[48:49], v[142:143], v[44:45]
	s_waitcnt lgkmcnt(9)
	v_fma_f64 v[42:43], -v[48:49], v[144:145], v[42:43]
	v_fma_f64 v[38:39], -v[48:49], v[146:147], v[38:39]
	;; [unrolled: 3-line block ×11, first 2 shown]
.LBB122_675:
	s_or_b32 exec_lo, exec_lo, s0
	v_lshl_add_u32 v0, v139, 3, v136
	s_barrier
	buffer_gl0_inv
	v_mov_b32_e32 v130, 40
	ds_write_b64 v0, v[46:47]
	s_waitcnt lgkmcnt(0)
	s_barrier
	buffer_gl0_inv
	ds_read_b64 v[0:1], v136 offset:320
	s_cmp_lt_i32 s7, 42
	s_cbranch_scc1 .LBB122_678
; %bb.676:
	v_add3_u32 v131, v137, 0, 0x148
	v_mov_b32_e32 v130, 40
	s_mov_b32 s0, 41
.LBB122_677:                            ; =>This Inner Loop Header: Depth=1
	ds_read_b64 v[140:141], v131
	v_add_nc_u32_e32 v131, 8, v131
	s_waitcnt lgkmcnt(0)
	v_cmp_lt_f64_e64 vcc_lo, |v[0:1]|, |v[140:141]|
	v_cndmask_b32_e32 v1, v1, v141, vcc_lo
	v_cndmask_b32_e32 v0, v0, v140, vcc_lo
	v_cndmask_b32_e64 v130, v130, s0, vcc_lo
	s_add_i32 s0, s0, 1
	s_cmp_lg_u32 s7, s0
	s_cbranch_scc1 .LBB122_677
.LBB122_678:
	s_mov_b32 s0, exec_lo
	s_waitcnt lgkmcnt(0)
	v_cmpx_eq_f64_e32 0, v[0:1]
	s_xor_b32 s0, exec_lo, s0
; %bb.679:
	v_cmp_ne_u32_e32 vcc_lo, 0, v133
	v_cndmask_b32_e32 v133, 41, v133, vcc_lo
; %bb.680:
	s_andn2_saveexec_b32 s0, s0
	s_cbranch_execz .LBB122_682
; %bb.681:
	v_div_scale_f64 v[131:132], null, v[0:1], v[0:1], 1.0
	v_rcp_f64_e32 v[140:141], v[131:132]
	v_fma_f64 v[142:143], -v[131:132], v[140:141], 1.0
	v_fma_f64 v[140:141], v[140:141], v[142:143], v[140:141]
	v_fma_f64 v[142:143], -v[131:132], v[140:141], 1.0
	v_fma_f64 v[140:141], v[140:141], v[142:143], v[140:141]
	v_div_scale_f64 v[142:143], vcc_lo, 1.0, v[0:1], 1.0
	v_mul_f64 v[144:145], v[142:143], v[140:141]
	v_fma_f64 v[131:132], -v[131:132], v[144:145], v[142:143]
	v_div_fmas_f64 v[131:132], v[131:132], v[140:141], v[144:145]
	v_div_fixup_f64 v[0:1], v[131:132], v[0:1], 1.0
.LBB122_682:
	s_or_b32 exec_lo, exec_lo, s0
	s_mov_b32 s0, exec_lo
	v_cmpx_ne_u32_e64 v139, v130
	s_xor_b32 s0, exec_lo, s0
	s_cbranch_execz .LBB122_688
; %bb.683:
	s_mov_b32 s1, exec_lo
	v_cmpx_eq_u32_e32 40, v139
	s_cbranch_execz .LBB122_687
; %bb.684:
	v_cmp_ne_u32_e32 vcc_lo, 40, v130
	s_xor_b32 s2, s6, -1
	s_and_b32 s3, s2, vcc_lo
	s_and_saveexec_b32 s2, s3
	s_cbranch_execz .LBB122_686
; %bb.685:
	v_ashrrev_i32_e32 v131, 31, v130
	v_lshlrev_b64 v[131:132], 2, v[130:131]
	v_add_co_u32 v131, vcc_lo, v4, v131
	v_add_co_ci_u32_e64 v132, null, v5, v132, vcc_lo
	s_clause 0x1
	global_load_dword v138, v[131:132], off
	global_load_dword v139, v[4:5], off offset:160
	s_waitcnt vmcnt(1)
	global_store_dword v[4:5], v138, off offset:160
	s_waitcnt vmcnt(0)
	global_store_dword v[131:132], v139, off
.LBB122_686:
	s_or_b32 exec_lo, exec_lo, s2
	v_mov_b32_e32 v138, v130
	v_mov_b32_e32 v139, v130
.LBB122_687:
	s_or_b32 exec_lo, exec_lo, s1
.LBB122_688:
	s_andn2_saveexec_b32 s0, s0
	s_cbranch_execz .LBB122_690
; %bb.689:
	v_mov_b32_e32 v139, 40
	ds_write2_b64 v136, v[44:45], v[42:43] offset0:41 offset1:42
	ds_write2_b64 v136, v[38:39], v[40:41] offset0:43 offset1:44
	;; [unrolled: 1-line block ×10, first 2 shown]
	ds_write_b64 v136, v[128:129] offset:488
.LBB122_690:
	s_or_b32 exec_lo, exec_lo, s0
	s_mov_b32 s0, exec_lo
	s_waitcnt lgkmcnt(0)
	s_waitcnt_vscnt null, 0x0
	s_barrier
	buffer_gl0_inv
	v_cmpx_lt_i32_e32 40, v139
	s_cbranch_execz .LBB122_692
; %bb.691:
	v_mul_f64 v[46:47], v[0:1], v[46:47]
	ds_read2_b64 v[140:143], v136 offset0:41 offset1:42
	ds_read2_b64 v[144:147], v136 offset0:43 offset1:44
	;; [unrolled: 1-line block ×10, first 2 shown]
	ds_read_b64 v[0:1], v136 offset:488
	s_waitcnt lgkmcnt(10)
	v_fma_f64 v[44:45], -v[46:47], v[140:141], v[44:45]
	v_fma_f64 v[42:43], -v[46:47], v[142:143], v[42:43]
	s_waitcnt lgkmcnt(9)
	v_fma_f64 v[38:39], -v[46:47], v[144:145], v[38:39]
	v_fma_f64 v[40:41], -v[46:47], v[146:147], v[40:41]
	s_waitcnt lgkmcnt(8)
	v_fma_f64 v[34:35], -v[46:47], v[148:149], v[34:35]
	v_fma_f64 v[36:37], -v[46:47], v[150:151], v[36:37]
	s_waitcnt lgkmcnt(7)
	v_fma_f64 v[32:33], -v[46:47], v[152:153], v[32:33]
	v_fma_f64 v[30:31], -v[46:47], v[154:155], v[30:31]
	s_waitcnt lgkmcnt(6)
	v_fma_f64 v[28:29], -v[46:47], v[156:157], v[28:29]
	v_fma_f64 v[26:27], -v[46:47], v[158:159], v[26:27]
	s_waitcnt lgkmcnt(5)
	v_fma_f64 v[24:25], -v[46:47], v[160:161], v[24:25]
	v_fma_f64 v[22:23], -v[46:47], v[162:163], v[22:23]
	s_waitcnt lgkmcnt(4)
	v_fma_f64 v[18:19], -v[46:47], v[164:165], v[18:19]
	v_fma_f64 v[20:21], -v[46:47], v[166:167], v[20:21]
	s_waitcnt lgkmcnt(3)
	v_fma_f64 v[16:17], -v[46:47], v[168:169], v[16:17]
	v_fma_f64 v[14:15], -v[46:47], v[170:171], v[14:15]
	s_waitcnt lgkmcnt(2)
	v_fma_f64 v[8:9], -v[46:47], v[172:173], v[8:9]
	v_fma_f64 v[12:13], -v[46:47], v[174:175], v[12:13]
	s_waitcnt lgkmcnt(1)
	v_fma_f64 v[6:7], -v[46:47], v[176:177], v[6:7]
	v_fma_f64 v[10:11], -v[46:47], v[178:179], v[10:11]
	s_waitcnt lgkmcnt(0)
	v_fma_f64 v[128:129], -v[46:47], v[0:1], v[128:129]
.LBB122_692:
	s_or_b32 exec_lo, exec_lo, s0
	v_lshl_add_u32 v0, v139, 3, v136
	s_barrier
	buffer_gl0_inv
	v_mov_b32_e32 v130, 41
	ds_write_b64 v0, v[44:45]
	s_waitcnt lgkmcnt(0)
	s_barrier
	buffer_gl0_inv
	ds_read_b64 v[0:1], v136 offset:328
	s_cmp_lt_i32 s7, 43
	s_cbranch_scc1 .LBB122_695
; %bb.693:
	v_add3_u32 v131, v137, 0, 0x150
	v_mov_b32_e32 v130, 41
	s_mov_b32 s0, 42
.LBB122_694:                            ; =>This Inner Loop Header: Depth=1
	ds_read_b64 v[140:141], v131
	v_add_nc_u32_e32 v131, 8, v131
	s_waitcnt lgkmcnt(0)
	v_cmp_lt_f64_e64 vcc_lo, |v[0:1]|, |v[140:141]|
	v_cndmask_b32_e32 v1, v1, v141, vcc_lo
	v_cndmask_b32_e32 v0, v0, v140, vcc_lo
	v_cndmask_b32_e64 v130, v130, s0, vcc_lo
	s_add_i32 s0, s0, 1
	s_cmp_lg_u32 s7, s0
	s_cbranch_scc1 .LBB122_694
.LBB122_695:
	s_mov_b32 s0, exec_lo
	s_waitcnt lgkmcnt(0)
	v_cmpx_eq_f64_e32 0, v[0:1]
	s_xor_b32 s0, exec_lo, s0
; %bb.696:
	v_cmp_ne_u32_e32 vcc_lo, 0, v133
	v_cndmask_b32_e32 v133, 42, v133, vcc_lo
; %bb.697:
	s_andn2_saveexec_b32 s0, s0
	s_cbranch_execz .LBB122_699
; %bb.698:
	v_div_scale_f64 v[131:132], null, v[0:1], v[0:1], 1.0
	v_rcp_f64_e32 v[140:141], v[131:132]
	v_fma_f64 v[142:143], -v[131:132], v[140:141], 1.0
	v_fma_f64 v[140:141], v[140:141], v[142:143], v[140:141]
	v_fma_f64 v[142:143], -v[131:132], v[140:141], 1.0
	v_fma_f64 v[140:141], v[140:141], v[142:143], v[140:141]
	v_div_scale_f64 v[142:143], vcc_lo, 1.0, v[0:1], 1.0
	v_mul_f64 v[144:145], v[142:143], v[140:141]
	v_fma_f64 v[131:132], -v[131:132], v[144:145], v[142:143]
	v_div_fmas_f64 v[131:132], v[131:132], v[140:141], v[144:145]
	v_div_fixup_f64 v[0:1], v[131:132], v[0:1], 1.0
.LBB122_699:
	s_or_b32 exec_lo, exec_lo, s0
	s_mov_b32 s0, exec_lo
	v_cmpx_ne_u32_e64 v139, v130
	s_xor_b32 s0, exec_lo, s0
	s_cbranch_execz .LBB122_705
; %bb.700:
	s_mov_b32 s1, exec_lo
	v_cmpx_eq_u32_e32 41, v139
	s_cbranch_execz .LBB122_704
; %bb.701:
	v_cmp_ne_u32_e32 vcc_lo, 41, v130
	s_xor_b32 s2, s6, -1
	s_and_b32 s3, s2, vcc_lo
	s_and_saveexec_b32 s2, s3
	s_cbranch_execz .LBB122_703
; %bb.702:
	v_ashrrev_i32_e32 v131, 31, v130
	v_lshlrev_b64 v[131:132], 2, v[130:131]
	v_add_co_u32 v131, vcc_lo, v4, v131
	v_add_co_ci_u32_e64 v132, null, v5, v132, vcc_lo
	s_clause 0x1
	global_load_dword v138, v[131:132], off
	global_load_dword v139, v[4:5], off offset:164
	s_waitcnt vmcnt(1)
	global_store_dword v[4:5], v138, off offset:164
	s_waitcnt vmcnt(0)
	global_store_dword v[131:132], v139, off
.LBB122_703:
	s_or_b32 exec_lo, exec_lo, s2
	v_mov_b32_e32 v138, v130
	v_mov_b32_e32 v139, v130
.LBB122_704:
	s_or_b32 exec_lo, exec_lo, s1
.LBB122_705:
	s_andn2_saveexec_b32 s0, s0
	s_cbranch_execz .LBB122_707
; %bb.706:
	v_mov_b32_e32 v130, v42
	v_mov_b32_e32 v131, v43
	;; [unrolled: 1-line block ×8, first 2 shown]
	ds_write2_b64 v136, v[130:131], v[139:140] offset0:42 offset1:43
	v_mov_b32_e32 v130, v34
	v_mov_b32_e32 v131, v35
	;; [unrolled: 1-line block ×16, first 2 shown]
	ds_write2_b64 v136, v[141:142], v[130:131] offset0:44 offset1:45
	ds_write2_b64 v136, v[139:140], v[143:144] offset0:46 offset1:47
	;; [unrolled: 1-line block ×5, first 2 shown]
	v_mov_b32_e32 v130, v20
	v_mov_b32_e32 v131, v21
	;; [unrolled: 1-line block ×15, first 2 shown]
	ds_write2_b64 v136, v[130:131], v[140:141] offset0:54 offset1:55
	ds_write2_b64 v136, v[142:143], v[144:145] offset0:56 offset1:57
	;; [unrolled: 1-line block ×4, first 2 shown]
.LBB122_707:
	s_or_b32 exec_lo, exec_lo, s0
	s_mov_b32 s0, exec_lo
	s_waitcnt lgkmcnt(0)
	s_waitcnt_vscnt null, 0x0
	s_barrier
	buffer_gl0_inv
	v_cmpx_lt_i32_e32 41, v139
	s_cbranch_execz .LBB122_709
; %bb.708:
	v_mul_f64 v[44:45], v[0:1], v[44:45]
	ds_read2_b64 v[140:143], v136 offset0:42 offset1:43
	ds_read2_b64 v[144:147], v136 offset0:44 offset1:45
	;; [unrolled: 1-line block ×10, first 2 shown]
	s_waitcnt lgkmcnt(9)
	v_fma_f64 v[42:43], -v[44:45], v[140:141], v[42:43]
	v_fma_f64 v[38:39], -v[44:45], v[142:143], v[38:39]
	s_waitcnt lgkmcnt(8)
	v_fma_f64 v[40:41], -v[44:45], v[144:145], v[40:41]
	v_fma_f64 v[34:35], -v[44:45], v[146:147], v[34:35]
	;; [unrolled: 3-line block ×10, first 2 shown]
.LBB122_709:
	s_or_b32 exec_lo, exec_lo, s0
	v_lshl_add_u32 v0, v139, 3, v136
	s_barrier
	buffer_gl0_inv
	v_mov_b32_e32 v130, 42
	ds_write_b64 v0, v[42:43]
	s_waitcnt lgkmcnt(0)
	s_barrier
	buffer_gl0_inv
	ds_read_b64 v[0:1], v136 offset:336
	s_cmp_lt_i32 s7, 44
	s_cbranch_scc1 .LBB122_712
; %bb.710:
	v_add3_u32 v131, v137, 0, 0x158
	v_mov_b32_e32 v130, 42
	s_mov_b32 s0, 43
.LBB122_711:                            ; =>This Inner Loop Header: Depth=1
	ds_read_b64 v[140:141], v131
	v_add_nc_u32_e32 v131, 8, v131
	s_waitcnt lgkmcnt(0)
	v_cmp_lt_f64_e64 vcc_lo, |v[0:1]|, |v[140:141]|
	v_cndmask_b32_e32 v1, v1, v141, vcc_lo
	v_cndmask_b32_e32 v0, v0, v140, vcc_lo
	v_cndmask_b32_e64 v130, v130, s0, vcc_lo
	s_add_i32 s0, s0, 1
	s_cmp_lg_u32 s7, s0
	s_cbranch_scc1 .LBB122_711
.LBB122_712:
	s_mov_b32 s0, exec_lo
	s_waitcnt lgkmcnt(0)
	v_cmpx_eq_f64_e32 0, v[0:1]
	s_xor_b32 s0, exec_lo, s0
; %bb.713:
	v_cmp_ne_u32_e32 vcc_lo, 0, v133
	v_cndmask_b32_e32 v133, 43, v133, vcc_lo
; %bb.714:
	s_andn2_saveexec_b32 s0, s0
	s_cbranch_execz .LBB122_716
; %bb.715:
	v_div_scale_f64 v[131:132], null, v[0:1], v[0:1], 1.0
	v_rcp_f64_e32 v[140:141], v[131:132]
	v_fma_f64 v[142:143], -v[131:132], v[140:141], 1.0
	v_fma_f64 v[140:141], v[140:141], v[142:143], v[140:141]
	v_fma_f64 v[142:143], -v[131:132], v[140:141], 1.0
	v_fma_f64 v[140:141], v[140:141], v[142:143], v[140:141]
	v_div_scale_f64 v[142:143], vcc_lo, 1.0, v[0:1], 1.0
	v_mul_f64 v[144:145], v[142:143], v[140:141]
	v_fma_f64 v[131:132], -v[131:132], v[144:145], v[142:143]
	v_div_fmas_f64 v[131:132], v[131:132], v[140:141], v[144:145]
	v_div_fixup_f64 v[0:1], v[131:132], v[0:1], 1.0
.LBB122_716:
	s_or_b32 exec_lo, exec_lo, s0
	s_mov_b32 s0, exec_lo
	v_cmpx_ne_u32_e64 v139, v130
	s_xor_b32 s0, exec_lo, s0
	s_cbranch_execz .LBB122_722
; %bb.717:
	s_mov_b32 s1, exec_lo
	v_cmpx_eq_u32_e32 42, v139
	s_cbranch_execz .LBB122_721
; %bb.718:
	v_cmp_ne_u32_e32 vcc_lo, 42, v130
	s_xor_b32 s2, s6, -1
	s_and_b32 s3, s2, vcc_lo
	s_and_saveexec_b32 s2, s3
	s_cbranch_execz .LBB122_720
; %bb.719:
	v_ashrrev_i32_e32 v131, 31, v130
	v_lshlrev_b64 v[131:132], 2, v[130:131]
	v_add_co_u32 v131, vcc_lo, v4, v131
	v_add_co_ci_u32_e64 v132, null, v5, v132, vcc_lo
	s_clause 0x1
	global_load_dword v138, v[131:132], off
	global_load_dword v139, v[4:5], off offset:168
	s_waitcnt vmcnt(1)
	global_store_dword v[4:5], v138, off offset:168
	s_waitcnt vmcnt(0)
	global_store_dword v[131:132], v139, off
.LBB122_720:
	s_or_b32 exec_lo, exec_lo, s2
	v_mov_b32_e32 v138, v130
	v_mov_b32_e32 v139, v130
.LBB122_721:
	s_or_b32 exec_lo, exec_lo, s1
.LBB122_722:
	s_andn2_saveexec_b32 s0, s0
	s_cbranch_execz .LBB122_724
; %bb.723:
	v_mov_b32_e32 v139, 42
	ds_write2_b64 v136, v[38:39], v[40:41] offset0:43 offset1:44
	ds_write2_b64 v136, v[34:35], v[36:37] offset0:45 offset1:46
	;; [unrolled: 1-line block ×9, first 2 shown]
	ds_write_b64 v136, v[128:129] offset:488
.LBB122_724:
	s_or_b32 exec_lo, exec_lo, s0
	s_mov_b32 s0, exec_lo
	s_waitcnt lgkmcnt(0)
	s_waitcnt_vscnt null, 0x0
	s_barrier
	buffer_gl0_inv
	v_cmpx_lt_i32_e32 42, v139
	s_cbranch_execz .LBB122_726
; %bb.725:
	v_mul_f64 v[42:43], v[0:1], v[42:43]
	ds_read2_b64 v[140:143], v136 offset0:43 offset1:44
	ds_read2_b64 v[144:147], v136 offset0:45 offset1:46
	;; [unrolled: 1-line block ×9, first 2 shown]
	ds_read_b64 v[0:1], v136 offset:488
	s_waitcnt lgkmcnt(9)
	v_fma_f64 v[38:39], -v[42:43], v[140:141], v[38:39]
	v_fma_f64 v[40:41], -v[42:43], v[142:143], v[40:41]
	s_waitcnt lgkmcnt(8)
	v_fma_f64 v[34:35], -v[42:43], v[144:145], v[34:35]
	v_fma_f64 v[36:37], -v[42:43], v[146:147], v[36:37]
	;; [unrolled: 3-line block ×9, first 2 shown]
	s_waitcnt lgkmcnt(0)
	v_fma_f64 v[128:129], -v[42:43], v[0:1], v[128:129]
.LBB122_726:
	s_or_b32 exec_lo, exec_lo, s0
	v_lshl_add_u32 v0, v139, 3, v136
	s_barrier
	buffer_gl0_inv
	v_mov_b32_e32 v130, 43
	ds_write_b64 v0, v[38:39]
	s_waitcnt lgkmcnt(0)
	s_barrier
	buffer_gl0_inv
	ds_read_b64 v[0:1], v136 offset:344
	s_cmp_lt_i32 s7, 45
	s_cbranch_scc1 .LBB122_729
; %bb.727:
	v_add3_u32 v131, v137, 0, 0x160
	v_mov_b32_e32 v130, 43
	s_mov_b32 s0, 44
.LBB122_728:                            ; =>This Inner Loop Header: Depth=1
	ds_read_b64 v[140:141], v131
	v_add_nc_u32_e32 v131, 8, v131
	s_waitcnt lgkmcnt(0)
	v_cmp_lt_f64_e64 vcc_lo, |v[0:1]|, |v[140:141]|
	v_cndmask_b32_e32 v1, v1, v141, vcc_lo
	v_cndmask_b32_e32 v0, v0, v140, vcc_lo
	v_cndmask_b32_e64 v130, v130, s0, vcc_lo
	s_add_i32 s0, s0, 1
	s_cmp_lg_u32 s7, s0
	s_cbranch_scc1 .LBB122_728
.LBB122_729:
	s_mov_b32 s0, exec_lo
	s_waitcnt lgkmcnt(0)
	v_cmpx_eq_f64_e32 0, v[0:1]
	s_xor_b32 s0, exec_lo, s0
; %bb.730:
	v_cmp_ne_u32_e32 vcc_lo, 0, v133
	v_cndmask_b32_e32 v133, 44, v133, vcc_lo
; %bb.731:
	s_andn2_saveexec_b32 s0, s0
	s_cbranch_execz .LBB122_733
; %bb.732:
	v_div_scale_f64 v[131:132], null, v[0:1], v[0:1], 1.0
	v_rcp_f64_e32 v[140:141], v[131:132]
	v_fma_f64 v[142:143], -v[131:132], v[140:141], 1.0
	v_fma_f64 v[140:141], v[140:141], v[142:143], v[140:141]
	v_fma_f64 v[142:143], -v[131:132], v[140:141], 1.0
	v_fma_f64 v[140:141], v[140:141], v[142:143], v[140:141]
	v_div_scale_f64 v[142:143], vcc_lo, 1.0, v[0:1], 1.0
	v_mul_f64 v[144:145], v[142:143], v[140:141]
	v_fma_f64 v[131:132], -v[131:132], v[144:145], v[142:143]
	v_div_fmas_f64 v[131:132], v[131:132], v[140:141], v[144:145]
	v_div_fixup_f64 v[0:1], v[131:132], v[0:1], 1.0
.LBB122_733:
	s_or_b32 exec_lo, exec_lo, s0
	s_mov_b32 s0, exec_lo
	v_cmpx_ne_u32_e64 v139, v130
	s_xor_b32 s0, exec_lo, s0
	s_cbranch_execz .LBB122_739
; %bb.734:
	s_mov_b32 s1, exec_lo
	v_cmpx_eq_u32_e32 43, v139
	s_cbranch_execz .LBB122_738
; %bb.735:
	v_cmp_ne_u32_e32 vcc_lo, 43, v130
	s_xor_b32 s2, s6, -1
	s_and_b32 s3, s2, vcc_lo
	s_and_saveexec_b32 s2, s3
	s_cbranch_execz .LBB122_737
; %bb.736:
	v_ashrrev_i32_e32 v131, 31, v130
	v_lshlrev_b64 v[131:132], 2, v[130:131]
	v_add_co_u32 v131, vcc_lo, v4, v131
	v_add_co_ci_u32_e64 v132, null, v5, v132, vcc_lo
	s_clause 0x1
	global_load_dword v138, v[131:132], off
	global_load_dword v139, v[4:5], off offset:172
	s_waitcnt vmcnt(1)
	global_store_dword v[4:5], v138, off offset:172
	s_waitcnt vmcnt(0)
	global_store_dword v[131:132], v139, off
.LBB122_737:
	s_or_b32 exec_lo, exec_lo, s2
	v_mov_b32_e32 v138, v130
	v_mov_b32_e32 v139, v130
.LBB122_738:
	s_or_b32 exec_lo, exec_lo, s1
.LBB122_739:
	s_andn2_saveexec_b32 s0, s0
	s_cbranch_execz .LBB122_741
; %bb.740:
	v_mov_b32_e32 v130, v40
	v_mov_b32_e32 v131, v41
	;; [unrolled: 1-line block ×20, first 2 shown]
	ds_write2_b64 v136, v[130:131], v[139:140] offset0:44 offset1:45
	ds_write2_b64 v136, v[141:142], v[143:144] offset0:46 offset1:47
	;; [unrolled: 1-line block ×5, first 2 shown]
	v_mov_b32_e32 v130, v20
	v_mov_b32_e32 v131, v21
	;; [unrolled: 1-line block ×15, first 2 shown]
	ds_write2_b64 v136, v[130:131], v[140:141] offset0:54 offset1:55
	ds_write2_b64 v136, v[142:143], v[144:145] offset0:56 offset1:57
	;; [unrolled: 1-line block ×4, first 2 shown]
.LBB122_741:
	s_or_b32 exec_lo, exec_lo, s0
	s_mov_b32 s0, exec_lo
	s_waitcnt lgkmcnt(0)
	s_waitcnt_vscnt null, 0x0
	s_barrier
	buffer_gl0_inv
	v_cmpx_lt_i32_e32 43, v139
	s_cbranch_execz .LBB122_743
; %bb.742:
	v_mul_f64 v[38:39], v[0:1], v[38:39]
	ds_read2_b64 v[140:143], v136 offset0:44 offset1:45
	ds_read2_b64 v[144:147], v136 offset0:46 offset1:47
	;; [unrolled: 1-line block ×9, first 2 shown]
	s_waitcnt lgkmcnt(8)
	v_fma_f64 v[40:41], -v[38:39], v[140:141], v[40:41]
	v_fma_f64 v[34:35], -v[38:39], v[142:143], v[34:35]
	s_waitcnt lgkmcnt(7)
	v_fma_f64 v[36:37], -v[38:39], v[144:145], v[36:37]
	v_fma_f64 v[32:33], -v[38:39], v[146:147], v[32:33]
	;; [unrolled: 3-line block ×9, first 2 shown]
.LBB122_743:
	s_or_b32 exec_lo, exec_lo, s0
	v_lshl_add_u32 v0, v139, 3, v136
	s_barrier
	buffer_gl0_inv
	v_mov_b32_e32 v130, 44
	ds_write_b64 v0, v[40:41]
	s_waitcnt lgkmcnt(0)
	s_barrier
	buffer_gl0_inv
	ds_read_b64 v[0:1], v136 offset:352
	s_cmp_lt_i32 s7, 46
	s_cbranch_scc1 .LBB122_746
; %bb.744:
	v_add3_u32 v131, v137, 0, 0x168
	v_mov_b32_e32 v130, 44
	s_mov_b32 s0, 45
.LBB122_745:                            ; =>This Inner Loop Header: Depth=1
	ds_read_b64 v[140:141], v131
	v_add_nc_u32_e32 v131, 8, v131
	s_waitcnt lgkmcnt(0)
	v_cmp_lt_f64_e64 vcc_lo, |v[0:1]|, |v[140:141]|
	v_cndmask_b32_e32 v1, v1, v141, vcc_lo
	v_cndmask_b32_e32 v0, v0, v140, vcc_lo
	v_cndmask_b32_e64 v130, v130, s0, vcc_lo
	s_add_i32 s0, s0, 1
	s_cmp_lg_u32 s7, s0
	s_cbranch_scc1 .LBB122_745
.LBB122_746:
	s_mov_b32 s0, exec_lo
	s_waitcnt lgkmcnt(0)
	v_cmpx_eq_f64_e32 0, v[0:1]
	s_xor_b32 s0, exec_lo, s0
; %bb.747:
	v_cmp_ne_u32_e32 vcc_lo, 0, v133
	v_cndmask_b32_e32 v133, 45, v133, vcc_lo
; %bb.748:
	s_andn2_saveexec_b32 s0, s0
	s_cbranch_execz .LBB122_750
; %bb.749:
	v_div_scale_f64 v[131:132], null, v[0:1], v[0:1], 1.0
	v_rcp_f64_e32 v[140:141], v[131:132]
	v_fma_f64 v[142:143], -v[131:132], v[140:141], 1.0
	v_fma_f64 v[140:141], v[140:141], v[142:143], v[140:141]
	v_fma_f64 v[142:143], -v[131:132], v[140:141], 1.0
	v_fma_f64 v[140:141], v[140:141], v[142:143], v[140:141]
	v_div_scale_f64 v[142:143], vcc_lo, 1.0, v[0:1], 1.0
	v_mul_f64 v[144:145], v[142:143], v[140:141]
	v_fma_f64 v[131:132], -v[131:132], v[144:145], v[142:143]
	v_div_fmas_f64 v[131:132], v[131:132], v[140:141], v[144:145]
	v_div_fixup_f64 v[0:1], v[131:132], v[0:1], 1.0
.LBB122_750:
	s_or_b32 exec_lo, exec_lo, s0
	s_mov_b32 s0, exec_lo
	v_cmpx_ne_u32_e64 v139, v130
	s_xor_b32 s0, exec_lo, s0
	s_cbranch_execz .LBB122_756
; %bb.751:
	s_mov_b32 s1, exec_lo
	v_cmpx_eq_u32_e32 44, v139
	s_cbranch_execz .LBB122_755
; %bb.752:
	v_cmp_ne_u32_e32 vcc_lo, 44, v130
	s_xor_b32 s2, s6, -1
	s_and_b32 s3, s2, vcc_lo
	s_and_saveexec_b32 s2, s3
	s_cbranch_execz .LBB122_754
; %bb.753:
	v_ashrrev_i32_e32 v131, 31, v130
	v_lshlrev_b64 v[131:132], 2, v[130:131]
	v_add_co_u32 v131, vcc_lo, v4, v131
	v_add_co_ci_u32_e64 v132, null, v5, v132, vcc_lo
	s_clause 0x1
	global_load_dword v138, v[131:132], off
	global_load_dword v139, v[4:5], off offset:176
	s_waitcnt vmcnt(1)
	global_store_dword v[4:5], v138, off offset:176
	s_waitcnt vmcnt(0)
	global_store_dword v[131:132], v139, off
.LBB122_754:
	s_or_b32 exec_lo, exec_lo, s2
	v_mov_b32_e32 v138, v130
	v_mov_b32_e32 v139, v130
.LBB122_755:
	s_or_b32 exec_lo, exec_lo, s1
.LBB122_756:
	s_andn2_saveexec_b32 s0, s0
	s_cbranch_execz .LBB122_758
; %bb.757:
	v_mov_b32_e32 v139, 44
	ds_write2_b64 v136, v[34:35], v[36:37] offset0:45 offset1:46
	ds_write2_b64 v136, v[32:33], v[30:31] offset0:47 offset1:48
	;; [unrolled: 1-line block ×8, first 2 shown]
	ds_write_b64 v136, v[128:129] offset:488
.LBB122_758:
	s_or_b32 exec_lo, exec_lo, s0
	s_mov_b32 s0, exec_lo
	s_waitcnt lgkmcnt(0)
	s_waitcnt_vscnt null, 0x0
	s_barrier
	buffer_gl0_inv
	v_cmpx_lt_i32_e32 44, v139
	s_cbranch_execz .LBB122_760
; %bb.759:
	v_mul_f64 v[40:41], v[0:1], v[40:41]
	ds_read2_b64 v[140:143], v136 offset0:45 offset1:46
	ds_read2_b64 v[144:147], v136 offset0:47 offset1:48
	;; [unrolled: 1-line block ×8, first 2 shown]
	ds_read_b64 v[0:1], v136 offset:488
	s_waitcnt lgkmcnt(8)
	v_fma_f64 v[34:35], -v[40:41], v[140:141], v[34:35]
	v_fma_f64 v[36:37], -v[40:41], v[142:143], v[36:37]
	s_waitcnt lgkmcnt(7)
	v_fma_f64 v[32:33], -v[40:41], v[144:145], v[32:33]
	v_fma_f64 v[30:31], -v[40:41], v[146:147], v[30:31]
	;; [unrolled: 3-line block ×8, first 2 shown]
	s_waitcnt lgkmcnt(0)
	v_fma_f64 v[128:129], -v[40:41], v[0:1], v[128:129]
.LBB122_760:
	s_or_b32 exec_lo, exec_lo, s0
	v_lshl_add_u32 v0, v139, 3, v136
	s_barrier
	buffer_gl0_inv
	v_mov_b32_e32 v130, 45
	ds_write_b64 v0, v[34:35]
	s_waitcnt lgkmcnt(0)
	s_barrier
	buffer_gl0_inv
	ds_read_b64 v[0:1], v136 offset:360
	s_cmp_lt_i32 s7, 47
	s_cbranch_scc1 .LBB122_763
; %bb.761:
	v_add3_u32 v131, v137, 0, 0x170
	v_mov_b32_e32 v130, 45
	s_mov_b32 s0, 46
.LBB122_762:                            ; =>This Inner Loop Header: Depth=1
	ds_read_b64 v[140:141], v131
	v_add_nc_u32_e32 v131, 8, v131
	s_waitcnt lgkmcnt(0)
	v_cmp_lt_f64_e64 vcc_lo, |v[0:1]|, |v[140:141]|
	v_cndmask_b32_e32 v1, v1, v141, vcc_lo
	v_cndmask_b32_e32 v0, v0, v140, vcc_lo
	v_cndmask_b32_e64 v130, v130, s0, vcc_lo
	s_add_i32 s0, s0, 1
	s_cmp_lg_u32 s7, s0
	s_cbranch_scc1 .LBB122_762
.LBB122_763:
	s_mov_b32 s0, exec_lo
	s_waitcnt lgkmcnt(0)
	v_cmpx_eq_f64_e32 0, v[0:1]
	s_xor_b32 s0, exec_lo, s0
; %bb.764:
	v_cmp_ne_u32_e32 vcc_lo, 0, v133
	v_cndmask_b32_e32 v133, 46, v133, vcc_lo
; %bb.765:
	s_andn2_saveexec_b32 s0, s0
	s_cbranch_execz .LBB122_767
; %bb.766:
	v_div_scale_f64 v[131:132], null, v[0:1], v[0:1], 1.0
	v_rcp_f64_e32 v[140:141], v[131:132]
	v_fma_f64 v[142:143], -v[131:132], v[140:141], 1.0
	v_fma_f64 v[140:141], v[140:141], v[142:143], v[140:141]
	v_fma_f64 v[142:143], -v[131:132], v[140:141], 1.0
	v_fma_f64 v[140:141], v[140:141], v[142:143], v[140:141]
	v_div_scale_f64 v[142:143], vcc_lo, 1.0, v[0:1], 1.0
	v_mul_f64 v[144:145], v[142:143], v[140:141]
	v_fma_f64 v[131:132], -v[131:132], v[144:145], v[142:143]
	v_div_fmas_f64 v[131:132], v[131:132], v[140:141], v[144:145]
	v_div_fixup_f64 v[0:1], v[131:132], v[0:1], 1.0
.LBB122_767:
	s_or_b32 exec_lo, exec_lo, s0
	s_mov_b32 s0, exec_lo
	v_cmpx_ne_u32_e64 v139, v130
	s_xor_b32 s0, exec_lo, s0
	s_cbranch_execz .LBB122_773
; %bb.768:
	s_mov_b32 s1, exec_lo
	v_cmpx_eq_u32_e32 45, v139
	s_cbranch_execz .LBB122_772
; %bb.769:
	v_cmp_ne_u32_e32 vcc_lo, 45, v130
	s_xor_b32 s2, s6, -1
	s_and_b32 s3, s2, vcc_lo
	s_and_saveexec_b32 s2, s3
	s_cbranch_execz .LBB122_771
; %bb.770:
	v_ashrrev_i32_e32 v131, 31, v130
	v_lshlrev_b64 v[131:132], 2, v[130:131]
	v_add_co_u32 v131, vcc_lo, v4, v131
	v_add_co_ci_u32_e64 v132, null, v5, v132, vcc_lo
	s_clause 0x1
	global_load_dword v138, v[131:132], off
	global_load_dword v139, v[4:5], off offset:180
	s_waitcnt vmcnt(1)
	global_store_dword v[4:5], v138, off offset:180
	s_waitcnt vmcnt(0)
	global_store_dword v[131:132], v139, off
.LBB122_771:
	s_or_b32 exec_lo, exec_lo, s2
	v_mov_b32_e32 v138, v130
	v_mov_b32_e32 v139, v130
.LBB122_772:
	s_or_b32 exec_lo, exec_lo, s1
.LBB122_773:
	s_andn2_saveexec_b32 s0, s0
	s_cbranch_execz .LBB122_775
; %bb.774:
	v_mov_b32_e32 v130, v36
	v_mov_b32_e32 v131, v37
	;; [unrolled: 1-line block ×16, first 2 shown]
	ds_write2_b64 v136, v[130:131], v[139:140] offset0:46 offset1:47
	ds_write2_b64 v136, v[141:142], v[143:144] offset0:48 offset1:49
	ds_write2_b64 v136, v[145:146], v[147:148] offset0:50 offset1:51
	ds_write2_b64 v136, v[149:150], v[151:152] offset0:52 offset1:53
	v_mov_b32_e32 v130, v20
	v_mov_b32_e32 v131, v21
	;; [unrolled: 1-line block ×15, first 2 shown]
	ds_write2_b64 v136, v[130:131], v[140:141] offset0:54 offset1:55
	ds_write2_b64 v136, v[142:143], v[144:145] offset0:56 offset1:57
	;; [unrolled: 1-line block ×4, first 2 shown]
.LBB122_775:
	s_or_b32 exec_lo, exec_lo, s0
	s_mov_b32 s0, exec_lo
	s_waitcnt lgkmcnt(0)
	s_waitcnt_vscnt null, 0x0
	s_barrier
	buffer_gl0_inv
	v_cmpx_lt_i32_e32 45, v139
	s_cbranch_execz .LBB122_777
; %bb.776:
	v_mul_f64 v[34:35], v[0:1], v[34:35]
	ds_read2_b64 v[140:143], v136 offset0:46 offset1:47
	ds_read2_b64 v[144:147], v136 offset0:48 offset1:49
	;; [unrolled: 1-line block ×8, first 2 shown]
	s_waitcnt lgkmcnt(7)
	v_fma_f64 v[36:37], -v[34:35], v[140:141], v[36:37]
	v_fma_f64 v[32:33], -v[34:35], v[142:143], v[32:33]
	s_waitcnt lgkmcnt(6)
	v_fma_f64 v[30:31], -v[34:35], v[144:145], v[30:31]
	v_fma_f64 v[28:29], -v[34:35], v[146:147], v[28:29]
	s_waitcnt lgkmcnt(5)
	v_fma_f64 v[26:27], -v[34:35], v[148:149], v[26:27]
	v_fma_f64 v[24:25], -v[34:35], v[150:151], v[24:25]
	s_waitcnt lgkmcnt(4)
	v_fma_f64 v[22:23], -v[34:35], v[152:153], v[22:23]
	v_fma_f64 v[18:19], -v[34:35], v[154:155], v[18:19]
	s_waitcnt lgkmcnt(3)
	v_fma_f64 v[20:21], -v[34:35], v[156:157], v[20:21]
	v_fma_f64 v[16:17], -v[34:35], v[158:159], v[16:17]
	s_waitcnt lgkmcnt(2)
	v_fma_f64 v[14:15], -v[34:35], v[160:161], v[14:15]
	v_fma_f64 v[8:9], -v[34:35], v[162:163], v[8:9]
	s_waitcnt lgkmcnt(1)
	v_fma_f64 v[12:13], -v[34:35], v[164:165], v[12:13]
	v_fma_f64 v[6:7], -v[34:35], v[166:167], v[6:7]
	s_waitcnt lgkmcnt(0)
	v_fma_f64 v[10:11], -v[34:35], v[168:169], v[10:11]
	v_fma_f64 v[128:129], -v[34:35], v[170:171], v[128:129]
.LBB122_777:
	s_or_b32 exec_lo, exec_lo, s0
	v_lshl_add_u32 v0, v139, 3, v136
	s_barrier
	buffer_gl0_inv
	v_mov_b32_e32 v130, 46
	ds_write_b64 v0, v[36:37]
	s_waitcnt lgkmcnt(0)
	s_barrier
	buffer_gl0_inv
	ds_read_b64 v[0:1], v136 offset:368
	s_cmp_lt_i32 s7, 48
	s_cbranch_scc1 .LBB122_780
; %bb.778:
	v_add3_u32 v131, v137, 0, 0x178
	v_mov_b32_e32 v130, 46
	s_mov_b32 s0, 47
.LBB122_779:                            ; =>This Inner Loop Header: Depth=1
	ds_read_b64 v[140:141], v131
	v_add_nc_u32_e32 v131, 8, v131
	s_waitcnt lgkmcnt(0)
	v_cmp_lt_f64_e64 vcc_lo, |v[0:1]|, |v[140:141]|
	v_cndmask_b32_e32 v1, v1, v141, vcc_lo
	v_cndmask_b32_e32 v0, v0, v140, vcc_lo
	v_cndmask_b32_e64 v130, v130, s0, vcc_lo
	s_add_i32 s0, s0, 1
	s_cmp_lg_u32 s7, s0
	s_cbranch_scc1 .LBB122_779
.LBB122_780:
	s_mov_b32 s0, exec_lo
	s_waitcnt lgkmcnt(0)
	v_cmpx_eq_f64_e32 0, v[0:1]
	s_xor_b32 s0, exec_lo, s0
; %bb.781:
	v_cmp_ne_u32_e32 vcc_lo, 0, v133
	v_cndmask_b32_e32 v133, 47, v133, vcc_lo
; %bb.782:
	s_andn2_saveexec_b32 s0, s0
	s_cbranch_execz .LBB122_784
; %bb.783:
	v_div_scale_f64 v[131:132], null, v[0:1], v[0:1], 1.0
	v_rcp_f64_e32 v[140:141], v[131:132]
	v_fma_f64 v[142:143], -v[131:132], v[140:141], 1.0
	v_fma_f64 v[140:141], v[140:141], v[142:143], v[140:141]
	v_fma_f64 v[142:143], -v[131:132], v[140:141], 1.0
	v_fma_f64 v[140:141], v[140:141], v[142:143], v[140:141]
	v_div_scale_f64 v[142:143], vcc_lo, 1.0, v[0:1], 1.0
	v_mul_f64 v[144:145], v[142:143], v[140:141]
	v_fma_f64 v[131:132], -v[131:132], v[144:145], v[142:143]
	v_div_fmas_f64 v[131:132], v[131:132], v[140:141], v[144:145]
	v_div_fixup_f64 v[0:1], v[131:132], v[0:1], 1.0
.LBB122_784:
	s_or_b32 exec_lo, exec_lo, s0
	s_mov_b32 s0, exec_lo
	v_cmpx_ne_u32_e64 v139, v130
	s_xor_b32 s0, exec_lo, s0
	s_cbranch_execz .LBB122_790
; %bb.785:
	s_mov_b32 s1, exec_lo
	v_cmpx_eq_u32_e32 46, v139
	s_cbranch_execz .LBB122_789
; %bb.786:
	v_cmp_ne_u32_e32 vcc_lo, 46, v130
	s_xor_b32 s2, s6, -1
	s_and_b32 s3, s2, vcc_lo
	s_and_saveexec_b32 s2, s3
	s_cbranch_execz .LBB122_788
; %bb.787:
	v_ashrrev_i32_e32 v131, 31, v130
	v_lshlrev_b64 v[131:132], 2, v[130:131]
	v_add_co_u32 v131, vcc_lo, v4, v131
	v_add_co_ci_u32_e64 v132, null, v5, v132, vcc_lo
	s_clause 0x1
	global_load_dword v138, v[131:132], off
	global_load_dword v139, v[4:5], off offset:184
	s_waitcnt vmcnt(1)
	global_store_dword v[4:5], v138, off offset:184
	s_waitcnt vmcnt(0)
	global_store_dword v[131:132], v139, off
.LBB122_788:
	s_or_b32 exec_lo, exec_lo, s2
	v_mov_b32_e32 v138, v130
	v_mov_b32_e32 v139, v130
.LBB122_789:
	s_or_b32 exec_lo, exec_lo, s1
.LBB122_790:
	s_andn2_saveexec_b32 s0, s0
	s_cbranch_execz .LBB122_792
; %bb.791:
	v_mov_b32_e32 v139, 46
	ds_write2_b64 v136, v[32:33], v[30:31] offset0:47 offset1:48
	ds_write2_b64 v136, v[28:29], v[26:27] offset0:49 offset1:50
	;; [unrolled: 1-line block ×7, first 2 shown]
	ds_write_b64 v136, v[128:129] offset:488
.LBB122_792:
	s_or_b32 exec_lo, exec_lo, s0
	s_mov_b32 s0, exec_lo
	s_waitcnt lgkmcnt(0)
	s_waitcnt_vscnt null, 0x0
	s_barrier
	buffer_gl0_inv
	v_cmpx_lt_i32_e32 46, v139
	s_cbranch_execz .LBB122_794
; %bb.793:
	v_mul_f64 v[36:37], v[0:1], v[36:37]
	ds_read2_b64 v[140:143], v136 offset0:47 offset1:48
	ds_read2_b64 v[144:147], v136 offset0:49 offset1:50
	;; [unrolled: 1-line block ×7, first 2 shown]
	ds_read_b64 v[0:1], v136 offset:488
	s_waitcnt lgkmcnt(7)
	v_fma_f64 v[32:33], -v[36:37], v[140:141], v[32:33]
	v_fma_f64 v[30:31], -v[36:37], v[142:143], v[30:31]
	s_waitcnt lgkmcnt(6)
	v_fma_f64 v[28:29], -v[36:37], v[144:145], v[28:29]
	v_fma_f64 v[26:27], -v[36:37], v[146:147], v[26:27]
	s_waitcnt lgkmcnt(5)
	v_fma_f64 v[24:25], -v[36:37], v[148:149], v[24:25]
	v_fma_f64 v[22:23], -v[36:37], v[150:151], v[22:23]
	s_waitcnt lgkmcnt(4)
	v_fma_f64 v[18:19], -v[36:37], v[152:153], v[18:19]
	v_fma_f64 v[20:21], -v[36:37], v[154:155], v[20:21]
	s_waitcnt lgkmcnt(3)
	v_fma_f64 v[16:17], -v[36:37], v[156:157], v[16:17]
	v_fma_f64 v[14:15], -v[36:37], v[158:159], v[14:15]
	s_waitcnt lgkmcnt(2)
	v_fma_f64 v[8:9], -v[36:37], v[160:161], v[8:9]
	v_fma_f64 v[12:13], -v[36:37], v[162:163], v[12:13]
	s_waitcnt lgkmcnt(1)
	v_fma_f64 v[6:7], -v[36:37], v[164:165], v[6:7]
	v_fma_f64 v[10:11], -v[36:37], v[166:167], v[10:11]
	s_waitcnt lgkmcnt(0)
	v_fma_f64 v[128:129], -v[36:37], v[0:1], v[128:129]
.LBB122_794:
	s_or_b32 exec_lo, exec_lo, s0
	v_lshl_add_u32 v0, v139, 3, v136
	s_barrier
	buffer_gl0_inv
	v_mov_b32_e32 v130, 47
	ds_write_b64 v0, v[32:33]
	s_waitcnt lgkmcnt(0)
	s_barrier
	buffer_gl0_inv
	ds_read_b64 v[0:1], v136 offset:376
	s_cmp_lt_i32 s7, 49
	s_cbranch_scc1 .LBB122_797
; %bb.795:
	v_add3_u32 v131, v137, 0, 0x180
	v_mov_b32_e32 v130, 47
	s_mov_b32 s0, 48
.LBB122_796:                            ; =>This Inner Loop Header: Depth=1
	ds_read_b64 v[140:141], v131
	v_add_nc_u32_e32 v131, 8, v131
	s_waitcnt lgkmcnt(0)
	v_cmp_lt_f64_e64 vcc_lo, |v[0:1]|, |v[140:141]|
	v_cndmask_b32_e32 v1, v1, v141, vcc_lo
	v_cndmask_b32_e32 v0, v0, v140, vcc_lo
	v_cndmask_b32_e64 v130, v130, s0, vcc_lo
	s_add_i32 s0, s0, 1
	s_cmp_lg_u32 s7, s0
	s_cbranch_scc1 .LBB122_796
.LBB122_797:
	s_mov_b32 s0, exec_lo
	s_waitcnt lgkmcnt(0)
	v_cmpx_eq_f64_e32 0, v[0:1]
	s_xor_b32 s0, exec_lo, s0
; %bb.798:
	v_cmp_ne_u32_e32 vcc_lo, 0, v133
	v_cndmask_b32_e32 v133, 48, v133, vcc_lo
; %bb.799:
	s_andn2_saveexec_b32 s0, s0
	s_cbranch_execz .LBB122_801
; %bb.800:
	v_div_scale_f64 v[131:132], null, v[0:1], v[0:1], 1.0
	v_rcp_f64_e32 v[140:141], v[131:132]
	v_fma_f64 v[142:143], -v[131:132], v[140:141], 1.0
	v_fma_f64 v[140:141], v[140:141], v[142:143], v[140:141]
	v_fma_f64 v[142:143], -v[131:132], v[140:141], 1.0
	v_fma_f64 v[140:141], v[140:141], v[142:143], v[140:141]
	v_div_scale_f64 v[142:143], vcc_lo, 1.0, v[0:1], 1.0
	v_mul_f64 v[144:145], v[142:143], v[140:141]
	v_fma_f64 v[131:132], -v[131:132], v[144:145], v[142:143]
	v_div_fmas_f64 v[131:132], v[131:132], v[140:141], v[144:145]
	v_div_fixup_f64 v[0:1], v[131:132], v[0:1], 1.0
.LBB122_801:
	s_or_b32 exec_lo, exec_lo, s0
	s_mov_b32 s0, exec_lo
	v_cmpx_ne_u32_e64 v139, v130
	s_xor_b32 s0, exec_lo, s0
	s_cbranch_execz .LBB122_807
; %bb.802:
	s_mov_b32 s1, exec_lo
	v_cmpx_eq_u32_e32 47, v139
	s_cbranch_execz .LBB122_806
; %bb.803:
	v_cmp_ne_u32_e32 vcc_lo, 47, v130
	s_xor_b32 s2, s6, -1
	s_and_b32 s3, s2, vcc_lo
	s_and_saveexec_b32 s2, s3
	s_cbranch_execz .LBB122_805
; %bb.804:
	v_ashrrev_i32_e32 v131, 31, v130
	v_lshlrev_b64 v[131:132], 2, v[130:131]
	v_add_co_u32 v131, vcc_lo, v4, v131
	v_add_co_ci_u32_e64 v132, null, v5, v132, vcc_lo
	s_clause 0x1
	global_load_dword v138, v[131:132], off
	global_load_dword v139, v[4:5], off offset:188
	s_waitcnt vmcnt(1)
	global_store_dword v[4:5], v138, off offset:188
	s_waitcnt vmcnt(0)
	global_store_dword v[131:132], v139, off
.LBB122_805:
	s_or_b32 exec_lo, exec_lo, s2
	v_mov_b32_e32 v138, v130
	v_mov_b32_e32 v139, v130
.LBB122_806:
	s_or_b32 exec_lo, exec_lo, s1
.LBB122_807:
	s_andn2_saveexec_b32 s0, s0
	s_cbranch_execz .LBB122_809
; %bb.808:
	v_mov_b32_e32 v130, v30
	v_mov_b32_e32 v131, v31
	;; [unrolled: 1-line block ×12, first 2 shown]
	ds_write2_b64 v136, v[130:131], v[139:140] offset0:48 offset1:49
	ds_write2_b64 v136, v[141:142], v[143:144] offset0:50 offset1:51
	;; [unrolled: 1-line block ×3, first 2 shown]
	v_mov_b32_e32 v130, v20
	v_mov_b32_e32 v131, v21
	;; [unrolled: 1-line block ×15, first 2 shown]
	ds_write2_b64 v136, v[130:131], v[140:141] offset0:54 offset1:55
	ds_write2_b64 v136, v[142:143], v[144:145] offset0:56 offset1:57
	;; [unrolled: 1-line block ×4, first 2 shown]
.LBB122_809:
	s_or_b32 exec_lo, exec_lo, s0
	s_mov_b32 s0, exec_lo
	s_waitcnt lgkmcnt(0)
	s_waitcnt_vscnt null, 0x0
	s_barrier
	buffer_gl0_inv
	v_cmpx_lt_i32_e32 47, v139
	s_cbranch_execz .LBB122_811
; %bb.810:
	v_mul_f64 v[32:33], v[0:1], v[32:33]
	ds_read2_b64 v[140:143], v136 offset0:48 offset1:49
	ds_read2_b64 v[144:147], v136 offset0:50 offset1:51
	;; [unrolled: 1-line block ×7, first 2 shown]
	s_waitcnt lgkmcnt(6)
	v_fma_f64 v[30:31], -v[32:33], v[140:141], v[30:31]
	v_fma_f64 v[28:29], -v[32:33], v[142:143], v[28:29]
	s_waitcnt lgkmcnt(5)
	v_fma_f64 v[26:27], -v[32:33], v[144:145], v[26:27]
	v_fma_f64 v[24:25], -v[32:33], v[146:147], v[24:25]
	;; [unrolled: 3-line block ×7, first 2 shown]
.LBB122_811:
	s_or_b32 exec_lo, exec_lo, s0
	v_lshl_add_u32 v0, v139, 3, v136
	s_barrier
	buffer_gl0_inv
	v_mov_b32_e32 v130, 48
	ds_write_b64 v0, v[30:31]
	s_waitcnt lgkmcnt(0)
	s_barrier
	buffer_gl0_inv
	ds_read_b64 v[0:1], v136 offset:384
	s_cmp_lt_i32 s7, 50
	s_cbranch_scc1 .LBB122_814
; %bb.812:
	v_add3_u32 v131, v137, 0, 0x188
	v_mov_b32_e32 v130, 48
	s_mov_b32 s0, 49
.LBB122_813:                            ; =>This Inner Loop Header: Depth=1
	ds_read_b64 v[140:141], v131
	v_add_nc_u32_e32 v131, 8, v131
	s_waitcnt lgkmcnt(0)
	v_cmp_lt_f64_e64 vcc_lo, |v[0:1]|, |v[140:141]|
	v_cndmask_b32_e32 v1, v1, v141, vcc_lo
	v_cndmask_b32_e32 v0, v0, v140, vcc_lo
	v_cndmask_b32_e64 v130, v130, s0, vcc_lo
	s_add_i32 s0, s0, 1
	s_cmp_lg_u32 s7, s0
	s_cbranch_scc1 .LBB122_813
.LBB122_814:
	s_mov_b32 s0, exec_lo
	s_waitcnt lgkmcnt(0)
	v_cmpx_eq_f64_e32 0, v[0:1]
	s_xor_b32 s0, exec_lo, s0
; %bb.815:
	v_cmp_ne_u32_e32 vcc_lo, 0, v133
	v_cndmask_b32_e32 v133, 49, v133, vcc_lo
; %bb.816:
	s_andn2_saveexec_b32 s0, s0
	s_cbranch_execz .LBB122_818
; %bb.817:
	v_div_scale_f64 v[131:132], null, v[0:1], v[0:1], 1.0
	v_rcp_f64_e32 v[140:141], v[131:132]
	v_fma_f64 v[142:143], -v[131:132], v[140:141], 1.0
	v_fma_f64 v[140:141], v[140:141], v[142:143], v[140:141]
	v_fma_f64 v[142:143], -v[131:132], v[140:141], 1.0
	v_fma_f64 v[140:141], v[140:141], v[142:143], v[140:141]
	v_div_scale_f64 v[142:143], vcc_lo, 1.0, v[0:1], 1.0
	v_mul_f64 v[144:145], v[142:143], v[140:141]
	v_fma_f64 v[131:132], -v[131:132], v[144:145], v[142:143]
	v_div_fmas_f64 v[131:132], v[131:132], v[140:141], v[144:145]
	v_div_fixup_f64 v[0:1], v[131:132], v[0:1], 1.0
.LBB122_818:
	s_or_b32 exec_lo, exec_lo, s0
	s_mov_b32 s0, exec_lo
	v_cmpx_ne_u32_e64 v139, v130
	s_xor_b32 s0, exec_lo, s0
	s_cbranch_execz .LBB122_824
; %bb.819:
	s_mov_b32 s1, exec_lo
	v_cmpx_eq_u32_e32 48, v139
	s_cbranch_execz .LBB122_823
; %bb.820:
	v_cmp_ne_u32_e32 vcc_lo, 48, v130
	s_xor_b32 s2, s6, -1
	s_and_b32 s3, s2, vcc_lo
	s_and_saveexec_b32 s2, s3
	s_cbranch_execz .LBB122_822
; %bb.821:
	v_ashrrev_i32_e32 v131, 31, v130
	v_lshlrev_b64 v[131:132], 2, v[130:131]
	v_add_co_u32 v131, vcc_lo, v4, v131
	v_add_co_ci_u32_e64 v132, null, v5, v132, vcc_lo
	s_clause 0x1
	global_load_dword v138, v[131:132], off
	global_load_dword v139, v[4:5], off offset:192
	s_waitcnt vmcnt(1)
	global_store_dword v[4:5], v138, off offset:192
	s_waitcnt vmcnt(0)
	global_store_dword v[131:132], v139, off
.LBB122_822:
	s_or_b32 exec_lo, exec_lo, s2
	v_mov_b32_e32 v138, v130
	v_mov_b32_e32 v139, v130
.LBB122_823:
	s_or_b32 exec_lo, exec_lo, s1
.LBB122_824:
	s_andn2_saveexec_b32 s0, s0
	s_cbranch_execz .LBB122_826
; %bb.825:
	v_mov_b32_e32 v139, 48
	ds_write2_b64 v136, v[28:29], v[26:27] offset0:49 offset1:50
	ds_write2_b64 v136, v[24:25], v[22:23] offset0:51 offset1:52
	;; [unrolled: 1-line block ×6, first 2 shown]
	ds_write_b64 v136, v[128:129] offset:488
.LBB122_826:
	s_or_b32 exec_lo, exec_lo, s0
	s_mov_b32 s0, exec_lo
	s_waitcnt lgkmcnt(0)
	s_waitcnt_vscnt null, 0x0
	s_barrier
	buffer_gl0_inv
	v_cmpx_lt_i32_e32 48, v139
	s_cbranch_execz .LBB122_828
; %bb.827:
	v_mul_f64 v[30:31], v[0:1], v[30:31]
	ds_read2_b64 v[140:143], v136 offset0:49 offset1:50
	ds_read2_b64 v[144:147], v136 offset0:51 offset1:52
	;; [unrolled: 1-line block ×6, first 2 shown]
	ds_read_b64 v[0:1], v136 offset:488
	s_waitcnt lgkmcnt(6)
	v_fma_f64 v[28:29], -v[30:31], v[140:141], v[28:29]
	v_fma_f64 v[26:27], -v[30:31], v[142:143], v[26:27]
	s_waitcnt lgkmcnt(5)
	v_fma_f64 v[24:25], -v[30:31], v[144:145], v[24:25]
	v_fma_f64 v[22:23], -v[30:31], v[146:147], v[22:23]
	;; [unrolled: 3-line block ×6, first 2 shown]
	s_waitcnt lgkmcnt(0)
	v_fma_f64 v[128:129], -v[30:31], v[0:1], v[128:129]
.LBB122_828:
	s_or_b32 exec_lo, exec_lo, s0
	v_lshl_add_u32 v0, v139, 3, v136
	s_barrier
	buffer_gl0_inv
	v_mov_b32_e32 v130, 49
	ds_write_b64 v0, v[28:29]
	s_waitcnt lgkmcnt(0)
	s_barrier
	buffer_gl0_inv
	ds_read_b64 v[0:1], v136 offset:392
	s_cmp_lt_i32 s7, 51
	s_cbranch_scc1 .LBB122_831
; %bb.829:
	v_add3_u32 v131, v137, 0, 0x190
	v_mov_b32_e32 v130, 49
	s_mov_b32 s0, 50
.LBB122_830:                            ; =>This Inner Loop Header: Depth=1
	ds_read_b64 v[140:141], v131
	v_add_nc_u32_e32 v131, 8, v131
	s_waitcnt lgkmcnt(0)
	v_cmp_lt_f64_e64 vcc_lo, |v[0:1]|, |v[140:141]|
	v_cndmask_b32_e32 v1, v1, v141, vcc_lo
	v_cndmask_b32_e32 v0, v0, v140, vcc_lo
	v_cndmask_b32_e64 v130, v130, s0, vcc_lo
	s_add_i32 s0, s0, 1
	s_cmp_lg_u32 s7, s0
	s_cbranch_scc1 .LBB122_830
.LBB122_831:
	s_mov_b32 s0, exec_lo
	s_waitcnt lgkmcnt(0)
	v_cmpx_eq_f64_e32 0, v[0:1]
	s_xor_b32 s0, exec_lo, s0
; %bb.832:
	v_cmp_ne_u32_e32 vcc_lo, 0, v133
	v_cndmask_b32_e32 v133, 50, v133, vcc_lo
; %bb.833:
	s_andn2_saveexec_b32 s0, s0
	s_cbranch_execz .LBB122_835
; %bb.834:
	v_div_scale_f64 v[131:132], null, v[0:1], v[0:1], 1.0
	v_rcp_f64_e32 v[140:141], v[131:132]
	v_fma_f64 v[142:143], -v[131:132], v[140:141], 1.0
	v_fma_f64 v[140:141], v[140:141], v[142:143], v[140:141]
	v_fma_f64 v[142:143], -v[131:132], v[140:141], 1.0
	v_fma_f64 v[140:141], v[140:141], v[142:143], v[140:141]
	v_div_scale_f64 v[142:143], vcc_lo, 1.0, v[0:1], 1.0
	v_mul_f64 v[144:145], v[142:143], v[140:141]
	v_fma_f64 v[131:132], -v[131:132], v[144:145], v[142:143]
	v_div_fmas_f64 v[131:132], v[131:132], v[140:141], v[144:145]
	v_div_fixup_f64 v[0:1], v[131:132], v[0:1], 1.0
.LBB122_835:
	s_or_b32 exec_lo, exec_lo, s0
	s_mov_b32 s0, exec_lo
	v_cmpx_ne_u32_e64 v139, v130
	s_xor_b32 s0, exec_lo, s0
	s_cbranch_execz .LBB122_841
; %bb.836:
	s_mov_b32 s1, exec_lo
	v_cmpx_eq_u32_e32 49, v139
	s_cbranch_execz .LBB122_840
; %bb.837:
	v_cmp_ne_u32_e32 vcc_lo, 49, v130
	s_xor_b32 s2, s6, -1
	s_and_b32 s3, s2, vcc_lo
	s_and_saveexec_b32 s2, s3
	s_cbranch_execz .LBB122_839
; %bb.838:
	v_ashrrev_i32_e32 v131, 31, v130
	v_lshlrev_b64 v[131:132], 2, v[130:131]
	v_add_co_u32 v131, vcc_lo, v4, v131
	v_add_co_ci_u32_e64 v132, null, v5, v132, vcc_lo
	s_clause 0x1
	global_load_dword v138, v[131:132], off
	global_load_dword v139, v[4:5], off offset:196
	s_waitcnt vmcnt(1)
	global_store_dword v[4:5], v138, off offset:196
	s_waitcnt vmcnt(0)
	global_store_dword v[131:132], v139, off
.LBB122_839:
	s_or_b32 exec_lo, exec_lo, s2
	v_mov_b32_e32 v138, v130
	v_mov_b32_e32 v139, v130
.LBB122_840:
	s_or_b32 exec_lo, exec_lo, s1
.LBB122_841:
	s_andn2_saveexec_b32 s0, s0
	s_cbranch_execz .LBB122_843
; %bb.842:
	v_mov_b32_e32 v130, v26
	v_mov_b32_e32 v131, v27
	;; [unrolled: 1-line block ×8, first 2 shown]
	ds_write2_b64 v136, v[130:131], v[139:140] offset0:50 offset1:51
	ds_write2_b64 v136, v[141:142], v[143:144] offset0:52 offset1:53
	v_mov_b32_e32 v130, v20
	v_mov_b32_e32 v131, v21
	;; [unrolled: 1-line block ×15, first 2 shown]
	ds_write2_b64 v136, v[130:131], v[140:141] offset0:54 offset1:55
	ds_write2_b64 v136, v[142:143], v[144:145] offset0:56 offset1:57
	;; [unrolled: 1-line block ×4, first 2 shown]
.LBB122_843:
	s_or_b32 exec_lo, exec_lo, s0
	s_mov_b32 s0, exec_lo
	s_waitcnt lgkmcnt(0)
	s_waitcnt_vscnt null, 0x0
	s_barrier
	buffer_gl0_inv
	v_cmpx_lt_i32_e32 49, v139
	s_cbranch_execz .LBB122_845
; %bb.844:
	v_mul_f64 v[28:29], v[0:1], v[28:29]
	ds_read2_b64 v[140:143], v136 offset0:50 offset1:51
	ds_read2_b64 v[144:147], v136 offset0:52 offset1:53
	;; [unrolled: 1-line block ×6, first 2 shown]
	s_waitcnt lgkmcnt(5)
	v_fma_f64 v[26:27], -v[28:29], v[140:141], v[26:27]
	v_fma_f64 v[24:25], -v[28:29], v[142:143], v[24:25]
	s_waitcnt lgkmcnt(4)
	v_fma_f64 v[22:23], -v[28:29], v[144:145], v[22:23]
	v_fma_f64 v[18:19], -v[28:29], v[146:147], v[18:19]
	;; [unrolled: 3-line block ×6, first 2 shown]
.LBB122_845:
	s_or_b32 exec_lo, exec_lo, s0
	v_lshl_add_u32 v0, v139, 3, v136
	s_barrier
	buffer_gl0_inv
	v_mov_b32_e32 v130, 50
	ds_write_b64 v0, v[26:27]
	s_waitcnt lgkmcnt(0)
	s_barrier
	buffer_gl0_inv
	ds_read_b64 v[0:1], v136 offset:400
	s_cmp_lt_i32 s7, 52
	s_cbranch_scc1 .LBB122_848
; %bb.846:
	v_add3_u32 v131, v137, 0, 0x198
	v_mov_b32_e32 v130, 50
	s_mov_b32 s0, 51
.LBB122_847:                            ; =>This Inner Loop Header: Depth=1
	ds_read_b64 v[140:141], v131
	v_add_nc_u32_e32 v131, 8, v131
	s_waitcnt lgkmcnt(0)
	v_cmp_lt_f64_e64 vcc_lo, |v[0:1]|, |v[140:141]|
	v_cndmask_b32_e32 v1, v1, v141, vcc_lo
	v_cndmask_b32_e32 v0, v0, v140, vcc_lo
	v_cndmask_b32_e64 v130, v130, s0, vcc_lo
	s_add_i32 s0, s0, 1
	s_cmp_lg_u32 s7, s0
	s_cbranch_scc1 .LBB122_847
.LBB122_848:
	s_mov_b32 s0, exec_lo
	s_waitcnt lgkmcnt(0)
	v_cmpx_eq_f64_e32 0, v[0:1]
	s_xor_b32 s0, exec_lo, s0
; %bb.849:
	v_cmp_ne_u32_e32 vcc_lo, 0, v133
	v_cndmask_b32_e32 v133, 51, v133, vcc_lo
; %bb.850:
	s_andn2_saveexec_b32 s0, s0
	s_cbranch_execz .LBB122_852
; %bb.851:
	v_div_scale_f64 v[131:132], null, v[0:1], v[0:1], 1.0
	v_rcp_f64_e32 v[140:141], v[131:132]
	v_fma_f64 v[142:143], -v[131:132], v[140:141], 1.0
	v_fma_f64 v[140:141], v[140:141], v[142:143], v[140:141]
	v_fma_f64 v[142:143], -v[131:132], v[140:141], 1.0
	v_fma_f64 v[140:141], v[140:141], v[142:143], v[140:141]
	v_div_scale_f64 v[142:143], vcc_lo, 1.0, v[0:1], 1.0
	v_mul_f64 v[144:145], v[142:143], v[140:141]
	v_fma_f64 v[131:132], -v[131:132], v[144:145], v[142:143]
	v_div_fmas_f64 v[131:132], v[131:132], v[140:141], v[144:145]
	v_div_fixup_f64 v[0:1], v[131:132], v[0:1], 1.0
.LBB122_852:
	s_or_b32 exec_lo, exec_lo, s0
	s_mov_b32 s0, exec_lo
	v_cmpx_ne_u32_e64 v139, v130
	s_xor_b32 s0, exec_lo, s0
	s_cbranch_execz .LBB122_858
; %bb.853:
	s_mov_b32 s1, exec_lo
	v_cmpx_eq_u32_e32 50, v139
	s_cbranch_execz .LBB122_857
; %bb.854:
	v_cmp_ne_u32_e32 vcc_lo, 50, v130
	s_xor_b32 s2, s6, -1
	s_and_b32 s3, s2, vcc_lo
	s_and_saveexec_b32 s2, s3
	s_cbranch_execz .LBB122_856
; %bb.855:
	v_ashrrev_i32_e32 v131, 31, v130
	v_lshlrev_b64 v[131:132], 2, v[130:131]
	v_add_co_u32 v131, vcc_lo, v4, v131
	v_add_co_ci_u32_e64 v132, null, v5, v132, vcc_lo
	s_clause 0x1
	global_load_dword v138, v[131:132], off
	global_load_dword v139, v[4:5], off offset:200
	s_waitcnt vmcnt(1)
	global_store_dword v[4:5], v138, off offset:200
	s_waitcnt vmcnt(0)
	global_store_dword v[131:132], v139, off
.LBB122_856:
	s_or_b32 exec_lo, exec_lo, s2
	v_mov_b32_e32 v138, v130
	v_mov_b32_e32 v139, v130
.LBB122_857:
	s_or_b32 exec_lo, exec_lo, s1
.LBB122_858:
	s_andn2_saveexec_b32 s0, s0
	s_cbranch_execz .LBB122_860
; %bb.859:
	v_mov_b32_e32 v139, 50
	ds_write2_b64 v136, v[24:25], v[22:23] offset0:51 offset1:52
	ds_write2_b64 v136, v[18:19], v[20:21] offset0:53 offset1:54
	;; [unrolled: 1-line block ×5, first 2 shown]
	ds_write_b64 v136, v[128:129] offset:488
.LBB122_860:
	s_or_b32 exec_lo, exec_lo, s0
	s_mov_b32 s0, exec_lo
	s_waitcnt lgkmcnt(0)
	s_waitcnt_vscnt null, 0x0
	s_barrier
	buffer_gl0_inv
	v_cmpx_lt_i32_e32 50, v139
	s_cbranch_execz .LBB122_862
; %bb.861:
	v_mul_f64 v[26:27], v[0:1], v[26:27]
	ds_read2_b64 v[140:143], v136 offset0:51 offset1:52
	ds_read2_b64 v[144:147], v136 offset0:53 offset1:54
	;; [unrolled: 1-line block ×5, first 2 shown]
	ds_read_b64 v[0:1], v136 offset:488
	s_waitcnt lgkmcnt(5)
	v_fma_f64 v[24:25], -v[26:27], v[140:141], v[24:25]
	v_fma_f64 v[22:23], -v[26:27], v[142:143], v[22:23]
	s_waitcnt lgkmcnt(4)
	v_fma_f64 v[18:19], -v[26:27], v[144:145], v[18:19]
	v_fma_f64 v[20:21], -v[26:27], v[146:147], v[20:21]
	;; [unrolled: 3-line block ×5, first 2 shown]
	s_waitcnt lgkmcnt(0)
	v_fma_f64 v[128:129], -v[26:27], v[0:1], v[128:129]
.LBB122_862:
	s_or_b32 exec_lo, exec_lo, s0
	v_lshl_add_u32 v0, v139, 3, v136
	s_barrier
	buffer_gl0_inv
	v_mov_b32_e32 v130, 51
	ds_write_b64 v0, v[24:25]
	s_waitcnt lgkmcnt(0)
	s_barrier
	buffer_gl0_inv
	ds_read_b64 v[0:1], v136 offset:408
	s_cmp_lt_i32 s7, 53
	s_cbranch_scc1 .LBB122_865
; %bb.863:
	v_add3_u32 v131, v137, 0, 0x1a0
	v_mov_b32_e32 v130, 51
	s_mov_b32 s0, 52
.LBB122_864:                            ; =>This Inner Loop Header: Depth=1
	ds_read_b64 v[140:141], v131
	v_add_nc_u32_e32 v131, 8, v131
	s_waitcnt lgkmcnt(0)
	v_cmp_lt_f64_e64 vcc_lo, |v[0:1]|, |v[140:141]|
	v_cndmask_b32_e32 v1, v1, v141, vcc_lo
	v_cndmask_b32_e32 v0, v0, v140, vcc_lo
	v_cndmask_b32_e64 v130, v130, s0, vcc_lo
	s_add_i32 s0, s0, 1
	s_cmp_lg_u32 s7, s0
	s_cbranch_scc1 .LBB122_864
.LBB122_865:
	s_mov_b32 s0, exec_lo
	s_waitcnt lgkmcnt(0)
	v_cmpx_eq_f64_e32 0, v[0:1]
	s_xor_b32 s0, exec_lo, s0
; %bb.866:
	v_cmp_ne_u32_e32 vcc_lo, 0, v133
	v_cndmask_b32_e32 v133, 52, v133, vcc_lo
; %bb.867:
	s_andn2_saveexec_b32 s0, s0
	s_cbranch_execz .LBB122_869
; %bb.868:
	v_div_scale_f64 v[131:132], null, v[0:1], v[0:1], 1.0
	v_rcp_f64_e32 v[140:141], v[131:132]
	v_fma_f64 v[142:143], -v[131:132], v[140:141], 1.0
	v_fma_f64 v[140:141], v[140:141], v[142:143], v[140:141]
	v_fma_f64 v[142:143], -v[131:132], v[140:141], 1.0
	v_fma_f64 v[140:141], v[140:141], v[142:143], v[140:141]
	v_div_scale_f64 v[142:143], vcc_lo, 1.0, v[0:1], 1.0
	v_mul_f64 v[144:145], v[142:143], v[140:141]
	v_fma_f64 v[131:132], -v[131:132], v[144:145], v[142:143]
	v_div_fmas_f64 v[131:132], v[131:132], v[140:141], v[144:145]
	v_div_fixup_f64 v[0:1], v[131:132], v[0:1], 1.0
.LBB122_869:
	s_or_b32 exec_lo, exec_lo, s0
	s_mov_b32 s0, exec_lo
	v_cmpx_ne_u32_e64 v139, v130
	s_xor_b32 s0, exec_lo, s0
	s_cbranch_execz .LBB122_875
; %bb.870:
	s_mov_b32 s1, exec_lo
	v_cmpx_eq_u32_e32 51, v139
	s_cbranch_execz .LBB122_874
; %bb.871:
	v_cmp_ne_u32_e32 vcc_lo, 51, v130
	s_xor_b32 s2, s6, -1
	s_and_b32 s3, s2, vcc_lo
	s_and_saveexec_b32 s2, s3
	s_cbranch_execz .LBB122_873
; %bb.872:
	v_ashrrev_i32_e32 v131, 31, v130
	v_lshlrev_b64 v[131:132], 2, v[130:131]
	v_add_co_u32 v131, vcc_lo, v4, v131
	v_add_co_ci_u32_e64 v132, null, v5, v132, vcc_lo
	s_clause 0x1
	global_load_dword v138, v[131:132], off
	global_load_dword v139, v[4:5], off offset:204
	s_waitcnt vmcnt(1)
	global_store_dword v[4:5], v138, off offset:204
	s_waitcnt vmcnt(0)
	global_store_dword v[131:132], v139, off
.LBB122_873:
	s_or_b32 exec_lo, exec_lo, s2
	v_mov_b32_e32 v138, v130
	v_mov_b32_e32 v139, v130
.LBB122_874:
	s_or_b32 exec_lo, exec_lo, s1
.LBB122_875:
	s_andn2_saveexec_b32 s0, s0
	s_cbranch_execz .LBB122_877
; %bb.876:
	v_mov_b32_e32 v130, v22
	v_mov_b32_e32 v131, v23
	;; [unrolled: 1-line block ×8, first 2 shown]
	ds_write2_b64 v136, v[130:131], v[139:140] offset0:52 offset1:53
	v_mov_b32_e32 v130, v16
	v_mov_b32_e32 v131, v17
	;; [unrolled: 1-line block ×11, first 2 shown]
	ds_write2_b64 v136, v[141:142], v[130:131] offset0:54 offset1:55
	ds_write2_b64 v136, v[143:144], v[145:146] offset0:56 offset1:57
	;; [unrolled: 1-line block ×4, first 2 shown]
.LBB122_877:
	s_or_b32 exec_lo, exec_lo, s0
	s_mov_b32 s0, exec_lo
	s_waitcnt lgkmcnt(0)
	s_waitcnt_vscnt null, 0x0
	s_barrier
	buffer_gl0_inv
	v_cmpx_lt_i32_e32 51, v139
	s_cbranch_execz .LBB122_879
; %bb.878:
	v_mul_f64 v[24:25], v[0:1], v[24:25]
	ds_read2_b64 v[140:143], v136 offset0:52 offset1:53
	ds_read2_b64 v[144:147], v136 offset0:54 offset1:55
	;; [unrolled: 1-line block ×5, first 2 shown]
	s_waitcnt lgkmcnt(4)
	v_fma_f64 v[22:23], -v[24:25], v[140:141], v[22:23]
	v_fma_f64 v[18:19], -v[24:25], v[142:143], v[18:19]
	s_waitcnt lgkmcnt(3)
	v_fma_f64 v[20:21], -v[24:25], v[144:145], v[20:21]
	v_fma_f64 v[16:17], -v[24:25], v[146:147], v[16:17]
	;; [unrolled: 3-line block ×5, first 2 shown]
.LBB122_879:
	s_or_b32 exec_lo, exec_lo, s0
	v_lshl_add_u32 v0, v139, 3, v136
	s_barrier
	buffer_gl0_inv
	v_mov_b32_e32 v130, 52
	ds_write_b64 v0, v[22:23]
	s_waitcnt lgkmcnt(0)
	s_barrier
	buffer_gl0_inv
	ds_read_b64 v[0:1], v136 offset:416
	s_cmp_lt_i32 s7, 54
	s_cbranch_scc1 .LBB122_882
; %bb.880:
	v_add3_u32 v131, v137, 0, 0x1a8
	v_mov_b32_e32 v130, 52
	s_mov_b32 s0, 53
.LBB122_881:                            ; =>This Inner Loop Header: Depth=1
	ds_read_b64 v[140:141], v131
	v_add_nc_u32_e32 v131, 8, v131
	s_waitcnt lgkmcnt(0)
	v_cmp_lt_f64_e64 vcc_lo, |v[0:1]|, |v[140:141]|
	v_cndmask_b32_e32 v1, v1, v141, vcc_lo
	v_cndmask_b32_e32 v0, v0, v140, vcc_lo
	v_cndmask_b32_e64 v130, v130, s0, vcc_lo
	s_add_i32 s0, s0, 1
	s_cmp_lg_u32 s7, s0
	s_cbranch_scc1 .LBB122_881
.LBB122_882:
	s_mov_b32 s0, exec_lo
	s_waitcnt lgkmcnt(0)
	v_cmpx_eq_f64_e32 0, v[0:1]
	s_xor_b32 s0, exec_lo, s0
; %bb.883:
	v_cmp_ne_u32_e32 vcc_lo, 0, v133
	v_cndmask_b32_e32 v133, 53, v133, vcc_lo
; %bb.884:
	s_andn2_saveexec_b32 s0, s0
	s_cbranch_execz .LBB122_886
; %bb.885:
	v_div_scale_f64 v[131:132], null, v[0:1], v[0:1], 1.0
	v_rcp_f64_e32 v[140:141], v[131:132]
	v_fma_f64 v[142:143], -v[131:132], v[140:141], 1.0
	v_fma_f64 v[140:141], v[140:141], v[142:143], v[140:141]
	v_fma_f64 v[142:143], -v[131:132], v[140:141], 1.0
	v_fma_f64 v[140:141], v[140:141], v[142:143], v[140:141]
	v_div_scale_f64 v[142:143], vcc_lo, 1.0, v[0:1], 1.0
	v_mul_f64 v[144:145], v[142:143], v[140:141]
	v_fma_f64 v[131:132], -v[131:132], v[144:145], v[142:143]
	v_div_fmas_f64 v[131:132], v[131:132], v[140:141], v[144:145]
	v_div_fixup_f64 v[0:1], v[131:132], v[0:1], 1.0
.LBB122_886:
	s_or_b32 exec_lo, exec_lo, s0
	s_mov_b32 s0, exec_lo
	v_cmpx_ne_u32_e64 v139, v130
	s_xor_b32 s0, exec_lo, s0
	s_cbranch_execz .LBB122_892
; %bb.887:
	s_mov_b32 s1, exec_lo
	v_cmpx_eq_u32_e32 52, v139
	s_cbranch_execz .LBB122_891
; %bb.888:
	v_cmp_ne_u32_e32 vcc_lo, 52, v130
	s_xor_b32 s2, s6, -1
	s_and_b32 s3, s2, vcc_lo
	s_and_saveexec_b32 s2, s3
	s_cbranch_execz .LBB122_890
; %bb.889:
	v_ashrrev_i32_e32 v131, 31, v130
	v_lshlrev_b64 v[131:132], 2, v[130:131]
	v_add_co_u32 v131, vcc_lo, v4, v131
	v_add_co_ci_u32_e64 v132, null, v5, v132, vcc_lo
	s_clause 0x1
	global_load_dword v138, v[131:132], off
	global_load_dword v139, v[4:5], off offset:208
	s_waitcnt vmcnt(1)
	global_store_dword v[4:5], v138, off offset:208
	s_waitcnt vmcnt(0)
	global_store_dword v[131:132], v139, off
.LBB122_890:
	s_or_b32 exec_lo, exec_lo, s2
	v_mov_b32_e32 v138, v130
	v_mov_b32_e32 v139, v130
.LBB122_891:
	s_or_b32 exec_lo, exec_lo, s1
.LBB122_892:
	s_andn2_saveexec_b32 s0, s0
	s_cbranch_execz .LBB122_894
; %bb.893:
	v_mov_b32_e32 v139, 52
	ds_write2_b64 v136, v[18:19], v[20:21] offset0:53 offset1:54
	ds_write2_b64 v136, v[16:17], v[14:15] offset0:55 offset1:56
	;; [unrolled: 1-line block ×4, first 2 shown]
	ds_write_b64 v136, v[128:129] offset:488
.LBB122_894:
	s_or_b32 exec_lo, exec_lo, s0
	s_mov_b32 s0, exec_lo
	s_waitcnt lgkmcnt(0)
	s_waitcnt_vscnt null, 0x0
	s_barrier
	buffer_gl0_inv
	v_cmpx_lt_i32_e32 52, v139
	s_cbranch_execz .LBB122_896
; %bb.895:
	v_mul_f64 v[22:23], v[0:1], v[22:23]
	ds_read2_b64 v[140:143], v136 offset0:53 offset1:54
	ds_read2_b64 v[144:147], v136 offset0:55 offset1:56
	;; [unrolled: 1-line block ×4, first 2 shown]
	ds_read_b64 v[0:1], v136 offset:488
	s_waitcnt lgkmcnt(4)
	v_fma_f64 v[18:19], -v[22:23], v[140:141], v[18:19]
	v_fma_f64 v[20:21], -v[22:23], v[142:143], v[20:21]
	s_waitcnt lgkmcnt(3)
	v_fma_f64 v[16:17], -v[22:23], v[144:145], v[16:17]
	v_fma_f64 v[14:15], -v[22:23], v[146:147], v[14:15]
	;; [unrolled: 3-line block ×4, first 2 shown]
	s_waitcnt lgkmcnt(0)
	v_fma_f64 v[128:129], -v[22:23], v[0:1], v[128:129]
.LBB122_896:
	s_or_b32 exec_lo, exec_lo, s0
	v_lshl_add_u32 v0, v139, 3, v136
	s_barrier
	buffer_gl0_inv
	v_mov_b32_e32 v130, 53
	ds_write_b64 v0, v[18:19]
	s_waitcnt lgkmcnt(0)
	s_barrier
	buffer_gl0_inv
	ds_read_b64 v[0:1], v136 offset:424
	s_cmp_lt_i32 s7, 55
	s_cbranch_scc1 .LBB122_899
; %bb.897:
	v_add3_u32 v131, v137, 0, 0x1b0
	v_mov_b32_e32 v130, 53
	s_mov_b32 s0, 54
.LBB122_898:                            ; =>This Inner Loop Header: Depth=1
	ds_read_b64 v[140:141], v131
	v_add_nc_u32_e32 v131, 8, v131
	s_waitcnt lgkmcnt(0)
	v_cmp_lt_f64_e64 vcc_lo, |v[0:1]|, |v[140:141]|
	v_cndmask_b32_e32 v1, v1, v141, vcc_lo
	v_cndmask_b32_e32 v0, v0, v140, vcc_lo
	v_cndmask_b32_e64 v130, v130, s0, vcc_lo
	s_add_i32 s0, s0, 1
	s_cmp_lg_u32 s7, s0
	s_cbranch_scc1 .LBB122_898
.LBB122_899:
	s_mov_b32 s0, exec_lo
	s_waitcnt lgkmcnt(0)
	v_cmpx_eq_f64_e32 0, v[0:1]
	s_xor_b32 s0, exec_lo, s0
; %bb.900:
	v_cmp_ne_u32_e32 vcc_lo, 0, v133
	v_cndmask_b32_e32 v133, 54, v133, vcc_lo
; %bb.901:
	s_andn2_saveexec_b32 s0, s0
	s_cbranch_execz .LBB122_903
; %bb.902:
	v_div_scale_f64 v[131:132], null, v[0:1], v[0:1], 1.0
	v_rcp_f64_e32 v[140:141], v[131:132]
	v_fma_f64 v[142:143], -v[131:132], v[140:141], 1.0
	v_fma_f64 v[140:141], v[140:141], v[142:143], v[140:141]
	v_fma_f64 v[142:143], -v[131:132], v[140:141], 1.0
	v_fma_f64 v[140:141], v[140:141], v[142:143], v[140:141]
	v_div_scale_f64 v[142:143], vcc_lo, 1.0, v[0:1], 1.0
	v_mul_f64 v[144:145], v[142:143], v[140:141]
	v_fma_f64 v[131:132], -v[131:132], v[144:145], v[142:143]
	v_div_fmas_f64 v[131:132], v[131:132], v[140:141], v[144:145]
	v_div_fixup_f64 v[0:1], v[131:132], v[0:1], 1.0
.LBB122_903:
	s_or_b32 exec_lo, exec_lo, s0
	s_mov_b32 s0, exec_lo
	v_cmpx_ne_u32_e64 v139, v130
	s_xor_b32 s0, exec_lo, s0
	s_cbranch_execz .LBB122_909
; %bb.904:
	s_mov_b32 s1, exec_lo
	v_cmpx_eq_u32_e32 53, v139
	s_cbranch_execz .LBB122_908
; %bb.905:
	v_cmp_ne_u32_e32 vcc_lo, 53, v130
	s_xor_b32 s2, s6, -1
	s_and_b32 s3, s2, vcc_lo
	s_and_saveexec_b32 s2, s3
	s_cbranch_execz .LBB122_907
; %bb.906:
	v_ashrrev_i32_e32 v131, 31, v130
	v_lshlrev_b64 v[131:132], 2, v[130:131]
	v_add_co_u32 v131, vcc_lo, v4, v131
	v_add_co_ci_u32_e64 v132, null, v5, v132, vcc_lo
	s_clause 0x1
	global_load_dword v138, v[131:132], off
	global_load_dword v139, v[4:5], off offset:212
	s_waitcnt vmcnt(1)
	global_store_dword v[4:5], v138, off offset:212
	s_waitcnt vmcnt(0)
	global_store_dword v[131:132], v139, off
.LBB122_907:
	s_or_b32 exec_lo, exec_lo, s2
	v_mov_b32_e32 v138, v130
	v_mov_b32_e32 v139, v130
.LBB122_908:
	s_or_b32 exec_lo, exec_lo, s1
.LBB122_909:
	s_andn2_saveexec_b32 s0, s0
	s_cbranch_execz .LBB122_911
; %bb.910:
	v_mov_b32_e32 v130, v20
	v_mov_b32_e32 v131, v21
	;; [unrolled: 1-line block ×15, first 2 shown]
	ds_write2_b64 v136, v[130:131], v[140:141] offset0:54 offset1:55
	ds_write2_b64 v136, v[142:143], v[144:145] offset0:56 offset1:57
	;; [unrolled: 1-line block ×4, first 2 shown]
.LBB122_911:
	s_or_b32 exec_lo, exec_lo, s0
	s_mov_b32 s0, exec_lo
	s_waitcnt lgkmcnt(0)
	s_waitcnt_vscnt null, 0x0
	s_barrier
	buffer_gl0_inv
	v_cmpx_lt_i32_e32 53, v139
	s_cbranch_execz .LBB122_913
; %bb.912:
	v_mul_f64 v[18:19], v[0:1], v[18:19]
	ds_read2_b64 v[140:143], v136 offset0:54 offset1:55
	ds_read2_b64 v[144:147], v136 offset0:56 offset1:57
	;; [unrolled: 1-line block ×4, first 2 shown]
	s_waitcnt lgkmcnt(3)
	v_fma_f64 v[20:21], -v[18:19], v[140:141], v[20:21]
	v_fma_f64 v[16:17], -v[18:19], v[142:143], v[16:17]
	s_waitcnt lgkmcnt(2)
	v_fma_f64 v[14:15], -v[18:19], v[144:145], v[14:15]
	v_fma_f64 v[8:9], -v[18:19], v[146:147], v[8:9]
	;; [unrolled: 3-line block ×4, first 2 shown]
.LBB122_913:
	s_or_b32 exec_lo, exec_lo, s0
	v_lshl_add_u32 v0, v139, 3, v136
	s_barrier
	buffer_gl0_inv
	v_mov_b32_e32 v130, 54
	ds_write_b64 v0, v[20:21]
	s_waitcnt lgkmcnt(0)
	s_barrier
	buffer_gl0_inv
	ds_read_b64 v[0:1], v136 offset:432
	s_cmp_lt_i32 s7, 56
	s_cbranch_scc1 .LBB122_916
; %bb.914:
	v_add3_u32 v131, v137, 0, 0x1b8
	v_mov_b32_e32 v130, 54
	s_mov_b32 s0, 55
.LBB122_915:                            ; =>This Inner Loop Header: Depth=1
	ds_read_b64 v[140:141], v131
	v_add_nc_u32_e32 v131, 8, v131
	s_waitcnt lgkmcnt(0)
	v_cmp_lt_f64_e64 vcc_lo, |v[0:1]|, |v[140:141]|
	v_cndmask_b32_e32 v1, v1, v141, vcc_lo
	v_cndmask_b32_e32 v0, v0, v140, vcc_lo
	v_cndmask_b32_e64 v130, v130, s0, vcc_lo
	s_add_i32 s0, s0, 1
	s_cmp_lg_u32 s7, s0
	s_cbranch_scc1 .LBB122_915
.LBB122_916:
	s_mov_b32 s0, exec_lo
	s_waitcnt lgkmcnt(0)
	v_cmpx_eq_f64_e32 0, v[0:1]
	s_xor_b32 s0, exec_lo, s0
; %bb.917:
	v_cmp_ne_u32_e32 vcc_lo, 0, v133
	v_cndmask_b32_e32 v133, 55, v133, vcc_lo
; %bb.918:
	s_andn2_saveexec_b32 s0, s0
	s_cbranch_execz .LBB122_920
; %bb.919:
	v_div_scale_f64 v[131:132], null, v[0:1], v[0:1], 1.0
	v_rcp_f64_e32 v[140:141], v[131:132]
	v_fma_f64 v[142:143], -v[131:132], v[140:141], 1.0
	v_fma_f64 v[140:141], v[140:141], v[142:143], v[140:141]
	v_fma_f64 v[142:143], -v[131:132], v[140:141], 1.0
	v_fma_f64 v[140:141], v[140:141], v[142:143], v[140:141]
	v_div_scale_f64 v[142:143], vcc_lo, 1.0, v[0:1], 1.0
	v_mul_f64 v[144:145], v[142:143], v[140:141]
	v_fma_f64 v[131:132], -v[131:132], v[144:145], v[142:143]
	v_div_fmas_f64 v[131:132], v[131:132], v[140:141], v[144:145]
	v_div_fixup_f64 v[0:1], v[131:132], v[0:1], 1.0
.LBB122_920:
	s_or_b32 exec_lo, exec_lo, s0
	s_mov_b32 s0, exec_lo
	v_cmpx_ne_u32_e64 v139, v130
	s_xor_b32 s0, exec_lo, s0
	s_cbranch_execz .LBB122_926
; %bb.921:
	s_mov_b32 s1, exec_lo
	v_cmpx_eq_u32_e32 54, v139
	s_cbranch_execz .LBB122_925
; %bb.922:
	v_cmp_ne_u32_e32 vcc_lo, 54, v130
	s_xor_b32 s2, s6, -1
	s_and_b32 s3, s2, vcc_lo
	s_and_saveexec_b32 s2, s3
	s_cbranch_execz .LBB122_924
; %bb.923:
	v_ashrrev_i32_e32 v131, 31, v130
	v_lshlrev_b64 v[131:132], 2, v[130:131]
	v_add_co_u32 v131, vcc_lo, v4, v131
	v_add_co_ci_u32_e64 v132, null, v5, v132, vcc_lo
	s_clause 0x1
	global_load_dword v138, v[131:132], off
	global_load_dword v139, v[4:5], off offset:216
	s_waitcnt vmcnt(1)
	global_store_dword v[4:5], v138, off offset:216
	s_waitcnt vmcnt(0)
	global_store_dword v[131:132], v139, off
.LBB122_924:
	s_or_b32 exec_lo, exec_lo, s2
	v_mov_b32_e32 v138, v130
	v_mov_b32_e32 v139, v130
.LBB122_925:
	s_or_b32 exec_lo, exec_lo, s1
.LBB122_926:
	s_andn2_saveexec_b32 s0, s0
	s_cbranch_execz .LBB122_928
; %bb.927:
	v_mov_b32_e32 v139, 54
	ds_write2_b64 v136, v[16:17], v[14:15] offset0:55 offset1:56
	ds_write2_b64 v136, v[8:9], v[12:13] offset0:57 offset1:58
	;; [unrolled: 1-line block ×3, first 2 shown]
	ds_write_b64 v136, v[128:129] offset:488
.LBB122_928:
	s_or_b32 exec_lo, exec_lo, s0
	s_mov_b32 s0, exec_lo
	s_waitcnt lgkmcnt(0)
	s_waitcnt_vscnt null, 0x0
	s_barrier
	buffer_gl0_inv
	v_cmpx_lt_i32_e32 54, v139
	s_cbranch_execz .LBB122_930
; %bb.929:
	v_mul_f64 v[20:21], v[0:1], v[20:21]
	ds_read2_b64 v[140:143], v136 offset0:55 offset1:56
	ds_read2_b64 v[144:147], v136 offset0:57 offset1:58
	;; [unrolled: 1-line block ×3, first 2 shown]
	ds_read_b64 v[0:1], v136 offset:488
	s_waitcnt lgkmcnt(3)
	v_fma_f64 v[16:17], -v[20:21], v[140:141], v[16:17]
	v_fma_f64 v[14:15], -v[20:21], v[142:143], v[14:15]
	s_waitcnt lgkmcnt(2)
	v_fma_f64 v[8:9], -v[20:21], v[144:145], v[8:9]
	v_fma_f64 v[12:13], -v[20:21], v[146:147], v[12:13]
	;; [unrolled: 3-line block ×3, first 2 shown]
	s_waitcnt lgkmcnt(0)
	v_fma_f64 v[128:129], -v[20:21], v[0:1], v[128:129]
.LBB122_930:
	s_or_b32 exec_lo, exec_lo, s0
	v_lshl_add_u32 v0, v139, 3, v136
	s_barrier
	buffer_gl0_inv
	v_mov_b32_e32 v130, 55
	ds_write_b64 v0, v[16:17]
	s_waitcnt lgkmcnt(0)
	s_barrier
	buffer_gl0_inv
	ds_read_b64 v[0:1], v136 offset:440
	s_cmp_lt_i32 s7, 57
	s_cbranch_scc1 .LBB122_933
; %bb.931:
	v_add3_u32 v131, v137, 0, 0x1c0
	v_mov_b32_e32 v130, 55
	s_mov_b32 s0, 56
.LBB122_932:                            ; =>This Inner Loop Header: Depth=1
	ds_read_b64 v[140:141], v131
	v_add_nc_u32_e32 v131, 8, v131
	s_waitcnt lgkmcnt(0)
	v_cmp_lt_f64_e64 vcc_lo, |v[0:1]|, |v[140:141]|
	v_cndmask_b32_e32 v1, v1, v141, vcc_lo
	v_cndmask_b32_e32 v0, v0, v140, vcc_lo
	v_cndmask_b32_e64 v130, v130, s0, vcc_lo
	s_add_i32 s0, s0, 1
	s_cmp_lg_u32 s7, s0
	s_cbranch_scc1 .LBB122_932
.LBB122_933:
	s_mov_b32 s0, exec_lo
	s_waitcnt lgkmcnt(0)
	v_cmpx_eq_f64_e32 0, v[0:1]
	s_xor_b32 s0, exec_lo, s0
; %bb.934:
	v_cmp_ne_u32_e32 vcc_lo, 0, v133
	v_cndmask_b32_e32 v133, 56, v133, vcc_lo
; %bb.935:
	s_andn2_saveexec_b32 s0, s0
	s_cbranch_execz .LBB122_937
; %bb.936:
	v_div_scale_f64 v[131:132], null, v[0:1], v[0:1], 1.0
	v_rcp_f64_e32 v[140:141], v[131:132]
	v_fma_f64 v[142:143], -v[131:132], v[140:141], 1.0
	v_fma_f64 v[140:141], v[140:141], v[142:143], v[140:141]
	v_fma_f64 v[142:143], -v[131:132], v[140:141], 1.0
	v_fma_f64 v[140:141], v[140:141], v[142:143], v[140:141]
	v_div_scale_f64 v[142:143], vcc_lo, 1.0, v[0:1], 1.0
	v_mul_f64 v[144:145], v[142:143], v[140:141]
	v_fma_f64 v[131:132], -v[131:132], v[144:145], v[142:143]
	v_div_fmas_f64 v[131:132], v[131:132], v[140:141], v[144:145]
	v_div_fixup_f64 v[0:1], v[131:132], v[0:1], 1.0
.LBB122_937:
	s_or_b32 exec_lo, exec_lo, s0
	s_mov_b32 s0, exec_lo
	v_cmpx_ne_u32_e64 v139, v130
	s_xor_b32 s0, exec_lo, s0
	s_cbranch_execz .LBB122_943
; %bb.938:
	s_mov_b32 s1, exec_lo
	v_cmpx_eq_u32_e32 55, v139
	s_cbranch_execz .LBB122_942
; %bb.939:
	v_cmp_ne_u32_e32 vcc_lo, 55, v130
	s_xor_b32 s2, s6, -1
	s_and_b32 s3, s2, vcc_lo
	s_and_saveexec_b32 s2, s3
	s_cbranch_execz .LBB122_941
; %bb.940:
	v_ashrrev_i32_e32 v131, 31, v130
	v_lshlrev_b64 v[131:132], 2, v[130:131]
	v_add_co_u32 v131, vcc_lo, v4, v131
	v_add_co_ci_u32_e64 v132, null, v5, v132, vcc_lo
	s_clause 0x1
	global_load_dword v138, v[131:132], off
	global_load_dword v139, v[4:5], off offset:220
	s_waitcnt vmcnt(1)
	global_store_dword v[4:5], v138, off offset:220
	s_waitcnt vmcnt(0)
	global_store_dword v[131:132], v139, off
.LBB122_941:
	s_or_b32 exec_lo, exec_lo, s2
	v_mov_b32_e32 v138, v130
	v_mov_b32_e32 v139, v130
.LBB122_942:
	s_or_b32 exec_lo, exec_lo, s1
.LBB122_943:
	s_andn2_saveexec_b32 s0, s0
	s_cbranch_execz .LBB122_945
; %bb.944:
	v_mov_b32_e32 v130, v14
	v_mov_b32_e32 v131, v15
	;; [unrolled: 1-line block ×11, first 2 shown]
	ds_write2_b64 v136, v[130:131], v[140:141] offset0:56 offset1:57
	ds_write2_b64 v136, v[142:143], v[144:145] offset0:58 offset1:59
	;; [unrolled: 1-line block ×3, first 2 shown]
.LBB122_945:
	s_or_b32 exec_lo, exec_lo, s0
	s_mov_b32 s0, exec_lo
	s_waitcnt lgkmcnt(0)
	s_waitcnt_vscnt null, 0x0
	s_barrier
	buffer_gl0_inv
	v_cmpx_lt_i32_e32 55, v139
	s_cbranch_execz .LBB122_947
; %bb.946:
	v_mul_f64 v[16:17], v[0:1], v[16:17]
	ds_read2_b64 v[140:143], v136 offset0:56 offset1:57
	ds_read2_b64 v[144:147], v136 offset0:58 offset1:59
	;; [unrolled: 1-line block ×3, first 2 shown]
	s_waitcnt lgkmcnt(2)
	v_fma_f64 v[14:15], -v[16:17], v[140:141], v[14:15]
	v_fma_f64 v[8:9], -v[16:17], v[142:143], v[8:9]
	s_waitcnt lgkmcnt(1)
	v_fma_f64 v[12:13], -v[16:17], v[144:145], v[12:13]
	v_fma_f64 v[6:7], -v[16:17], v[146:147], v[6:7]
	;; [unrolled: 3-line block ×3, first 2 shown]
.LBB122_947:
	s_or_b32 exec_lo, exec_lo, s0
	v_lshl_add_u32 v0, v139, 3, v136
	s_barrier
	buffer_gl0_inv
	v_mov_b32_e32 v130, 56
	ds_write_b64 v0, v[14:15]
	s_waitcnt lgkmcnt(0)
	s_barrier
	buffer_gl0_inv
	ds_read_b64 v[0:1], v136 offset:448
	s_cmp_lt_i32 s7, 58
	s_cbranch_scc1 .LBB122_950
; %bb.948:
	v_add3_u32 v131, v137, 0, 0x1c8
	v_mov_b32_e32 v130, 56
	s_mov_b32 s0, 57
.LBB122_949:                            ; =>This Inner Loop Header: Depth=1
	ds_read_b64 v[140:141], v131
	v_add_nc_u32_e32 v131, 8, v131
	s_waitcnt lgkmcnt(0)
	v_cmp_lt_f64_e64 vcc_lo, |v[0:1]|, |v[140:141]|
	v_cndmask_b32_e32 v1, v1, v141, vcc_lo
	v_cndmask_b32_e32 v0, v0, v140, vcc_lo
	v_cndmask_b32_e64 v130, v130, s0, vcc_lo
	s_add_i32 s0, s0, 1
	s_cmp_lg_u32 s7, s0
	s_cbranch_scc1 .LBB122_949
.LBB122_950:
	s_mov_b32 s0, exec_lo
	s_waitcnt lgkmcnt(0)
	v_cmpx_eq_f64_e32 0, v[0:1]
	s_xor_b32 s0, exec_lo, s0
; %bb.951:
	v_cmp_ne_u32_e32 vcc_lo, 0, v133
	v_cndmask_b32_e32 v133, 57, v133, vcc_lo
; %bb.952:
	s_andn2_saveexec_b32 s0, s0
	s_cbranch_execz .LBB122_954
; %bb.953:
	v_div_scale_f64 v[131:132], null, v[0:1], v[0:1], 1.0
	v_rcp_f64_e32 v[140:141], v[131:132]
	v_fma_f64 v[142:143], -v[131:132], v[140:141], 1.0
	v_fma_f64 v[140:141], v[140:141], v[142:143], v[140:141]
	v_fma_f64 v[142:143], -v[131:132], v[140:141], 1.0
	v_fma_f64 v[140:141], v[140:141], v[142:143], v[140:141]
	v_div_scale_f64 v[142:143], vcc_lo, 1.0, v[0:1], 1.0
	v_mul_f64 v[144:145], v[142:143], v[140:141]
	v_fma_f64 v[131:132], -v[131:132], v[144:145], v[142:143]
	v_div_fmas_f64 v[131:132], v[131:132], v[140:141], v[144:145]
	v_div_fixup_f64 v[0:1], v[131:132], v[0:1], 1.0
.LBB122_954:
	s_or_b32 exec_lo, exec_lo, s0
	s_mov_b32 s0, exec_lo
	v_cmpx_ne_u32_e64 v139, v130
	s_xor_b32 s0, exec_lo, s0
	s_cbranch_execz .LBB122_960
; %bb.955:
	s_mov_b32 s1, exec_lo
	v_cmpx_eq_u32_e32 56, v139
	s_cbranch_execz .LBB122_959
; %bb.956:
	v_cmp_ne_u32_e32 vcc_lo, 56, v130
	s_xor_b32 s2, s6, -1
	s_and_b32 s3, s2, vcc_lo
	s_and_saveexec_b32 s2, s3
	s_cbranch_execz .LBB122_958
; %bb.957:
	v_ashrrev_i32_e32 v131, 31, v130
	v_lshlrev_b64 v[131:132], 2, v[130:131]
	v_add_co_u32 v131, vcc_lo, v4, v131
	v_add_co_ci_u32_e64 v132, null, v5, v132, vcc_lo
	s_clause 0x1
	global_load_dword v138, v[131:132], off
	global_load_dword v139, v[4:5], off offset:224
	s_waitcnt vmcnt(1)
	global_store_dword v[4:5], v138, off offset:224
	s_waitcnt vmcnt(0)
	global_store_dword v[131:132], v139, off
.LBB122_958:
	s_or_b32 exec_lo, exec_lo, s2
	v_mov_b32_e32 v138, v130
	v_mov_b32_e32 v139, v130
.LBB122_959:
	s_or_b32 exec_lo, exec_lo, s1
.LBB122_960:
	s_andn2_saveexec_b32 s0, s0
	s_cbranch_execz .LBB122_962
; %bb.961:
	v_mov_b32_e32 v139, 56
	ds_write2_b64 v136, v[8:9], v[12:13] offset0:57 offset1:58
	ds_write2_b64 v136, v[6:7], v[10:11] offset0:59 offset1:60
	ds_write_b64 v136, v[128:129] offset:488
.LBB122_962:
	s_or_b32 exec_lo, exec_lo, s0
	s_mov_b32 s0, exec_lo
	s_waitcnt lgkmcnt(0)
	s_waitcnt_vscnt null, 0x0
	s_barrier
	buffer_gl0_inv
	v_cmpx_lt_i32_e32 56, v139
	s_cbranch_execz .LBB122_964
; %bb.963:
	v_mul_f64 v[14:15], v[0:1], v[14:15]
	ds_read2_b64 v[140:143], v136 offset0:57 offset1:58
	ds_read2_b64 v[144:147], v136 offset0:59 offset1:60
	ds_read_b64 v[0:1], v136 offset:488
	s_waitcnt lgkmcnt(2)
	v_fma_f64 v[8:9], -v[14:15], v[140:141], v[8:9]
	v_fma_f64 v[12:13], -v[14:15], v[142:143], v[12:13]
	s_waitcnt lgkmcnt(1)
	v_fma_f64 v[6:7], -v[14:15], v[144:145], v[6:7]
	v_fma_f64 v[10:11], -v[14:15], v[146:147], v[10:11]
	s_waitcnt lgkmcnt(0)
	v_fma_f64 v[128:129], -v[14:15], v[0:1], v[128:129]
.LBB122_964:
	s_or_b32 exec_lo, exec_lo, s0
	v_lshl_add_u32 v0, v139, 3, v136
	s_barrier
	buffer_gl0_inv
	v_mov_b32_e32 v130, 57
	ds_write_b64 v0, v[8:9]
	s_waitcnt lgkmcnt(0)
	s_barrier
	buffer_gl0_inv
	ds_read_b64 v[0:1], v136 offset:456
	s_cmp_lt_i32 s7, 59
	s_cbranch_scc1 .LBB122_967
; %bb.965:
	v_add3_u32 v131, v137, 0, 0x1d0
	v_mov_b32_e32 v130, 57
	s_mov_b32 s0, 58
.LBB122_966:                            ; =>This Inner Loop Header: Depth=1
	ds_read_b64 v[140:141], v131
	v_add_nc_u32_e32 v131, 8, v131
	s_waitcnt lgkmcnt(0)
	v_cmp_lt_f64_e64 vcc_lo, |v[0:1]|, |v[140:141]|
	v_cndmask_b32_e32 v1, v1, v141, vcc_lo
	v_cndmask_b32_e32 v0, v0, v140, vcc_lo
	v_cndmask_b32_e64 v130, v130, s0, vcc_lo
	s_add_i32 s0, s0, 1
	s_cmp_lg_u32 s7, s0
	s_cbranch_scc1 .LBB122_966
.LBB122_967:
	s_mov_b32 s0, exec_lo
	s_waitcnt lgkmcnt(0)
	v_cmpx_eq_f64_e32 0, v[0:1]
	s_xor_b32 s0, exec_lo, s0
; %bb.968:
	v_cmp_ne_u32_e32 vcc_lo, 0, v133
	v_cndmask_b32_e32 v133, 58, v133, vcc_lo
; %bb.969:
	s_andn2_saveexec_b32 s0, s0
	s_cbranch_execz .LBB122_971
; %bb.970:
	v_div_scale_f64 v[131:132], null, v[0:1], v[0:1], 1.0
	v_rcp_f64_e32 v[140:141], v[131:132]
	v_fma_f64 v[142:143], -v[131:132], v[140:141], 1.0
	v_fma_f64 v[140:141], v[140:141], v[142:143], v[140:141]
	v_fma_f64 v[142:143], -v[131:132], v[140:141], 1.0
	v_fma_f64 v[140:141], v[140:141], v[142:143], v[140:141]
	v_div_scale_f64 v[142:143], vcc_lo, 1.0, v[0:1], 1.0
	v_mul_f64 v[144:145], v[142:143], v[140:141]
	v_fma_f64 v[131:132], -v[131:132], v[144:145], v[142:143]
	v_div_fmas_f64 v[131:132], v[131:132], v[140:141], v[144:145]
	v_div_fixup_f64 v[0:1], v[131:132], v[0:1], 1.0
.LBB122_971:
	s_or_b32 exec_lo, exec_lo, s0
	s_mov_b32 s0, exec_lo
	v_cmpx_ne_u32_e64 v139, v130
	s_xor_b32 s0, exec_lo, s0
	s_cbranch_execz .LBB122_977
; %bb.972:
	s_mov_b32 s1, exec_lo
	v_cmpx_eq_u32_e32 57, v139
	s_cbranch_execz .LBB122_976
; %bb.973:
	v_cmp_ne_u32_e32 vcc_lo, 57, v130
	s_xor_b32 s2, s6, -1
	s_and_b32 s3, s2, vcc_lo
	s_and_saveexec_b32 s2, s3
	s_cbranch_execz .LBB122_975
; %bb.974:
	v_ashrrev_i32_e32 v131, 31, v130
	v_lshlrev_b64 v[131:132], 2, v[130:131]
	v_add_co_u32 v131, vcc_lo, v4, v131
	v_add_co_ci_u32_e64 v132, null, v5, v132, vcc_lo
	s_clause 0x1
	global_load_dword v138, v[131:132], off
	global_load_dword v139, v[4:5], off offset:228
	s_waitcnt vmcnt(1)
	global_store_dword v[4:5], v138, off offset:228
	s_waitcnt vmcnt(0)
	global_store_dword v[131:132], v139, off
.LBB122_975:
	s_or_b32 exec_lo, exec_lo, s2
	v_mov_b32_e32 v138, v130
	v_mov_b32_e32 v139, v130
.LBB122_976:
	s_or_b32 exec_lo, exec_lo, s1
.LBB122_977:
	s_andn2_saveexec_b32 s0, s0
	s_cbranch_execz .LBB122_979
; %bb.978:
	v_mov_b32_e32 v130, v12
	v_mov_b32_e32 v131, v13
	;; [unrolled: 1-line block ×7, first 2 shown]
	ds_write2_b64 v136, v[130:131], v[140:141] offset0:58 offset1:59
	ds_write2_b64 v136, v[142:143], v[128:129] offset0:60 offset1:61
.LBB122_979:
	s_or_b32 exec_lo, exec_lo, s0
	s_mov_b32 s0, exec_lo
	s_waitcnt lgkmcnt(0)
	s_waitcnt_vscnt null, 0x0
	s_barrier
	buffer_gl0_inv
	v_cmpx_lt_i32_e32 57, v139
	s_cbranch_execz .LBB122_981
; %bb.980:
	v_mul_f64 v[8:9], v[0:1], v[8:9]
	ds_read2_b64 v[140:143], v136 offset0:58 offset1:59
	ds_read2_b64 v[144:147], v136 offset0:60 offset1:61
	s_waitcnt lgkmcnt(1)
	v_fma_f64 v[12:13], -v[8:9], v[140:141], v[12:13]
	v_fma_f64 v[6:7], -v[8:9], v[142:143], v[6:7]
	s_waitcnt lgkmcnt(0)
	v_fma_f64 v[10:11], -v[8:9], v[144:145], v[10:11]
	v_fma_f64 v[128:129], -v[8:9], v[146:147], v[128:129]
.LBB122_981:
	s_or_b32 exec_lo, exec_lo, s0
	v_lshl_add_u32 v0, v139, 3, v136
	s_barrier
	buffer_gl0_inv
	v_mov_b32_e32 v130, 58
	ds_write_b64 v0, v[12:13]
	s_waitcnt lgkmcnt(0)
	s_barrier
	buffer_gl0_inv
	ds_read_b64 v[0:1], v136 offset:464
	s_cmp_lt_i32 s7, 60
	s_cbranch_scc1 .LBB122_984
; %bb.982:
	v_add3_u32 v131, v137, 0, 0x1d8
	v_mov_b32_e32 v130, 58
	s_mov_b32 s0, 59
.LBB122_983:                            ; =>This Inner Loop Header: Depth=1
	ds_read_b64 v[140:141], v131
	v_add_nc_u32_e32 v131, 8, v131
	s_waitcnt lgkmcnt(0)
	v_cmp_lt_f64_e64 vcc_lo, |v[0:1]|, |v[140:141]|
	v_cndmask_b32_e32 v1, v1, v141, vcc_lo
	v_cndmask_b32_e32 v0, v0, v140, vcc_lo
	v_cndmask_b32_e64 v130, v130, s0, vcc_lo
	s_add_i32 s0, s0, 1
	s_cmp_lg_u32 s7, s0
	s_cbranch_scc1 .LBB122_983
.LBB122_984:
	s_mov_b32 s0, exec_lo
	s_waitcnt lgkmcnt(0)
	v_cmpx_eq_f64_e32 0, v[0:1]
	s_xor_b32 s0, exec_lo, s0
; %bb.985:
	v_cmp_ne_u32_e32 vcc_lo, 0, v133
	v_cndmask_b32_e32 v133, 59, v133, vcc_lo
; %bb.986:
	s_andn2_saveexec_b32 s0, s0
	s_cbranch_execz .LBB122_988
; %bb.987:
	v_div_scale_f64 v[131:132], null, v[0:1], v[0:1], 1.0
	v_rcp_f64_e32 v[140:141], v[131:132]
	v_fma_f64 v[142:143], -v[131:132], v[140:141], 1.0
	v_fma_f64 v[140:141], v[140:141], v[142:143], v[140:141]
	v_fma_f64 v[142:143], -v[131:132], v[140:141], 1.0
	v_fma_f64 v[140:141], v[140:141], v[142:143], v[140:141]
	v_div_scale_f64 v[142:143], vcc_lo, 1.0, v[0:1], 1.0
	v_mul_f64 v[144:145], v[142:143], v[140:141]
	v_fma_f64 v[131:132], -v[131:132], v[144:145], v[142:143]
	v_div_fmas_f64 v[131:132], v[131:132], v[140:141], v[144:145]
	v_div_fixup_f64 v[0:1], v[131:132], v[0:1], 1.0
.LBB122_988:
	s_or_b32 exec_lo, exec_lo, s0
	s_mov_b32 s0, exec_lo
	v_cmpx_ne_u32_e64 v139, v130
	s_xor_b32 s0, exec_lo, s0
	s_cbranch_execz .LBB122_994
; %bb.989:
	s_mov_b32 s1, exec_lo
	v_cmpx_eq_u32_e32 58, v139
	s_cbranch_execz .LBB122_993
; %bb.990:
	v_cmp_ne_u32_e32 vcc_lo, 58, v130
	s_xor_b32 s2, s6, -1
	s_and_b32 s3, s2, vcc_lo
	s_and_saveexec_b32 s2, s3
	s_cbranch_execz .LBB122_992
; %bb.991:
	v_ashrrev_i32_e32 v131, 31, v130
	v_lshlrev_b64 v[131:132], 2, v[130:131]
	v_add_co_u32 v131, vcc_lo, v4, v131
	v_add_co_ci_u32_e64 v132, null, v5, v132, vcc_lo
	s_clause 0x1
	global_load_dword v138, v[131:132], off
	global_load_dword v139, v[4:5], off offset:232
	s_waitcnt vmcnt(1)
	global_store_dword v[4:5], v138, off offset:232
	s_waitcnt vmcnt(0)
	global_store_dword v[131:132], v139, off
.LBB122_992:
	s_or_b32 exec_lo, exec_lo, s2
	v_mov_b32_e32 v138, v130
	v_mov_b32_e32 v139, v130
.LBB122_993:
	s_or_b32 exec_lo, exec_lo, s1
.LBB122_994:
	s_andn2_saveexec_b32 s0, s0
	s_cbranch_execz .LBB122_996
; %bb.995:
	v_mov_b32_e32 v139, 58
	ds_write2_b64 v136, v[6:7], v[10:11] offset0:59 offset1:60
	ds_write_b64 v136, v[128:129] offset:488
.LBB122_996:
	s_or_b32 exec_lo, exec_lo, s0
	s_mov_b32 s0, exec_lo
	s_waitcnt lgkmcnt(0)
	s_waitcnt_vscnt null, 0x0
	s_barrier
	buffer_gl0_inv
	v_cmpx_lt_i32_e32 58, v139
	s_cbranch_execz .LBB122_998
; %bb.997:
	v_mul_f64 v[12:13], v[0:1], v[12:13]
	ds_read2_b64 v[140:143], v136 offset0:59 offset1:60
	ds_read_b64 v[0:1], v136 offset:488
	s_waitcnt lgkmcnt(1)
	v_fma_f64 v[6:7], -v[12:13], v[140:141], v[6:7]
	v_fma_f64 v[10:11], -v[12:13], v[142:143], v[10:11]
	s_waitcnt lgkmcnt(0)
	v_fma_f64 v[128:129], -v[12:13], v[0:1], v[128:129]
.LBB122_998:
	s_or_b32 exec_lo, exec_lo, s0
	v_lshl_add_u32 v0, v139, 3, v136
	s_barrier
	buffer_gl0_inv
	v_mov_b32_e32 v130, 59
	ds_write_b64 v0, v[6:7]
	s_waitcnt lgkmcnt(0)
	s_barrier
	buffer_gl0_inv
	ds_read_b64 v[0:1], v136 offset:472
	s_cmp_lt_i32 s7, 61
	s_cbranch_scc1 .LBB122_1001
; %bb.999:
	v_add3_u32 v131, v137, 0, 0x1e0
	v_mov_b32_e32 v130, 59
	s_mov_b32 s0, 60
.LBB122_1000:                           ; =>This Inner Loop Header: Depth=1
	ds_read_b64 v[140:141], v131
	v_add_nc_u32_e32 v131, 8, v131
	s_waitcnt lgkmcnt(0)
	v_cmp_lt_f64_e64 vcc_lo, |v[0:1]|, |v[140:141]|
	v_cndmask_b32_e32 v1, v1, v141, vcc_lo
	v_cndmask_b32_e32 v0, v0, v140, vcc_lo
	v_cndmask_b32_e64 v130, v130, s0, vcc_lo
	s_add_i32 s0, s0, 1
	s_cmp_lg_u32 s7, s0
	s_cbranch_scc1 .LBB122_1000
.LBB122_1001:
	s_mov_b32 s0, exec_lo
	s_waitcnt lgkmcnt(0)
	v_cmpx_eq_f64_e32 0, v[0:1]
	s_xor_b32 s0, exec_lo, s0
; %bb.1002:
	v_cmp_ne_u32_e32 vcc_lo, 0, v133
	v_cndmask_b32_e32 v133, 60, v133, vcc_lo
; %bb.1003:
	s_andn2_saveexec_b32 s0, s0
	s_cbranch_execz .LBB122_1005
; %bb.1004:
	v_div_scale_f64 v[131:132], null, v[0:1], v[0:1], 1.0
	v_rcp_f64_e32 v[140:141], v[131:132]
	v_fma_f64 v[142:143], -v[131:132], v[140:141], 1.0
	v_fma_f64 v[140:141], v[140:141], v[142:143], v[140:141]
	v_fma_f64 v[142:143], -v[131:132], v[140:141], 1.0
	v_fma_f64 v[140:141], v[140:141], v[142:143], v[140:141]
	v_div_scale_f64 v[142:143], vcc_lo, 1.0, v[0:1], 1.0
	v_mul_f64 v[144:145], v[142:143], v[140:141]
	v_fma_f64 v[131:132], -v[131:132], v[144:145], v[142:143]
	v_div_fmas_f64 v[131:132], v[131:132], v[140:141], v[144:145]
	v_div_fixup_f64 v[0:1], v[131:132], v[0:1], 1.0
.LBB122_1005:
	s_or_b32 exec_lo, exec_lo, s0
	s_mov_b32 s0, exec_lo
	v_cmpx_ne_u32_e64 v139, v130
	s_xor_b32 s0, exec_lo, s0
	s_cbranch_execz .LBB122_1011
; %bb.1006:
	s_mov_b32 s1, exec_lo
	v_cmpx_eq_u32_e32 59, v139
	s_cbranch_execz .LBB122_1010
; %bb.1007:
	v_cmp_ne_u32_e32 vcc_lo, 59, v130
	s_xor_b32 s2, s6, -1
	s_and_b32 s3, s2, vcc_lo
	s_and_saveexec_b32 s2, s3
	s_cbranch_execz .LBB122_1009
; %bb.1008:
	v_ashrrev_i32_e32 v131, 31, v130
	v_lshlrev_b64 v[131:132], 2, v[130:131]
	v_add_co_u32 v131, vcc_lo, v4, v131
	v_add_co_ci_u32_e64 v132, null, v5, v132, vcc_lo
	s_clause 0x1
	global_load_dword v138, v[131:132], off
	global_load_dword v139, v[4:5], off offset:236
	s_waitcnt vmcnt(1)
	global_store_dword v[4:5], v138, off offset:236
	s_waitcnt vmcnt(0)
	global_store_dword v[131:132], v139, off
.LBB122_1009:
	s_or_b32 exec_lo, exec_lo, s2
	v_mov_b32_e32 v138, v130
	v_mov_b32_e32 v139, v130
.LBB122_1010:
	s_or_b32 exec_lo, exec_lo, s1
.LBB122_1011:
	s_andn2_saveexec_b32 s0, s0
	s_cbranch_execz .LBB122_1013
; %bb.1012:
	v_mov_b32_e32 v130, v10
	v_mov_b32_e32 v131, v11
	;; [unrolled: 1-line block ×3, first 2 shown]
	ds_write2_b64 v136, v[130:131], v[128:129] offset0:60 offset1:61
.LBB122_1013:
	s_or_b32 exec_lo, exec_lo, s0
	s_mov_b32 s0, exec_lo
	s_waitcnt lgkmcnt(0)
	s_waitcnt_vscnt null, 0x0
	s_barrier
	buffer_gl0_inv
	v_cmpx_lt_i32_e32 59, v139
	s_cbranch_execz .LBB122_1015
; %bb.1014:
	v_mul_f64 v[6:7], v[0:1], v[6:7]
	ds_read2_b64 v[140:143], v136 offset0:60 offset1:61
	s_waitcnt lgkmcnt(0)
	v_fma_f64 v[10:11], -v[6:7], v[140:141], v[10:11]
	v_fma_f64 v[128:129], -v[6:7], v[142:143], v[128:129]
.LBB122_1015:
	s_or_b32 exec_lo, exec_lo, s0
	v_lshl_add_u32 v0, v139, 3, v136
	s_barrier
	buffer_gl0_inv
	v_mov_b32_e32 v130, 60
	ds_write_b64 v0, v[10:11]
	s_waitcnt lgkmcnt(0)
	s_barrier
	buffer_gl0_inv
	ds_read_b64 v[0:1], v136 offset:480
	s_cmp_lt_i32 s7, 62
	s_cbranch_scc1 .LBB122_1018
; %bb.1016:
	v_add3_u32 v131, v137, 0, 0x1e8
	v_mov_b32_e32 v130, 60
	s_mov_b32 s0, 61
.LBB122_1017:                           ; =>This Inner Loop Header: Depth=1
	ds_read_b64 v[140:141], v131
	v_add_nc_u32_e32 v131, 8, v131
	s_waitcnt lgkmcnt(0)
	v_cmp_lt_f64_e64 vcc_lo, |v[0:1]|, |v[140:141]|
	v_cndmask_b32_e32 v1, v1, v141, vcc_lo
	v_cndmask_b32_e32 v0, v0, v140, vcc_lo
	v_cndmask_b32_e64 v130, v130, s0, vcc_lo
	s_add_i32 s0, s0, 1
	s_cmp_lg_u32 s7, s0
	s_cbranch_scc1 .LBB122_1017
.LBB122_1018:
	s_mov_b32 s0, exec_lo
	s_waitcnt lgkmcnt(0)
	v_cmpx_eq_f64_e32 0, v[0:1]
	s_xor_b32 s0, exec_lo, s0
; %bb.1019:
	v_cmp_ne_u32_e32 vcc_lo, 0, v133
	v_cndmask_b32_e32 v133, 61, v133, vcc_lo
; %bb.1020:
	s_andn2_saveexec_b32 s0, s0
	s_cbranch_execz .LBB122_1022
; %bb.1021:
	v_div_scale_f64 v[131:132], null, v[0:1], v[0:1], 1.0
	v_rcp_f64_e32 v[140:141], v[131:132]
	v_fma_f64 v[142:143], -v[131:132], v[140:141], 1.0
	v_fma_f64 v[140:141], v[140:141], v[142:143], v[140:141]
	v_fma_f64 v[142:143], -v[131:132], v[140:141], 1.0
	v_fma_f64 v[140:141], v[140:141], v[142:143], v[140:141]
	v_div_scale_f64 v[142:143], vcc_lo, 1.0, v[0:1], 1.0
	v_mul_f64 v[144:145], v[142:143], v[140:141]
	v_fma_f64 v[131:132], -v[131:132], v[144:145], v[142:143]
	v_div_fmas_f64 v[131:132], v[131:132], v[140:141], v[144:145]
	v_div_fixup_f64 v[0:1], v[131:132], v[0:1], 1.0
.LBB122_1022:
	s_or_b32 exec_lo, exec_lo, s0
	s_mov_b32 s0, exec_lo
	v_cmpx_ne_u32_e64 v139, v130
	s_xor_b32 s0, exec_lo, s0
	s_cbranch_execz .LBB122_1028
; %bb.1023:
	s_mov_b32 s1, exec_lo
	v_cmpx_eq_u32_e32 60, v139
	s_cbranch_execz .LBB122_1027
; %bb.1024:
	v_cmp_ne_u32_e32 vcc_lo, 60, v130
	s_xor_b32 s2, s6, -1
	s_and_b32 s3, s2, vcc_lo
	s_and_saveexec_b32 s2, s3
	s_cbranch_execz .LBB122_1026
; %bb.1025:
	v_ashrrev_i32_e32 v131, 31, v130
	v_lshlrev_b64 v[131:132], 2, v[130:131]
	v_add_co_u32 v131, vcc_lo, v4, v131
	v_add_co_ci_u32_e64 v132, null, v5, v132, vcc_lo
	s_clause 0x1
	global_load_dword v138, v[131:132], off
	global_load_dword v139, v[4:5], off offset:240
	s_waitcnt vmcnt(1)
	global_store_dword v[4:5], v138, off offset:240
	s_waitcnt vmcnt(0)
	global_store_dword v[131:132], v139, off
.LBB122_1026:
	s_or_b32 exec_lo, exec_lo, s2
	v_mov_b32_e32 v138, v130
	v_mov_b32_e32 v139, v130
.LBB122_1027:
	s_or_b32 exec_lo, exec_lo, s1
.LBB122_1028:
	s_andn2_saveexec_b32 s0, s0
; %bb.1029:
	v_mov_b32_e32 v139, 60
	ds_write_b64 v136, v[128:129] offset:488
; %bb.1030:
	s_or_b32 exec_lo, exec_lo, s0
	s_mov_b32 s0, exec_lo
	s_waitcnt lgkmcnt(0)
	s_waitcnt_vscnt null, 0x0
	s_barrier
	buffer_gl0_inv
	v_cmpx_lt_i32_e32 60, v139
	s_cbranch_execz .LBB122_1032
; %bb.1031:
	v_mul_f64 v[10:11], v[0:1], v[10:11]
	ds_read_b64 v[0:1], v136 offset:488
	s_waitcnt lgkmcnt(0)
	v_fma_f64 v[128:129], -v[10:11], v[0:1], v[128:129]
.LBB122_1032:
	s_or_b32 exec_lo, exec_lo, s0
	v_lshl_add_u32 v0, v139, 3, v136
	s_barrier
	buffer_gl0_inv
	v_mov_b32_e32 v130, 61
	ds_write_b64 v0, v[128:129]
	s_waitcnt lgkmcnt(0)
	s_barrier
	buffer_gl0_inv
	ds_read_b64 v[0:1], v136 offset:488
	s_cmp_lt_i32 s7, 63
	s_cbranch_scc1 .LBB122_1035
; %bb.1033:
	v_add3_u32 v131, v137, 0, 0x1f0
	v_mov_b32_e32 v130, 61
	s_mov_b32 s0, 62
.LBB122_1034:                           ; =>This Inner Loop Header: Depth=1
	ds_read_b64 v[136:137], v131
	v_add_nc_u32_e32 v131, 8, v131
	s_waitcnt lgkmcnt(0)
	v_cmp_lt_f64_e64 vcc_lo, |v[0:1]|, |v[136:137]|
	v_cndmask_b32_e32 v1, v1, v137, vcc_lo
	v_cndmask_b32_e32 v0, v0, v136, vcc_lo
	v_cndmask_b32_e64 v130, v130, s0, vcc_lo
	s_add_i32 s0, s0, 1
	s_cmp_lg_u32 s7, s0
	s_cbranch_scc1 .LBB122_1034
.LBB122_1035:
	s_mov_b32 s0, exec_lo
	s_waitcnt lgkmcnt(0)
	v_cmpx_eq_f64_e32 0, v[0:1]
	s_xor_b32 s0, exec_lo, s0
; %bb.1036:
	v_cmp_ne_u32_e32 vcc_lo, 0, v133
	v_cndmask_b32_e32 v133, 62, v133, vcc_lo
; %bb.1037:
	s_andn2_saveexec_b32 s0, s0
	s_cbranch_execz .LBB122_1039
; %bb.1038:
	v_div_scale_f64 v[131:132], null, v[0:1], v[0:1], 1.0
	v_rcp_f64_e32 v[136:137], v[131:132]
	v_fma_f64 v[140:141], -v[131:132], v[136:137], 1.0
	v_fma_f64 v[136:137], v[136:137], v[140:141], v[136:137]
	v_fma_f64 v[140:141], -v[131:132], v[136:137], 1.0
	v_fma_f64 v[136:137], v[136:137], v[140:141], v[136:137]
	v_div_scale_f64 v[140:141], vcc_lo, 1.0, v[0:1], 1.0
	v_mul_f64 v[142:143], v[140:141], v[136:137]
	v_fma_f64 v[131:132], -v[131:132], v[142:143], v[140:141]
	v_div_fmas_f64 v[131:132], v[131:132], v[136:137], v[142:143]
	v_div_fixup_f64 v[0:1], v[131:132], v[0:1], 1.0
.LBB122_1039:
	s_or_b32 exec_lo, exec_lo, s0
	v_mov_b32_e32 v131, 61
	s_mov_b32 s0, exec_lo
	v_cmpx_ne_u32_e64 v139, v130
	s_cbranch_execz .LBB122_1045
; %bb.1040:
	s_mov_b32 s1, exec_lo
	v_cmpx_eq_u32_e32 61, v139
	s_cbranch_execz .LBB122_1044
; %bb.1041:
	v_cmp_ne_u32_e32 vcc_lo, 61, v130
	s_xor_b32 s2, s6, -1
	s_and_b32 s3, s2, vcc_lo
	s_and_saveexec_b32 s2, s3
	s_cbranch_execz .LBB122_1043
; %bb.1042:
	v_ashrrev_i32_e32 v131, 31, v130
	v_lshlrev_b64 v[131:132], 2, v[130:131]
	v_add_co_u32 v131, vcc_lo, v4, v131
	v_add_co_ci_u32_e64 v132, null, v5, v132, vcc_lo
	s_clause 0x1
	global_load_dword v136, v[131:132], off
	global_load_dword v137, v[4:5], off offset:244
	s_waitcnt vmcnt(1)
	global_store_dword v[4:5], v136, off offset:244
	s_waitcnt vmcnt(0)
	global_store_dword v[131:132], v137, off
.LBB122_1043:
	s_or_b32 exec_lo, exec_lo, s2
	v_mov_b32_e32 v138, v130
	v_mov_b32_e32 v139, v130
.LBB122_1044:
	s_or_b32 exec_lo, exec_lo, s1
	v_mov_b32_e32 v131, v139
.LBB122_1045:
	s_or_b32 exec_lo, exec_lo, s0
	s_load_dwordx8 s[0:7], s[4:5], 0x28
	v_ashrrev_i32_e32 v132, 31, v131
	s_mov_b32 s9, exec_lo
	s_waitcnt lgkmcnt(0)
	s_waitcnt_vscnt null, 0x0
	s_barrier
	buffer_gl0_inv
	s_barrier
	buffer_gl0_inv
	v_cmpx_gt_i32_e32 62, v131
	s_cbranch_execz .LBB122_1047
; %bb.1046:
	v_mul_lo_u32 v130, s5, v2
	v_mul_lo_u32 v136, s4, v3
	v_mad_u64_u32 v[4:5], null, s4, v2, 0
	s_lshl_b64 s[2:3], s[2:3], 2
	v_add3_u32 v5, v5, v136, v130
	v_lshlrev_b64 v[4:5], 2, v[4:5]
	v_add_co_u32 v130, vcc_lo, s0, v4
	v_add_co_ci_u32_e64 v136, null, s1, v5, vcc_lo
	v_lshlrev_b64 v[4:5], 2, v[131:132]
	v_add_co_u32 v130, vcc_lo, v130, s2
	v_add_co_ci_u32_e64 v136, null, s3, v136, vcc_lo
	v_add_co_u32 v4, vcc_lo, v130, v4
	v_add_co_ci_u32_e64 v5, null, v136, v5, vcc_lo
	v_add3_u32 v130, v138, s13, 1
	global_store_dword v[4:5], v130, off
.LBB122_1047:
	s_or_b32 exec_lo, exec_lo, s9
	s_mov_b32 s1, exec_lo
	v_cmpx_eq_u32_e32 0, v131
	s_cbranch_execz .LBB122_1050
; %bb.1048:
	v_lshlrev_b64 v[2:3], 2, v[2:3]
	v_cmp_ne_u32_e64 s0, 0, v133
	v_add_co_u32 v2, vcc_lo, s6, v2
	v_add_co_ci_u32_e64 v3, null, s7, v3, vcc_lo
	global_load_dword v4, v[2:3], off
	s_waitcnt vmcnt(0)
	v_cmp_eq_u32_e32 vcc_lo, 0, v4
	s_and_b32 s0, vcc_lo, s0
	s_and_b32 exec_lo, exec_lo, s0
	s_cbranch_execz .LBB122_1050
; %bb.1049:
	v_add_nc_u32_e32 v4, s13, v133
	global_store_dword v[2:3], v4, off
.LBB122_1050:
	s_or_b32 exec_lo, exec_lo, s1
	v_mul_f64 v[0:1], v[0:1], v[128:129]
	v_add3_u32 v2, s8, s8, v131
	v_lshlrev_b64 v[4:5], 3, v[131:132]
	v_cmp_lt_i32_e32 vcc_lo, 61, v131
	v_add_nc_u32_e32 v130, s8, v2
	v_ashrrev_i32_e32 v3, 31, v2
	v_add_co_u32 v4, s0, v134, v4
	v_add_co_ci_u32_e64 v5, null, v135, v5, s0
	v_add_nc_u32_e32 v132, s8, v130
	v_ashrrev_i32_e32 v131, 31, v130
	v_add_co_u32 v136, s0, v4, s10
	v_add_co_ci_u32_e64 v137, null, s11, v5, s0
	v_ashrrev_i32_e32 v133, 31, v132
	v_lshlrev_b64 v[2:3], 3, v[2:3]
	flat_store_dwordx2 v[4:5], v[126:127]
	v_lshlrev_b64 v[4:5], 3, v[130:131]
	flat_store_dwordx2 v[136:137], v[124:125]
	v_lshlrev_b64 v[124:125], 3, v[132:133]
	v_cndmask_b32_e32 v1, v129, v1, vcc_lo
	v_cndmask_b32_e32 v0, v128, v0, vcc_lo
	v_add_co_u32 v2, vcc_lo, v134, v2
	v_add_nc_u32_e32 v126, s8, v132
	v_add_co_ci_u32_e64 v3, null, v135, v3, vcc_lo
	v_add_co_u32 v4, vcc_lo, v134, v4
	v_add_co_ci_u32_e64 v5, null, v135, v5, vcc_lo
	v_add_co_u32 v124, vcc_lo, v134, v124
	v_add_nc_u32_e32 v128, s8, v126
	v_add_co_ci_u32_e64 v125, null, v135, v125, vcc_lo
	v_ashrrev_i32_e32 v127, 31, v126
	flat_store_dwordx2 v[2:3], v[122:123]
	flat_store_dwordx2 v[4:5], v[118:119]
	flat_store_dwordx2 v[124:125], v[120:121]
	v_add_nc_u32_e32 v118, s8, v128
	v_ashrrev_i32_e32 v129, 31, v128
	v_lshlrev_b64 v[2:3], 3, v[126:127]
	v_add_nc_u32_e32 v120, s8, v118
	v_lshlrev_b64 v[4:5], 3, v[128:129]
	v_ashrrev_i32_e32 v119, 31, v118
	v_add_co_u32 v2, vcc_lo, v134, v2
	v_add_nc_u32_e32 v122, s8, v120
	v_add_co_ci_u32_e64 v3, null, v135, v3, vcc_lo
	v_add_co_u32 v4, vcc_lo, v134, v4
	v_ashrrev_i32_e32 v121, 31, v120
	v_add_co_ci_u32_e64 v5, null, v135, v5, vcc_lo
	v_ashrrev_i32_e32 v123, 31, v122
	v_lshlrev_b64 v[118:119], 3, v[118:119]
	flat_store_dwordx2 v[2:3], v[114:115]
	flat_store_dwordx2 v[4:5], v[116:117]
	v_lshlrev_b64 v[2:3], 3, v[120:121]
	v_add_nc_u32_e32 v116, s8, v122
	v_lshlrev_b64 v[114:115], 3, v[122:123]
	v_add_co_u32 v4, vcc_lo, v134, v118
	v_add_co_ci_u32_e64 v5, null, v135, v119, vcc_lo
	v_add_co_u32 v2, vcc_lo, v134, v2
	v_add_co_ci_u32_e64 v3, null, v135, v3, vcc_lo
	v_add_co_u32 v114, vcc_lo, v134, v114
	v_add_nc_u32_e32 v118, s8, v116
	v_add_co_ci_u32_e64 v115, null, v135, v115, vcc_lo
	v_ashrrev_i32_e32 v117, 31, v116
	flat_store_dwordx2 v[4:5], v[112:113]
	flat_store_dwordx2 v[2:3], v[110:111]
	flat_store_dwordx2 v[114:115], v[108:109]
	v_add_nc_u32_e32 v108, s8, v118
	v_ashrrev_i32_e32 v119, 31, v118
	v_lshlrev_b64 v[4:5], 3, v[116:117]
	v_add_nc_u32_e32 v110, s8, v108
	v_lshlrev_b64 v[2:3], 3, v[118:119]
	v_ashrrev_i32_e32 v109, 31, v108
	v_add_co_u32 v4, vcc_lo, v134, v4
	v_add_nc_u32_e32 v112, s8, v110
	v_add_co_ci_u32_e64 v5, null, v135, v5, vcc_lo
	v_add_co_u32 v2, vcc_lo, v134, v2
	v_ashrrev_i32_e32 v111, 31, v110
	v_add_co_ci_u32_e64 v3, null, v135, v3, vcc_lo
	v_ashrrev_i32_e32 v113, 31, v112
	v_lshlrev_b64 v[108:109], 3, v[108:109]
	flat_store_dwordx2 v[4:5], v[106:107]
	flat_store_dwordx2 v[2:3], v[104:105]
	v_lshlrev_b64 v[2:3], 3, v[110:111]
	v_add_nc_u32_e32 v106, s8, v112
	v_lshlrev_b64 v[104:105], 3, v[112:113]
	v_add_co_u32 v4, vcc_lo, v134, v108
	;; [unrolled: 30-line block ×10, first 2 shown]
	v_add_co_ci_u32_e64 v5, null, v135, v29, vcc_lo
	v_add_co_u32 v2, vcc_lo, v134, v2
	v_add_nc_u32_e32 v28, s8, v26
	v_add_co_ci_u32_e64 v3, null, v135, v3, vcc_lo
	v_add_co_u32 v24, vcc_lo, v134, v24
	v_ashrrev_i32_e32 v27, 31, v26
	v_add_co_ci_u32_e64 v25, null, v135, v25, vcc_lo
	v_ashrrev_i32_e32 v29, 31, v28
	flat_store_dwordx2 v[4:5], v[22:23]
	v_lshlrev_b64 v[4:5], 3, v[26:27]
	flat_store_dwordx2 v[2:3], v[18:19]
	flat_store_dwordx2 v[24:25], v[20:21]
	v_add_nc_u32_e32 v18, s8, v28
	v_lshlrev_b64 v[2:3], 3, v[28:29]
	v_add_co_u32 v4, vcc_lo, v134, v4
	v_add_nc_u32_e32 v20, s8, v18
	v_add_co_ci_u32_e64 v5, null, v135, v5, vcc_lo
	v_add_co_u32 v2, vcc_lo, v134, v2
	v_add_co_ci_u32_e64 v3, null, v135, v3, vcc_lo
	v_add_nc_u32_e32 v22, s8, v20
	v_ashrrev_i32_e32 v19, 31, v18
	flat_store_dwordx2 v[4:5], v[16:17]
	flat_store_dwordx2 v[2:3], v[14:15]
	v_ashrrev_i32_e32 v21, 31, v20
	v_add_nc_u32_e32 v14, s8, v22
	v_lshlrev_b64 v[4:5], 3, v[18:19]
	v_ashrrev_i32_e32 v23, 31, v22
	v_lshlrev_b64 v[2:3], 3, v[20:21]
	v_add_nc_u32_e32 v18, s8, v14
	v_ashrrev_i32_e32 v15, 31, v14
	v_lshlrev_b64 v[16:17], 3, v[22:23]
	v_add_co_u32 v4, vcc_lo, v134, v4
	v_ashrrev_i32_e32 v19, 31, v18
	v_lshlrev_b64 v[14:15], 3, v[14:15]
	v_add_co_ci_u32_e64 v5, null, v135, v5, vcc_lo
	v_add_co_u32 v2, vcc_lo, v134, v2
	v_lshlrev_b64 v[18:19], 3, v[18:19]
	v_add_co_ci_u32_e64 v3, null, v135, v3, vcc_lo
	v_add_co_u32 v16, vcc_lo, v134, v16
	v_add_co_ci_u32_e64 v17, null, v135, v17, vcc_lo
	v_add_co_u32 v14, vcc_lo, v134, v14
	;; [unrolled: 2-line block ×3, first 2 shown]
	v_add_co_ci_u32_e64 v19, null, v135, v19, vcc_lo
	flat_store_dwordx2 v[4:5], v[8:9]
	flat_store_dwordx2 v[2:3], v[12:13]
	;; [unrolled: 1-line block ×5, first 2 shown]
.LBB122_1051:
	s_endpgm
	.section	.rodata,"a",@progbits
	.p2align	6, 0x0
	.amdhsa_kernel _ZN9rocsolver6v33100L18getf2_small_kernelILi62EdiiPKPdEEvT1_T3_lS5_lPS5_llPT2_S5_S5_S7_l
		.amdhsa_group_segment_fixed_size 0
		.amdhsa_private_segment_fixed_size 0
		.amdhsa_kernarg_size 352
		.amdhsa_user_sgpr_count 6
		.amdhsa_user_sgpr_private_segment_buffer 1
		.amdhsa_user_sgpr_dispatch_ptr 0
		.amdhsa_user_sgpr_queue_ptr 0
		.amdhsa_user_sgpr_kernarg_segment_ptr 1
		.amdhsa_user_sgpr_dispatch_id 0
		.amdhsa_user_sgpr_flat_scratch_init 0
		.amdhsa_user_sgpr_private_segment_size 0
		.amdhsa_wavefront_size32 1
		.amdhsa_uses_dynamic_stack 0
		.amdhsa_system_sgpr_private_segment_wavefront_offset 0
		.amdhsa_system_sgpr_workgroup_id_x 1
		.amdhsa_system_sgpr_workgroup_id_y 1
		.amdhsa_system_sgpr_workgroup_id_z 0
		.amdhsa_system_sgpr_workgroup_info 0
		.amdhsa_system_vgpr_workitem_id 1
		.amdhsa_next_free_vgpr 256
		.amdhsa_next_free_sgpr 14
		.amdhsa_reserve_vcc 1
		.amdhsa_reserve_flat_scratch 1
		.amdhsa_float_round_mode_32 0
		.amdhsa_float_round_mode_16_64 0
		.amdhsa_float_denorm_mode_32 3
		.amdhsa_float_denorm_mode_16_64 3
		.amdhsa_dx10_clamp 1
		.amdhsa_ieee_mode 1
		.amdhsa_fp16_overflow 0
		.amdhsa_workgroup_processor_mode 1
		.amdhsa_memory_ordered 1
		.amdhsa_forward_progress 1
		.amdhsa_shared_vgpr_count 0
		.amdhsa_exception_fp_ieee_invalid_op 0
		.amdhsa_exception_fp_denorm_src 0
		.amdhsa_exception_fp_ieee_div_zero 0
		.amdhsa_exception_fp_ieee_overflow 0
		.amdhsa_exception_fp_ieee_underflow 0
		.amdhsa_exception_fp_ieee_inexact 0
		.amdhsa_exception_int_div_zero 0
	.end_amdhsa_kernel
	.section	.text._ZN9rocsolver6v33100L18getf2_small_kernelILi62EdiiPKPdEEvT1_T3_lS5_lPS5_llPT2_S5_S5_S7_l,"axG",@progbits,_ZN9rocsolver6v33100L18getf2_small_kernelILi62EdiiPKPdEEvT1_T3_lS5_lPS5_llPT2_S5_S5_S7_l,comdat
.Lfunc_end122:
	.size	_ZN9rocsolver6v33100L18getf2_small_kernelILi62EdiiPKPdEEvT1_T3_lS5_lPS5_llPT2_S5_S5_S7_l, .Lfunc_end122-_ZN9rocsolver6v33100L18getf2_small_kernelILi62EdiiPKPdEEvT1_T3_lS5_lPS5_llPT2_S5_S5_S7_l
                                        ; -- End function
	.set _ZN9rocsolver6v33100L18getf2_small_kernelILi62EdiiPKPdEEvT1_T3_lS5_lPS5_llPT2_S5_S5_S7_l.num_vgpr, 256
	.set _ZN9rocsolver6v33100L18getf2_small_kernelILi62EdiiPKPdEEvT1_T3_lS5_lPS5_llPT2_S5_S5_S7_l.num_agpr, 0
	.set _ZN9rocsolver6v33100L18getf2_small_kernelILi62EdiiPKPdEEvT1_T3_lS5_lPS5_llPT2_S5_S5_S7_l.numbered_sgpr, 14
	.set _ZN9rocsolver6v33100L18getf2_small_kernelILi62EdiiPKPdEEvT1_T3_lS5_lPS5_llPT2_S5_S5_S7_l.num_named_barrier, 0
	.set _ZN9rocsolver6v33100L18getf2_small_kernelILi62EdiiPKPdEEvT1_T3_lS5_lPS5_llPT2_S5_S5_S7_l.private_seg_size, 0
	.set _ZN9rocsolver6v33100L18getf2_small_kernelILi62EdiiPKPdEEvT1_T3_lS5_lPS5_llPT2_S5_S5_S7_l.uses_vcc, 1
	.set _ZN9rocsolver6v33100L18getf2_small_kernelILi62EdiiPKPdEEvT1_T3_lS5_lPS5_llPT2_S5_S5_S7_l.uses_flat_scratch, 1
	.set _ZN9rocsolver6v33100L18getf2_small_kernelILi62EdiiPKPdEEvT1_T3_lS5_lPS5_llPT2_S5_S5_S7_l.has_dyn_sized_stack, 0
	.set _ZN9rocsolver6v33100L18getf2_small_kernelILi62EdiiPKPdEEvT1_T3_lS5_lPS5_llPT2_S5_S5_S7_l.has_recursion, 0
	.set _ZN9rocsolver6v33100L18getf2_small_kernelILi62EdiiPKPdEEvT1_T3_lS5_lPS5_llPT2_S5_S5_S7_l.has_indirect_call, 0
	.section	.AMDGPU.csdata,"",@progbits
; Kernel info:
; codeLenInByte = 75024
; TotalNumSgprs: 16
; NumVgprs: 256
; ScratchSize: 0
; MemoryBound: 0
; FloatMode: 240
; IeeeMode: 1
; LDSByteSize: 0 bytes/workgroup (compile time only)
; SGPRBlocks: 0
; VGPRBlocks: 31
; NumSGPRsForWavesPerEU: 16
; NumVGPRsForWavesPerEU: 256
; Occupancy: 4
; WaveLimiterHint : 1
; COMPUTE_PGM_RSRC2:SCRATCH_EN: 0
; COMPUTE_PGM_RSRC2:USER_SGPR: 6
; COMPUTE_PGM_RSRC2:TRAP_HANDLER: 0
; COMPUTE_PGM_RSRC2:TGID_X_EN: 1
; COMPUTE_PGM_RSRC2:TGID_Y_EN: 1
; COMPUTE_PGM_RSRC2:TGID_Z_EN: 0
; COMPUTE_PGM_RSRC2:TIDIG_COMP_CNT: 1
	.section	.text._ZN9rocsolver6v33100L23getf2_npvt_small_kernelILi62EdiiPKPdEEvT1_T3_lS5_lPT2_S5_S5_,"axG",@progbits,_ZN9rocsolver6v33100L23getf2_npvt_small_kernelILi62EdiiPKPdEEvT1_T3_lS5_lPT2_S5_S5_,comdat
	.globl	_ZN9rocsolver6v33100L23getf2_npvt_small_kernelILi62EdiiPKPdEEvT1_T3_lS5_lPT2_S5_S5_ ; -- Begin function _ZN9rocsolver6v33100L23getf2_npvt_small_kernelILi62EdiiPKPdEEvT1_T3_lS5_lPT2_S5_S5_
	.p2align	8
	.type	_ZN9rocsolver6v33100L23getf2_npvt_small_kernelILi62EdiiPKPdEEvT1_T3_lS5_lPT2_S5_S5_,@function
_ZN9rocsolver6v33100L23getf2_npvt_small_kernelILi62EdiiPKPdEEvT1_T3_lS5_lPT2_S5_S5_: ; @_ZN9rocsolver6v33100L23getf2_npvt_small_kernelILi62EdiiPKPdEEvT1_T3_lS5_lPT2_S5_S5_
; %bb.0:
	s_mov_b64 s[14:15], s[2:3]
	s_mov_b64 s[12:13], s[0:1]
	s_add_u32 s12, s12, s8
	s_clause 0x1
	s_load_dword s0, s[4:5], 0x44
	s_load_dwordx2 s[8:9], s[4:5], 0x30
	s_addc_u32 s13, s13, 0
	s_waitcnt lgkmcnt(0)
	s_lshr_b32 s10, s0, 16
	s_mov_b32 s0, exec_lo
	v_mad_u64_u32 v[2:3], null, s7, s10, v[1:2]
	v_cmpx_gt_i32_e64 s8, v2
	s_cbranch_execz .LBB123_313
; %bb.1:
	s_clause 0x1
	s_load_dwordx4 s[0:3], s[4:5], 0x8
	s_load_dword s6, s[4:5], 0x18
	v_ashrrev_i32_e32 v3, 31, v2
	s_mulk_i32 s10, 0x1f0
	v_lshlrev_b64 v[4:5], 3, v[2:3]
	s_waitcnt lgkmcnt(0)
	v_add_co_u32 v4, vcc_lo, s0, v4
	v_add_co_ci_u32_e64 v5, null, s1, v5, vcc_lo
	v_add3_u32 v6, s6, s6, v0
	s_lshl_b64 s[0:1], s[2:3], 3
	s_ashr_i32 s7, s6, 31
	global_load_dwordx2 v[4:5], v[4:5], off
	v_add_nc_u32_e32 v8, s6, v6
	v_ashrrev_i32_e32 v7, 31, v6
	v_add_nc_u32_e32 v10, s6, v8
	v_ashrrev_i32_e32 v9, 31, v8
	v_lshlrev_b64 v[6:7], 3, v[6:7]
	v_add_nc_u32_e32 v12, s6, v10
	v_ashrrev_i32_e32 v11, 31, v10
	v_lshlrev_b64 v[8:9], 3, v[8:9]
	;; [unrolled: 3-line block ×48, first 2 shown]
	v_ashrrev_i32_e32 v105, 31, v104
	v_lshlrev_b64 v[102:103], 3, v[102:103]
	s_waitcnt vmcnt(0)
	v_add_co_u32 v124, vcc_lo, v4, s0
	v_add_co_ci_u32_e64 v125, null, s1, v5, vcc_lo
	s_lshl_b64 s[0:1], s[6:7], 3
	v_add_co_u32 v4, vcc_lo, v124, v6
	v_add_co_ci_u32_e64 v5, null, v125, v7, vcc_lo
	v_add_co_u32 v6, vcc_lo, v124, v8
	v_add_co_ci_u32_e64 v7, null, v125, v9, vcc_lo
	;; [unrolled: 2-line block ×42, first 2 shown]
	v_mov_b32_e32 v89, v13
	v_mov_b32_e32 v88, v12
	v_add_co_u32 v12, vcc_lo, v124, v90
	v_add_co_ci_u32_e64 v13, null, v125, v91, vcc_lo
	v_mov_b32_e32 v91, v15
	v_mov_b32_e32 v90, v14
	v_add_co_u32 v14, vcc_lo, v124, v92
	v_add_co_ci_u32_e64 v15, null, v125, v93, vcc_lo
	v_mov_b32_e32 v93, v17
	v_mov_b32_e32 v92, v16
	v_add_co_u32 v16, vcc_lo, v124, v94
	v_mov_b32_e32 v81, v5
	v_mov_b32_e32 v80, v4
	v_add_co_ci_u32_e64 v17, null, v125, v95, vcc_lo
	v_mov_b32_e32 v95, v19
	v_add_nc_u32_e32 v4, s6, v104
	v_mov_b32_e32 v94, v18
	v_add_co_u32 v18, vcc_lo, v124, v96
	v_add_co_ci_u32_e64 v19, null, v125, v97, vcc_lo
	v_mov_b32_e32 v97, v21
	v_mov_b32_e32 v85, v9
	;; [unrolled: 1-line block ×3, first 2 shown]
	v_add_co_u32 v20, vcc_lo, v124, v98
	v_mov_b32_e32 v84, v8
	v_add_nc_u32_e32 v8, s6, v4
	v_mov_b32_e32 v83, v7
	v_add_co_ci_u32_e64 v21, null, v125, v99, vcc_lo
	v_mov_b32_e32 v99, v23
	v_mov_b32_e32 v82, v6
	;; [unrolled: 1-line block ×3, first 2 shown]
	v_add_co_u32 v22, vcc_lo, v124, v100
	v_lshlrev_b64 v[6:7], 3, v[104:105]
	v_ashrrev_i32_e32 v5, 31, v4
	v_mov_b32_e32 v87, v11
	v_add_co_ci_u32_e64 v23, null, v125, v101, vcc_lo
	v_mov_b32_e32 v101, v25
	v_mov_b32_e32 v86, v10
	;; [unrolled: 1-line block ×3, first 2 shown]
	v_add_co_u32 v24, vcc_lo, v124, v102
	v_ashrrev_i32_e32 v9, 31, v8
	v_add_nc_u32_e32 v10, s6, v8
	v_add_co_ci_u32_e64 v25, null, v125, v103, vcc_lo
	v_mov_b32_e32 v103, v27
	v_lshlrev_b64 v[4:5], 3, v[4:5]
	v_mov_b32_e32 v102, v26
	v_add_co_u32 v26, vcc_lo, v124, v6
	v_add_co_ci_u32_e64 v27, null, v125, v7, vcc_lo
	v_lshlrev_b64 v[6:7], 3, v[8:9]
	v_ashrrev_i32_e32 v11, 31, v10
	v_add_nc_u32_e32 v8, s6, v10
	v_mov_b32_e32 v105, v29
	v_mov_b32_e32 v104, v28
	v_add_co_u32 v28, vcc_lo, v124, v4
	v_add_co_ci_u32_e64 v29, null, v125, v5, vcc_lo
	v_lshlrev_b64 v[4:5], 3, v[10:11]
	v_ashrrev_i32_e32 v9, 31, v8
	v_add_nc_u32_e32 v10, s6, v8
	v_add_co_u32 v64, vcc_lo, v124, v6
	v_add_co_ci_u32_e64 v65, null, v125, v7, vcc_lo
	v_lshlrev_b64 v[6:7], 3, v[8:9]
	v_ashrrev_i32_e32 v11, 31, v10
	v_add_nc_u32_e32 v8, s6, v10
	;; [unrolled: 5-line block ×5, first 2 shown]
	v_add_co_u32 v72, vcc_lo, v124, v6
	v_add_co_ci_u32_e64 v73, null, v125, v7, vcc_lo
	v_lshlrev_b64 v[6:7], 3, v[8:9]
	v_add_nc_u32_e32 v8, s6, v10
	v_ashrrev_i32_e32 v11, 31, v10
	v_add_co_u32 v75, vcc_lo, v124, v4
	v_add_co_ci_u32_e64 v76, null, v125, v5, vcc_lo
	v_ashrrev_i32_e32 v9, 31, v8
	v_lshlrev_b64 v[4:5], 3, v[10:11]
	v_add_co_u32 v10, vcc_lo, v124, v6
	v_add_co_ci_u32_e64 v11, null, v125, v7, vcc_lo
	v_lshlrev_b64 v[6:7], 3, v[8:9]
	v_add_co_u32 v8, vcc_lo, v124, v4
	v_lshlrev_b32_e32 v4, 3, v0
	v_add_co_ci_u32_e64 v9, null, v125, v5, vcc_lo
	v_add_co_u32 v5, vcc_lo, v124, v6
	v_add_co_ci_u32_e64 v6, null, v125, v7, vcc_lo
	v_add_co_u32 v124, vcc_lo, v124, v4
	v_add_co_ci_u32_e64 v125, null, 0, v125, vcc_lo
	v_mad_u32_u24 v74, 0x1f0, v1, 0
	v_add_co_u32 v77, vcc_lo, v124, s0
	v_add_co_ci_u32_e64 v78, null, s1, v125, vcc_lo
	flat_load_dwordx2 v[212:213], v[124:125]
	buffer_store_dword v77, off, s[12:15], 0 offset:280 ; 4-byte Folded Spill
	buffer_store_dword v78, off, s[12:15], 0 offset:284 ; 4-byte Folded Spill
	v_lshlrev_b32_e32 v1, 3, v1
	v_cmp_ne_u32_e64 s1, 0, v0
	v_cmp_eq_u32_e64 s0, 0, v0
	s_clause 0xd
	flat_load_dwordx2 v[230:231], v[77:78]
	flat_load_dwordx2 v[248:249], v[80:81]
	;; [unrolled: 1-line block ×14, first 2 shown]
	buffer_store_dword v122, off, s[12:15], 0 offset:504 ; 4-byte Folded Spill
	buffer_store_dword v123, off, s[12:15], 0 offset:508 ; 4-byte Folded Spill
	v_add3_u32 v1, 0, s10, v1
	flat_load_dwordx2 v[216:217], v[122:123]
	buffer_store_dword v106, off, s[12:15], 0 offset:512 ; 4-byte Folded Spill
	buffer_store_dword v107, off, s[12:15], 0 offset:516 ; 4-byte Folded Spill
	flat_load_dwordx2 v[234:235], v[106:107]
	buffer_store_dword v128, off, s[12:15], 0 offset:520 ; 4-byte Folded Spill
	buffer_store_dword v129, off, s[12:15], 0 offset:524 ; 4-byte Folded Spill
	s_clause 0x9
	flat_load_dwordx2 v[214:215], v[128:129]
	flat_load_dwordx2 v[232:233], v[114:115]
	;; [unrolled: 1-line block ×10, first 2 shown]
	buffer_store_dword v30, off, s[12:15], 0 ; 4-byte Folded Spill
	buffer_store_dword v31, off, s[12:15], 0 offset:4 ; 4-byte Folded Spill
	flat_load_dwordx2 v[160:161], v[30:31]
	buffer_store_dword v32, off, s[12:15], 0 offset:8 ; 4-byte Folded Spill
	buffer_store_dword v33, off, s[12:15], 0 offset:12 ; 4-byte Folded Spill
	flat_load_dwordx2 v[202:203], v[32:33]
	buffer_store_dword v34, off, s[12:15], 0 offset:16 ; 4-byte Folded Spill
	;; [unrolled: 3-line block ×34, first 2 shown]
	buffer_store_dword v6, off, s[12:15], 0 offset:276 ; 4-byte Folded Spill
	flat_load_dwordx2 v[250:251], v[5:6]
	s_and_saveexec_b32 s2, s0
	s_cbranch_execz .LBB123_4
; %bb.2:
	s_waitcnt vmcnt(61) lgkmcnt(61)
	ds_write_b64 v1, v[212:213]
	s_waitcnt vmcnt(59) lgkmcnt(60)
	ds_write2_b64 v74, v[230:231], v[248:249] offset0:1 offset1:2
	s_waitcnt vmcnt(57) lgkmcnt(59)
	ds_write2_b64 v74, v[228:229], v[246:247] offset0:3 offset1:4
	;; [unrolled: 2-line block ×30, first 2 shown]
	s_waitcnt vmcnt(0) lgkmcnt(31)
	ds_write_b64 v74, v[250:251] offset:488
	ds_read_b64 v[4:5], v1
	s_waitcnt lgkmcnt(0)
	v_cmp_neq_f64_e32 vcc_lo, 0, v[4:5]
	s_and_b32 exec_lo, exec_lo, vcc_lo
	s_cbranch_execz .LBB123_4
; %bb.3:
	v_div_scale_f64 v[6:7], null, v[4:5], v[4:5], 1.0
	v_rcp_f64_e32 v[8:9], v[6:7]
	v_fma_f64 v[10:11], -v[6:7], v[8:9], 1.0
	v_fma_f64 v[8:9], v[8:9], v[10:11], v[8:9]
	v_fma_f64 v[10:11], -v[6:7], v[8:9], 1.0
	v_fma_f64 v[8:9], v[8:9], v[10:11], v[8:9]
	v_div_scale_f64 v[10:11], vcc_lo, 1.0, v[4:5], 1.0
	v_mul_f64 v[12:13], v[10:11], v[8:9]
	v_fma_f64 v[6:7], -v[6:7], v[12:13], v[10:11]
	v_div_fmas_f64 v[6:7], v[6:7], v[8:9], v[12:13]
	v_div_fixup_f64 v[4:5], v[6:7], v[4:5], 1.0
	ds_write_b64 v1, v[4:5]
.LBB123_4:
	s_or_b32 exec_lo, exec_lo, s2
	s_waitcnt vmcnt(0) lgkmcnt(0)
	s_waitcnt_vscnt null, 0x0
	s_barrier
	buffer_gl0_inv
	ds_read_b64 v[4:5], v1
	s_waitcnt lgkmcnt(0)
	buffer_store_dword v4, off, s[12:15], 0 offset:288 ; 4-byte Folded Spill
	buffer_store_dword v5, off, s[12:15], 0 offset:292 ; 4-byte Folded Spill
	s_and_saveexec_b32 s2, s1
	s_cbranch_execz .LBB123_6
; %bb.5:
	s_clause 0x1
	buffer_load_dword v4, off, s[12:15], 0 offset:288
	buffer_load_dword v5, off, s[12:15], 0 offset:292
	s_waitcnt vmcnt(0)
	v_mul_f64 v[212:213], v[4:5], v[212:213]
	ds_read2_b64 v[4:7], v74 offset0:1 offset1:2
	s_waitcnt lgkmcnt(0)
	v_fma_f64 v[230:231], -v[212:213], v[4:5], v[230:231]
	v_fma_f64 v[248:249], -v[212:213], v[6:7], v[248:249]
	ds_read2_b64 v[4:7], v74 offset0:3 offset1:4
	s_waitcnt lgkmcnt(0)
	v_fma_f64 v[228:229], -v[212:213], v[4:5], v[228:229]
	v_fma_f64 v[246:247], -v[212:213], v[6:7], v[246:247]
	;; [unrolled: 4-line block ×29, first 2 shown]
	ds_read2_b64 v[4:7], v74 offset0:59 offset1:60
	s_waitcnt lgkmcnt(0)
	v_fma_f64 v[128:129], -v[212:213], v[4:5], v[128:129]
	ds_read_b64 v[4:5], v74 offset:488
	v_fma_f64 v[170:171], -v[212:213], v[6:7], v[170:171]
	s_waitcnt lgkmcnt(0)
	v_fma_f64 v[250:251], -v[212:213], v[4:5], v[250:251]
.LBB123_6:
	s_or_b32 exec_lo, exec_lo, s2
	s_mov_b32 s1, exec_lo
	s_waitcnt_vscnt null, 0x0
	s_barrier
	buffer_gl0_inv
	v_cmpx_eq_u32_e32 1, v0
	s_cbranch_execz .LBB123_9
; %bb.7:
	v_mov_b32_e32 v4, v248
	v_mov_b32_e32 v5, v249
	;; [unrolled: 1-line block ×4, first 2 shown]
	ds_write_b64 v1, v[230:231]
	ds_write2_b64 v74, v[4:5], v[6:7] offset0:2 offset1:3
	v_mov_b32_e32 v4, v246
	v_mov_b32_e32 v5, v247
	v_mov_b32_e32 v6, v226
	v_mov_b32_e32 v7, v227
	ds_write2_b64 v74, v[4:5], v[6:7] offset0:4 offset1:5
	v_mov_b32_e32 v4, v244
	v_mov_b32_e32 v5, v245
	v_mov_b32_e32 v6, v224
	v_mov_b32_e32 v7, v225
	;; [unrolled: 5-line block ×28, first 2 shown]
	ds_write2_b64 v74, v[4:5], v[6:7] offset0:58 offset1:59
	v_mov_b32_e32 v4, v170
	v_mov_b32_e32 v5, v171
	ds_write2_b64 v74, v[4:5], v[250:251] offset0:60 offset1:61
	ds_read_b64 v[4:5], v1
	s_waitcnt lgkmcnt(0)
	v_cmp_neq_f64_e32 vcc_lo, 0, v[4:5]
	s_and_b32 exec_lo, exec_lo, vcc_lo
	s_cbranch_execz .LBB123_9
; %bb.8:
	v_div_scale_f64 v[6:7], null, v[4:5], v[4:5], 1.0
	v_rcp_f64_e32 v[8:9], v[6:7]
	v_fma_f64 v[10:11], -v[6:7], v[8:9], 1.0
	v_fma_f64 v[8:9], v[8:9], v[10:11], v[8:9]
	v_fma_f64 v[10:11], -v[6:7], v[8:9], 1.0
	v_fma_f64 v[8:9], v[8:9], v[10:11], v[8:9]
	v_div_scale_f64 v[10:11], vcc_lo, 1.0, v[4:5], 1.0
	v_mul_f64 v[12:13], v[10:11], v[8:9]
	v_fma_f64 v[6:7], -v[6:7], v[12:13], v[10:11]
	v_div_fmas_f64 v[6:7], v[6:7], v[8:9], v[12:13]
	v_div_fixup_f64 v[4:5], v[6:7], v[4:5], 1.0
	ds_write_b64 v1, v[4:5]
.LBB123_9:
	s_or_b32 exec_lo, exec_lo, s1
	s_waitcnt lgkmcnt(0)
	s_barrier
	buffer_gl0_inv
	ds_read_b64 v[4:5], v1
	s_mov_b32 s1, exec_lo
	s_waitcnt lgkmcnt(0)
	buffer_store_dword v4, off, s[12:15], 0 offset:296 ; 4-byte Folded Spill
	buffer_store_dword v5, off, s[12:15], 0 offset:300 ; 4-byte Folded Spill
	v_cmpx_lt_u32_e32 1, v0
	s_cbranch_execz .LBB123_11
; %bb.10:
	s_clause 0x1
	buffer_load_dword v4, off, s[12:15], 0 offset:296
	buffer_load_dword v5, off, s[12:15], 0 offset:300
	s_waitcnt vmcnt(0)
	v_mul_f64 v[230:231], v[4:5], v[230:231]
	ds_read2_b64 v[4:7], v74 offset0:2 offset1:3
	s_waitcnt lgkmcnt(0)
	v_fma_f64 v[248:249], -v[230:231], v[4:5], v[248:249]
	v_fma_f64 v[228:229], -v[230:231], v[6:7], v[228:229]
	ds_read2_b64 v[4:7], v74 offset0:4 offset1:5
	s_waitcnt lgkmcnt(0)
	v_fma_f64 v[246:247], -v[230:231], v[4:5], v[246:247]
	v_fma_f64 v[226:227], -v[230:231], v[6:7], v[226:227]
	;; [unrolled: 4-line block ×30, first 2 shown]
.LBB123_11:
	s_or_b32 exec_lo, exec_lo, s1
	s_mov_b32 s1, exec_lo
	s_waitcnt_vscnt null, 0x0
	s_barrier
	buffer_gl0_inv
	v_cmpx_eq_u32_e32 2, v0
	s_cbranch_execz .LBB123_14
; %bb.12:
	ds_write_b64 v1, v[248:249]
	ds_write2_b64 v74, v[228:229], v[246:247] offset0:3 offset1:4
	ds_write2_b64 v74, v[226:227], v[244:245] offset0:5 offset1:6
	;; [unrolled: 1-line block ×29, first 2 shown]
	ds_write_b64 v74, v[250:251] offset:488
	ds_read_b64 v[4:5], v1
	s_waitcnt lgkmcnt(0)
	v_cmp_neq_f64_e32 vcc_lo, 0, v[4:5]
	s_and_b32 exec_lo, exec_lo, vcc_lo
	s_cbranch_execz .LBB123_14
; %bb.13:
	v_div_scale_f64 v[6:7], null, v[4:5], v[4:5], 1.0
	v_rcp_f64_e32 v[8:9], v[6:7]
	v_fma_f64 v[10:11], -v[6:7], v[8:9], 1.0
	v_fma_f64 v[8:9], v[8:9], v[10:11], v[8:9]
	v_fma_f64 v[10:11], -v[6:7], v[8:9], 1.0
	v_fma_f64 v[8:9], v[8:9], v[10:11], v[8:9]
	v_div_scale_f64 v[10:11], vcc_lo, 1.0, v[4:5], 1.0
	v_mul_f64 v[12:13], v[10:11], v[8:9]
	v_fma_f64 v[6:7], -v[6:7], v[12:13], v[10:11]
	v_div_fmas_f64 v[6:7], v[6:7], v[8:9], v[12:13]
	v_div_fixup_f64 v[4:5], v[6:7], v[4:5], 1.0
	ds_write_b64 v1, v[4:5]
.LBB123_14:
	s_or_b32 exec_lo, exec_lo, s1
	s_waitcnt lgkmcnt(0)
	s_barrier
	buffer_gl0_inv
	ds_read_b64 v[4:5], v1
	s_mov_b32 s1, exec_lo
	s_waitcnt lgkmcnt(0)
	buffer_store_dword v4, off, s[12:15], 0 offset:304 ; 4-byte Folded Spill
	buffer_store_dword v5, off, s[12:15], 0 offset:308 ; 4-byte Folded Spill
	v_cmpx_lt_u32_e32 2, v0
	s_cbranch_execz .LBB123_16
; %bb.15:
	s_clause 0x1
	buffer_load_dword v4, off, s[12:15], 0 offset:304
	buffer_load_dword v5, off, s[12:15], 0 offset:308
	s_waitcnt vmcnt(0)
	v_mul_f64 v[248:249], v[4:5], v[248:249]
	ds_read2_b64 v[4:7], v74 offset0:3 offset1:4
	s_waitcnt lgkmcnt(0)
	v_fma_f64 v[228:229], -v[248:249], v[4:5], v[228:229]
	v_fma_f64 v[246:247], -v[248:249], v[6:7], v[246:247]
	ds_read2_b64 v[4:7], v74 offset0:5 offset1:6
	s_waitcnt lgkmcnt(0)
	v_fma_f64 v[226:227], -v[248:249], v[4:5], v[226:227]
	v_fma_f64 v[244:245], -v[248:249], v[6:7], v[244:245]
	;; [unrolled: 4-line block ×28, first 2 shown]
	ds_read2_b64 v[4:7], v74 offset0:59 offset1:60
	s_waitcnt lgkmcnt(0)
	v_fma_f64 v[128:129], -v[248:249], v[4:5], v[128:129]
	ds_read_b64 v[4:5], v74 offset:488
	v_fma_f64 v[170:171], -v[248:249], v[6:7], v[170:171]
	s_waitcnt lgkmcnt(0)
	v_fma_f64 v[250:251], -v[248:249], v[4:5], v[250:251]
.LBB123_16:
	s_or_b32 exec_lo, exec_lo, s1
	s_mov_b32 s1, exec_lo
	s_waitcnt_vscnt null, 0x0
	s_barrier
	buffer_gl0_inv
	v_cmpx_eq_u32_e32 3, v0
	s_cbranch_execz .LBB123_19
; %bb.17:
	v_mov_b32_e32 v4, v246
	v_mov_b32_e32 v5, v247
	;; [unrolled: 1-line block ×4, first 2 shown]
	ds_write_b64 v1, v[228:229]
	ds_write2_b64 v74, v[4:5], v[6:7] offset0:4 offset1:5
	v_mov_b32_e32 v4, v244
	v_mov_b32_e32 v5, v245
	v_mov_b32_e32 v6, v224
	v_mov_b32_e32 v7, v225
	ds_write2_b64 v74, v[4:5], v[6:7] offset0:6 offset1:7
	v_mov_b32_e32 v4, v242
	v_mov_b32_e32 v5, v243
	v_mov_b32_e32 v6, v222
	v_mov_b32_e32 v7, v223
	ds_write2_b64 v74, v[4:5], v[6:7] offset0:8 offset1:9
	v_mov_b32_e32 v4, v240
	v_mov_b32_e32 v5, v241
	v_mov_b32_e32 v6, v220
	v_mov_b32_e32 v7, v221
	ds_write2_b64 v74, v[4:5], v[6:7] offset0:10 offset1:11
	v_mov_b32_e32 v4, v238
	v_mov_b32_e32 v5, v239
	v_mov_b32_e32 v6, v218
	v_mov_b32_e32 v7, v219
	ds_write2_b64 v74, v[4:5], v[6:7] offset0:12 offset1:13
	v_mov_b32_e32 v4, v236
	v_mov_b32_e32 v5, v237
	v_mov_b32_e32 v6, v216
	v_mov_b32_e32 v7, v217
	ds_write2_b64 v74, v[4:5], v[6:7] offset0:14 offset1:15
	v_mov_b32_e32 v4, v234
	v_mov_b32_e32 v5, v235
	v_mov_b32_e32 v6, v214
	v_mov_b32_e32 v7, v215
	ds_write2_b64 v74, v[4:5], v[6:7] offset0:16 offset1:17
	v_mov_b32_e32 v4, v232
	v_mov_b32_e32 v5, v233
	v_mov_b32_e32 v6, v168
	v_mov_b32_e32 v7, v169
	ds_write2_b64 v74, v[4:5], v[6:7] offset0:18 offset1:19
	v_mov_b32_e32 v4, v210
	v_mov_b32_e32 v5, v211
	v_mov_b32_e32 v6, v166
	v_mov_b32_e32 v7, v167
	ds_write2_b64 v74, v[4:5], v[6:7] offset0:20 offset1:21
	v_mov_b32_e32 v4, v208
	v_mov_b32_e32 v5, v209
	v_mov_b32_e32 v6, v164
	v_mov_b32_e32 v7, v165
	ds_write2_b64 v74, v[4:5], v[6:7] offset0:22 offset1:23
	v_mov_b32_e32 v4, v206
	v_mov_b32_e32 v5, v207
	v_mov_b32_e32 v6, v162
	v_mov_b32_e32 v7, v163
	ds_write2_b64 v74, v[4:5], v[6:7] offset0:24 offset1:25
	v_mov_b32_e32 v4, v204
	v_mov_b32_e32 v5, v205
	v_mov_b32_e32 v6, v160
	v_mov_b32_e32 v7, v161
	ds_write2_b64 v74, v[4:5], v[6:7] offset0:26 offset1:27
	v_mov_b32_e32 v4, v202
	v_mov_b32_e32 v5, v203
	v_mov_b32_e32 v6, v158
	v_mov_b32_e32 v7, v159
	ds_write2_b64 v74, v[4:5], v[6:7] offset0:28 offset1:29
	v_mov_b32_e32 v4, v200
	v_mov_b32_e32 v5, v201
	v_mov_b32_e32 v6, v156
	v_mov_b32_e32 v7, v157
	ds_write2_b64 v74, v[4:5], v[6:7] offset0:30 offset1:31
	v_mov_b32_e32 v4, v198
	v_mov_b32_e32 v5, v199
	v_mov_b32_e32 v6, v154
	v_mov_b32_e32 v7, v155
	ds_write2_b64 v74, v[4:5], v[6:7] offset0:32 offset1:33
	v_mov_b32_e32 v4, v196
	v_mov_b32_e32 v5, v197
	v_mov_b32_e32 v6, v152
	v_mov_b32_e32 v7, v153
	ds_write2_b64 v74, v[4:5], v[6:7] offset0:34 offset1:35
	v_mov_b32_e32 v4, v194
	v_mov_b32_e32 v5, v195
	v_mov_b32_e32 v6, v150
	v_mov_b32_e32 v7, v151
	ds_write2_b64 v74, v[4:5], v[6:7] offset0:36 offset1:37
	v_mov_b32_e32 v4, v192
	v_mov_b32_e32 v5, v193
	v_mov_b32_e32 v6, v148
	v_mov_b32_e32 v7, v149
	ds_write2_b64 v74, v[4:5], v[6:7] offset0:38 offset1:39
	v_mov_b32_e32 v4, v190
	v_mov_b32_e32 v5, v191
	v_mov_b32_e32 v6, v146
	v_mov_b32_e32 v7, v147
	ds_write2_b64 v74, v[4:5], v[6:7] offset0:40 offset1:41
	v_mov_b32_e32 v4, v188
	v_mov_b32_e32 v5, v189
	v_mov_b32_e32 v6, v144
	v_mov_b32_e32 v7, v145
	ds_write2_b64 v74, v[4:5], v[6:7] offset0:42 offset1:43
	v_mov_b32_e32 v4, v186
	v_mov_b32_e32 v5, v187
	v_mov_b32_e32 v6, v142
	v_mov_b32_e32 v7, v143
	ds_write2_b64 v74, v[4:5], v[6:7] offset0:44 offset1:45
	v_mov_b32_e32 v4, v184
	v_mov_b32_e32 v5, v185
	v_mov_b32_e32 v6, v140
	v_mov_b32_e32 v7, v141
	ds_write2_b64 v74, v[4:5], v[6:7] offset0:46 offset1:47
	v_mov_b32_e32 v4, v182
	v_mov_b32_e32 v5, v183
	v_mov_b32_e32 v6, v138
	v_mov_b32_e32 v7, v139
	ds_write2_b64 v74, v[4:5], v[6:7] offset0:48 offset1:49
	v_mov_b32_e32 v4, v180
	v_mov_b32_e32 v5, v181
	v_mov_b32_e32 v6, v136
	v_mov_b32_e32 v7, v137
	ds_write2_b64 v74, v[4:5], v[6:7] offset0:50 offset1:51
	v_mov_b32_e32 v4, v178
	v_mov_b32_e32 v5, v179
	v_mov_b32_e32 v6, v134
	v_mov_b32_e32 v7, v135
	ds_write2_b64 v74, v[4:5], v[6:7] offset0:52 offset1:53
	v_mov_b32_e32 v4, v176
	v_mov_b32_e32 v5, v177
	v_mov_b32_e32 v6, v132
	v_mov_b32_e32 v7, v133
	ds_write2_b64 v74, v[4:5], v[6:7] offset0:54 offset1:55
	v_mov_b32_e32 v4, v174
	v_mov_b32_e32 v5, v175
	v_mov_b32_e32 v6, v130
	v_mov_b32_e32 v7, v131
	ds_write2_b64 v74, v[4:5], v[6:7] offset0:56 offset1:57
	v_mov_b32_e32 v4, v172
	v_mov_b32_e32 v5, v173
	v_mov_b32_e32 v6, v128
	v_mov_b32_e32 v7, v129
	ds_write2_b64 v74, v[4:5], v[6:7] offset0:58 offset1:59
	v_mov_b32_e32 v4, v170
	v_mov_b32_e32 v5, v171
	ds_write2_b64 v74, v[4:5], v[250:251] offset0:60 offset1:61
	ds_read_b64 v[4:5], v1
	s_waitcnt lgkmcnt(0)
	v_cmp_neq_f64_e32 vcc_lo, 0, v[4:5]
	s_and_b32 exec_lo, exec_lo, vcc_lo
	s_cbranch_execz .LBB123_19
; %bb.18:
	v_div_scale_f64 v[6:7], null, v[4:5], v[4:5], 1.0
	v_rcp_f64_e32 v[8:9], v[6:7]
	v_fma_f64 v[10:11], -v[6:7], v[8:9], 1.0
	v_fma_f64 v[8:9], v[8:9], v[10:11], v[8:9]
	v_fma_f64 v[10:11], -v[6:7], v[8:9], 1.0
	v_fma_f64 v[8:9], v[8:9], v[10:11], v[8:9]
	v_div_scale_f64 v[10:11], vcc_lo, 1.0, v[4:5], 1.0
	v_mul_f64 v[12:13], v[10:11], v[8:9]
	v_fma_f64 v[6:7], -v[6:7], v[12:13], v[10:11]
	v_div_fmas_f64 v[6:7], v[6:7], v[8:9], v[12:13]
	v_div_fixup_f64 v[4:5], v[6:7], v[4:5], 1.0
	ds_write_b64 v1, v[4:5]
.LBB123_19:
	s_or_b32 exec_lo, exec_lo, s1
	s_waitcnt lgkmcnt(0)
	s_barrier
	buffer_gl0_inv
	ds_read_b64 v[4:5], v1
	s_mov_b32 s1, exec_lo
	s_waitcnt lgkmcnt(0)
	buffer_store_dword v4, off, s[12:15], 0 offset:312 ; 4-byte Folded Spill
	buffer_store_dword v5, off, s[12:15], 0 offset:316 ; 4-byte Folded Spill
	v_cmpx_lt_u32_e32 3, v0
	s_cbranch_execz .LBB123_21
; %bb.20:
	s_clause 0x1
	buffer_load_dword v4, off, s[12:15], 0 offset:312
	buffer_load_dword v5, off, s[12:15], 0 offset:316
	s_waitcnt vmcnt(0)
	v_mul_f64 v[228:229], v[4:5], v[228:229]
	ds_read2_b64 v[4:7], v74 offset0:4 offset1:5
	s_waitcnt lgkmcnt(0)
	v_fma_f64 v[246:247], -v[228:229], v[4:5], v[246:247]
	v_fma_f64 v[226:227], -v[228:229], v[6:7], v[226:227]
	ds_read2_b64 v[4:7], v74 offset0:6 offset1:7
	s_waitcnt lgkmcnt(0)
	v_fma_f64 v[244:245], -v[228:229], v[4:5], v[244:245]
	v_fma_f64 v[224:225], -v[228:229], v[6:7], v[224:225]
	ds_read2_b64 v[4:7], v74 offset0:8 offset1:9
	s_waitcnt lgkmcnt(0)
	v_fma_f64 v[242:243], -v[228:229], v[4:5], v[242:243]
	v_fma_f64 v[222:223], -v[228:229], v[6:7], v[222:223]
	ds_read2_b64 v[4:7], v74 offset0:10 offset1:11
	s_waitcnt lgkmcnt(0)
	v_fma_f64 v[240:241], -v[228:229], v[4:5], v[240:241]
	v_fma_f64 v[220:221], -v[228:229], v[6:7], v[220:221]
	ds_read2_b64 v[4:7], v74 offset0:12 offset1:13
	s_waitcnt lgkmcnt(0)
	v_fma_f64 v[238:239], -v[228:229], v[4:5], v[238:239]
	v_fma_f64 v[218:219], -v[228:229], v[6:7], v[218:219]
	ds_read2_b64 v[4:7], v74 offset0:14 offset1:15
	s_waitcnt lgkmcnt(0)
	v_fma_f64 v[236:237], -v[228:229], v[4:5], v[236:237]
	v_fma_f64 v[216:217], -v[228:229], v[6:7], v[216:217]
	ds_read2_b64 v[4:7], v74 offset0:16 offset1:17
	s_waitcnt lgkmcnt(0)
	v_fma_f64 v[234:235], -v[228:229], v[4:5], v[234:235]
	v_fma_f64 v[214:215], -v[228:229], v[6:7], v[214:215]
	ds_read2_b64 v[4:7], v74 offset0:18 offset1:19
	s_waitcnt lgkmcnt(0)
	v_fma_f64 v[232:233], -v[228:229], v[4:5], v[232:233]
	v_fma_f64 v[168:169], -v[228:229], v[6:7], v[168:169]
	ds_read2_b64 v[4:7], v74 offset0:20 offset1:21
	s_waitcnt lgkmcnt(0)
	v_fma_f64 v[210:211], -v[228:229], v[4:5], v[210:211]
	v_fma_f64 v[166:167], -v[228:229], v[6:7], v[166:167]
	ds_read2_b64 v[4:7], v74 offset0:22 offset1:23
	s_waitcnt lgkmcnt(0)
	v_fma_f64 v[208:209], -v[228:229], v[4:5], v[208:209]
	v_fma_f64 v[164:165], -v[228:229], v[6:7], v[164:165]
	ds_read2_b64 v[4:7], v74 offset0:24 offset1:25
	s_waitcnt lgkmcnt(0)
	v_fma_f64 v[206:207], -v[228:229], v[4:5], v[206:207]
	v_fma_f64 v[162:163], -v[228:229], v[6:7], v[162:163]
	ds_read2_b64 v[4:7], v74 offset0:26 offset1:27
	s_waitcnt lgkmcnt(0)
	v_fma_f64 v[204:205], -v[228:229], v[4:5], v[204:205]
	v_fma_f64 v[160:161], -v[228:229], v[6:7], v[160:161]
	ds_read2_b64 v[4:7], v74 offset0:28 offset1:29
	s_waitcnt lgkmcnt(0)
	v_fma_f64 v[202:203], -v[228:229], v[4:5], v[202:203]
	v_fma_f64 v[158:159], -v[228:229], v[6:7], v[158:159]
	ds_read2_b64 v[4:7], v74 offset0:30 offset1:31
	s_waitcnt lgkmcnt(0)
	v_fma_f64 v[200:201], -v[228:229], v[4:5], v[200:201]
	v_fma_f64 v[156:157], -v[228:229], v[6:7], v[156:157]
	ds_read2_b64 v[4:7], v74 offset0:32 offset1:33
	s_waitcnt lgkmcnt(0)
	v_fma_f64 v[198:199], -v[228:229], v[4:5], v[198:199]
	v_fma_f64 v[154:155], -v[228:229], v[6:7], v[154:155]
	ds_read2_b64 v[4:7], v74 offset0:34 offset1:35
	s_waitcnt lgkmcnt(0)
	v_fma_f64 v[196:197], -v[228:229], v[4:5], v[196:197]
	v_fma_f64 v[152:153], -v[228:229], v[6:7], v[152:153]
	ds_read2_b64 v[4:7], v74 offset0:36 offset1:37
	s_waitcnt lgkmcnt(0)
	v_fma_f64 v[194:195], -v[228:229], v[4:5], v[194:195]
	v_fma_f64 v[150:151], -v[228:229], v[6:7], v[150:151]
	ds_read2_b64 v[4:7], v74 offset0:38 offset1:39
	s_waitcnt lgkmcnt(0)
	v_fma_f64 v[192:193], -v[228:229], v[4:5], v[192:193]
	v_fma_f64 v[148:149], -v[228:229], v[6:7], v[148:149]
	ds_read2_b64 v[4:7], v74 offset0:40 offset1:41
	s_waitcnt lgkmcnt(0)
	v_fma_f64 v[190:191], -v[228:229], v[4:5], v[190:191]
	v_fma_f64 v[146:147], -v[228:229], v[6:7], v[146:147]
	ds_read2_b64 v[4:7], v74 offset0:42 offset1:43
	s_waitcnt lgkmcnt(0)
	v_fma_f64 v[188:189], -v[228:229], v[4:5], v[188:189]
	v_fma_f64 v[144:145], -v[228:229], v[6:7], v[144:145]
	ds_read2_b64 v[4:7], v74 offset0:44 offset1:45
	s_waitcnt lgkmcnt(0)
	v_fma_f64 v[186:187], -v[228:229], v[4:5], v[186:187]
	v_fma_f64 v[142:143], -v[228:229], v[6:7], v[142:143]
	ds_read2_b64 v[4:7], v74 offset0:46 offset1:47
	s_waitcnt lgkmcnt(0)
	v_fma_f64 v[184:185], -v[228:229], v[4:5], v[184:185]
	v_fma_f64 v[140:141], -v[228:229], v[6:7], v[140:141]
	ds_read2_b64 v[4:7], v74 offset0:48 offset1:49
	s_waitcnt lgkmcnt(0)
	v_fma_f64 v[182:183], -v[228:229], v[4:5], v[182:183]
	v_fma_f64 v[138:139], -v[228:229], v[6:7], v[138:139]
	ds_read2_b64 v[4:7], v74 offset0:50 offset1:51
	s_waitcnt lgkmcnt(0)
	v_fma_f64 v[180:181], -v[228:229], v[4:5], v[180:181]
	v_fma_f64 v[136:137], -v[228:229], v[6:7], v[136:137]
	ds_read2_b64 v[4:7], v74 offset0:52 offset1:53
	s_waitcnt lgkmcnt(0)
	v_fma_f64 v[178:179], -v[228:229], v[4:5], v[178:179]
	v_fma_f64 v[134:135], -v[228:229], v[6:7], v[134:135]
	ds_read2_b64 v[4:7], v74 offset0:54 offset1:55
	s_waitcnt lgkmcnt(0)
	v_fma_f64 v[176:177], -v[228:229], v[4:5], v[176:177]
	v_fma_f64 v[132:133], -v[228:229], v[6:7], v[132:133]
	ds_read2_b64 v[4:7], v74 offset0:56 offset1:57
	s_waitcnt lgkmcnt(0)
	v_fma_f64 v[174:175], -v[228:229], v[4:5], v[174:175]
	v_fma_f64 v[130:131], -v[228:229], v[6:7], v[130:131]
	ds_read2_b64 v[4:7], v74 offset0:58 offset1:59
	s_waitcnt lgkmcnt(0)
	v_fma_f64 v[172:173], -v[228:229], v[4:5], v[172:173]
	v_fma_f64 v[128:129], -v[228:229], v[6:7], v[128:129]
	ds_read2_b64 v[4:7], v74 offset0:60 offset1:61
	s_waitcnt lgkmcnt(0)
	v_fma_f64 v[170:171], -v[228:229], v[4:5], v[170:171]
	v_fma_f64 v[250:251], -v[228:229], v[6:7], v[250:251]
.LBB123_21:
	s_or_b32 exec_lo, exec_lo, s1
	s_mov_b32 s1, exec_lo
	s_waitcnt_vscnt null, 0x0
	s_barrier
	buffer_gl0_inv
	v_cmpx_eq_u32_e32 4, v0
	s_cbranch_execz .LBB123_24
; %bb.22:
	ds_write_b64 v1, v[246:247]
	ds_write2_b64 v74, v[226:227], v[244:245] offset0:5 offset1:6
	ds_write2_b64 v74, v[224:225], v[242:243] offset0:7 offset1:8
	;; [unrolled: 1-line block ×28, first 2 shown]
	ds_write_b64 v74, v[250:251] offset:488
	ds_read_b64 v[4:5], v1
	s_waitcnt lgkmcnt(0)
	v_cmp_neq_f64_e32 vcc_lo, 0, v[4:5]
	s_and_b32 exec_lo, exec_lo, vcc_lo
	s_cbranch_execz .LBB123_24
; %bb.23:
	v_div_scale_f64 v[6:7], null, v[4:5], v[4:5], 1.0
	v_rcp_f64_e32 v[8:9], v[6:7]
	v_fma_f64 v[10:11], -v[6:7], v[8:9], 1.0
	v_fma_f64 v[8:9], v[8:9], v[10:11], v[8:9]
	v_fma_f64 v[10:11], -v[6:7], v[8:9], 1.0
	v_fma_f64 v[8:9], v[8:9], v[10:11], v[8:9]
	v_div_scale_f64 v[10:11], vcc_lo, 1.0, v[4:5], 1.0
	v_mul_f64 v[12:13], v[10:11], v[8:9]
	v_fma_f64 v[6:7], -v[6:7], v[12:13], v[10:11]
	v_div_fmas_f64 v[6:7], v[6:7], v[8:9], v[12:13]
	v_div_fixup_f64 v[4:5], v[6:7], v[4:5], 1.0
	ds_write_b64 v1, v[4:5]
.LBB123_24:
	s_or_b32 exec_lo, exec_lo, s1
	s_waitcnt lgkmcnt(0)
	s_barrier
	buffer_gl0_inv
	ds_read_b64 v[4:5], v1
	s_mov_b32 s1, exec_lo
	s_waitcnt lgkmcnt(0)
	buffer_store_dword v4, off, s[12:15], 0 offset:320 ; 4-byte Folded Spill
	buffer_store_dword v5, off, s[12:15], 0 offset:324 ; 4-byte Folded Spill
	v_cmpx_lt_u32_e32 4, v0
	s_cbranch_execz .LBB123_26
; %bb.25:
	s_clause 0x1
	buffer_load_dword v4, off, s[12:15], 0 offset:320
	buffer_load_dword v5, off, s[12:15], 0 offset:324
	s_waitcnt vmcnt(0)
	v_mul_f64 v[246:247], v[4:5], v[246:247]
	ds_read2_b64 v[4:7], v74 offset0:5 offset1:6
	s_waitcnt lgkmcnt(0)
	v_fma_f64 v[226:227], -v[246:247], v[4:5], v[226:227]
	v_fma_f64 v[244:245], -v[246:247], v[6:7], v[244:245]
	ds_read2_b64 v[4:7], v74 offset0:7 offset1:8
	s_waitcnt lgkmcnt(0)
	v_fma_f64 v[224:225], -v[246:247], v[4:5], v[224:225]
	v_fma_f64 v[242:243], -v[246:247], v[6:7], v[242:243]
	;; [unrolled: 4-line block ×27, first 2 shown]
	ds_read2_b64 v[4:7], v74 offset0:59 offset1:60
	s_waitcnt lgkmcnt(0)
	v_fma_f64 v[128:129], -v[246:247], v[4:5], v[128:129]
	ds_read_b64 v[4:5], v74 offset:488
	v_fma_f64 v[170:171], -v[246:247], v[6:7], v[170:171]
	s_waitcnt lgkmcnt(0)
	v_fma_f64 v[250:251], -v[246:247], v[4:5], v[250:251]
.LBB123_26:
	s_or_b32 exec_lo, exec_lo, s1
	s_mov_b32 s1, exec_lo
	s_waitcnt_vscnt null, 0x0
	s_barrier
	buffer_gl0_inv
	v_cmpx_eq_u32_e32 5, v0
	s_cbranch_execz .LBB123_29
; %bb.27:
	v_mov_b32_e32 v4, v244
	v_mov_b32_e32 v5, v245
	;; [unrolled: 1-line block ×4, first 2 shown]
	ds_write_b64 v1, v[226:227]
	ds_write2_b64 v74, v[4:5], v[6:7] offset0:6 offset1:7
	v_mov_b32_e32 v4, v242
	v_mov_b32_e32 v5, v243
	v_mov_b32_e32 v6, v222
	v_mov_b32_e32 v7, v223
	ds_write2_b64 v74, v[4:5], v[6:7] offset0:8 offset1:9
	v_mov_b32_e32 v4, v240
	v_mov_b32_e32 v5, v241
	v_mov_b32_e32 v6, v220
	v_mov_b32_e32 v7, v221
	;; [unrolled: 5-line block ×26, first 2 shown]
	ds_write2_b64 v74, v[4:5], v[6:7] offset0:58 offset1:59
	v_mov_b32_e32 v4, v170
	v_mov_b32_e32 v5, v171
	ds_write2_b64 v74, v[4:5], v[250:251] offset0:60 offset1:61
	ds_read_b64 v[4:5], v1
	s_waitcnt lgkmcnt(0)
	v_cmp_neq_f64_e32 vcc_lo, 0, v[4:5]
	s_and_b32 exec_lo, exec_lo, vcc_lo
	s_cbranch_execz .LBB123_29
; %bb.28:
	v_div_scale_f64 v[6:7], null, v[4:5], v[4:5], 1.0
	v_rcp_f64_e32 v[8:9], v[6:7]
	v_fma_f64 v[10:11], -v[6:7], v[8:9], 1.0
	v_fma_f64 v[8:9], v[8:9], v[10:11], v[8:9]
	v_fma_f64 v[10:11], -v[6:7], v[8:9], 1.0
	v_fma_f64 v[8:9], v[8:9], v[10:11], v[8:9]
	v_div_scale_f64 v[10:11], vcc_lo, 1.0, v[4:5], 1.0
	v_mul_f64 v[12:13], v[10:11], v[8:9]
	v_fma_f64 v[6:7], -v[6:7], v[12:13], v[10:11]
	v_div_fmas_f64 v[6:7], v[6:7], v[8:9], v[12:13]
	v_div_fixup_f64 v[4:5], v[6:7], v[4:5], 1.0
	ds_write_b64 v1, v[4:5]
.LBB123_29:
	s_or_b32 exec_lo, exec_lo, s1
	s_waitcnt lgkmcnt(0)
	s_barrier
	buffer_gl0_inv
	ds_read_b64 v[4:5], v1
	s_mov_b32 s1, exec_lo
	s_waitcnt lgkmcnt(0)
	buffer_store_dword v4, off, s[12:15], 0 offset:328 ; 4-byte Folded Spill
	buffer_store_dword v5, off, s[12:15], 0 offset:332 ; 4-byte Folded Spill
	v_cmpx_lt_u32_e32 5, v0
	s_cbranch_execz .LBB123_31
; %bb.30:
	s_clause 0x1
	buffer_load_dword v4, off, s[12:15], 0 offset:328
	buffer_load_dword v5, off, s[12:15], 0 offset:332
	s_waitcnt vmcnt(0)
	v_mul_f64 v[226:227], v[4:5], v[226:227]
	ds_read2_b64 v[4:7], v74 offset0:6 offset1:7
	s_waitcnt lgkmcnt(0)
	v_fma_f64 v[244:245], -v[226:227], v[4:5], v[244:245]
	v_fma_f64 v[224:225], -v[226:227], v[6:7], v[224:225]
	ds_read2_b64 v[4:7], v74 offset0:8 offset1:9
	s_waitcnt lgkmcnt(0)
	v_fma_f64 v[242:243], -v[226:227], v[4:5], v[242:243]
	v_fma_f64 v[222:223], -v[226:227], v[6:7], v[222:223]
	;; [unrolled: 4-line block ×28, first 2 shown]
.LBB123_31:
	s_or_b32 exec_lo, exec_lo, s1
	s_mov_b32 s1, exec_lo
	s_waitcnt_vscnt null, 0x0
	s_barrier
	buffer_gl0_inv
	v_cmpx_eq_u32_e32 6, v0
	s_cbranch_execz .LBB123_34
; %bb.32:
	ds_write_b64 v1, v[244:245]
	ds_write2_b64 v74, v[224:225], v[242:243] offset0:7 offset1:8
	ds_write2_b64 v74, v[222:223], v[240:241] offset0:9 offset1:10
	;; [unrolled: 1-line block ×27, first 2 shown]
	ds_write_b64 v74, v[250:251] offset:488
	ds_read_b64 v[4:5], v1
	s_waitcnt lgkmcnt(0)
	v_cmp_neq_f64_e32 vcc_lo, 0, v[4:5]
	s_and_b32 exec_lo, exec_lo, vcc_lo
	s_cbranch_execz .LBB123_34
; %bb.33:
	v_div_scale_f64 v[6:7], null, v[4:5], v[4:5], 1.0
	v_rcp_f64_e32 v[8:9], v[6:7]
	v_fma_f64 v[10:11], -v[6:7], v[8:9], 1.0
	v_fma_f64 v[8:9], v[8:9], v[10:11], v[8:9]
	v_fma_f64 v[10:11], -v[6:7], v[8:9], 1.0
	v_fma_f64 v[8:9], v[8:9], v[10:11], v[8:9]
	v_div_scale_f64 v[10:11], vcc_lo, 1.0, v[4:5], 1.0
	v_mul_f64 v[12:13], v[10:11], v[8:9]
	v_fma_f64 v[6:7], -v[6:7], v[12:13], v[10:11]
	v_div_fmas_f64 v[6:7], v[6:7], v[8:9], v[12:13]
	v_div_fixup_f64 v[4:5], v[6:7], v[4:5], 1.0
	ds_write_b64 v1, v[4:5]
.LBB123_34:
	s_or_b32 exec_lo, exec_lo, s1
	s_waitcnt lgkmcnt(0)
	s_barrier
	buffer_gl0_inv
	ds_read_b64 v[4:5], v1
	s_mov_b32 s1, exec_lo
	s_waitcnt lgkmcnt(0)
	buffer_store_dword v4, off, s[12:15], 0 offset:336 ; 4-byte Folded Spill
	buffer_store_dword v5, off, s[12:15], 0 offset:340 ; 4-byte Folded Spill
	v_cmpx_lt_u32_e32 6, v0
	s_cbranch_execz .LBB123_36
; %bb.35:
	s_clause 0x1
	buffer_load_dword v4, off, s[12:15], 0 offset:336
	buffer_load_dword v5, off, s[12:15], 0 offset:340
	s_waitcnt vmcnt(0)
	v_mul_f64 v[244:245], v[4:5], v[244:245]
	ds_read2_b64 v[4:7], v74 offset0:7 offset1:8
	s_waitcnt lgkmcnt(0)
	v_fma_f64 v[224:225], -v[244:245], v[4:5], v[224:225]
	v_fma_f64 v[242:243], -v[244:245], v[6:7], v[242:243]
	ds_read2_b64 v[4:7], v74 offset0:9 offset1:10
	s_waitcnt lgkmcnt(0)
	v_fma_f64 v[222:223], -v[244:245], v[4:5], v[222:223]
	v_fma_f64 v[240:241], -v[244:245], v[6:7], v[240:241]
	;; [unrolled: 4-line block ×26, first 2 shown]
	ds_read2_b64 v[4:7], v74 offset0:59 offset1:60
	s_waitcnt lgkmcnt(0)
	v_fma_f64 v[128:129], -v[244:245], v[4:5], v[128:129]
	ds_read_b64 v[4:5], v74 offset:488
	v_fma_f64 v[170:171], -v[244:245], v[6:7], v[170:171]
	s_waitcnt lgkmcnt(0)
	v_fma_f64 v[250:251], -v[244:245], v[4:5], v[250:251]
.LBB123_36:
	s_or_b32 exec_lo, exec_lo, s1
	s_mov_b32 s1, exec_lo
	s_waitcnt_vscnt null, 0x0
	s_barrier
	buffer_gl0_inv
	v_cmpx_eq_u32_e32 7, v0
	s_cbranch_execz .LBB123_39
; %bb.37:
	v_mov_b32_e32 v4, v242
	v_mov_b32_e32 v5, v243
	;; [unrolled: 1-line block ×4, first 2 shown]
	ds_write_b64 v1, v[224:225]
	ds_write2_b64 v74, v[4:5], v[6:7] offset0:8 offset1:9
	v_mov_b32_e32 v4, v240
	v_mov_b32_e32 v5, v241
	v_mov_b32_e32 v6, v220
	v_mov_b32_e32 v7, v221
	ds_write2_b64 v74, v[4:5], v[6:7] offset0:10 offset1:11
	v_mov_b32_e32 v4, v238
	v_mov_b32_e32 v5, v239
	v_mov_b32_e32 v6, v218
	v_mov_b32_e32 v7, v219
	;; [unrolled: 5-line block ×25, first 2 shown]
	ds_write2_b64 v74, v[4:5], v[6:7] offset0:58 offset1:59
	v_mov_b32_e32 v4, v170
	v_mov_b32_e32 v5, v171
	ds_write2_b64 v74, v[4:5], v[250:251] offset0:60 offset1:61
	ds_read_b64 v[4:5], v1
	s_waitcnt lgkmcnt(0)
	v_cmp_neq_f64_e32 vcc_lo, 0, v[4:5]
	s_and_b32 exec_lo, exec_lo, vcc_lo
	s_cbranch_execz .LBB123_39
; %bb.38:
	v_div_scale_f64 v[6:7], null, v[4:5], v[4:5], 1.0
	v_rcp_f64_e32 v[8:9], v[6:7]
	v_fma_f64 v[10:11], -v[6:7], v[8:9], 1.0
	v_fma_f64 v[8:9], v[8:9], v[10:11], v[8:9]
	v_fma_f64 v[10:11], -v[6:7], v[8:9], 1.0
	v_fma_f64 v[8:9], v[8:9], v[10:11], v[8:9]
	v_div_scale_f64 v[10:11], vcc_lo, 1.0, v[4:5], 1.0
	v_mul_f64 v[12:13], v[10:11], v[8:9]
	v_fma_f64 v[6:7], -v[6:7], v[12:13], v[10:11]
	v_div_fmas_f64 v[6:7], v[6:7], v[8:9], v[12:13]
	v_div_fixup_f64 v[4:5], v[6:7], v[4:5], 1.0
	ds_write_b64 v1, v[4:5]
.LBB123_39:
	s_or_b32 exec_lo, exec_lo, s1
	s_waitcnt lgkmcnt(0)
	s_barrier
	buffer_gl0_inv
	ds_read_b64 v[4:5], v1
	s_mov_b32 s1, exec_lo
	s_waitcnt lgkmcnt(0)
	buffer_store_dword v4, off, s[12:15], 0 offset:344 ; 4-byte Folded Spill
	buffer_store_dword v5, off, s[12:15], 0 offset:348 ; 4-byte Folded Spill
	v_cmpx_lt_u32_e32 7, v0
	s_cbranch_execz .LBB123_41
; %bb.40:
	s_clause 0x1
	buffer_load_dword v4, off, s[12:15], 0 offset:344
	buffer_load_dword v5, off, s[12:15], 0 offset:348
	s_waitcnt vmcnt(0)
	v_mul_f64 v[224:225], v[4:5], v[224:225]
	ds_read2_b64 v[4:7], v74 offset0:8 offset1:9
	s_waitcnt lgkmcnt(0)
	v_fma_f64 v[242:243], -v[224:225], v[4:5], v[242:243]
	v_fma_f64 v[222:223], -v[224:225], v[6:7], v[222:223]
	ds_read2_b64 v[4:7], v74 offset0:10 offset1:11
	s_waitcnt lgkmcnt(0)
	v_fma_f64 v[240:241], -v[224:225], v[4:5], v[240:241]
	v_fma_f64 v[220:221], -v[224:225], v[6:7], v[220:221]
	;; [unrolled: 4-line block ×27, first 2 shown]
.LBB123_41:
	s_or_b32 exec_lo, exec_lo, s1
	s_mov_b32 s1, exec_lo
	s_waitcnt_vscnt null, 0x0
	s_barrier
	buffer_gl0_inv
	v_cmpx_eq_u32_e32 8, v0
	s_cbranch_execz .LBB123_44
; %bb.42:
	ds_write_b64 v1, v[242:243]
	ds_write2_b64 v74, v[222:223], v[240:241] offset0:9 offset1:10
	ds_write2_b64 v74, v[220:221], v[238:239] offset0:11 offset1:12
	;; [unrolled: 1-line block ×26, first 2 shown]
	ds_write_b64 v74, v[250:251] offset:488
	ds_read_b64 v[4:5], v1
	s_waitcnt lgkmcnt(0)
	v_cmp_neq_f64_e32 vcc_lo, 0, v[4:5]
	s_and_b32 exec_lo, exec_lo, vcc_lo
	s_cbranch_execz .LBB123_44
; %bb.43:
	v_div_scale_f64 v[6:7], null, v[4:5], v[4:5], 1.0
	v_rcp_f64_e32 v[8:9], v[6:7]
	v_fma_f64 v[10:11], -v[6:7], v[8:9], 1.0
	v_fma_f64 v[8:9], v[8:9], v[10:11], v[8:9]
	v_fma_f64 v[10:11], -v[6:7], v[8:9], 1.0
	v_fma_f64 v[8:9], v[8:9], v[10:11], v[8:9]
	v_div_scale_f64 v[10:11], vcc_lo, 1.0, v[4:5], 1.0
	v_mul_f64 v[12:13], v[10:11], v[8:9]
	v_fma_f64 v[6:7], -v[6:7], v[12:13], v[10:11]
	v_div_fmas_f64 v[6:7], v[6:7], v[8:9], v[12:13]
	v_div_fixup_f64 v[4:5], v[6:7], v[4:5], 1.0
	ds_write_b64 v1, v[4:5]
.LBB123_44:
	s_or_b32 exec_lo, exec_lo, s1
	s_waitcnt lgkmcnt(0)
	s_barrier
	buffer_gl0_inv
	ds_read_b64 v[4:5], v1
	s_mov_b32 s1, exec_lo
	s_waitcnt lgkmcnt(0)
	buffer_store_dword v4, off, s[12:15], 0 offset:352 ; 4-byte Folded Spill
	buffer_store_dword v5, off, s[12:15], 0 offset:356 ; 4-byte Folded Spill
	v_cmpx_lt_u32_e32 8, v0
	s_cbranch_execz .LBB123_46
; %bb.45:
	s_clause 0x1
	buffer_load_dword v4, off, s[12:15], 0 offset:352
	buffer_load_dword v5, off, s[12:15], 0 offset:356
	s_waitcnt vmcnt(0)
	v_mul_f64 v[242:243], v[4:5], v[242:243]
	ds_read2_b64 v[4:7], v74 offset0:9 offset1:10
	s_waitcnt lgkmcnt(0)
	v_fma_f64 v[222:223], -v[242:243], v[4:5], v[222:223]
	v_fma_f64 v[240:241], -v[242:243], v[6:7], v[240:241]
	ds_read2_b64 v[4:7], v74 offset0:11 offset1:12
	s_waitcnt lgkmcnt(0)
	v_fma_f64 v[220:221], -v[242:243], v[4:5], v[220:221]
	v_fma_f64 v[238:239], -v[242:243], v[6:7], v[238:239]
	;; [unrolled: 4-line block ×25, first 2 shown]
	ds_read2_b64 v[4:7], v74 offset0:59 offset1:60
	s_waitcnt lgkmcnt(0)
	v_fma_f64 v[128:129], -v[242:243], v[4:5], v[128:129]
	ds_read_b64 v[4:5], v74 offset:488
	v_fma_f64 v[170:171], -v[242:243], v[6:7], v[170:171]
	s_waitcnt lgkmcnt(0)
	v_fma_f64 v[250:251], -v[242:243], v[4:5], v[250:251]
.LBB123_46:
	s_or_b32 exec_lo, exec_lo, s1
	s_mov_b32 s1, exec_lo
	s_waitcnt_vscnt null, 0x0
	s_barrier
	buffer_gl0_inv
	v_cmpx_eq_u32_e32 9, v0
	s_cbranch_execz .LBB123_49
; %bb.47:
	v_mov_b32_e32 v4, v240
	v_mov_b32_e32 v5, v241
	;; [unrolled: 1-line block ×4, first 2 shown]
	ds_write_b64 v1, v[222:223]
	ds_write2_b64 v74, v[4:5], v[6:7] offset0:10 offset1:11
	v_mov_b32_e32 v4, v238
	v_mov_b32_e32 v5, v239
	v_mov_b32_e32 v6, v218
	v_mov_b32_e32 v7, v219
	ds_write2_b64 v74, v[4:5], v[6:7] offset0:12 offset1:13
	v_mov_b32_e32 v4, v236
	v_mov_b32_e32 v5, v237
	v_mov_b32_e32 v6, v216
	v_mov_b32_e32 v7, v217
	;; [unrolled: 5-line block ×24, first 2 shown]
	ds_write2_b64 v74, v[4:5], v[6:7] offset0:58 offset1:59
	v_mov_b32_e32 v4, v170
	v_mov_b32_e32 v5, v171
	ds_write2_b64 v74, v[4:5], v[250:251] offset0:60 offset1:61
	ds_read_b64 v[4:5], v1
	s_waitcnt lgkmcnt(0)
	v_cmp_neq_f64_e32 vcc_lo, 0, v[4:5]
	s_and_b32 exec_lo, exec_lo, vcc_lo
	s_cbranch_execz .LBB123_49
; %bb.48:
	v_div_scale_f64 v[6:7], null, v[4:5], v[4:5], 1.0
	v_rcp_f64_e32 v[8:9], v[6:7]
	v_fma_f64 v[10:11], -v[6:7], v[8:9], 1.0
	v_fma_f64 v[8:9], v[8:9], v[10:11], v[8:9]
	v_fma_f64 v[10:11], -v[6:7], v[8:9], 1.0
	v_fma_f64 v[8:9], v[8:9], v[10:11], v[8:9]
	v_div_scale_f64 v[10:11], vcc_lo, 1.0, v[4:5], 1.0
	v_mul_f64 v[12:13], v[10:11], v[8:9]
	v_fma_f64 v[6:7], -v[6:7], v[12:13], v[10:11]
	v_div_fmas_f64 v[6:7], v[6:7], v[8:9], v[12:13]
	v_div_fixup_f64 v[4:5], v[6:7], v[4:5], 1.0
	ds_write_b64 v1, v[4:5]
.LBB123_49:
	s_or_b32 exec_lo, exec_lo, s1
	s_waitcnt lgkmcnt(0)
	s_barrier
	buffer_gl0_inv
	ds_read_b64 v[4:5], v1
	s_mov_b32 s1, exec_lo
	s_waitcnt lgkmcnt(0)
	buffer_store_dword v4, off, s[12:15], 0 offset:360 ; 4-byte Folded Spill
	buffer_store_dword v5, off, s[12:15], 0 offset:364 ; 4-byte Folded Spill
	v_cmpx_lt_u32_e32 9, v0
	s_cbranch_execz .LBB123_51
; %bb.50:
	s_clause 0x1
	buffer_load_dword v4, off, s[12:15], 0 offset:360
	buffer_load_dword v5, off, s[12:15], 0 offset:364
	s_waitcnt vmcnt(0)
	v_mul_f64 v[222:223], v[4:5], v[222:223]
	ds_read2_b64 v[4:7], v74 offset0:10 offset1:11
	s_waitcnt lgkmcnt(0)
	v_fma_f64 v[240:241], -v[222:223], v[4:5], v[240:241]
	v_fma_f64 v[220:221], -v[222:223], v[6:7], v[220:221]
	ds_read2_b64 v[4:7], v74 offset0:12 offset1:13
	s_waitcnt lgkmcnt(0)
	v_fma_f64 v[238:239], -v[222:223], v[4:5], v[238:239]
	v_fma_f64 v[218:219], -v[222:223], v[6:7], v[218:219]
	;; [unrolled: 4-line block ×26, first 2 shown]
.LBB123_51:
	s_or_b32 exec_lo, exec_lo, s1
	s_mov_b32 s1, exec_lo
	s_waitcnt_vscnt null, 0x0
	s_barrier
	buffer_gl0_inv
	v_cmpx_eq_u32_e32 10, v0
	s_cbranch_execz .LBB123_54
; %bb.52:
	ds_write_b64 v1, v[240:241]
	ds_write2_b64 v74, v[220:221], v[238:239] offset0:11 offset1:12
	ds_write2_b64 v74, v[218:219], v[236:237] offset0:13 offset1:14
	;; [unrolled: 1-line block ×25, first 2 shown]
	ds_write_b64 v74, v[250:251] offset:488
	ds_read_b64 v[4:5], v1
	s_waitcnt lgkmcnt(0)
	v_cmp_neq_f64_e32 vcc_lo, 0, v[4:5]
	s_and_b32 exec_lo, exec_lo, vcc_lo
	s_cbranch_execz .LBB123_54
; %bb.53:
	v_div_scale_f64 v[6:7], null, v[4:5], v[4:5], 1.0
	v_rcp_f64_e32 v[8:9], v[6:7]
	v_fma_f64 v[10:11], -v[6:7], v[8:9], 1.0
	v_fma_f64 v[8:9], v[8:9], v[10:11], v[8:9]
	v_fma_f64 v[10:11], -v[6:7], v[8:9], 1.0
	v_fma_f64 v[8:9], v[8:9], v[10:11], v[8:9]
	v_div_scale_f64 v[10:11], vcc_lo, 1.0, v[4:5], 1.0
	v_mul_f64 v[12:13], v[10:11], v[8:9]
	v_fma_f64 v[6:7], -v[6:7], v[12:13], v[10:11]
	v_div_fmas_f64 v[6:7], v[6:7], v[8:9], v[12:13]
	v_div_fixup_f64 v[4:5], v[6:7], v[4:5], 1.0
	ds_write_b64 v1, v[4:5]
.LBB123_54:
	s_or_b32 exec_lo, exec_lo, s1
	s_waitcnt lgkmcnt(0)
	s_barrier
	buffer_gl0_inv
	ds_read_b64 v[4:5], v1
	s_mov_b32 s1, exec_lo
	s_waitcnt lgkmcnt(0)
	buffer_store_dword v4, off, s[12:15], 0 offset:368 ; 4-byte Folded Spill
	buffer_store_dword v5, off, s[12:15], 0 offset:372 ; 4-byte Folded Spill
	v_cmpx_lt_u32_e32 10, v0
	s_cbranch_execz .LBB123_56
; %bb.55:
	s_clause 0x1
	buffer_load_dword v4, off, s[12:15], 0 offset:368
	buffer_load_dword v5, off, s[12:15], 0 offset:372
	s_waitcnt vmcnt(0)
	v_mul_f64 v[240:241], v[4:5], v[240:241]
	ds_read2_b64 v[4:7], v74 offset0:11 offset1:12
	s_waitcnt lgkmcnt(0)
	v_fma_f64 v[220:221], -v[240:241], v[4:5], v[220:221]
	v_fma_f64 v[238:239], -v[240:241], v[6:7], v[238:239]
	ds_read2_b64 v[4:7], v74 offset0:13 offset1:14
	s_waitcnt lgkmcnt(0)
	v_fma_f64 v[218:219], -v[240:241], v[4:5], v[218:219]
	v_fma_f64 v[236:237], -v[240:241], v[6:7], v[236:237]
	;; [unrolled: 4-line block ×24, first 2 shown]
	ds_read2_b64 v[4:7], v74 offset0:59 offset1:60
	s_waitcnt lgkmcnt(0)
	v_fma_f64 v[128:129], -v[240:241], v[4:5], v[128:129]
	ds_read_b64 v[4:5], v74 offset:488
	v_fma_f64 v[170:171], -v[240:241], v[6:7], v[170:171]
	s_waitcnt lgkmcnt(0)
	v_fma_f64 v[250:251], -v[240:241], v[4:5], v[250:251]
.LBB123_56:
	s_or_b32 exec_lo, exec_lo, s1
	s_mov_b32 s1, exec_lo
	s_waitcnt_vscnt null, 0x0
	s_barrier
	buffer_gl0_inv
	v_cmpx_eq_u32_e32 11, v0
	s_cbranch_execz .LBB123_59
; %bb.57:
	v_mov_b32_e32 v4, v238
	v_mov_b32_e32 v5, v239
	;; [unrolled: 1-line block ×4, first 2 shown]
	ds_write_b64 v1, v[220:221]
	ds_write2_b64 v74, v[4:5], v[6:7] offset0:12 offset1:13
	v_mov_b32_e32 v4, v236
	v_mov_b32_e32 v5, v237
	v_mov_b32_e32 v6, v216
	v_mov_b32_e32 v7, v217
	ds_write2_b64 v74, v[4:5], v[6:7] offset0:14 offset1:15
	v_mov_b32_e32 v4, v234
	v_mov_b32_e32 v5, v235
	v_mov_b32_e32 v6, v214
	v_mov_b32_e32 v7, v215
	;; [unrolled: 5-line block ×23, first 2 shown]
	ds_write2_b64 v74, v[4:5], v[6:7] offset0:58 offset1:59
	v_mov_b32_e32 v4, v170
	v_mov_b32_e32 v5, v171
	ds_write2_b64 v74, v[4:5], v[250:251] offset0:60 offset1:61
	ds_read_b64 v[4:5], v1
	s_waitcnt lgkmcnt(0)
	v_cmp_neq_f64_e32 vcc_lo, 0, v[4:5]
	s_and_b32 exec_lo, exec_lo, vcc_lo
	s_cbranch_execz .LBB123_59
; %bb.58:
	v_div_scale_f64 v[6:7], null, v[4:5], v[4:5], 1.0
	v_rcp_f64_e32 v[8:9], v[6:7]
	v_fma_f64 v[10:11], -v[6:7], v[8:9], 1.0
	v_fma_f64 v[8:9], v[8:9], v[10:11], v[8:9]
	v_fma_f64 v[10:11], -v[6:7], v[8:9], 1.0
	v_fma_f64 v[8:9], v[8:9], v[10:11], v[8:9]
	v_div_scale_f64 v[10:11], vcc_lo, 1.0, v[4:5], 1.0
	v_mul_f64 v[12:13], v[10:11], v[8:9]
	v_fma_f64 v[6:7], -v[6:7], v[12:13], v[10:11]
	v_div_fmas_f64 v[6:7], v[6:7], v[8:9], v[12:13]
	v_div_fixup_f64 v[4:5], v[6:7], v[4:5], 1.0
	ds_write_b64 v1, v[4:5]
.LBB123_59:
	s_or_b32 exec_lo, exec_lo, s1
	s_waitcnt lgkmcnt(0)
	s_barrier
	buffer_gl0_inv
	ds_read_b64 v[4:5], v1
	s_mov_b32 s1, exec_lo
	s_waitcnt lgkmcnt(0)
	buffer_store_dword v4, off, s[12:15], 0 offset:376 ; 4-byte Folded Spill
	buffer_store_dword v5, off, s[12:15], 0 offset:380 ; 4-byte Folded Spill
	v_cmpx_lt_u32_e32 11, v0
	s_cbranch_execz .LBB123_61
; %bb.60:
	s_clause 0x1
	buffer_load_dword v4, off, s[12:15], 0 offset:376
	buffer_load_dword v5, off, s[12:15], 0 offset:380
	s_waitcnt vmcnt(0)
	v_mul_f64 v[220:221], v[4:5], v[220:221]
	ds_read2_b64 v[4:7], v74 offset0:12 offset1:13
	s_waitcnt lgkmcnt(0)
	v_fma_f64 v[238:239], -v[220:221], v[4:5], v[238:239]
	v_fma_f64 v[218:219], -v[220:221], v[6:7], v[218:219]
	ds_read2_b64 v[4:7], v74 offset0:14 offset1:15
	s_waitcnt lgkmcnt(0)
	v_fma_f64 v[236:237], -v[220:221], v[4:5], v[236:237]
	v_fma_f64 v[216:217], -v[220:221], v[6:7], v[216:217]
	;; [unrolled: 4-line block ×25, first 2 shown]
.LBB123_61:
	s_or_b32 exec_lo, exec_lo, s1
	s_mov_b32 s1, exec_lo
	s_waitcnt_vscnt null, 0x0
	s_barrier
	buffer_gl0_inv
	v_cmpx_eq_u32_e32 12, v0
	s_cbranch_execz .LBB123_64
; %bb.62:
	ds_write_b64 v1, v[238:239]
	ds_write2_b64 v74, v[218:219], v[236:237] offset0:13 offset1:14
	ds_write2_b64 v74, v[216:217], v[234:235] offset0:15 offset1:16
	;; [unrolled: 1-line block ×24, first 2 shown]
	ds_write_b64 v74, v[250:251] offset:488
	ds_read_b64 v[4:5], v1
	s_waitcnt lgkmcnt(0)
	v_cmp_neq_f64_e32 vcc_lo, 0, v[4:5]
	s_and_b32 exec_lo, exec_lo, vcc_lo
	s_cbranch_execz .LBB123_64
; %bb.63:
	v_div_scale_f64 v[6:7], null, v[4:5], v[4:5], 1.0
	v_rcp_f64_e32 v[8:9], v[6:7]
	v_fma_f64 v[10:11], -v[6:7], v[8:9], 1.0
	v_fma_f64 v[8:9], v[8:9], v[10:11], v[8:9]
	v_fma_f64 v[10:11], -v[6:7], v[8:9], 1.0
	v_fma_f64 v[8:9], v[8:9], v[10:11], v[8:9]
	v_div_scale_f64 v[10:11], vcc_lo, 1.0, v[4:5], 1.0
	v_mul_f64 v[12:13], v[10:11], v[8:9]
	v_fma_f64 v[6:7], -v[6:7], v[12:13], v[10:11]
	v_div_fmas_f64 v[6:7], v[6:7], v[8:9], v[12:13]
	v_div_fixup_f64 v[4:5], v[6:7], v[4:5], 1.0
	ds_write_b64 v1, v[4:5]
.LBB123_64:
	s_or_b32 exec_lo, exec_lo, s1
	s_waitcnt lgkmcnt(0)
	s_barrier
	buffer_gl0_inv
	ds_read_b64 v[4:5], v1
	s_mov_b32 s1, exec_lo
	s_waitcnt lgkmcnt(0)
	buffer_store_dword v4, off, s[12:15], 0 offset:384 ; 4-byte Folded Spill
	buffer_store_dword v5, off, s[12:15], 0 offset:388 ; 4-byte Folded Spill
	v_cmpx_lt_u32_e32 12, v0
	s_cbranch_execz .LBB123_66
; %bb.65:
	s_clause 0x1
	buffer_load_dword v4, off, s[12:15], 0 offset:384
	buffer_load_dword v5, off, s[12:15], 0 offset:388
	s_waitcnt vmcnt(0)
	v_mul_f64 v[238:239], v[4:5], v[238:239]
	ds_read2_b64 v[4:7], v74 offset0:13 offset1:14
	s_waitcnt lgkmcnt(0)
	v_fma_f64 v[218:219], -v[238:239], v[4:5], v[218:219]
	v_fma_f64 v[236:237], -v[238:239], v[6:7], v[236:237]
	ds_read2_b64 v[4:7], v74 offset0:15 offset1:16
	s_waitcnt lgkmcnt(0)
	v_fma_f64 v[216:217], -v[238:239], v[4:5], v[216:217]
	v_fma_f64 v[234:235], -v[238:239], v[6:7], v[234:235]
	;; [unrolled: 4-line block ×23, first 2 shown]
	ds_read2_b64 v[4:7], v74 offset0:59 offset1:60
	s_waitcnt lgkmcnt(0)
	v_fma_f64 v[128:129], -v[238:239], v[4:5], v[128:129]
	ds_read_b64 v[4:5], v74 offset:488
	v_fma_f64 v[170:171], -v[238:239], v[6:7], v[170:171]
	s_waitcnt lgkmcnt(0)
	v_fma_f64 v[250:251], -v[238:239], v[4:5], v[250:251]
.LBB123_66:
	s_or_b32 exec_lo, exec_lo, s1
	s_mov_b32 s1, exec_lo
	s_waitcnt_vscnt null, 0x0
	s_barrier
	buffer_gl0_inv
	v_cmpx_eq_u32_e32 13, v0
	s_cbranch_execz .LBB123_69
; %bb.67:
	v_mov_b32_e32 v4, v236
	v_mov_b32_e32 v5, v237
	;; [unrolled: 1-line block ×4, first 2 shown]
	ds_write_b64 v1, v[218:219]
	ds_write2_b64 v74, v[4:5], v[6:7] offset0:14 offset1:15
	v_mov_b32_e32 v4, v234
	v_mov_b32_e32 v5, v235
	v_mov_b32_e32 v6, v214
	v_mov_b32_e32 v7, v215
	ds_write2_b64 v74, v[4:5], v[6:7] offset0:16 offset1:17
	v_mov_b32_e32 v4, v232
	v_mov_b32_e32 v5, v233
	v_mov_b32_e32 v6, v168
	v_mov_b32_e32 v7, v169
	;; [unrolled: 5-line block ×22, first 2 shown]
	ds_write2_b64 v74, v[4:5], v[6:7] offset0:58 offset1:59
	v_mov_b32_e32 v4, v170
	v_mov_b32_e32 v5, v171
	ds_write2_b64 v74, v[4:5], v[250:251] offset0:60 offset1:61
	ds_read_b64 v[4:5], v1
	s_waitcnt lgkmcnt(0)
	v_cmp_neq_f64_e32 vcc_lo, 0, v[4:5]
	s_and_b32 exec_lo, exec_lo, vcc_lo
	s_cbranch_execz .LBB123_69
; %bb.68:
	v_div_scale_f64 v[6:7], null, v[4:5], v[4:5], 1.0
	v_rcp_f64_e32 v[8:9], v[6:7]
	v_fma_f64 v[10:11], -v[6:7], v[8:9], 1.0
	v_fma_f64 v[8:9], v[8:9], v[10:11], v[8:9]
	v_fma_f64 v[10:11], -v[6:7], v[8:9], 1.0
	v_fma_f64 v[8:9], v[8:9], v[10:11], v[8:9]
	v_div_scale_f64 v[10:11], vcc_lo, 1.0, v[4:5], 1.0
	v_mul_f64 v[12:13], v[10:11], v[8:9]
	v_fma_f64 v[6:7], -v[6:7], v[12:13], v[10:11]
	v_div_fmas_f64 v[6:7], v[6:7], v[8:9], v[12:13]
	v_div_fixup_f64 v[4:5], v[6:7], v[4:5], 1.0
	ds_write_b64 v1, v[4:5]
.LBB123_69:
	s_or_b32 exec_lo, exec_lo, s1
	s_waitcnt lgkmcnt(0)
	s_barrier
	buffer_gl0_inv
	ds_read_b64 v[4:5], v1
	s_mov_b32 s1, exec_lo
	s_waitcnt lgkmcnt(0)
	buffer_store_dword v4, off, s[12:15], 0 offset:392 ; 4-byte Folded Spill
	buffer_store_dword v5, off, s[12:15], 0 offset:396 ; 4-byte Folded Spill
	v_cmpx_lt_u32_e32 13, v0
	s_cbranch_execz .LBB123_71
; %bb.70:
	s_clause 0x1
	buffer_load_dword v4, off, s[12:15], 0 offset:392
	buffer_load_dword v5, off, s[12:15], 0 offset:396
	s_waitcnt vmcnt(0)
	v_mul_f64 v[218:219], v[4:5], v[218:219]
	ds_read2_b64 v[4:7], v74 offset0:14 offset1:15
	s_waitcnt lgkmcnt(0)
	v_fma_f64 v[236:237], -v[218:219], v[4:5], v[236:237]
	v_fma_f64 v[216:217], -v[218:219], v[6:7], v[216:217]
	ds_read2_b64 v[4:7], v74 offset0:16 offset1:17
	s_waitcnt lgkmcnt(0)
	v_fma_f64 v[234:235], -v[218:219], v[4:5], v[234:235]
	v_fma_f64 v[214:215], -v[218:219], v[6:7], v[214:215]
	;; [unrolled: 4-line block ×24, first 2 shown]
.LBB123_71:
	s_or_b32 exec_lo, exec_lo, s1
	s_mov_b32 s1, exec_lo
	s_waitcnt_vscnt null, 0x0
	s_barrier
	buffer_gl0_inv
	v_cmpx_eq_u32_e32 14, v0
	s_cbranch_execz .LBB123_74
; %bb.72:
	ds_write_b64 v1, v[236:237]
	ds_write2_b64 v74, v[216:217], v[234:235] offset0:15 offset1:16
	ds_write2_b64 v74, v[214:215], v[232:233] offset0:17 offset1:18
	;; [unrolled: 1-line block ×23, first 2 shown]
	ds_write_b64 v74, v[250:251] offset:488
	ds_read_b64 v[4:5], v1
	s_waitcnt lgkmcnt(0)
	v_cmp_neq_f64_e32 vcc_lo, 0, v[4:5]
	s_and_b32 exec_lo, exec_lo, vcc_lo
	s_cbranch_execz .LBB123_74
; %bb.73:
	v_div_scale_f64 v[6:7], null, v[4:5], v[4:5], 1.0
	v_rcp_f64_e32 v[8:9], v[6:7]
	v_fma_f64 v[10:11], -v[6:7], v[8:9], 1.0
	v_fma_f64 v[8:9], v[8:9], v[10:11], v[8:9]
	v_fma_f64 v[10:11], -v[6:7], v[8:9], 1.0
	v_fma_f64 v[8:9], v[8:9], v[10:11], v[8:9]
	v_div_scale_f64 v[10:11], vcc_lo, 1.0, v[4:5], 1.0
	v_mul_f64 v[12:13], v[10:11], v[8:9]
	v_fma_f64 v[6:7], -v[6:7], v[12:13], v[10:11]
	v_div_fmas_f64 v[6:7], v[6:7], v[8:9], v[12:13]
	v_div_fixup_f64 v[4:5], v[6:7], v[4:5], 1.0
	ds_write_b64 v1, v[4:5]
.LBB123_74:
	s_or_b32 exec_lo, exec_lo, s1
	s_waitcnt lgkmcnt(0)
	s_barrier
	buffer_gl0_inv
	ds_read_b64 v[4:5], v1
	s_mov_b32 s1, exec_lo
	s_waitcnt lgkmcnt(0)
	buffer_store_dword v4, off, s[12:15], 0 offset:400 ; 4-byte Folded Spill
	buffer_store_dword v5, off, s[12:15], 0 offset:404 ; 4-byte Folded Spill
	v_cmpx_lt_u32_e32 14, v0
	s_cbranch_execz .LBB123_76
; %bb.75:
	s_clause 0x1
	buffer_load_dword v4, off, s[12:15], 0 offset:400
	buffer_load_dword v5, off, s[12:15], 0 offset:404
	s_waitcnt vmcnt(0)
	v_mul_f64 v[236:237], v[4:5], v[236:237]
	ds_read2_b64 v[4:7], v74 offset0:15 offset1:16
	s_waitcnt lgkmcnt(0)
	v_fma_f64 v[216:217], -v[236:237], v[4:5], v[216:217]
	v_fma_f64 v[234:235], -v[236:237], v[6:7], v[234:235]
	ds_read2_b64 v[4:7], v74 offset0:17 offset1:18
	s_waitcnt lgkmcnt(0)
	v_fma_f64 v[214:215], -v[236:237], v[4:5], v[214:215]
	v_fma_f64 v[232:233], -v[236:237], v[6:7], v[232:233]
	;; [unrolled: 4-line block ×22, first 2 shown]
	ds_read2_b64 v[4:7], v74 offset0:59 offset1:60
	s_waitcnt lgkmcnt(0)
	v_fma_f64 v[128:129], -v[236:237], v[4:5], v[128:129]
	ds_read_b64 v[4:5], v74 offset:488
	v_fma_f64 v[170:171], -v[236:237], v[6:7], v[170:171]
	s_waitcnt lgkmcnt(0)
	v_fma_f64 v[250:251], -v[236:237], v[4:5], v[250:251]
.LBB123_76:
	s_or_b32 exec_lo, exec_lo, s1
	s_mov_b32 s1, exec_lo
	s_waitcnt_vscnt null, 0x0
	s_barrier
	buffer_gl0_inv
	v_cmpx_eq_u32_e32 15, v0
	s_cbranch_execz .LBB123_79
; %bb.77:
	v_mov_b32_e32 v4, v234
	v_mov_b32_e32 v5, v235
	;; [unrolled: 1-line block ×4, first 2 shown]
	ds_write_b64 v1, v[216:217]
	ds_write2_b64 v74, v[4:5], v[6:7] offset0:16 offset1:17
	v_mov_b32_e32 v4, v232
	v_mov_b32_e32 v5, v233
	v_mov_b32_e32 v6, v168
	v_mov_b32_e32 v7, v169
	ds_write2_b64 v74, v[4:5], v[6:7] offset0:18 offset1:19
	v_mov_b32_e32 v4, v210
	v_mov_b32_e32 v5, v211
	v_mov_b32_e32 v6, v166
	v_mov_b32_e32 v7, v167
	ds_write2_b64 v74, v[4:5], v[6:7] offset0:20 offset1:21
	v_mov_b32_e32 v4, v208
	v_mov_b32_e32 v5, v209
	v_mov_b32_e32 v6, v164
	v_mov_b32_e32 v7, v165
	ds_write2_b64 v74, v[4:5], v[6:7] offset0:22 offset1:23
	v_mov_b32_e32 v4, v206
	v_mov_b32_e32 v5, v207
	v_mov_b32_e32 v6, v162
	v_mov_b32_e32 v7, v163
	ds_write2_b64 v74, v[4:5], v[6:7] offset0:24 offset1:25
	v_mov_b32_e32 v4, v204
	v_mov_b32_e32 v5, v205
	v_mov_b32_e32 v6, v160
	v_mov_b32_e32 v7, v161
	ds_write2_b64 v74, v[4:5], v[6:7] offset0:26 offset1:27
	v_mov_b32_e32 v4, v202
	v_mov_b32_e32 v5, v203
	v_mov_b32_e32 v6, v158
	v_mov_b32_e32 v7, v159
	ds_write2_b64 v74, v[4:5], v[6:7] offset0:28 offset1:29
	v_mov_b32_e32 v4, v200
	v_mov_b32_e32 v5, v201
	v_mov_b32_e32 v6, v156
	v_mov_b32_e32 v7, v157
	ds_write2_b64 v74, v[4:5], v[6:7] offset0:30 offset1:31
	v_mov_b32_e32 v4, v198
	v_mov_b32_e32 v5, v199
	v_mov_b32_e32 v6, v154
	v_mov_b32_e32 v7, v155
	ds_write2_b64 v74, v[4:5], v[6:7] offset0:32 offset1:33
	v_mov_b32_e32 v4, v196
	v_mov_b32_e32 v5, v197
	v_mov_b32_e32 v6, v152
	v_mov_b32_e32 v7, v153
	ds_write2_b64 v74, v[4:5], v[6:7] offset0:34 offset1:35
	v_mov_b32_e32 v4, v194
	v_mov_b32_e32 v5, v195
	v_mov_b32_e32 v6, v150
	v_mov_b32_e32 v7, v151
	ds_write2_b64 v74, v[4:5], v[6:7] offset0:36 offset1:37
	v_mov_b32_e32 v4, v192
	v_mov_b32_e32 v5, v193
	v_mov_b32_e32 v6, v148
	v_mov_b32_e32 v7, v149
	ds_write2_b64 v74, v[4:5], v[6:7] offset0:38 offset1:39
	v_mov_b32_e32 v4, v190
	v_mov_b32_e32 v5, v191
	v_mov_b32_e32 v6, v146
	v_mov_b32_e32 v7, v147
	ds_write2_b64 v74, v[4:5], v[6:7] offset0:40 offset1:41
	v_mov_b32_e32 v4, v188
	v_mov_b32_e32 v5, v189
	v_mov_b32_e32 v6, v144
	v_mov_b32_e32 v7, v145
	ds_write2_b64 v74, v[4:5], v[6:7] offset0:42 offset1:43
	v_mov_b32_e32 v4, v186
	v_mov_b32_e32 v5, v187
	v_mov_b32_e32 v6, v142
	v_mov_b32_e32 v7, v143
	ds_write2_b64 v74, v[4:5], v[6:7] offset0:44 offset1:45
	v_mov_b32_e32 v4, v184
	v_mov_b32_e32 v5, v185
	v_mov_b32_e32 v6, v140
	v_mov_b32_e32 v7, v141
	ds_write2_b64 v74, v[4:5], v[6:7] offset0:46 offset1:47
	v_mov_b32_e32 v4, v182
	v_mov_b32_e32 v5, v183
	v_mov_b32_e32 v6, v138
	v_mov_b32_e32 v7, v139
	ds_write2_b64 v74, v[4:5], v[6:7] offset0:48 offset1:49
	v_mov_b32_e32 v4, v180
	v_mov_b32_e32 v5, v181
	v_mov_b32_e32 v6, v136
	v_mov_b32_e32 v7, v137
	ds_write2_b64 v74, v[4:5], v[6:7] offset0:50 offset1:51
	v_mov_b32_e32 v4, v178
	v_mov_b32_e32 v5, v179
	v_mov_b32_e32 v6, v134
	v_mov_b32_e32 v7, v135
	ds_write2_b64 v74, v[4:5], v[6:7] offset0:52 offset1:53
	v_mov_b32_e32 v4, v176
	v_mov_b32_e32 v5, v177
	v_mov_b32_e32 v6, v132
	v_mov_b32_e32 v7, v133
	ds_write2_b64 v74, v[4:5], v[6:7] offset0:54 offset1:55
	v_mov_b32_e32 v4, v174
	v_mov_b32_e32 v5, v175
	v_mov_b32_e32 v6, v130
	v_mov_b32_e32 v7, v131
	ds_write2_b64 v74, v[4:5], v[6:7] offset0:56 offset1:57
	v_mov_b32_e32 v4, v172
	v_mov_b32_e32 v5, v173
	v_mov_b32_e32 v6, v128
	v_mov_b32_e32 v7, v129
	ds_write2_b64 v74, v[4:5], v[6:7] offset0:58 offset1:59
	v_mov_b32_e32 v4, v170
	v_mov_b32_e32 v5, v171
	ds_write2_b64 v74, v[4:5], v[250:251] offset0:60 offset1:61
	ds_read_b64 v[4:5], v1
	s_waitcnt lgkmcnt(0)
	v_cmp_neq_f64_e32 vcc_lo, 0, v[4:5]
	s_and_b32 exec_lo, exec_lo, vcc_lo
	s_cbranch_execz .LBB123_79
; %bb.78:
	v_div_scale_f64 v[6:7], null, v[4:5], v[4:5], 1.0
	v_rcp_f64_e32 v[8:9], v[6:7]
	v_fma_f64 v[10:11], -v[6:7], v[8:9], 1.0
	v_fma_f64 v[8:9], v[8:9], v[10:11], v[8:9]
	v_fma_f64 v[10:11], -v[6:7], v[8:9], 1.0
	v_fma_f64 v[8:9], v[8:9], v[10:11], v[8:9]
	v_div_scale_f64 v[10:11], vcc_lo, 1.0, v[4:5], 1.0
	v_mul_f64 v[12:13], v[10:11], v[8:9]
	v_fma_f64 v[6:7], -v[6:7], v[12:13], v[10:11]
	v_div_fmas_f64 v[6:7], v[6:7], v[8:9], v[12:13]
	v_div_fixup_f64 v[4:5], v[6:7], v[4:5], 1.0
	ds_write_b64 v1, v[4:5]
.LBB123_79:
	s_or_b32 exec_lo, exec_lo, s1
	s_waitcnt lgkmcnt(0)
	s_barrier
	buffer_gl0_inv
	ds_read_b64 v[4:5], v1
	s_mov_b32 s1, exec_lo
	s_waitcnt lgkmcnt(0)
	buffer_store_dword v4, off, s[12:15], 0 offset:408 ; 4-byte Folded Spill
	buffer_store_dword v5, off, s[12:15], 0 offset:412 ; 4-byte Folded Spill
	v_cmpx_lt_u32_e32 15, v0
	s_cbranch_execz .LBB123_81
; %bb.80:
	s_clause 0x1
	buffer_load_dword v4, off, s[12:15], 0 offset:408
	buffer_load_dword v5, off, s[12:15], 0 offset:412
	s_waitcnt vmcnt(0)
	v_mul_f64 v[216:217], v[4:5], v[216:217]
	ds_read2_b64 v[4:7], v74 offset0:16 offset1:17
	s_waitcnt lgkmcnt(0)
	v_fma_f64 v[234:235], -v[216:217], v[4:5], v[234:235]
	v_fma_f64 v[214:215], -v[216:217], v[6:7], v[214:215]
	ds_read2_b64 v[4:7], v74 offset0:18 offset1:19
	s_waitcnt lgkmcnt(0)
	v_fma_f64 v[232:233], -v[216:217], v[4:5], v[232:233]
	v_fma_f64 v[168:169], -v[216:217], v[6:7], v[168:169]
	;; [unrolled: 4-line block ×23, first 2 shown]
.LBB123_81:
	s_or_b32 exec_lo, exec_lo, s1
	s_mov_b32 s1, exec_lo
	s_waitcnt_vscnt null, 0x0
	s_barrier
	buffer_gl0_inv
	v_cmpx_eq_u32_e32 16, v0
	s_cbranch_execz .LBB123_84
; %bb.82:
	ds_write_b64 v1, v[234:235]
	ds_write2_b64 v74, v[214:215], v[232:233] offset0:17 offset1:18
	ds_write2_b64 v74, v[168:169], v[210:211] offset0:19 offset1:20
	;; [unrolled: 1-line block ×22, first 2 shown]
	ds_write_b64 v74, v[250:251] offset:488
	ds_read_b64 v[4:5], v1
	s_waitcnt lgkmcnt(0)
	v_cmp_neq_f64_e32 vcc_lo, 0, v[4:5]
	s_and_b32 exec_lo, exec_lo, vcc_lo
	s_cbranch_execz .LBB123_84
; %bb.83:
	v_div_scale_f64 v[6:7], null, v[4:5], v[4:5], 1.0
	v_rcp_f64_e32 v[8:9], v[6:7]
	v_fma_f64 v[10:11], -v[6:7], v[8:9], 1.0
	v_fma_f64 v[8:9], v[8:9], v[10:11], v[8:9]
	v_fma_f64 v[10:11], -v[6:7], v[8:9], 1.0
	v_fma_f64 v[8:9], v[8:9], v[10:11], v[8:9]
	v_div_scale_f64 v[10:11], vcc_lo, 1.0, v[4:5], 1.0
	v_mul_f64 v[12:13], v[10:11], v[8:9]
	v_fma_f64 v[6:7], -v[6:7], v[12:13], v[10:11]
	v_div_fmas_f64 v[6:7], v[6:7], v[8:9], v[12:13]
	v_div_fixup_f64 v[4:5], v[6:7], v[4:5], 1.0
	ds_write_b64 v1, v[4:5]
.LBB123_84:
	s_or_b32 exec_lo, exec_lo, s1
	s_waitcnt lgkmcnt(0)
	s_barrier
	buffer_gl0_inv
	ds_read_b64 v[4:5], v1
	s_mov_b32 s1, exec_lo
	s_waitcnt lgkmcnt(0)
	buffer_store_dword v4, off, s[12:15], 0 offset:416 ; 4-byte Folded Spill
	buffer_store_dword v5, off, s[12:15], 0 offset:420 ; 4-byte Folded Spill
	v_cmpx_lt_u32_e32 16, v0
	s_cbranch_execz .LBB123_86
; %bb.85:
	s_clause 0x1
	buffer_load_dword v4, off, s[12:15], 0 offset:416
	buffer_load_dword v5, off, s[12:15], 0 offset:420
	s_waitcnt vmcnt(0)
	v_mul_f64 v[234:235], v[4:5], v[234:235]
	ds_read2_b64 v[4:7], v74 offset0:17 offset1:18
	s_waitcnt lgkmcnt(0)
	v_fma_f64 v[214:215], -v[234:235], v[4:5], v[214:215]
	v_fma_f64 v[232:233], -v[234:235], v[6:7], v[232:233]
	ds_read2_b64 v[4:7], v74 offset0:19 offset1:20
	s_waitcnt lgkmcnt(0)
	v_fma_f64 v[168:169], -v[234:235], v[4:5], v[168:169]
	v_fma_f64 v[210:211], -v[234:235], v[6:7], v[210:211]
	ds_read2_b64 v[4:7], v74 offset0:21 offset1:22
	s_waitcnt lgkmcnt(0)
	v_fma_f64 v[166:167], -v[234:235], v[4:5], v[166:167]
	v_fma_f64 v[208:209], -v[234:235], v[6:7], v[208:209]
	ds_read2_b64 v[4:7], v74 offset0:23 offset1:24
	s_waitcnt lgkmcnt(0)
	v_fma_f64 v[164:165], -v[234:235], v[4:5], v[164:165]
	v_fma_f64 v[206:207], -v[234:235], v[6:7], v[206:207]
	ds_read2_b64 v[4:7], v74 offset0:25 offset1:26
	s_waitcnt lgkmcnt(0)
	v_fma_f64 v[162:163], -v[234:235], v[4:5], v[162:163]
	v_fma_f64 v[204:205], -v[234:235], v[6:7], v[204:205]
	ds_read2_b64 v[4:7], v74 offset0:27 offset1:28
	s_waitcnt lgkmcnt(0)
	v_fma_f64 v[160:161], -v[234:235], v[4:5], v[160:161]
	v_fma_f64 v[202:203], -v[234:235], v[6:7], v[202:203]
	ds_read2_b64 v[4:7], v74 offset0:29 offset1:30
	s_waitcnt lgkmcnt(0)
	v_fma_f64 v[158:159], -v[234:235], v[4:5], v[158:159]
	v_fma_f64 v[200:201], -v[234:235], v[6:7], v[200:201]
	ds_read2_b64 v[4:7], v74 offset0:31 offset1:32
	s_waitcnt lgkmcnt(0)
	v_fma_f64 v[156:157], -v[234:235], v[4:5], v[156:157]
	v_fma_f64 v[198:199], -v[234:235], v[6:7], v[198:199]
	ds_read2_b64 v[4:7], v74 offset0:33 offset1:34
	s_waitcnt lgkmcnt(0)
	v_fma_f64 v[154:155], -v[234:235], v[4:5], v[154:155]
	v_fma_f64 v[196:197], -v[234:235], v[6:7], v[196:197]
	ds_read2_b64 v[4:7], v74 offset0:35 offset1:36
	s_waitcnt lgkmcnt(0)
	v_fma_f64 v[152:153], -v[234:235], v[4:5], v[152:153]
	v_fma_f64 v[194:195], -v[234:235], v[6:7], v[194:195]
	ds_read2_b64 v[4:7], v74 offset0:37 offset1:38
	s_waitcnt lgkmcnt(0)
	v_fma_f64 v[150:151], -v[234:235], v[4:5], v[150:151]
	v_fma_f64 v[192:193], -v[234:235], v[6:7], v[192:193]
	ds_read2_b64 v[4:7], v74 offset0:39 offset1:40
	s_waitcnt lgkmcnt(0)
	v_fma_f64 v[148:149], -v[234:235], v[4:5], v[148:149]
	v_fma_f64 v[190:191], -v[234:235], v[6:7], v[190:191]
	ds_read2_b64 v[4:7], v74 offset0:41 offset1:42
	s_waitcnt lgkmcnt(0)
	v_fma_f64 v[146:147], -v[234:235], v[4:5], v[146:147]
	v_fma_f64 v[188:189], -v[234:235], v[6:7], v[188:189]
	ds_read2_b64 v[4:7], v74 offset0:43 offset1:44
	s_waitcnt lgkmcnt(0)
	v_fma_f64 v[144:145], -v[234:235], v[4:5], v[144:145]
	v_fma_f64 v[186:187], -v[234:235], v[6:7], v[186:187]
	ds_read2_b64 v[4:7], v74 offset0:45 offset1:46
	s_waitcnt lgkmcnt(0)
	v_fma_f64 v[142:143], -v[234:235], v[4:5], v[142:143]
	v_fma_f64 v[184:185], -v[234:235], v[6:7], v[184:185]
	ds_read2_b64 v[4:7], v74 offset0:47 offset1:48
	s_waitcnt lgkmcnt(0)
	v_fma_f64 v[140:141], -v[234:235], v[4:5], v[140:141]
	v_fma_f64 v[182:183], -v[234:235], v[6:7], v[182:183]
	ds_read2_b64 v[4:7], v74 offset0:49 offset1:50
	s_waitcnt lgkmcnt(0)
	v_fma_f64 v[138:139], -v[234:235], v[4:5], v[138:139]
	v_fma_f64 v[180:181], -v[234:235], v[6:7], v[180:181]
	ds_read2_b64 v[4:7], v74 offset0:51 offset1:52
	s_waitcnt lgkmcnt(0)
	v_fma_f64 v[136:137], -v[234:235], v[4:5], v[136:137]
	v_fma_f64 v[178:179], -v[234:235], v[6:7], v[178:179]
	ds_read2_b64 v[4:7], v74 offset0:53 offset1:54
	s_waitcnt lgkmcnt(0)
	v_fma_f64 v[134:135], -v[234:235], v[4:5], v[134:135]
	v_fma_f64 v[176:177], -v[234:235], v[6:7], v[176:177]
	ds_read2_b64 v[4:7], v74 offset0:55 offset1:56
	s_waitcnt lgkmcnt(0)
	v_fma_f64 v[132:133], -v[234:235], v[4:5], v[132:133]
	v_fma_f64 v[174:175], -v[234:235], v[6:7], v[174:175]
	ds_read2_b64 v[4:7], v74 offset0:57 offset1:58
	s_waitcnt lgkmcnt(0)
	v_fma_f64 v[130:131], -v[234:235], v[4:5], v[130:131]
	v_fma_f64 v[172:173], -v[234:235], v[6:7], v[172:173]
	ds_read2_b64 v[4:7], v74 offset0:59 offset1:60
	s_waitcnt lgkmcnt(0)
	v_fma_f64 v[128:129], -v[234:235], v[4:5], v[128:129]
	ds_read_b64 v[4:5], v74 offset:488
	v_fma_f64 v[170:171], -v[234:235], v[6:7], v[170:171]
	s_waitcnt lgkmcnt(0)
	v_fma_f64 v[250:251], -v[234:235], v[4:5], v[250:251]
.LBB123_86:
	s_or_b32 exec_lo, exec_lo, s1
	s_mov_b32 s1, exec_lo
	s_waitcnt_vscnt null, 0x0
	s_barrier
	buffer_gl0_inv
	v_cmpx_eq_u32_e32 17, v0
	s_cbranch_execz .LBB123_89
; %bb.87:
	v_mov_b32_e32 v4, v232
	v_mov_b32_e32 v5, v233
	;; [unrolled: 1-line block ×4, first 2 shown]
	ds_write_b64 v1, v[214:215]
	ds_write2_b64 v74, v[4:5], v[6:7] offset0:18 offset1:19
	v_mov_b32_e32 v4, v210
	v_mov_b32_e32 v5, v211
	v_mov_b32_e32 v6, v166
	v_mov_b32_e32 v7, v167
	ds_write2_b64 v74, v[4:5], v[6:7] offset0:20 offset1:21
	v_mov_b32_e32 v4, v208
	v_mov_b32_e32 v5, v209
	v_mov_b32_e32 v6, v164
	v_mov_b32_e32 v7, v165
	;; [unrolled: 5-line block ×20, first 2 shown]
	ds_write2_b64 v74, v[4:5], v[6:7] offset0:58 offset1:59
	v_mov_b32_e32 v4, v170
	v_mov_b32_e32 v5, v171
	ds_write2_b64 v74, v[4:5], v[250:251] offset0:60 offset1:61
	ds_read_b64 v[4:5], v1
	s_waitcnt lgkmcnt(0)
	v_cmp_neq_f64_e32 vcc_lo, 0, v[4:5]
	s_and_b32 exec_lo, exec_lo, vcc_lo
	s_cbranch_execz .LBB123_89
; %bb.88:
	v_div_scale_f64 v[6:7], null, v[4:5], v[4:5], 1.0
	v_rcp_f64_e32 v[8:9], v[6:7]
	v_fma_f64 v[10:11], -v[6:7], v[8:9], 1.0
	v_fma_f64 v[8:9], v[8:9], v[10:11], v[8:9]
	v_fma_f64 v[10:11], -v[6:7], v[8:9], 1.0
	v_fma_f64 v[8:9], v[8:9], v[10:11], v[8:9]
	v_div_scale_f64 v[10:11], vcc_lo, 1.0, v[4:5], 1.0
	v_mul_f64 v[12:13], v[10:11], v[8:9]
	v_fma_f64 v[6:7], -v[6:7], v[12:13], v[10:11]
	v_div_fmas_f64 v[6:7], v[6:7], v[8:9], v[12:13]
	v_div_fixup_f64 v[4:5], v[6:7], v[4:5], 1.0
	ds_write_b64 v1, v[4:5]
.LBB123_89:
	s_or_b32 exec_lo, exec_lo, s1
	s_waitcnt lgkmcnt(0)
	s_barrier
	buffer_gl0_inv
	ds_read_b64 v[4:5], v1
	s_mov_b32 s1, exec_lo
	s_waitcnt lgkmcnt(0)
	buffer_store_dword v4, off, s[12:15], 0 offset:424 ; 4-byte Folded Spill
	buffer_store_dword v5, off, s[12:15], 0 offset:428 ; 4-byte Folded Spill
	v_cmpx_lt_u32_e32 17, v0
	s_cbranch_execz .LBB123_91
; %bb.90:
	s_clause 0x1
	buffer_load_dword v4, off, s[12:15], 0 offset:424
	buffer_load_dword v5, off, s[12:15], 0 offset:428
	s_waitcnt vmcnt(0)
	v_mul_f64 v[214:215], v[4:5], v[214:215]
	ds_read2_b64 v[4:7], v74 offset0:18 offset1:19
	s_waitcnt lgkmcnt(0)
	v_fma_f64 v[232:233], -v[214:215], v[4:5], v[232:233]
	v_fma_f64 v[168:169], -v[214:215], v[6:7], v[168:169]
	ds_read2_b64 v[4:7], v74 offset0:20 offset1:21
	s_waitcnt lgkmcnt(0)
	v_fma_f64 v[210:211], -v[214:215], v[4:5], v[210:211]
	v_fma_f64 v[166:167], -v[214:215], v[6:7], v[166:167]
	;; [unrolled: 4-line block ×22, first 2 shown]
.LBB123_91:
	s_or_b32 exec_lo, exec_lo, s1
	s_mov_b32 s1, exec_lo
	s_waitcnt_vscnt null, 0x0
	s_barrier
	buffer_gl0_inv
	v_cmpx_eq_u32_e32 18, v0
	s_cbranch_execz .LBB123_94
; %bb.92:
	ds_write_b64 v1, v[232:233]
	ds_write2_b64 v74, v[168:169], v[210:211] offset0:19 offset1:20
	ds_write2_b64 v74, v[166:167], v[208:209] offset0:21 offset1:22
	;; [unrolled: 1-line block ×21, first 2 shown]
	ds_write_b64 v74, v[250:251] offset:488
	ds_read_b64 v[4:5], v1
	s_waitcnt lgkmcnt(0)
	v_cmp_neq_f64_e32 vcc_lo, 0, v[4:5]
	s_and_b32 exec_lo, exec_lo, vcc_lo
	s_cbranch_execz .LBB123_94
; %bb.93:
	v_div_scale_f64 v[6:7], null, v[4:5], v[4:5], 1.0
	v_rcp_f64_e32 v[8:9], v[6:7]
	v_fma_f64 v[10:11], -v[6:7], v[8:9], 1.0
	v_fma_f64 v[8:9], v[8:9], v[10:11], v[8:9]
	v_fma_f64 v[10:11], -v[6:7], v[8:9], 1.0
	v_fma_f64 v[8:9], v[8:9], v[10:11], v[8:9]
	v_div_scale_f64 v[10:11], vcc_lo, 1.0, v[4:5], 1.0
	v_mul_f64 v[12:13], v[10:11], v[8:9]
	v_fma_f64 v[6:7], -v[6:7], v[12:13], v[10:11]
	v_div_fmas_f64 v[6:7], v[6:7], v[8:9], v[12:13]
	v_div_fixup_f64 v[4:5], v[6:7], v[4:5], 1.0
	ds_write_b64 v1, v[4:5]
.LBB123_94:
	s_or_b32 exec_lo, exec_lo, s1
	s_waitcnt lgkmcnt(0)
	s_barrier
	buffer_gl0_inv
	ds_read_b64 v[4:5], v1
	s_mov_b32 s1, exec_lo
	s_waitcnt lgkmcnt(0)
	buffer_store_dword v4, off, s[12:15], 0 offset:432 ; 4-byte Folded Spill
	buffer_store_dword v5, off, s[12:15], 0 offset:436 ; 4-byte Folded Spill
	v_cmpx_lt_u32_e32 18, v0
	s_cbranch_execz .LBB123_96
; %bb.95:
	s_clause 0x1
	buffer_load_dword v4, off, s[12:15], 0 offset:432
	buffer_load_dword v5, off, s[12:15], 0 offset:436
	s_waitcnt vmcnt(0)
	v_mul_f64 v[232:233], v[4:5], v[232:233]
	ds_read2_b64 v[4:7], v74 offset0:19 offset1:20
	s_waitcnt lgkmcnt(0)
	v_fma_f64 v[168:169], -v[232:233], v[4:5], v[168:169]
	v_fma_f64 v[210:211], -v[232:233], v[6:7], v[210:211]
	ds_read2_b64 v[4:7], v74 offset0:21 offset1:22
	s_waitcnt lgkmcnt(0)
	v_fma_f64 v[166:167], -v[232:233], v[4:5], v[166:167]
	v_fma_f64 v[208:209], -v[232:233], v[6:7], v[208:209]
	;; [unrolled: 4-line block ×20, first 2 shown]
	ds_read2_b64 v[4:7], v74 offset0:59 offset1:60
	s_waitcnt lgkmcnt(0)
	v_fma_f64 v[128:129], -v[232:233], v[4:5], v[128:129]
	ds_read_b64 v[4:5], v74 offset:488
	v_fma_f64 v[170:171], -v[232:233], v[6:7], v[170:171]
	s_waitcnt lgkmcnt(0)
	v_fma_f64 v[250:251], -v[232:233], v[4:5], v[250:251]
.LBB123_96:
	s_or_b32 exec_lo, exec_lo, s1
	s_mov_b32 s1, exec_lo
	s_waitcnt_vscnt null, 0x0
	s_barrier
	buffer_gl0_inv
	v_cmpx_eq_u32_e32 19, v0
	s_cbranch_execz .LBB123_99
; %bb.97:
	v_mov_b32_e32 v4, v210
	v_mov_b32_e32 v5, v211
	;; [unrolled: 1-line block ×4, first 2 shown]
	ds_write_b64 v1, v[168:169]
	ds_write2_b64 v74, v[4:5], v[6:7] offset0:20 offset1:21
	v_mov_b32_e32 v4, v208
	v_mov_b32_e32 v5, v209
	v_mov_b32_e32 v6, v164
	v_mov_b32_e32 v7, v165
	ds_write2_b64 v74, v[4:5], v[6:7] offset0:22 offset1:23
	v_mov_b32_e32 v4, v206
	v_mov_b32_e32 v5, v207
	v_mov_b32_e32 v6, v162
	v_mov_b32_e32 v7, v163
	;; [unrolled: 5-line block ×19, first 2 shown]
	ds_write2_b64 v74, v[4:5], v[6:7] offset0:58 offset1:59
	v_mov_b32_e32 v4, v170
	v_mov_b32_e32 v5, v171
	ds_write2_b64 v74, v[4:5], v[250:251] offset0:60 offset1:61
	ds_read_b64 v[4:5], v1
	s_waitcnt lgkmcnt(0)
	v_cmp_neq_f64_e32 vcc_lo, 0, v[4:5]
	s_and_b32 exec_lo, exec_lo, vcc_lo
	s_cbranch_execz .LBB123_99
; %bb.98:
	v_div_scale_f64 v[6:7], null, v[4:5], v[4:5], 1.0
	v_rcp_f64_e32 v[8:9], v[6:7]
	v_fma_f64 v[10:11], -v[6:7], v[8:9], 1.0
	v_fma_f64 v[8:9], v[8:9], v[10:11], v[8:9]
	v_fma_f64 v[10:11], -v[6:7], v[8:9], 1.0
	v_fma_f64 v[8:9], v[8:9], v[10:11], v[8:9]
	v_div_scale_f64 v[10:11], vcc_lo, 1.0, v[4:5], 1.0
	v_mul_f64 v[12:13], v[10:11], v[8:9]
	v_fma_f64 v[6:7], -v[6:7], v[12:13], v[10:11]
	v_div_fmas_f64 v[6:7], v[6:7], v[8:9], v[12:13]
	v_div_fixup_f64 v[4:5], v[6:7], v[4:5], 1.0
	ds_write_b64 v1, v[4:5]
.LBB123_99:
	s_or_b32 exec_lo, exec_lo, s1
	s_waitcnt lgkmcnt(0)
	s_barrier
	buffer_gl0_inv
	ds_read_b64 v[4:5], v1
	s_mov_b32 s1, exec_lo
	s_waitcnt lgkmcnt(0)
	buffer_store_dword v4, off, s[12:15], 0 offset:440 ; 4-byte Folded Spill
	buffer_store_dword v5, off, s[12:15], 0 offset:444 ; 4-byte Folded Spill
	v_cmpx_lt_u32_e32 19, v0
	s_cbranch_execz .LBB123_101
; %bb.100:
	s_clause 0x1
	buffer_load_dword v4, off, s[12:15], 0 offset:440
	buffer_load_dword v5, off, s[12:15], 0 offset:444
	s_waitcnt vmcnt(0)
	v_mul_f64 v[168:169], v[4:5], v[168:169]
	ds_read2_b64 v[4:7], v74 offset0:20 offset1:21
	s_waitcnt lgkmcnt(0)
	v_fma_f64 v[210:211], -v[168:169], v[4:5], v[210:211]
	v_fma_f64 v[166:167], -v[168:169], v[6:7], v[166:167]
	ds_read2_b64 v[4:7], v74 offset0:22 offset1:23
	s_waitcnt lgkmcnt(0)
	v_fma_f64 v[208:209], -v[168:169], v[4:5], v[208:209]
	v_fma_f64 v[164:165], -v[168:169], v[6:7], v[164:165]
	ds_read2_b64 v[4:7], v74 offset0:24 offset1:25
	s_waitcnt lgkmcnt(0)
	v_fma_f64 v[206:207], -v[168:169], v[4:5], v[206:207]
	v_fma_f64 v[162:163], -v[168:169], v[6:7], v[162:163]
	ds_read2_b64 v[4:7], v74 offset0:26 offset1:27
	s_waitcnt lgkmcnt(0)
	v_fma_f64 v[204:205], -v[168:169], v[4:5], v[204:205]
	v_fma_f64 v[160:161], -v[168:169], v[6:7], v[160:161]
	ds_read2_b64 v[4:7], v74 offset0:28 offset1:29
	s_waitcnt lgkmcnt(0)
	v_fma_f64 v[202:203], -v[168:169], v[4:5], v[202:203]
	v_fma_f64 v[158:159], -v[168:169], v[6:7], v[158:159]
	ds_read2_b64 v[4:7], v74 offset0:30 offset1:31
	s_waitcnt lgkmcnt(0)
	v_fma_f64 v[200:201], -v[168:169], v[4:5], v[200:201]
	v_fma_f64 v[156:157], -v[168:169], v[6:7], v[156:157]
	ds_read2_b64 v[4:7], v74 offset0:32 offset1:33
	s_waitcnt lgkmcnt(0)
	v_fma_f64 v[198:199], -v[168:169], v[4:5], v[198:199]
	v_fma_f64 v[154:155], -v[168:169], v[6:7], v[154:155]
	ds_read2_b64 v[4:7], v74 offset0:34 offset1:35
	s_waitcnt lgkmcnt(0)
	v_fma_f64 v[196:197], -v[168:169], v[4:5], v[196:197]
	v_fma_f64 v[152:153], -v[168:169], v[6:7], v[152:153]
	ds_read2_b64 v[4:7], v74 offset0:36 offset1:37
	s_waitcnt lgkmcnt(0)
	v_fma_f64 v[194:195], -v[168:169], v[4:5], v[194:195]
	v_fma_f64 v[150:151], -v[168:169], v[6:7], v[150:151]
	ds_read2_b64 v[4:7], v74 offset0:38 offset1:39
	s_waitcnt lgkmcnt(0)
	v_fma_f64 v[192:193], -v[168:169], v[4:5], v[192:193]
	v_fma_f64 v[148:149], -v[168:169], v[6:7], v[148:149]
	ds_read2_b64 v[4:7], v74 offset0:40 offset1:41
	s_waitcnt lgkmcnt(0)
	v_fma_f64 v[190:191], -v[168:169], v[4:5], v[190:191]
	v_fma_f64 v[146:147], -v[168:169], v[6:7], v[146:147]
	ds_read2_b64 v[4:7], v74 offset0:42 offset1:43
	s_waitcnt lgkmcnt(0)
	v_fma_f64 v[188:189], -v[168:169], v[4:5], v[188:189]
	v_fma_f64 v[144:145], -v[168:169], v[6:7], v[144:145]
	ds_read2_b64 v[4:7], v74 offset0:44 offset1:45
	s_waitcnt lgkmcnt(0)
	v_fma_f64 v[186:187], -v[168:169], v[4:5], v[186:187]
	v_fma_f64 v[142:143], -v[168:169], v[6:7], v[142:143]
	ds_read2_b64 v[4:7], v74 offset0:46 offset1:47
	s_waitcnt lgkmcnt(0)
	v_fma_f64 v[184:185], -v[168:169], v[4:5], v[184:185]
	v_fma_f64 v[140:141], -v[168:169], v[6:7], v[140:141]
	ds_read2_b64 v[4:7], v74 offset0:48 offset1:49
	s_waitcnt lgkmcnt(0)
	v_fma_f64 v[182:183], -v[168:169], v[4:5], v[182:183]
	v_fma_f64 v[138:139], -v[168:169], v[6:7], v[138:139]
	ds_read2_b64 v[4:7], v74 offset0:50 offset1:51
	s_waitcnt lgkmcnt(0)
	v_fma_f64 v[180:181], -v[168:169], v[4:5], v[180:181]
	v_fma_f64 v[136:137], -v[168:169], v[6:7], v[136:137]
	ds_read2_b64 v[4:7], v74 offset0:52 offset1:53
	s_waitcnt lgkmcnt(0)
	v_fma_f64 v[178:179], -v[168:169], v[4:5], v[178:179]
	v_fma_f64 v[134:135], -v[168:169], v[6:7], v[134:135]
	ds_read2_b64 v[4:7], v74 offset0:54 offset1:55
	s_waitcnt lgkmcnt(0)
	v_fma_f64 v[176:177], -v[168:169], v[4:5], v[176:177]
	v_fma_f64 v[132:133], -v[168:169], v[6:7], v[132:133]
	ds_read2_b64 v[4:7], v74 offset0:56 offset1:57
	s_waitcnt lgkmcnt(0)
	v_fma_f64 v[174:175], -v[168:169], v[4:5], v[174:175]
	v_fma_f64 v[130:131], -v[168:169], v[6:7], v[130:131]
	ds_read2_b64 v[4:7], v74 offset0:58 offset1:59
	s_waitcnt lgkmcnt(0)
	v_fma_f64 v[172:173], -v[168:169], v[4:5], v[172:173]
	v_fma_f64 v[128:129], -v[168:169], v[6:7], v[128:129]
	ds_read2_b64 v[4:7], v74 offset0:60 offset1:61
	s_waitcnt lgkmcnt(0)
	v_fma_f64 v[170:171], -v[168:169], v[4:5], v[170:171]
	v_fma_f64 v[250:251], -v[168:169], v[6:7], v[250:251]
.LBB123_101:
	s_or_b32 exec_lo, exec_lo, s1
	s_mov_b32 s1, exec_lo
	s_waitcnt_vscnt null, 0x0
	s_barrier
	buffer_gl0_inv
	v_cmpx_eq_u32_e32 20, v0
	s_cbranch_execz .LBB123_104
; %bb.102:
	ds_write_b64 v1, v[210:211]
	ds_write2_b64 v74, v[166:167], v[208:209] offset0:21 offset1:22
	ds_write2_b64 v74, v[164:165], v[206:207] offset0:23 offset1:24
	;; [unrolled: 1-line block ×20, first 2 shown]
	ds_write_b64 v74, v[250:251] offset:488
	ds_read_b64 v[4:5], v1
	s_waitcnt lgkmcnt(0)
	v_cmp_neq_f64_e32 vcc_lo, 0, v[4:5]
	s_and_b32 exec_lo, exec_lo, vcc_lo
	s_cbranch_execz .LBB123_104
; %bb.103:
	v_div_scale_f64 v[6:7], null, v[4:5], v[4:5], 1.0
	v_rcp_f64_e32 v[8:9], v[6:7]
	v_fma_f64 v[10:11], -v[6:7], v[8:9], 1.0
	v_fma_f64 v[8:9], v[8:9], v[10:11], v[8:9]
	v_fma_f64 v[10:11], -v[6:7], v[8:9], 1.0
	v_fma_f64 v[8:9], v[8:9], v[10:11], v[8:9]
	v_div_scale_f64 v[10:11], vcc_lo, 1.0, v[4:5], 1.0
	v_mul_f64 v[12:13], v[10:11], v[8:9]
	v_fma_f64 v[6:7], -v[6:7], v[12:13], v[10:11]
	v_div_fmas_f64 v[6:7], v[6:7], v[8:9], v[12:13]
	v_div_fixup_f64 v[4:5], v[6:7], v[4:5], 1.0
	ds_write_b64 v1, v[4:5]
.LBB123_104:
	s_or_b32 exec_lo, exec_lo, s1
	s_waitcnt lgkmcnt(0)
	s_barrier
	buffer_gl0_inv
	ds_read_b64 v[4:5], v1
	s_mov_b32 s1, exec_lo
	s_waitcnt lgkmcnt(0)
	buffer_store_dword v4, off, s[12:15], 0 offset:448 ; 4-byte Folded Spill
	buffer_store_dword v5, off, s[12:15], 0 offset:452 ; 4-byte Folded Spill
	v_cmpx_lt_u32_e32 20, v0
	s_cbranch_execz .LBB123_106
; %bb.105:
	s_clause 0x1
	buffer_load_dword v4, off, s[12:15], 0 offset:448
	buffer_load_dword v5, off, s[12:15], 0 offset:452
	s_waitcnt vmcnt(0)
	v_mul_f64 v[210:211], v[4:5], v[210:211]
	ds_read2_b64 v[4:7], v74 offset0:21 offset1:22
	s_waitcnt lgkmcnt(0)
	v_fma_f64 v[166:167], -v[210:211], v[4:5], v[166:167]
	v_fma_f64 v[208:209], -v[210:211], v[6:7], v[208:209]
	ds_read2_b64 v[4:7], v74 offset0:23 offset1:24
	s_waitcnt lgkmcnt(0)
	v_fma_f64 v[164:165], -v[210:211], v[4:5], v[164:165]
	v_fma_f64 v[206:207], -v[210:211], v[6:7], v[206:207]
	;; [unrolled: 4-line block ×19, first 2 shown]
	ds_read2_b64 v[4:7], v74 offset0:59 offset1:60
	s_waitcnt lgkmcnt(0)
	v_fma_f64 v[128:129], -v[210:211], v[4:5], v[128:129]
	ds_read_b64 v[4:5], v74 offset:488
	v_fma_f64 v[170:171], -v[210:211], v[6:7], v[170:171]
	s_waitcnt lgkmcnt(0)
	v_fma_f64 v[250:251], -v[210:211], v[4:5], v[250:251]
.LBB123_106:
	s_or_b32 exec_lo, exec_lo, s1
	s_mov_b32 s1, exec_lo
	s_waitcnt_vscnt null, 0x0
	s_barrier
	buffer_gl0_inv
	v_cmpx_eq_u32_e32 21, v0
	s_cbranch_execz .LBB123_109
; %bb.107:
	v_mov_b32_e32 v4, v208
	v_mov_b32_e32 v5, v209
	;; [unrolled: 1-line block ×4, first 2 shown]
	ds_write_b64 v1, v[166:167]
	ds_write2_b64 v74, v[4:5], v[6:7] offset0:22 offset1:23
	v_mov_b32_e32 v4, v206
	v_mov_b32_e32 v5, v207
	v_mov_b32_e32 v6, v162
	v_mov_b32_e32 v7, v163
	ds_write2_b64 v74, v[4:5], v[6:7] offset0:24 offset1:25
	v_mov_b32_e32 v4, v204
	v_mov_b32_e32 v5, v205
	v_mov_b32_e32 v6, v160
	v_mov_b32_e32 v7, v161
	;; [unrolled: 5-line block ×18, first 2 shown]
	ds_write2_b64 v74, v[4:5], v[6:7] offset0:58 offset1:59
	v_mov_b32_e32 v4, v170
	v_mov_b32_e32 v5, v171
	ds_write2_b64 v74, v[4:5], v[250:251] offset0:60 offset1:61
	ds_read_b64 v[4:5], v1
	s_waitcnt lgkmcnt(0)
	v_cmp_neq_f64_e32 vcc_lo, 0, v[4:5]
	s_and_b32 exec_lo, exec_lo, vcc_lo
	s_cbranch_execz .LBB123_109
; %bb.108:
	v_div_scale_f64 v[6:7], null, v[4:5], v[4:5], 1.0
	v_rcp_f64_e32 v[8:9], v[6:7]
	v_fma_f64 v[10:11], -v[6:7], v[8:9], 1.0
	v_fma_f64 v[8:9], v[8:9], v[10:11], v[8:9]
	v_fma_f64 v[10:11], -v[6:7], v[8:9], 1.0
	v_fma_f64 v[8:9], v[8:9], v[10:11], v[8:9]
	v_div_scale_f64 v[10:11], vcc_lo, 1.0, v[4:5], 1.0
	v_mul_f64 v[12:13], v[10:11], v[8:9]
	v_fma_f64 v[6:7], -v[6:7], v[12:13], v[10:11]
	v_div_fmas_f64 v[6:7], v[6:7], v[8:9], v[12:13]
	v_div_fixup_f64 v[4:5], v[6:7], v[4:5], 1.0
	ds_write_b64 v1, v[4:5]
.LBB123_109:
	s_or_b32 exec_lo, exec_lo, s1
	s_waitcnt lgkmcnt(0)
	s_barrier
	buffer_gl0_inv
	ds_read_b64 v[4:5], v1
	s_mov_b32 s1, exec_lo
	s_waitcnt lgkmcnt(0)
	buffer_store_dword v4, off, s[12:15], 0 offset:456 ; 4-byte Folded Spill
	buffer_store_dword v5, off, s[12:15], 0 offset:460 ; 4-byte Folded Spill
	v_cmpx_lt_u32_e32 21, v0
	s_cbranch_execz .LBB123_111
; %bb.110:
	s_clause 0x1
	buffer_load_dword v4, off, s[12:15], 0 offset:456
	buffer_load_dword v5, off, s[12:15], 0 offset:460
	s_waitcnt vmcnt(0)
	v_mul_f64 v[166:167], v[4:5], v[166:167]
	ds_read2_b64 v[4:7], v74 offset0:22 offset1:23
	s_waitcnt lgkmcnt(0)
	v_fma_f64 v[208:209], -v[166:167], v[4:5], v[208:209]
	v_fma_f64 v[164:165], -v[166:167], v[6:7], v[164:165]
	ds_read2_b64 v[4:7], v74 offset0:24 offset1:25
	s_waitcnt lgkmcnt(0)
	v_fma_f64 v[206:207], -v[166:167], v[4:5], v[206:207]
	v_fma_f64 v[162:163], -v[166:167], v[6:7], v[162:163]
	;; [unrolled: 4-line block ×20, first 2 shown]
.LBB123_111:
	s_or_b32 exec_lo, exec_lo, s1
	s_mov_b32 s1, exec_lo
	s_waitcnt_vscnt null, 0x0
	s_barrier
	buffer_gl0_inv
	v_cmpx_eq_u32_e32 22, v0
	s_cbranch_execz .LBB123_114
; %bb.112:
	ds_write_b64 v1, v[208:209]
	ds_write2_b64 v74, v[164:165], v[206:207] offset0:23 offset1:24
	ds_write2_b64 v74, v[162:163], v[204:205] offset0:25 offset1:26
	;; [unrolled: 1-line block ×19, first 2 shown]
	ds_write_b64 v74, v[250:251] offset:488
	ds_read_b64 v[4:5], v1
	s_waitcnt lgkmcnt(0)
	v_cmp_neq_f64_e32 vcc_lo, 0, v[4:5]
	s_and_b32 exec_lo, exec_lo, vcc_lo
	s_cbranch_execz .LBB123_114
; %bb.113:
	v_div_scale_f64 v[6:7], null, v[4:5], v[4:5], 1.0
	v_rcp_f64_e32 v[8:9], v[6:7]
	v_fma_f64 v[10:11], -v[6:7], v[8:9], 1.0
	v_fma_f64 v[8:9], v[8:9], v[10:11], v[8:9]
	v_fma_f64 v[10:11], -v[6:7], v[8:9], 1.0
	v_fma_f64 v[8:9], v[8:9], v[10:11], v[8:9]
	v_div_scale_f64 v[10:11], vcc_lo, 1.0, v[4:5], 1.0
	v_mul_f64 v[12:13], v[10:11], v[8:9]
	v_fma_f64 v[6:7], -v[6:7], v[12:13], v[10:11]
	v_div_fmas_f64 v[6:7], v[6:7], v[8:9], v[12:13]
	v_div_fixup_f64 v[4:5], v[6:7], v[4:5], 1.0
	ds_write_b64 v1, v[4:5]
.LBB123_114:
	s_or_b32 exec_lo, exec_lo, s1
	s_waitcnt lgkmcnt(0)
	s_barrier
	buffer_gl0_inv
	ds_read_b64 v[4:5], v1
	s_mov_b32 s1, exec_lo
	s_waitcnt lgkmcnt(0)
	buffer_store_dword v4, off, s[12:15], 0 offset:464 ; 4-byte Folded Spill
	buffer_store_dword v5, off, s[12:15], 0 offset:468 ; 4-byte Folded Spill
	v_cmpx_lt_u32_e32 22, v0
	s_cbranch_execz .LBB123_116
; %bb.115:
	s_clause 0x1
	buffer_load_dword v4, off, s[12:15], 0 offset:464
	buffer_load_dword v5, off, s[12:15], 0 offset:468
	s_waitcnt vmcnt(0)
	v_mul_f64 v[208:209], v[4:5], v[208:209]
	ds_read2_b64 v[4:7], v74 offset0:23 offset1:24
	s_waitcnt lgkmcnt(0)
	v_fma_f64 v[164:165], -v[208:209], v[4:5], v[164:165]
	v_fma_f64 v[206:207], -v[208:209], v[6:7], v[206:207]
	ds_read2_b64 v[4:7], v74 offset0:25 offset1:26
	s_waitcnt lgkmcnt(0)
	v_fma_f64 v[162:163], -v[208:209], v[4:5], v[162:163]
	v_fma_f64 v[204:205], -v[208:209], v[6:7], v[204:205]
	;; [unrolled: 4-line block ×18, first 2 shown]
	ds_read2_b64 v[4:7], v74 offset0:59 offset1:60
	s_waitcnt lgkmcnt(0)
	v_fma_f64 v[128:129], -v[208:209], v[4:5], v[128:129]
	ds_read_b64 v[4:5], v74 offset:488
	v_fma_f64 v[170:171], -v[208:209], v[6:7], v[170:171]
	s_waitcnt lgkmcnt(0)
	v_fma_f64 v[250:251], -v[208:209], v[4:5], v[250:251]
.LBB123_116:
	s_or_b32 exec_lo, exec_lo, s1
	s_mov_b32 s1, exec_lo
	s_waitcnt_vscnt null, 0x0
	s_barrier
	buffer_gl0_inv
	v_cmpx_eq_u32_e32 23, v0
	s_cbranch_execz .LBB123_119
; %bb.117:
	v_mov_b32_e32 v4, v206
	v_mov_b32_e32 v5, v207
	;; [unrolled: 1-line block ×4, first 2 shown]
	ds_write_b64 v1, v[164:165]
	ds_write2_b64 v74, v[4:5], v[6:7] offset0:24 offset1:25
	v_mov_b32_e32 v4, v204
	v_mov_b32_e32 v5, v205
	v_mov_b32_e32 v6, v160
	v_mov_b32_e32 v7, v161
	ds_write2_b64 v74, v[4:5], v[6:7] offset0:26 offset1:27
	v_mov_b32_e32 v4, v202
	v_mov_b32_e32 v5, v203
	v_mov_b32_e32 v6, v158
	v_mov_b32_e32 v7, v159
	;; [unrolled: 5-line block ×17, first 2 shown]
	ds_write2_b64 v74, v[4:5], v[6:7] offset0:58 offset1:59
	v_mov_b32_e32 v4, v170
	v_mov_b32_e32 v5, v171
	ds_write2_b64 v74, v[4:5], v[250:251] offset0:60 offset1:61
	ds_read_b64 v[4:5], v1
	s_waitcnt lgkmcnt(0)
	v_cmp_neq_f64_e32 vcc_lo, 0, v[4:5]
	s_and_b32 exec_lo, exec_lo, vcc_lo
	s_cbranch_execz .LBB123_119
; %bb.118:
	v_div_scale_f64 v[6:7], null, v[4:5], v[4:5], 1.0
	v_rcp_f64_e32 v[8:9], v[6:7]
	v_fma_f64 v[10:11], -v[6:7], v[8:9], 1.0
	v_fma_f64 v[8:9], v[8:9], v[10:11], v[8:9]
	v_fma_f64 v[10:11], -v[6:7], v[8:9], 1.0
	v_fma_f64 v[8:9], v[8:9], v[10:11], v[8:9]
	v_div_scale_f64 v[10:11], vcc_lo, 1.0, v[4:5], 1.0
	v_mul_f64 v[12:13], v[10:11], v[8:9]
	v_fma_f64 v[6:7], -v[6:7], v[12:13], v[10:11]
	v_div_fmas_f64 v[6:7], v[6:7], v[8:9], v[12:13]
	v_div_fixup_f64 v[4:5], v[6:7], v[4:5], 1.0
	ds_write_b64 v1, v[4:5]
.LBB123_119:
	s_or_b32 exec_lo, exec_lo, s1
	s_waitcnt lgkmcnt(0)
	s_barrier
	buffer_gl0_inv
	ds_read_b64 v[4:5], v1
	s_mov_b32 s1, exec_lo
	s_waitcnt lgkmcnt(0)
	buffer_store_dword v4, off, s[12:15], 0 offset:472 ; 4-byte Folded Spill
	buffer_store_dword v5, off, s[12:15], 0 offset:476 ; 4-byte Folded Spill
	v_cmpx_lt_u32_e32 23, v0
	s_cbranch_execz .LBB123_121
; %bb.120:
	s_clause 0x1
	buffer_load_dword v4, off, s[12:15], 0 offset:472
	buffer_load_dword v5, off, s[12:15], 0 offset:476
	s_waitcnt vmcnt(0)
	v_mul_f64 v[164:165], v[4:5], v[164:165]
	ds_read2_b64 v[4:7], v74 offset0:24 offset1:25
	s_waitcnt lgkmcnt(0)
	v_fma_f64 v[206:207], -v[164:165], v[4:5], v[206:207]
	v_fma_f64 v[162:163], -v[164:165], v[6:7], v[162:163]
	ds_read2_b64 v[4:7], v74 offset0:26 offset1:27
	s_waitcnt lgkmcnt(0)
	v_fma_f64 v[204:205], -v[164:165], v[4:5], v[204:205]
	v_fma_f64 v[160:161], -v[164:165], v[6:7], v[160:161]
	;; [unrolled: 4-line block ×19, first 2 shown]
.LBB123_121:
	s_or_b32 exec_lo, exec_lo, s1
	s_mov_b32 s1, exec_lo
	s_waitcnt_vscnt null, 0x0
	s_barrier
	buffer_gl0_inv
	v_cmpx_eq_u32_e32 24, v0
	s_cbranch_execz .LBB123_124
; %bb.122:
	ds_write_b64 v1, v[206:207]
	ds_write2_b64 v74, v[162:163], v[204:205] offset0:25 offset1:26
	ds_write2_b64 v74, v[160:161], v[202:203] offset0:27 offset1:28
	;; [unrolled: 1-line block ×18, first 2 shown]
	ds_write_b64 v74, v[250:251] offset:488
	ds_read_b64 v[4:5], v1
	s_waitcnt lgkmcnt(0)
	v_cmp_neq_f64_e32 vcc_lo, 0, v[4:5]
	s_and_b32 exec_lo, exec_lo, vcc_lo
	s_cbranch_execz .LBB123_124
; %bb.123:
	v_div_scale_f64 v[6:7], null, v[4:5], v[4:5], 1.0
	v_rcp_f64_e32 v[8:9], v[6:7]
	v_fma_f64 v[10:11], -v[6:7], v[8:9], 1.0
	v_fma_f64 v[8:9], v[8:9], v[10:11], v[8:9]
	v_fma_f64 v[10:11], -v[6:7], v[8:9], 1.0
	v_fma_f64 v[8:9], v[8:9], v[10:11], v[8:9]
	v_div_scale_f64 v[10:11], vcc_lo, 1.0, v[4:5], 1.0
	v_mul_f64 v[12:13], v[10:11], v[8:9]
	v_fma_f64 v[6:7], -v[6:7], v[12:13], v[10:11]
	v_div_fmas_f64 v[6:7], v[6:7], v[8:9], v[12:13]
	v_div_fixup_f64 v[4:5], v[6:7], v[4:5], 1.0
	ds_write_b64 v1, v[4:5]
.LBB123_124:
	s_or_b32 exec_lo, exec_lo, s1
	s_waitcnt lgkmcnt(0)
	s_barrier
	buffer_gl0_inv
	ds_read_b64 v[4:5], v1
	s_mov_b32 s1, exec_lo
	s_waitcnt lgkmcnt(0)
	buffer_store_dword v4, off, s[12:15], 0 offset:480 ; 4-byte Folded Spill
	buffer_store_dword v5, off, s[12:15], 0 offset:484 ; 4-byte Folded Spill
	v_cmpx_lt_u32_e32 24, v0
	s_cbranch_execz .LBB123_126
; %bb.125:
	s_clause 0x1
	buffer_load_dword v4, off, s[12:15], 0 offset:480
	buffer_load_dword v5, off, s[12:15], 0 offset:484
	s_waitcnt vmcnt(0)
	v_mul_f64 v[206:207], v[4:5], v[206:207]
	ds_read2_b64 v[4:7], v74 offset0:25 offset1:26
	s_waitcnt lgkmcnt(0)
	v_fma_f64 v[162:163], -v[206:207], v[4:5], v[162:163]
	v_fma_f64 v[204:205], -v[206:207], v[6:7], v[204:205]
	ds_read2_b64 v[4:7], v74 offset0:27 offset1:28
	s_waitcnt lgkmcnt(0)
	v_fma_f64 v[160:161], -v[206:207], v[4:5], v[160:161]
	v_fma_f64 v[202:203], -v[206:207], v[6:7], v[202:203]
	;; [unrolled: 4-line block ×17, first 2 shown]
	ds_read2_b64 v[4:7], v74 offset0:59 offset1:60
	s_waitcnt lgkmcnt(0)
	v_fma_f64 v[128:129], -v[206:207], v[4:5], v[128:129]
	ds_read_b64 v[4:5], v74 offset:488
	v_fma_f64 v[170:171], -v[206:207], v[6:7], v[170:171]
	s_waitcnt lgkmcnt(0)
	v_fma_f64 v[250:251], -v[206:207], v[4:5], v[250:251]
.LBB123_126:
	s_or_b32 exec_lo, exec_lo, s1
	s_mov_b32 s1, exec_lo
	s_waitcnt_vscnt null, 0x0
	s_barrier
	buffer_gl0_inv
	v_cmpx_eq_u32_e32 25, v0
	s_cbranch_execz .LBB123_129
; %bb.127:
	v_mov_b32_e32 v4, v204
	v_mov_b32_e32 v5, v205
	;; [unrolled: 1-line block ×4, first 2 shown]
	ds_write_b64 v1, v[162:163]
	ds_write2_b64 v74, v[4:5], v[6:7] offset0:26 offset1:27
	v_mov_b32_e32 v4, v202
	v_mov_b32_e32 v5, v203
	v_mov_b32_e32 v6, v158
	v_mov_b32_e32 v7, v159
	ds_write2_b64 v74, v[4:5], v[6:7] offset0:28 offset1:29
	v_mov_b32_e32 v4, v200
	v_mov_b32_e32 v5, v201
	v_mov_b32_e32 v6, v156
	v_mov_b32_e32 v7, v157
	;; [unrolled: 5-line block ×16, first 2 shown]
	ds_write2_b64 v74, v[4:5], v[6:7] offset0:58 offset1:59
	v_mov_b32_e32 v4, v170
	v_mov_b32_e32 v5, v171
	ds_write2_b64 v74, v[4:5], v[250:251] offset0:60 offset1:61
	ds_read_b64 v[4:5], v1
	s_waitcnt lgkmcnt(0)
	v_cmp_neq_f64_e32 vcc_lo, 0, v[4:5]
	s_and_b32 exec_lo, exec_lo, vcc_lo
	s_cbranch_execz .LBB123_129
; %bb.128:
	v_div_scale_f64 v[6:7], null, v[4:5], v[4:5], 1.0
	v_rcp_f64_e32 v[8:9], v[6:7]
	v_fma_f64 v[10:11], -v[6:7], v[8:9], 1.0
	v_fma_f64 v[8:9], v[8:9], v[10:11], v[8:9]
	v_fma_f64 v[10:11], -v[6:7], v[8:9], 1.0
	v_fma_f64 v[8:9], v[8:9], v[10:11], v[8:9]
	v_div_scale_f64 v[10:11], vcc_lo, 1.0, v[4:5], 1.0
	v_mul_f64 v[12:13], v[10:11], v[8:9]
	v_fma_f64 v[6:7], -v[6:7], v[12:13], v[10:11]
	v_div_fmas_f64 v[6:7], v[6:7], v[8:9], v[12:13]
	v_div_fixup_f64 v[4:5], v[6:7], v[4:5], 1.0
	ds_write_b64 v1, v[4:5]
.LBB123_129:
	s_or_b32 exec_lo, exec_lo, s1
	s_waitcnt lgkmcnt(0)
	s_barrier
	buffer_gl0_inv
	ds_read_b64 v[4:5], v1
	s_mov_b32 s1, exec_lo
	s_waitcnt lgkmcnt(0)
	buffer_store_dword v4, off, s[12:15], 0 offset:488 ; 4-byte Folded Spill
	buffer_store_dword v5, off, s[12:15], 0 offset:492 ; 4-byte Folded Spill
	v_cmpx_lt_u32_e32 25, v0
	s_cbranch_execz .LBB123_131
; %bb.130:
	s_clause 0x1
	buffer_load_dword v4, off, s[12:15], 0 offset:488
	buffer_load_dword v5, off, s[12:15], 0 offset:492
	s_waitcnt vmcnt(0)
	v_mul_f64 v[162:163], v[4:5], v[162:163]
	ds_read2_b64 v[4:7], v74 offset0:26 offset1:27
	s_waitcnt lgkmcnt(0)
	v_fma_f64 v[204:205], -v[162:163], v[4:5], v[204:205]
	v_fma_f64 v[160:161], -v[162:163], v[6:7], v[160:161]
	ds_read2_b64 v[4:7], v74 offset0:28 offset1:29
	s_waitcnt lgkmcnt(0)
	v_fma_f64 v[202:203], -v[162:163], v[4:5], v[202:203]
	v_fma_f64 v[158:159], -v[162:163], v[6:7], v[158:159]
	;; [unrolled: 4-line block ×18, first 2 shown]
.LBB123_131:
	s_or_b32 exec_lo, exec_lo, s1
	s_mov_b32 s1, exec_lo
	s_waitcnt_vscnt null, 0x0
	s_barrier
	buffer_gl0_inv
	v_cmpx_eq_u32_e32 26, v0
	s_cbranch_execz .LBB123_134
; %bb.132:
	ds_write_b64 v1, v[204:205]
	ds_write2_b64 v74, v[160:161], v[202:203] offset0:27 offset1:28
	ds_write2_b64 v74, v[158:159], v[200:201] offset0:29 offset1:30
	;; [unrolled: 1-line block ×17, first 2 shown]
	ds_write_b64 v74, v[250:251] offset:488
	ds_read_b64 v[4:5], v1
	s_waitcnt lgkmcnt(0)
	v_cmp_neq_f64_e32 vcc_lo, 0, v[4:5]
	s_and_b32 exec_lo, exec_lo, vcc_lo
	s_cbranch_execz .LBB123_134
; %bb.133:
	v_div_scale_f64 v[6:7], null, v[4:5], v[4:5], 1.0
	v_rcp_f64_e32 v[8:9], v[6:7]
	v_fma_f64 v[10:11], -v[6:7], v[8:9], 1.0
	v_fma_f64 v[8:9], v[8:9], v[10:11], v[8:9]
	v_fma_f64 v[10:11], -v[6:7], v[8:9], 1.0
	v_fma_f64 v[8:9], v[8:9], v[10:11], v[8:9]
	v_div_scale_f64 v[10:11], vcc_lo, 1.0, v[4:5], 1.0
	v_mul_f64 v[12:13], v[10:11], v[8:9]
	v_fma_f64 v[6:7], -v[6:7], v[12:13], v[10:11]
	v_div_fmas_f64 v[6:7], v[6:7], v[8:9], v[12:13]
	v_div_fixup_f64 v[4:5], v[6:7], v[4:5], 1.0
	ds_write_b64 v1, v[4:5]
.LBB123_134:
	s_or_b32 exec_lo, exec_lo, s1
	s_waitcnt lgkmcnt(0)
	s_barrier
	buffer_gl0_inv
	ds_read_b64 v[4:5], v1
	s_mov_b32 s1, exec_lo
	s_waitcnt lgkmcnt(0)
	buffer_store_dword v4, off, s[12:15], 0 offset:496 ; 4-byte Folded Spill
	buffer_store_dword v5, off, s[12:15], 0 offset:500 ; 4-byte Folded Spill
	v_cmpx_lt_u32_e32 26, v0
	s_cbranch_execz .LBB123_136
; %bb.135:
	s_clause 0x1
	buffer_load_dword v4, off, s[12:15], 0 offset:496
	buffer_load_dword v5, off, s[12:15], 0 offset:500
	s_waitcnt vmcnt(0)
	v_mul_f64 v[204:205], v[4:5], v[204:205]
	ds_read2_b64 v[4:7], v74 offset0:27 offset1:28
	s_waitcnt lgkmcnt(0)
	v_fma_f64 v[160:161], -v[204:205], v[4:5], v[160:161]
	v_fma_f64 v[202:203], -v[204:205], v[6:7], v[202:203]
	ds_read2_b64 v[4:7], v74 offset0:29 offset1:30
	s_waitcnt lgkmcnt(0)
	v_fma_f64 v[158:159], -v[204:205], v[4:5], v[158:159]
	v_fma_f64 v[200:201], -v[204:205], v[6:7], v[200:201]
	;; [unrolled: 4-line block ×16, first 2 shown]
	ds_read2_b64 v[4:7], v74 offset0:59 offset1:60
	s_waitcnt lgkmcnt(0)
	v_fma_f64 v[128:129], -v[204:205], v[4:5], v[128:129]
	ds_read_b64 v[4:5], v74 offset:488
	v_fma_f64 v[170:171], -v[204:205], v[6:7], v[170:171]
	s_waitcnt lgkmcnt(0)
	v_fma_f64 v[250:251], -v[204:205], v[4:5], v[250:251]
.LBB123_136:
	s_or_b32 exec_lo, exec_lo, s1
	s_mov_b32 s1, exec_lo
	s_waitcnt_vscnt null, 0x0
	s_barrier
	buffer_gl0_inv
	v_cmpx_eq_u32_e32 27, v0
	s_cbranch_execz .LBB123_139
; %bb.137:
	v_mov_b32_e32 v4, v202
	v_mov_b32_e32 v5, v203
	;; [unrolled: 1-line block ×4, first 2 shown]
	ds_write_b64 v1, v[160:161]
	ds_write2_b64 v74, v[4:5], v[6:7] offset0:28 offset1:29
	v_mov_b32_e32 v4, v200
	v_mov_b32_e32 v5, v201
	v_mov_b32_e32 v6, v156
	v_mov_b32_e32 v7, v157
	ds_write2_b64 v74, v[4:5], v[6:7] offset0:30 offset1:31
	v_mov_b32_e32 v4, v198
	v_mov_b32_e32 v5, v199
	v_mov_b32_e32 v6, v154
	v_mov_b32_e32 v7, v155
	;; [unrolled: 5-line block ×15, first 2 shown]
	ds_write2_b64 v74, v[4:5], v[6:7] offset0:58 offset1:59
	v_mov_b32_e32 v4, v170
	v_mov_b32_e32 v5, v171
	ds_write2_b64 v74, v[4:5], v[250:251] offset0:60 offset1:61
	ds_read_b64 v[4:5], v1
	s_waitcnt lgkmcnt(0)
	v_cmp_neq_f64_e32 vcc_lo, 0, v[4:5]
	s_and_b32 exec_lo, exec_lo, vcc_lo
	s_cbranch_execz .LBB123_139
; %bb.138:
	v_div_scale_f64 v[6:7], null, v[4:5], v[4:5], 1.0
	v_rcp_f64_e32 v[8:9], v[6:7]
	v_fma_f64 v[10:11], -v[6:7], v[8:9], 1.0
	v_fma_f64 v[8:9], v[8:9], v[10:11], v[8:9]
	v_fma_f64 v[10:11], -v[6:7], v[8:9], 1.0
	v_fma_f64 v[8:9], v[8:9], v[10:11], v[8:9]
	v_div_scale_f64 v[10:11], vcc_lo, 1.0, v[4:5], 1.0
	v_mul_f64 v[12:13], v[10:11], v[8:9]
	v_fma_f64 v[6:7], -v[6:7], v[12:13], v[10:11]
	v_div_fmas_f64 v[6:7], v[6:7], v[8:9], v[12:13]
	v_div_fixup_f64 v[4:5], v[6:7], v[4:5], 1.0
	ds_write_b64 v1, v[4:5]
.LBB123_139:
	s_or_b32 exec_lo, exec_lo, s1
	s_waitcnt lgkmcnt(0)
	s_barrier
	buffer_gl0_inv
	ds_read_b64 v[4:5], v1
	s_mov_b32 s1, exec_lo
	v_cmpx_lt_u32_e32 27, v0
	s_cbranch_execz .LBB123_141
; %bb.140:
	s_waitcnt lgkmcnt(0)
	v_mul_f64 v[160:161], v[4:5], v[160:161]
	ds_read2_b64 v[6:9], v74 offset0:28 offset1:29
	s_waitcnt lgkmcnt(0)
	v_fma_f64 v[202:203], -v[160:161], v[6:7], v[202:203]
	v_fma_f64 v[158:159], -v[160:161], v[8:9], v[158:159]
	ds_read2_b64 v[6:9], v74 offset0:30 offset1:31
	s_waitcnt lgkmcnt(0)
	v_fma_f64 v[200:201], -v[160:161], v[6:7], v[200:201]
	v_fma_f64 v[156:157], -v[160:161], v[8:9], v[156:157]
	ds_read2_b64 v[6:9], v74 offset0:32 offset1:33
	s_waitcnt lgkmcnt(0)
	v_fma_f64 v[198:199], -v[160:161], v[6:7], v[198:199]
	v_fma_f64 v[154:155], -v[160:161], v[8:9], v[154:155]
	ds_read2_b64 v[6:9], v74 offset0:34 offset1:35
	s_waitcnt lgkmcnt(0)
	v_fma_f64 v[196:197], -v[160:161], v[6:7], v[196:197]
	v_fma_f64 v[152:153], -v[160:161], v[8:9], v[152:153]
	ds_read2_b64 v[6:9], v74 offset0:36 offset1:37
	s_waitcnt lgkmcnt(0)
	v_fma_f64 v[194:195], -v[160:161], v[6:7], v[194:195]
	v_fma_f64 v[150:151], -v[160:161], v[8:9], v[150:151]
	ds_read2_b64 v[6:9], v74 offset0:38 offset1:39
	s_waitcnt lgkmcnt(0)
	v_fma_f64 v[192:193], -v[160:161], v[6:7], v[192:193]
	v_fma_f64 v[148:149], -v[160:161], v[8:9], v[148:149]
	ds_read2_b64 v[6:9], v74 offset0:40 offset1:41
	s_waitcnt lgkmcnt(0)
	v_fma_f64 v[190:191], -v[160:161], v[6:7], v[190:191]
	v_fma_f64 v[146:147], -v[160:161], v[8:9], v[146:147]
	ds_read2_b64 v[6:9], v74 offset0:42 offset1:43
	s_waitcnt lgkmcnt(0)
	v_fma_f64 v[188:189], -v[160:161], v[6:7], v[188:189]
	v_fma_f64 v[144:145], -v[160:161], v[8:9], v[144:145]
	ds_read2_b64 v[6:9], v74 offset0:44 offset1:45
	s_waitcnt lgkmcnt(0)
	v_fma_f64 v[186:187], -v[160:161], v[6:7], v[186:187]
	v_fma_f64 v[142:143], -v[160:161], v[8:9], v[142:143]
	ds_read2_b64 v[6:9], v74 offset0:46 offset1:47
	s_waitcnt lgkmcnt(0)
	v_fma_f64 v[184:185], -v[160:161], v[6:7], v[184:185]
	v_fma_f64 v[140:141], -v[160:161], v[8:9], v[140:141]
	ds_read2_b64 v[6:9], v74 offset0:48 offset1:49
	s_waitcnt lgkmcnt(0)
	v_fma_f64 v[182:183], -v[160:161], v[6:7], v[182:183]
	v_fma_f64 v[138:139], -v[160:161], v[8:9], v[138:139]
	ds_read2_b64 v[6:9], v74 offset0:50 offset1:51
	s_waitcnt lgkmcnt(0)
	v_fma_f64 v[180:181], -v[160:161], v[6:7], v[180:181]
	v_fma_f64 v[136:137], -v[160:161], v[8:9], v[136:137]
	ds_read2_b64 v[6:9], v74 offset0:52 offset1:53
	s_waitcnt lgkmcnt(0)
	v_fma_f64 v[178:179], -v[160:161], v[6:7], v[178:179]
	v_fma_f64 v[134:135], -v[160:161], v[8:9], v[134:135]
	ds_read2_b64 v[6:9], v74 offset0:54 offset1:55
	s_waitcnt lgkmcnt(0)
	v_fma_f64 v[176:177], -v[160:161], v[6:7], v[176:177]
	v_fma_f64 v[132:133], -v[160:161], v[8:9], v[132:133]
	ds_read2_b64 v[6:9], v74 offset0:56 offset1:57
	s_waitcnt lgkmcnt(0)
	v_fma_f64 v[174:175], -v[160:161], v[6:7], v[174:175]
	v_fma_f64 v[130:131], -v[160:161], v[8:9], v[130:131]
	ds_read2_b64 v[6:9], v74 offset0:58 offset1:59
	s_waitcnt lgkmcnt(0)
	v_fma_f64 v[172:173], -v[160:161], v[6:7], v[172:173]
	v_fma_f64 v[128:129], -v[160:161], v[8:9], v[128:129]
	ds_read2_b64 v[6:9], v74 offset0:60 offset1:61
	s_waitcnt lgkmcnt(0)
	v_fma_f64 v[170:171], -v[160:161], v[6:7], v[170:171]
	v_fma_f64 v[250:251], -v[160:161], v[8:9], v[250:251]
.LBB123_141:
	s_or_b32 exec_lo, exec_lo, s1
	s_mov_b32 s1, exec_lo
	s_waitcnt lgkmcnt(0)
	s_barrier
	buffer_gl0_inv
	v_cmpx_eq_u32_e32 28, v0
	s_cbranch_execz .LBB123_144
; %bb.142:
	ds_write_b64 v1, v[202:203]
	ds_write2_b64 v74, v[158:159], v[200:201] offset0:29 offset1:30
	ds_write2_b64 v74, v[156:157], v[198:199] offset0:31 offset1:32
	;; [unrolled: 1-line block ×16, first 2 shown]
	ds_write_b64 v74, v[250:251] offset:488
	ds_read_b64 v[6:7], v1
	s_waitcnt lgkmcnt(0)
	v_cmp_neq_f64_e32 vcc_lo, 0, v[6:7]
	s_and_b32 exec_lo, exec_lo, vcc_lo
	s_cbranch_execz .LBB123_144
; %bb.143:
	v_div_scale_f64 v[8:9], null, v[6:7], v[6:7], 1.0
	v_rcp_f64_e32 v[10:11], v[8:9]
	v_fma_f64 v[12:13], -v[8:9], v[10:11], 1.0
	v_fma_f64 v[10:11], v[10:11], v[12:13], v[10:11]
	v_fma_f64 v[12:13], -v[8:9], v[10:11], 1.0
	v_fma_f64 v[10:11], v[10:11], v[12:13], v[10:11]
	v_div_scale_f64 v[12:13], vcc_lo, 1.0, v[6:7], 1.0
	v_mul_f64 v[14:15], v[12:13], v[10:11]
	v_fma_f64 v[8:9], -v[8:9], v[14:15], v[12:13]
	v_div_fmas_f64 v[8:9], v[8:9], v[10:11], v[14:15]
	v_div_fixup_f64 v[6:7], v[8:9], v[6:7], 1.0
	ds_write_b64 v1, v[6:7]
.LBB123_144:
	s_or_b32 exec_lo, exec_lo, s1
	s_waitcnt lgkmcnt(0)
	s_barrier
	buffer_gl0_inv
	ds_read_b64 v[6:7], v1
	s_mov_b32 s1, exec_lo
	v_cmpx_lt_u32_e32 28, v0
	s_cbranch_execz .LBB123_146
; %bb.145:
	s_waitcnt lgkmcnt(0)
	v_mul_f64 v[202:203], v[6:7], v[202:203]
	ds_read2_b64 v[8:11], v74 offset0:29 offset1:30
	s_waitcnt lgkmcnt(0)
	v_fma_f64 v[158:159], -v[202:203], v[8:9], v[158:159]
	v_fma_f64 v[200:201], -v[202:203], v[10:11], v[200:201]
	ds_read2_b64 v[8:11], v74 offset0:31 offset1:32
	s_waitcnt lgkmcnt(0)
	v_fma_f64 v[156:157], -v[202:203], v[8:9], v[156:157]
	v_fma_f64 v[198:199], -v[202:203], v[10:11], v[198:199]
	;; [unrolled: 4-line block ×15, first 2 shown]
	ds_read2_b64 v[8:11], v74 offset0:59 offset1:60
	s_waitcnt lgkmcnt(0)
	v_fma_f64 v[128:129], -v[202:203], v[8:9], v[128:129]
	ds_read_b64 v[8:9], v74 offset:488
	v_fma_f64 v[170:171], -v[202:203], v[10:11], v[170:171]
	s_waitcnt lgkmcnt(0)
	v_fma_f64 v[250:251], -v[202:203], v[8:9], v[250:251]
.LBB123_146:
	s_or_b32 exec_lo, exec_lo, s1
	s_mov_b32 s1, exec_lo
	s_waitcnt lgkmcnt(0)
	s_barrier
	buffer_gl0_inv
	v_cmpx_eq_u32_e32 29, v0
	s_cbranch_execz .LBB123_149
; %bb.147:
	v_mov_b32_e32 v8, v200
	v_mov_b32_e32 v9, v201
	;; [unrolled: 1-line block ×4, first 2 shown]
	ds_write_b64 v1, v[158:159]
	ds_write2_b64 v74, v[8:9], v[10:11] offset0:30 offset1:31
	v_mov_b32_e32 v8, v198
	v_mov_b32_e32 v9, v199
	v_mov_b32_e32 v10, v154
	v_mov_b32_e32 v11, v155
	ds_write2_b64 v74, v[8:9], v[10:11] offset0:32 offset1:33
	v_mov_b32_e32 v8, v196
	v_mov_b32_e32 v9, v197
	v_mov_b32_e32 v10, v152
	v_mov_b32_e32 v11, v153
	;; [unrolled: 5-line block ×14, first 2 shown]
	ds_write2_b64 v74, v[8:9], v[10:11] offset0:58 offset1:59
	v_mov_b32_e32 v8, v170
	v_mov_b32_e32 v9, v171
	ds_write2_b64 v74, v[8:9], v[250:251] offset0:60 offset1:61
	ds_read_b64 v[8:9], v1
	s_waitcnt lgkmcnt(0)
	v_cmp_neq_f64_e32 vcc_lo, 0, v[8:9]
	s_and_b32 exec_lo, exec_lo, vcc_lo
	s_cbranch_execz .LBB123_149
; %bb.148:
	v_div_scale_f64 v[10:11], null, v[8:9], v[8:9], 1.0
	v_rcp_f64_e32 v[12:13], v[10:11]
	v_fma_f64 v[14:15], -v[10:11], v[12:13], 1.0
	v_fma_f64 v[12:13], v[12:13], v[14:15], v[12:13]
	v_fma_f64 v[14:15], -v[10:11], v[12:13], 1.0
	v_fma_f64 v[12:13], v[12:13], v[14:15], v[12:13]
	v_div_scale_f64 v[14:15], vcc_lo, 1.0, v[8:9], 1.0
	v_mul_f64 v[16:17], v[14:15], v[12:13]
	v_fma_f64 v[10:11], -v[10:11], v[16:17], v[14:15]
	v_div_fmas_f64 v[10:11], v[10:11], v[12:13], v[16:17]
	v_div_fixup_f64 v[8:9], v[10:11], v[8:9], 1.0
	ds_write_b64 v1, v[8:9]
.LBB123_149:
	s_or_b32 exec_lo, exec_lo, s1
	s_waitcnt lgkmcnt(0)
	s_barrier
	buffer_gl0_inv
	ds_read_b64 v[8:9], v1
	s_mov_b32 s1, exec_lo
	v_cmpx_lt_u32_e32 29, v0
	s_cbranch_execz .LBB123_151
; %bb.150:
	s_waitcnt lgkmcnt(0)
	v_mul_f64 v[158:159], v[8:9], v[158:159]
	ds_read2_b64 v[10:13], v74 offset0:30 offset1:31
	s_waitcnt lgkmcnt(0)
	v_fma_f64 v[200:201], -v[158:159], v[10:11], v[200:201]
	v_fma_f64 v[156:157], -v[158:159], v[12:13], v[156:157]
	ds_read2_b64 v[10:13], v74 offset0:32 offset1:33
	s_waitcnt lgkmcnt(0)
	v_fma_f64 v[198:199], -v[158:159], v[10:11], v[198:199]
	v_fma_f64 v[154:155], -v[158:159], v[12:13], v[154:155]
	;; [unrolled: 4-line block ×16, first 2 shown]
.LBB123_151:
	s_or_b32 exec_lo, exec_lo, s1
	s_mov_b32 s1, exec_lo
	s_waitcnt lgkmcnt(0)
	s_barrier
	buffer_gl0_inv
	v_cmpx_eq_u32_e32 30, v0
	s_cbranch_execz .LBB123_154
; %bb.152:
	ds_write_b64 v1, v[200:201]
	ds_write2_b64 v74, v[156:157], v[198:199] offset0:31 offset1:32
	ds_write2_b64 v74, v[154:155], v[196:197] offset0:33 offset1:34
	;; [unrolled: 1-line block ×15, first 2 shown]
	ds_write_b64 v74, v[250:251] offset:488
	ds_read_b64 v[10:11], v1
	s_waitcnt lgkmcnt(0)
	v_cmp_neq_f64_e32 vcc_lo, 0, v[10:11]
	s_and_b32 exec_lo, exec_lo, vcc_lo
	s_cbranch_execz .LBB123_154
; %bb.153:
	v_div_scale_f64 v[12:13], null, v[10:11], v[10:11], 1.0
	v_rcp_f64_e32 v[14:15], v[12:13]
	v_fma_f64 v[16:17], -v[12:13], v[14:15], 1.0
	v_fma_f64 v[14:15], v[14:15], v[16:17], v[14:15]
	v_fma_f64 v[16:17], -v[12:13], v[14:15], 1.0
	v_fma_f64 v[14:15], v[14:15], v[16:17], v[14:15]
	v_div_scale_f64 v[16:17], vcc_lo, 1.0, v[10:11], 1.0
	v_mul_f64 v[18:19], v[16:17], v[14:15]
	v_fma_f64 v[12:13], -v[12:13], v[18:19], v[16:17]
	v_div_fmas_f64 v[12:13], v[12:13], v[14:15], v[18:19]
	v_div_fixup_f64 v[10:11], v[12:13], v[10:11], 1.0
	ds_write_b64 v1, v[10:11]
.LBB123_154:
	s_or_b32 exec_lo, exec_lo, s1
	s_waitcnt lgkmcnt(0)
	s_barrier
	buffer_gl0_inv
	ds_read_b64 v[10:11], v1
	s_mov_b32 s1, exec_lo
	v_cmpx_lt_u32_e32 30, v0
	s_cbranch_execz .LBB123_156
; %bb.155:
	s_waitcnt lgkmcnt(0)
	v_mul_f64 v[200:201], v[10:11], v[200:201]
	ds_read2_b64 v[12:15], v74 offset0:31 offset1:32
	s_waitcnt lgkmcnt(0)
	v_fma_f64 v[156:157], -v[200:201], v[12:13], v[156:157]
	v_fma_f64 v[198:199], -v[200:201], v[14:15], v[198:199]
	ds_read2_b64 v[12:15], v74 offset0:33 offset1:34
	s_waitcnt lgkmcnt(0)
	v_fma_f64 v[154:155], -v[200:201], v[12:13], v[154:155]
	v_fma_f64 v[196:197], -v[200:201], v[14:15], v[196:197]
	;; [unrolled: 4-line block ×14, first 2 shown]
	ds_read2_b64 v[12:15], v74 offset0:59 offset1:60
	s_waitcnt lgkmcnt(0)
	v_fma_f64 v[128:129], -v[200:201], v[12:13], v[128:129]
	ds_read_b64 v[12:13], v74 offset:488
	v_fma_f64 v[170:171], -v[200:201], v[14:15], v[170:171]
	s_waitcnt lgkmcnt(0)
	v_fma_f64 v[250:251], -v[200:201], v[12:13], v[250:251]
.LBB123_156:
	s_or_b32 exec_lo, exec_lo, s1
	s_mov_b32 s1, exec_lo
	s_waitcnt lgkmcnt(0)
	s_barrier
	buffer_gl0_inv
	v_cmpx_eq_u32_e32 31, v0
	s_cbranch_execz .LBB123_159
; %bb.157:
	v_mov_b32_e32 v12, v198
	v_mov_b32_e32 v13, v199
	;; [unrolled: 1-line block ×4, first 2 shown]
	ds_write_b64 v1, v[156:157]
	ds_write2_b64 v74, v[12:13], v[14:15] offset0:32 offset1:33
	v_mov_b32_e32 v12, v196
	v_mov_b32_e32 v13, v197
	v_mov_b32_e32 v14, v152
	v_mov_b32_e32 v15, v153
	ds_write2_b64 v74, v[12:13], v[14:15] offset0:34 offset1:35
	v_mov_b32_e32 v12, v194
	v_mov_b32_e32 v13, v195
	v_mov_b32_e32 v14, v150
	v_mov_b32_e32 v15, v151
	;; [unrolled: 5-line block ×13, first 2 shown]
	ds_write2_b64 v74, v[12:13], v[14:15] offset0:58 offset1:59
	v_mov_b32_e32 v12, v170
	v_mov_b32_e32 v13, v171
	ds_write2_b64 v74, v[12:13], v[250:251] offset0:60 offset1:61
	ds_read_b64 v[12:13], v1
	s_waitcnt lgkmcnt(0)
	v_cmp_neq_f64_e32 vcc_lo, 0, v[12:13]
	s_and_b32 exec_lo, exec_lo, vcc_lo
	s_cbranch_execz .LBB123_159
; %bb.158:
	v_div_scale_f64 v[14:15], null, v[12:13], v[12:13], 1.0
	v_rcp_f64_e32 v[16:17], v[14:15]
	v_fma_f64 v[18:19], -v[14:15], v[16:17], 1.0
	v_fma_f64 v[16:17], v[16:17], v[18:19], v[16:17]
	v_fma_f64 v[18:19], -v[14:15], v[16:17], 1.0
	v_fma_f64 v[16:17], v[16:17], v[18:19], v[16:17]
	v_div_scale_f64 v[18:19], vcc_lo, 1.0, v[12:13], 1.0
	v_mul_f64 v[20:21], v[18:19], v[16:17]
	v_fma_f64 v[14:15], -v[14:15], v[20:21], v[18:19]
	v_div_fmas_f64 v[14:15], v[14:15], v[16:17], v[20:21]
	v_div_fixup_f64 v[12:13], v[14:15], v[12:13], 1.0
	ds_write_b64 v1, v[12:13]
.LBB123_159:
	s_or_b32 exec_lo, exec_lo, s1
	s_waitcnt lgkmcnt(0)
	s_barrier
	buffer_gl0_inv
	ds_read_b64 v[12:13], v1
	s_mov_b32 s1, exec_lo
	v_cmpx_lt_u32_e32 31, v0
	s_cbranch_execz .LBB123_161
; %bb.160:
	s_waitcnt lgkmcnt(0)
	v_mul_f64 v[156:157], v[12:13], v[156:157]
	ds_read2_b64 v[14:17], v74 offset0:32 offset1:33
	s_waitcnt lgkmcnt(0)
	v_fma_f64 v[198:199], -v[156:157], v[14:15], v[198:199]
	v_fma_f64 v[154:155], -v[156:157], v[16:17], v[154:155]
	ds_read2_b64 v[14:17], v74 offset0:34 offset1:35
	s_waitcnt lgkmcnt(0)
	v_fma_f64 v[196:197], -v[156:157], v[14:15], v[196:197]
	v_fma_f64 v[152:153], -v[156:157], v[16:17], v[152:153]
	;; [unrolled: 4-line block ×15, first 2 shown]
.LBB123_161:
	s_or_b32 exec_lo, exec_lo, s1
	s_mov_b32 s1, exec_lo
	s_waitcnt lgkmcnt(0)
	s_barrier
	buffer_gl0_inv
	v_cmpx_eq_u32_e32 32, v0
	s_cbranch_execz .LBB123_164
; %bb.162:
	ds_write_b64 v1, v[198:199]
	ds_write2_b64 v74, v[154:155], v[196:197] offset0:33 offset1:34
	ds_write2_b64 v74, v[152:153], v[194:195] offset0:35 offset1:36
	;; [unrolled: 1-line block ×14, first 2 shown]
	ds_write_b64 v74, v[250:251] offset:488
	ds_read_b64 v[14:15], v1
	s_waitcnt lgkmcnt(0)
	v_cmp_neq_f64_e32 vcc_lo, 0, v[14:15]
	s_and_b32 exec_lo, exec_lo, vcc_lo
	s_cbranch_execz .LBB123_164
; %bb.163:
	v_div_scale_f64 v[16:17], null, v[14:15], v[14:15], 1.0
	v_rcp_f64_e32 v[18:19], v[16:17]
	v_fma_f64 v[20:21], -v[16:17], v[18:19], 1.0
	v_fma_f64 v[18:19], v[18:19], v[20:21], v[18:19]
	v_fma_f64 v[20:21], -v[16:17], v[18:19], 1.0
	v_fma_f64 v[18:19], v[18:19], v[20:21], v[18:19]
	v_div_scale_f64 v[20:21], vcc_lo, 1.0, v[14:15], 1.0
	v_mul_f64 v[22:23], v[20:21], v[18:19]
	v_fma_f64 v[16:17], -v[16:17], v[22:23], v[20:21]
	v_div_fmas_f64 v[16:17], v[16:17], v[18:19], v[22:23]
	v_div_fixup_f64 v[14:15], v[16:17], v[14:15], 1.0
	ds_write_b64 v1, v[14:15]
.LBB123_164:
	s_or_b32 exec_lo, exec_lo, s1
	s_waitcnt lgkmcnt(0)
	s_barrier
	buffer_gl0_inv
	ds_read_b64 v[14:15], v1
	s_mov_b32 s1, exec_lo
	v_cmpx_lt_u32_e32 32, v0
	s_cbranch_execz .LBB123_166
; %bb.165:
	s_waitcnt lgkmcnt(0)
	v_mul_f64 v[198:199], v[14:15], v[198:199]
	ds_read2_b64 v[16:19], v74 offset0:33 offset1:34
	s_waitcnt lgkmcnt(0)
	v_fma_f64 v[154:155], -v[198:199], v[16:17], v[154:155]
	v_fma_f64 v[196:197], -v[198:199], v[18:19], v[196:197]
	ds_read2_b64 v[16:19], v74 offset0:35 offset1:36
	s_waitcnt lgkmcnt(0)
	v_fma_f64 v[152:153], -v[198:199], v[16:17], v[152:153]
	v_fma_f64 v[194:195], -v[198:199], v[18:19], v[194:195]
	;; [unrolled: 4-line block ×13, first 2 shown]
	ds_read2_b64 v[16:19], v74 offset0:59 offset1:60
	s_waitcnt lgkmcnt(0)
	v_fma_f64 v[128:129], -v[198:199], v[16:17], v[128:129]
	ds_read_b64 v[16:17], v74 offset:488
	v_fma_f64 v[170:171], -v[198:199], v[18:19], v[170:171]
	s_waitcnt lgkmcnt(0)
	v_fma_f64 v[250:251], -v[198:199], v[16:17], v[250:251]
.LBB123_166:
	s_or_b32 exec_lo, exec_lo, s1
	s_mov_b32 s1, exec_lo
	s_waitcnt lgkmcnt(0)
	s_barrier
	buffer_gl0_inv
	v_cmpx_eq_u32_e32 33, v0
	s_cbranch_execz .LBB123_169
; %bb.167:
	v_mov_b32_e32 v16, v196
	v_mov_b32_e32 v17, v197
	;; [unrolled: 1-line block ×4, first 2 shown]
	ds_write_b64 v1, v[154:155]
	ds_write2_b64 v74, v[16:17], v[18:19] offset0:34 offset1:35
	v_mov_b32_e32 v16, v194
	v_mov_b32_e32 v17, v195
	v_mov_b32_e32 v18, v150
	v_mov_b32_e32 v19, v151
	ds_write2_b64 v74, v[16:17], v[18:19] offset0:36 offset1:37
	v_mov_b32_e32 v16, v192
	v_mov_b32_e32 v17, v193
	v_mov_b32_e32 v18, v148
	v_mov_b32_e32 v19, v149
	ds_write2_b64 v74, v[16:17], v[18:19] offset0:38 offset1:39
	v_mov_b32_e32 v16, v190
	v_mov_b32_e32 v17, v191
	v_mov_b32_e32 v18, v146
	v_mov_b32_e32 v19, v147
	ds_write2_b64 v74, v[16:17], v[18:19] offset0:40 offset1:41
	v_mov_b32_e32 v16, v188
	v_mov_b32_e32 v17, v189
	v_mov_b32_e32 v18, v144
	v_mov_b32_e32 v19, v145
	ds_write2_b64 v74, v[16:17], v[18:19] offset0:42 offset1:43
	v_mov_b32_e32 v16, v186
	v_mov_b32_e32 v17, v187
	v_mov_b32_e32 v18, v142
	v_mov_b32_e32 v19, v143
	ds_write2_b64 v74, v[16:17], v[18:19] offset0:44 offset1:45
	v_mov_b32_e32 v16, v184
	v_mov_b32_e32 v17, v185
	v_mov_b32_e32 v18, v140
	v_mov_b32_e32 v19, v141
	ds_write2_b64 v74, v[16:17], v[18:19] offset0:46 offset1:47
	v_mov_b32_e32 v16, v182
	v_mov_b32_e32 v17, v183
	v_mov_b32_e32 v18, v138
	v_mov_b32_e32 v19, v139
	ds_write2_b64 v74, v[16:17], v[18:19] offset0:48 offset1:49
	v_mov_b32_e32 v16, v180
	v_mov_b32_e32 v17, v181
	v_mov_b32_e32 v18, v136
	v_mov_b32_e32 v19, v137
	ds_write2_b64 v74, v[16:17], v[18:19] offset0:50 offset1:51
	v_mov_b32_e32 v16, v178
	v_mov_b32_e32 v17, v179
	v_mov_b32_e32 v18, v134
	v_mov_b32_e32 v19, v135
	ds_write2_b64 v74, v[16:17], v[18:19] offset0:52 offset1:53
	v_mov_b32_e32 v16, v176
	v_mov_b32_e32 v17, v177
	v_mov_b32_e32 v18, v132
	v_mov_b32_e32 v19, v133
	ds_write2_b64 v74, v[16:17], v[18:19] offset0:54 offset1:55
	v_mov_b32_e32 v16, v174
	v_mov_b32_e32 v17, v175
	v_mov_b32_e32 v18, v130
	v_mov_b32_e32 v19, v131
	ds_write2_b64 v74, v[16:17], v[18:19] offset0:56 offset1:57
	v_mov_b32_e32 v16, v172
	v_mov_b32_e32 v17, v173
	v_mov_b32_e32 v18, v128
	v_mov_b32_e32 v19, v129
	ds_write2_b64 v74, v[16:17], v[18:19] offset0:58 offset1:59
	v_mov_b32_e32 v16, v170
	v_mov_b32_e32 v17, v171
	ds_write2_b64 v74, v[16:17], v[250:251] offset0:60 offset1:61
	ds_read_b64 v[16:17], v1
	s_waitcnt lgkmcnt(0)
	v_cmp_neq_f64_e32 vcc_lo, 0, v[16:17]
	s_and_b32 exec_lo, exec_lo, vcc_lo
	s_cbranch_execz .LBB123_169
; %bb.168:
	v_div_scale_f64 v[18:19], null, v[16:17], v[16:17], 1.0
	v_rcp_f64_e32 v[20:21], v[18:19]
	v_fma_f64 v[22:23], -v[18:19], v[20:21], 1.0
	v_fma_f64 v[20:21], v[20:21], v[22:23], v[20:21]
	v_fma_f64 v[22:23], -v[18:19], v[20:21], 1.0
	v_fma_f64 v[20:21], v[20:21], v[22:23], v[20:21]
	v_div_scale_f64 v[22:23], vcc_lo, 1.0, v[16:17], 1.0
	v_mul_f64 v[24:25], v[22:23], v[20:21]
	v_fma_f64 v[18:19], -v[18:19], v[24:25], v[22:23]
	v_div_fmas_f64 v[18:19], v[18:19], v[20:21], v[24:25]
	v_div_fixup_f64 v[16:17], v[18:19], v[16:17], 1.0
	ds_write_b64 v1, v[16:17]
.LBB123_169:
	s_or_b32 exec_lo, exec_lo, s1
	s_waitcnt lgkmcnt(0)
	s_barrier
	buffer_gl0_inv
	ds_read_b64 v[16:17], v1
	s_mov_b32 s1, exec_lo
	v_cmpx_lt_u32_e32 33, v0
	s_cbranch_execz .LBB123_171
; %bb.170:
	s_waitcnt lgkmcnt(0)
	v_mul_f64 v[154:155], v[16:17], v[154:155]
	ds_read2_b64 v[18:21], v74 offset0:34 offset1:35
	s_waitcnt lgkmcnt(0)
	v_fma_f64 v[196:197], -v[154:155], v[18:19], v[196:197]
	v_fma_f64 v[152:153], -v[154:155], v[20:21], v[152:153]
	ds_read2_b64 v[18:21], v74 offset0:36 offset1:37
	s_waitcnt lgkmcnt(0)
	v_fma_f64 v[194:195], -v[154:155], v[18:19], v[194:195]
	v_fma_f64 v[150:151], -v[154:155], v[20:21], v[150:151]
	;; [unrolled: 4-line block ×14, first 2 shown]
.LBB123_171:
	s_or_b32 exec_lo, exec_lo, s1
	s_mov_b32 s1, exec_lo
	s_waitcnt lgkmcnt(0)
	s_barrier
	buffer_gl0_inv
	v_cmpx_eq_u32_e32 34, v0
	s_cbranch_execz .LBB123_174
; %bb.172:
	ds_write_b64 v1, v[196:197]
	ds_write2_b64 v74, v[152:153], v[194:195] offset0:35 offset1:36
	ds_write2_b64 v74, v[150:151], v[192:193] offset0:37 offset1:38
	;; [unrolled: 1-line block ×13, first 2 shown]
	ds_write_b64 v74, v[250:251] offset:488
	ds_read_b64 v[18:19], v1
	s_waitcnt lgkmcnt(0)
	v_cmp_neq_f64_e32 vcc_lo, 0, v[18:19]
	s_and_b32 exec_lo, exec_lo, vcc_lo
	s_cbranch_execz .LBB123_174
; %bb.173:
	v_div_scale_f64 v[20:21], null, v[18:19], v[18:19], 1.0
	v_rcp_f64_e32 v[22:23], v[20:21]
	v_fma_f64 v[24:25], -v[20:21], v[22:23], 1.0
	v_fma_f64 v[22:23], v[22:23], v[24:25], v[22:23]
	v_fma_f64 v[24:25], -v[20:21], v[22:23], 1.0
	v_fma_f64 v[22:23], v[22:23], v[24:25], v[22:23]
	v_div_scale_f64 v[24:25], vcc_lo, 1.0, v[18:19], 1.0
	v_mul_f64 v[26:27], v[24:25], v[22:23]
	v_fma_f64 v[20:21], -v[20:21], v[26:27], v[24:25]
	v_div_fmas_f64 v[20:21], v[20:21], v[22:23], v[26:27]
	v_div_fixup_f64 v[18:19], v[20:21], v[18:19], 1.0
	ds_write_b64 v1, v[18:19]
.LBB123_174:
	s_or_b32 exec_lo, exec_lo, s1
	s_waitcnt lgkmcnt(0)
	s_barrier
	buffer_gl0_inv
	ds_read_b64 v[18:19], v1
	s_mov_b32 s1, exec_lo
	v_cmpx_lt_u32_e32 34, v0
	s_cbranch_execz .LBB123_176
; %bb.175:
	s_waitcnt lgkmcnt(0)
	v_mul_f64 v[196:197], v[18:19], v[196:197]
	ds_read2_b64 v[20:23], v74 offset0:35 offset1:36
	s_waitcnt lgkmcnt(0)
	v_fma_f64 v[152:153], -v[196:197], v[20:21], v[152:153]
	v_fma_f64 v[194:195], -v[196:197], v[22:23], v[194:195]
	ds_read2_b64 v[20:23], v74 offset0:37 offset1:38
	s_waitcnt lgkmcnt(0)
	v_fma_f64 v[150:151], -v[196:197], v[20:21], v[150:151]
	v_fma_f64 v[192:193], -v[196:197], v[22:23], v[192:193]
	;; [unrolled: 4-line block ×12, first 2 shown]
	ds_read2_b64 v[20:23], v74 offset0:59 offset1:60
	s_waitcnt lgkmcnt(0)
	v_fma_f64 v[128:129], -v[196:197], v[20:21], v[128:129]
	ds_read_b64 v[20:21], v74 offset:488
	v_fma_f64 v[170:171], -v[196:197], v[22:23], v[170:171]
	s_waitcnt lgkmcnt(0)
	v_fma_f64 v[250:251], -v[196:197], v[20:21], v[250:251]
.LBB123_176:
	s_or_b32 exec_lo, exec_lo, s1
	s_mov_b32 s1, exec_lo
	s_waitcnt lgkmcnt(0)
	s_barrier
	buffer_gl0_inv
	v_cmpx_eq_u32_e32 35, v0
	s_cbranch_execz .LBB123_179
; %bb.177:
	v_mov_b32_e32 v20, v194
	v_mov_b32_e32 v21, v195
	;; [unrolled: 1-line block ×4, first 2 shown]
	ds_write_b64 v1, v[152:153]
	ds_write2_b64 v74, v[20:21], v[22:23] offset0:36 offset1:37
	v_mov_b32_e32 v20, v192
	v_mov_b32_e32 v21, v193
	v_mov_b32_e32 v22, v148
	v_mov_b32_e32 v23, v149
	ds_write2_b64 v74, v[20:21], v[22:23] offset0:38 offset1:39
	v_mov_b32_e32 v20, v190
	v_mov_b32_e32 v21, v191
	v_mov_b32_e32 v22, v146
	v_mov_b32_e32 v23, v147
	;; [unrolled: 5-line block ×11, first 2 shown]
	ds_write2_b64 v74, v[20:21], v[22:23] offset0:58 offset1:59
	v_mov_b32_e32 v20, v170
	v_mov_b32_e32 v21, v171
	ds_write2_b64 v74, v[20:21], v[250:251] offset0:60 offset1:61
	ds_read_b64 v[20:21], v1
	s_waitcnt lgkmcnt(0)
	v_cmp_neq_f64_e32 vcc_lo, 0, v[20:21]
	s_and_b32 exec_lo, exec_lo, vcc_lo
	s_cbranch_execz .LBB123_179
; %bb.178:
	v_div_scale_f64 v[22:23], null, v[20:21], v[20:21], 1.0
	v_rcp_f64_e32 v[24:25], v[22:23]
	v_fma_f64 v[26:27], -v[22:23], v[24:25], 1.0
	v_fma_f64 v[24:25], v[24:25], v[26:27], v[24:25]
	v_fma_f64 v[26:27], -v[22:23], v[24:25], 1.0
	v_fma_f64 v[24:25], v[24:25], v[26:27], v[24:25]
	v_div_scale_f64 v[26:27], vcc_lo, 1.0, v[20:21], 1.0
	v_mul_f64 v[28:29], v[26:27], v[24:25]
	v_fma_f64 v[22:23], -v[22:23], v[28:29], v[26:27]
	v_div_fmas_f64 v[22:23], v[22:23], v[24:25], v[28:29]
	v_div_fixup_f64 v[20:21], v[22:23], v[20:21], 1.0
	ds_write_b64 v1, v[20:21]
.LBB123_179:
	s_or_b32 exec_lo, exec_lo, s1
	s_waitcnt lgkmcnt(0)
	s_barrier
	buffer_gl0_inv
	ds_read_b64 v[20:21], v1
	s_mov_b32 s1, exec_lo
	v_cmpx_lt_u32_e32 35, v0
	s_cbranch_execz .LBB123_181
; %bb.180:
	s_waitcnt lgkmcnt(0)
	v_mul_f64 v[152:153], v[20:21], v[152:153]
	ds_read2_b64 v[22:25], v74 offset0:36 offset1:37
	s_waitcnt lgkmcnt(0)
	v_fma_f64 v[194:195], -v[152:153], v[22:23], v[194:195]
	v_fma_f64 v[150:151], -v[152:153], v[24:25], v[150:151]
	ds_read2_b64 v[22:25], v74 offset0:38 offset1:39
	s_waitcnt lgkmcnt(0)
	v_fma_f64 v[192:193], -v[152:153], v[22:23], v[192:193]
	v_fma_f64 v[148:149], -v[152:153], v[24:25], v[148:149]
	;; [unrolled: 4-line block ×13, first 2 shown]
.LBB123_181:
	s_or_b32 exec_lo, exec_lo, s1
	s_mov_b32 s1, exec_lo
	s_waitcnt lgkmcnt(0)
	s_barrier
	buffer_gl0_inv
	v_cmpx_eq_u32_e32 36, v0
	s_cbranch_execz .LBB123_184
; %bb.182:
	ds_write_b64 v1, v[194:195]
	ds_write2_b64 v74, v[150:151], v[192:193] offset0:37 offset1:38
	ds_write2_b64 v74, v[148:149], v[190:191] offset0:39 offset1:40
	;; [unrolled: 1-line block ×12, first 2 shown]
	ds_write_b64 v74, v[250:251] offset:488
	ds_read_b64 v[22:23], v1
	s_waitcnt lgkmcnt(0)
	v_cmp_neq_f64_e32 vcc_lo, 0, v[22:23]
	s_and_b32 exec_lo, exec_lo, vcc_lo
	s_cbranch_execz .LBB123_184
; %bb.183:
	v_div_scale_f64 v[24:25], null, v[22:23], v[22:23], 1.0
	v_rcp_f64_e32 v[26:27], v[24:25]
	v_fma_f64 v[28:29], -v[24:25], v[26:27], 1.0
	v_fma_f64 v[26:27], v[26:27], v[28:29], v[26:27]
	v_fma_f64 v[28:29], -v[24:25], v[26:27], 1.0
	v_fma_f64 v[26:27], v[26:27], v[28:29], v[26:27]
	v_div_scale_f64 v[28:29], vcc_lo, 1.0, v[22:23], 1.0
	v_mul_f64 v[30:31], v[28:29], v[26:27]
	v_fma_f64 v[24:25], -v[24:25], v[30:31], v[28:29]
	v_div_fmas_f64 v[24:25], v[24:25], v[26:27], v[30:31]
	v_div_fixup_f64 v[22:23], v[24:25], v[22:23], 1.0
	ds_write_b64 v1, v[22:23]
.LBB123_184:
	s_or_b32 exec_lo, exec_lo, s1
	s_waitcnt lgkmcnt(0)
	s_barrier
	buffer_gl0_inv
	ds_read_b64 v[22:23], v1
	s_mov_b32 s1, exec_lo
	v_cmpx_lt_u32_e32 36, v0
	s_cbranch_execz .LBB123_186
; %bb.185:
	s_waitcnt lgkmcnt(0)
	v_mul_f64 v[194:195], v[22:23], v[194:195]
	ds_read2_b64 v[24:27], v74 offset0:37 offset1:38
	s_waitcnt lgkmcnt(0)
	v_fma_f64 v[150:151], -v[194:195], v[24:25], v[150:151]
	v_fma_f64 v[192:193], -v[194:195], v[26:27], v[192:193]
	ds_read2_b64 v[24:27], v74 offset0:39 offset1:40
	s_waitcnt lgkmcnt(0)
	v_fma_f64 v[148:149], -v[194:195], v[24:25], v[148:149]
	v_fma_f64 v[190:191], -v[194:195], v[26:27], v[190:191]
	;; [unrolled: 4-line block ×11, first 2 shown]
	ds_read2_b64 v[24:27], v74 offset0:59 offset1:60
	s_waitcnt lgkmcnt(0)
	v_fma_f64 v[128:129], -v[194:195], v[24:25], v[128:129]
	ds_read_b64 v[24:25], v74 offset:488
	v_fma_f64 v[170:171], -v[194:195], v[26:27], v[170:171]
	s_waitcnt lgkmcnt(0)
	v_fma_f64 v[250:251], -v[194:195], v[24:25], v[250:251]
.LBB123_186:
	s_or_b32 exec_lo, exec_lo, s1
	s_mov_b32 s1, exec_lo
	s_waitcnt lgkmcnt(0)
	s_barrier
	buffer_gl0_inv
	v_cmpx_eq_u32_e32 37, v0
	s_cbranch_execz .LBB123_189
; %bb.187:
	v_mov_b32_e32 v24, v192
	v_mov_b32_e32 v25, v193
	;; [unrolled: 1-line block ×4, first 2 shown]
	ds_write_b64 v1, v[150:151]
	ds_write2_b64 v74, v[24:25], v[26:27] offset0:38 offset1:39
	v_mov_b32_e32 v24, v190
	v_mov_b32_e32 v25, v191
	v_mov_b32_e32 v26, v146
	v_mov_b32_e32 v27, v147
	ds_write2_b64 v74, v[24:25], v[26:27] offset0:40 offset1:41
	v_mov_b32_e32 v24, v188
	v_mov_b32_e32 v25, v189
	v_mov_b32_e32 v26, v144
	v_mov_b32_e32 v27, v145
	;; [unrolled: 5-line block ×10, first 2 shown]
	ds_write2_b64 v74, v[24:25], v[26:27] offset0:58 offset1:59
	v_mov_b32_e32 v24, v170
	v_mov_b32_e32 v25, v171
	ds_write2_b64 v74, v[24:25], v[250:251] offset0:60 offset1:61
	ds_read_b64 v[24:25], v1
	s_waitcnt lgkmcnt(0)
	v_cmp_neq_f64_e32 vcc_lo, 0, v[24:25]
	s_and_b32 exec_lo, exec_lo, vcc_lo
	s_cbranch_execz .LBB123_189
; %bb.188:
	v_div_scale_f64 v[26:27], null, v[24:25], v[24:25], 1.0
	v_rcp_f64_e32 v[28:29], v[26:27]
	v_fma_f64 v[30:31], -v[26:27], v[28:29], 1.0
	v_fma_f64 v[28:29], v[28:29], v[30:31], v[28:29]
	v_fma_f64 v[30:31], -v[26:27], v[28:29], 1.0
	v_fma_f64 v[28:29], v[28:29], v[30:31], v[28:29]
	v_div_scale_f64 v[30:31], vcc_lo, 1.0, v[24:25], 1.0
	v_mul_f64 v[32:33], v[30:31], v[28:29]
	v_fma_f64 v[26:27], -v[26:27], v[32:33], v[30:31]
	v_div_fmas_f64 v[26:27], v[26:27], v[28:29], v[32:33]
	v_div_fixup_f64 v[24:25], v[26:27], v[24:25], 1.0
	ds_write_b64 v1, v[24:25]
.LBB123_189:
	s_or_b32 exec_lo, exec_lo, s1
	s_waitcnt lgkmcnt(0)
	s_barrier
	buffer_gl0_inv
	ds_read_b64 v[24:25], v1
	s_mov_b32 s1, exec_lo
	v_cmpx_lt_u32_e32 37, v0
	s_cbranch_execz .LBB123_191
; %bb.190:
	s_waitcnt lgkmcnt(0)
	v_mul_f64 v[150:151], v[24:25], v[150:151]
	ds_read2_b64 v[26:29], v74 offset0:38 offset1:39
	s_waitcnt lgkmcnt(0)
	v_fma_f64 v[192:193], -v[150:151], v[26:27], v[192:193]
	v_fma_f64 v[148:149], -v[150:151], v[28:29], v[148:149]
	ds_read2_b64 v[26:29], v74 offset0:40 offset1:41
	s_waitcnt lgkmcnt(0)
	v_fma_f64 v[190:191], -v[150:151], v[26:27], v[190:191]
	v_fma_f64 v[146:147], -v[150:151], v[28:29], v[146:147]
	;; [unrolled: 4-line block ×12, first 2 shown]
.LBB123_191:
	s_or_b32 exec_lo, exec_lo, s1
	s_mov_b32 s1, exec_lo
	s_waitcnt lgkmcnt(0)
	s_barrier
	buffer_gl0_inv
	v_cmpx_eq_u32_e32 38, v0
	s_cbranch_execz .LBB123_194
; %bb.192:
	ds_write_b64 v1, v[192:193]
	ds_write2_b64 v74, v[148:149], v[190:191] offset0:39 offset1:40
	ds_write2_b64 v74, v[146:147], v[188:189] offset0:41 offset1:42
	;; [unrolled: 1-line block ×11, first 2 shown]
	ds_write_b64 v74, v[250:251] offset:488
	ds_read_b64 v[26:27], v1
	s_waitcnt lgkmcnt(0)
	v_cmp_neq_f64_e32 vcc_lo, 0, v[26:27]
	s_and_b32 exec_lo, exec_lo, vcc_lo
	s_cbranch_execz .LBB123_194
; %bb.193:
	v_div_scale_f64 v[28:29], null, v[26:27], v[26:27], 1.0
	v_rcp_f64_e32 v[30:31], v[28:29]
	v_fma_f64 v[32:33], -v[28:29], v[30:31], 1.0
	v_fma_f64 v[30:31], v[30:31], v[32:33], v[30:31]
	v_fma_f64 v[32:33], -v[28:29], v[30:31], 1.0
	v_fma_f64 v[30:31], v[30:31], v[32:33], v[30:31]
	v_div_scale_f64 v[32:33], vcc_lo, 1.0, v[26:27], 1.0
	v_mul_f64 v[34:35], v[32:33], v[30:31]
	v_fma_f64 v[28:29], -v[28:29], v[34:35], v[32:33]
	v_div_fmas_f64 v[28:29], v[28:29], v[30:31], v[34:35]
	v_div_fixup_f64 v[26:27], v[28:29], v[26:27], 1.0
	ds_write_b64 v1, v[26:27]
.LBB123_194:
	s_or_b32 exec_lo, exec_lo, s1
	s_waitcnt lgkmcnt(0)
	s_barrier
	buffer_gl0_inv
	ds_read_b64 v[26:27], v1
	s_mov_b32 s1, exec_lo
	v_cmpx_lt_u32_e32 38, v0
	s_cbranch_execz .LBB123_196
; %bb.195:
	s_waitcnt lgkmcnt(0)
	v_mul_f64 v[192:193], v[26:27], v[192:193]
	ds_read2_b64 v[28:31], v74 offset0:39 offset1:40
	s_waitcnt lgkmcnt(0)
	v_fma_f64 v[148:149], -v[192:193], v[28:29], v[148:149]
	v_fma_f64 v[190:191], -v[192:193], v[30:31], v[190:191]
	ds_read2_b64 v[28:31], v74 offset0:41 offset1:42
	s_waitcnt lgkmcnt(0)
	v_fma_f64 v[146:147], -v[192:193], v[28:29], v[146:147]
	v_fma_f64 v[188:189], -v[192:193], v[30:31], v[188:189]
	;; [unrolled: 4-line block ×10, first 2 shown]
	ds_read2_b64 v[28:31], v74 offset0:59 offset1:60
	s_waitcnt lgkmcnt(0)
	v_fma_f64 v[128:129], -v[192:193], v[28:29], v[128:129]
	ds_read_b64 v[28:29], v74 offset:488
	v_fma_f64 v[170:171], -v[192:193], v[30:31], v[170:171]
	s_waitcnt lgkmcnt(0)
	v_fma_f64 v[250:251], -v[192:193], v[28:29], v[250:251]
.LBB123_196:
	s_or_b32 exec_lo, exec_lo, s1
	s_mov_b32 s1, exec_lo
	s_waitcnt lgkmcnt(0)
	s_barrier
	buffer_gl0_inv
	v_cmpx_eq_u32_e32 39, v0
	s_cbranch_execz .LBB123_199
; %bb.197:
	v_mov_b32_e32 v28, v190
	v_mov_b32_e32 v29, v191
	;; [unrolled: 1-line block ×4, first 2 shown]
	ds_write_b64 v1, v[148:149]
	ds_write2_b64 v74, v[28:29], v[30:31] offset0:40 offset1:41
	v_mov_b32_e32 v28, v188
	v_mov_b32_e32 v29, v189
	v_mov_b32_e32 v30, v144
	v_mov_b32_e32 v31, v145
	ds_write2_b64 v74, v[28:29], v[30:31] offset0:42 offset1:43
	v_mov_b32_e32 v28, v186
	v_mov_b32_e32 v29, v187
	v_mov_b32_e32 v30, v142
	v_mov_b32_e32 v31, v143
	;; [unrolled: 5-line block ×9, first 2 shown]
	ds_write2_b64 v74, v[28:29], v[30:31] offset0:58 offset1:59
	v_mov_b32_e32 v28, v170
	v_mov_b32_e32 v29, v171
	ds_write2_b64 v74, v[28:29], v[250:251] offset0:60 offset1:61
	ds_read_b64 v[28:29], v1
	s_waitcnt lgkmcnt(0)
	v_cmp_neq_f64_e32 vcc_lo, 0, v[28:29]
	s_and_b32 exec_lo, exec_lo, vcc_lo
	s_cbranch_execz .LBB123_199
; %bb.198:
	v_div_scale_f64 v[30:31], null, v[28:29], v[28:29], 1.0
	v_rcp_f64_e32 v[32:33], v[30:31]
	v_fma_f64 v[34:35], -v[30:31], v[32:33], 1.0
	v_fma_f64 v[32:33], v[32:33], v[34:35], v[32:33]
	v_fma_f64 v[34:35], -v[30:31], v[32:33], 1.0
	v_fma_f64 v[32:33], v[32:33], v[34:35], v[32:33]
	v_div_scale_f64 v[34:35], vcc_lo, 1.0, v[28:29], 1.0
	v_mul_f64 v[36:37], v[34:35], v[32:33]
	v_fma_f64 v[30:31], -v[30:31], v[36:37], v[34:35]
	v_div_fmas_f64 v[30:31], v[30:31], v[32:33], v[36:37]
	v_div_fixup_f64 v[28:29], v[30:31], v[28:29], 1.0
	ds_write_b64 v1, v[28:29]
.LBB123_199:
	s_or_b32 exec_lo, exec_lo, s1
	s_waitcnt lgkmcnt(0)
	s_barrier
	buffer_gl0_inv
	ds_read_b64 v[28:29], v1
	s_mov_b32 s1, exec_lo
	v_cmpx_lt_u32_e32 39, v0
	s_cbranch_execz .LBB123_201
; %bb.200:
	s_waitcnt lgkmcnt(0)
	v_mul_f64 v[148:149], v[28:29], v[148:149]
	ds_read2_b64 v[30:33], v74 offset0:40 offset1:41
	s_waitcnt lgkmcnt(0)
	v_fma_f64 v[190:191], -v[148:149], v[30:31], v[190:191]
	v_fma_f64 v[146:147], -v[148:149], v[32:33], v[146:147]
	ds_read2_b64 v[30:33], v74 offset0:42 offset1:43
	s_waitcnt lgkmcnt(0)
	v_fma_f64 v[188:189], -v[148:149], v[30:31], v[188:189]
	v_fma_f64 v[144:145], -v[148:149], v[32:33], v[144:145]
	;; [unrolled: 4-line block ×11, first 2 shown]
.LBB123_201:
	s_or_b32 exec_lo, exec_lo, s1
	s_mov_b32 s1, exec_lo
	s_waitcnt lgkmcnt(0)
	s_barrier
	buffer_gl0_inv
	v_cmpx_eq_u32_e32 40, v0
	s_cbranch_execz .LBB123_204
; %bb.202:
	ds_write_b64 v1, v[190:191]
	ds_write2_b64 v74, v[146:147], v[188:189] offset0:41 offset1:42
	ds_write2_b64 v74, v[144:145], v[186:187] offset0:43 offset1:44
	ds_write2_b64 v74, v[142:143], v[184:185] offset0:45 offset1:46
	ds_write2_b64 v74, v[140:141], v[182:183] offset0:47 offset1:48
	ds_write2_b64 v74, v[138:139], v[180:181] offset0:49 offset1:50
	ds_write2_b64 v74, v[136:137], v[178:179] offset0:51 offset1:52
	ds_write2_b64 v74, v[134:135], v[176:177] offset0:53 offset1:54
	ds_write2_b64 v74, v[132:133], v[174:175] offset0:55 offset1:56
	ds_write2_b64 v74, v[130:131], v[172:173] offset0:57 offset1:58
	ds_write2_b64 v74, v[128:129], v[170:171] offset0:59 offset1:60
	ds_write_b64 v74, v[250:251] offset:488
	ds_read_b64 v[30:31], v1
	s_waitcnt lgkmcnt(0)
	v_cmp_neq_f64_e32 vcc_lo, 0, v[30:31]
	s_and_b32 exec_lo, exec_lo, vcc_lo
	s_cbranch_execz .LBB123_204
; %bb.203:
	v_div_scale_f64 v[32:33], null, v[30:31], v[30:31], 1.0
	v_rcp_f64_e32 v[34:35], v[32:33]
	v_fma_f64 v[36:37], -v[32:33], v[34:35], 1.0
	v_fma_f64 v[34:35], v[34:35], v[36:37], v[34:35]
	v_fma_f64 v[36:37], -v[32:33], v[34:35], 1.0
	v_fma_f64 v[34:35], v[34:35], v[36:37], v[34:35]
	v_div_scale_f64 v[36:37], vcc_lo, 1.0, v[30:31], 1.0
	v_mul_f64 v[38:39], v[36:37], v[34:35]
	v_fma_f64 v[32:33], -v[32:33], v[38:39], v[36:37]
	v_div_fmas_f64 v[32:33], v[32:33], v[34:35], v[38:39]
	v_div_fixup_f64 v[30:31], v[32:33], v[30:31], 1.0
	ds_write_b64 v1, v[30:31]
.LBB123_204:
	s_or_b32 exec_lo, exec_lo, s1
	s_waitcnt lgkmcnt(0)
	s_barrier
	buffer_gl0_inv
	ds_read_b64 v[30:31], v1
	s_mov_b32 s1, exec_lo
	v_cmpx_lt_u32_e32 40, v0
	s_cbranch_execz .LBB123_206
; %bb.205:
	s_waitcnt lgkmcnt(0)
	v_mul_f64 v[190:191], v[30:31], v[190:191]
	ds_read2_b64 v[32:35], v74 offset0:41 offset1:42
	s_waitcnt lgkmcnt(0)
	v_fma_f64 v[146:147], -v[190:191], v[32:33], v[146:147]
	v_fma_f64 v[188:189], -v[190:191], v[34:35], v[188:189]
	ds_read2_b64 v[32:35], v74 offset0:43 offset1:44
	s_waitcnt lgkmcnt(0)
	v_fma_f64 v[144:145], -v[190:191], v[32:33], v[144:145]
	v_fma_f64 v[186:187], -v[190:191], v[34:35], v[186:187]
	;; [unrolled: 4-line block ×9, first 2 shown]
	ds_read2_b64 v[32:35], v74 offset0:59 offset1:60
	s_waitcnt lgkmcnt(0)
	v_fma_f64 v[128:129], -v[190:191], v[32:33], v[128:129]
	ds_read_b64 v[32:33], v74 offset:488
	v_fma_f64 v[170:171], -v[190:191], v[34:35], v[170:171]
	s_waitcnt lgkmcnt(0)
	v_fma_f64 v[250:251], -v[190:191], v[32:33], v[250:251]
.LBB123_206:
	s_or_b32 exec_lo, exec_lo, s1
	s_mov_b32 s1, exec_lo
	s_waitcnt lgkmcnt(0)
	s_barrier
	buffer_gl0_inv
	v_cmpx_eq_u32_e32 41, v0
	s_cbranch_execz .LBB123_209
; %bb.207:
	v_mov_b32_e32 v32, v188
	v_mov_b32_e32 v33, v189
	v_mov_b32_e32 v34, v144
	v_mov_b32_e32 v35, v145
	ds_write_b64 v1, v[146:147]
	ds_write2_b64 v74, v[32:33], v[34:35] offset0:42 offset1:43
	v_mov_b32_e32 v32, v186
	v_mov_b32_e32 v33, v187
	v_mov_b32_e32 v34, v142
	v_mov_b32_e32 v35, v143
	ds_write2_b64 v74, v[32:33], v[34:35] offset0:44 offset1:45
	v_mov_b32_e32 v32, v184
	v_mov_b32_e32 v33, v185
	v_mov_b32_e32 v34, v140
	v_mov_b32_e32 v35, v141
	ds_write2_b64 v74, v[32:33], v[34:35] offset0:46 offset1:47
	v_mov_b32_e32 v32, v182
	v_mov_b32_e32 v33, v183
	v_mov_b32_e32 v34, v138
	v_mov_b32_e32 v35, v139
	ds_write2_b64 v74, v[32:33], v[34:35] offset0:48 offset1:49
	v_mov_b32_e32 v32, v180
	v_mov_b32_e32 v33, v181
	v_mov_b32_e32 v34, v136
	v_mov_b32_e32 v35, v137
	ds_write2_b64 v74, v[32:33], v[34:35] offset0:50 offset1:51
	v_mov_b32_e32 v32, v178
	v_mov_b32_e32 v33, v179
	v_mov_b32_e32 v34, v134
	v_mov_b32_e32 v35, v135
	ds_write2_b64 v74, v[32:33], v[34:35] offset0:52 offset1:53
	v_mov_b32_e32 v32, v176
	v_mov_b32_e32 v33, v177
	v_mov_b32_e32 v34, v132
	v_mov_b32_e32 v35, v133
	ds_write2_b64 v74, v[32:33], v[34:35] offset0:54 offset1:55
	v_mov_b32_e32 v32, v174
	v_mov_b32_e32 v33, v175
	v_mov_b32_e32 v34, v130
	v_mov_b32_e32 v35, v131
	ds_write2_b64 v74, v[32:33], v[34:35] offset0:56 offset1:57
	v_mov_b32_e32 v32, v172
	v_mov_b32_e32 v33, v173
	v_mov_b32_e32 v34, v128
	v_mov_b32_e32 v35, v129
	ds_write2_b64 v74, v[32:33], v[34:35] offset0:58 offset1:59
	v_mov_b32_e32 v32, v170
	v_mov_b32_e32 v33, v171
	ds_write2_b64 v74, v[32:33], v[250:251] offset0:60 offset1:61
	ds_read_b64 v[32:33], v1
	s_waitcnt lgkmcnt(0)
	v_cmp_neq_f64_e32 vcc_lo, 0, v[32:33]
	s_and_b32 exec_lo, exec_lo, vcc_lo
	s_cbranch_execz .LBB123_209
; %bb.208:
	v_div_scale_f64 v[34:35], null, v[32:33], v[32:33], 1.0
	v_rcp_f64_e32 v[36:37], v[34:35]
	v_fma_f64 v[38:39], -v[34:35], v[36:37], 1.0
	v_fma_f64 v[36:37], v[36:37], v[38:39], v[36:37]
	v_fma_f64 v[38:39], -v[34:35], v[36:37], 1.0
	v_fma_f64 v[36:37], v[36:37], v[38:39], v[36:37]
	v_div_scale_f64 v[38:39], vcc_lo, 1.0, v[32:33], 1.0
	v_mul_f64 v[40:41], v[38:39], v[36:37]
	v_fma_f64 v[34:35], -v[34:35], v[40:41], v[38:39]
	v_div_fmas_f64 v[34:35], v[34:35], v[36:37], v[40:41]
	v_div_fixup_f64 v[32:33], v[34:35], v[32:33], 1.0
	ds_write_b64 v1, v[32:33]
.LBB123_209:
	s_or_b32 exec_lo, exec_lo, s1
	s_waitcnt lgkmcnt(0)
	s_barrier
	buffer_gl0_inv
	ds_read_b64 v[32:33], v1
	s_mov_b32 s1, exec_lo
	v_cmpx_lt_u32_e32 41, v0
	s_cbranch_execz .LBB123_211
; %bb.210:
	s_waitcnt lgkmcnt(0)
	v_mul_f64 v[146:147], v[32:33], v[146:147]
	ds_read2_b64 v[34:37], v74 offset0:42 offset1:43
	s_waitcnt lgkmcnt(0)
	v_fma_f64 v[188:189], -v[146:147], v[34:35], v[188:189]
	v_fma_f64 v[144:145], -v[146:147], v[36:37], v[144:145]
	ds_read2_b64 v[34:37], v74 offset0:44 offset1:45
	s_waitcnt lgkmcnt(0)
	v_fma_f64 v[186:187], -v[146:147], v[34:35], v[186:187]
	v_fma_f64 v[142:143], -v[146:147], v[36:37], v[142:143]
	;; [unrolled: 4-line block ×10, first 2 shown]
.LBB123_211:
	s_or_b32 exec_lo, exec_lo, s1
	s_mov_b32 s1, exec_lo
	s_waitcnt lgkmcnt(0)
	s_barrier
	buffer_gl0_inv
	v_cmpx_eq_u32_e32 42, v0
	s_cbranch_execz .LBB123_214
; %bb.212:
	ds_write_b64 v1, v[188:189]
	ds_write2_b64 v74, v[144:145], v[186:187] offset0:43 offset1:44
	ds_write2_b64 v74, v[142:143], v[184:185] offset0:45 offset1:46
	;; [unrolled: 1-line block ×9, first 2 shown]
	ds_write_b64 v74, v[250:251] offset:488
	ds_read_b64 v[34:35], v1
	s_waitcnt lgkmcnt(0)
	v_cmp_neq_f64_e32 vcc_lo, 0, v[34:35]
	s_and_b32 exec_lo, exec_lo, vcc_lo
	s_cbranch_execz .LBB123_214
; %bb.213:
	v_div_scale_f64 v[36:37], null, v[34:35], v[34:35], 1.0
	v_rcp_f64_e32 v[38:39], v[36:37]
	v_fma_f64 v[40:41], -v[36:37], v[38:39], 1.0
	v_fma_f64 v[38:39], v[38:39], v[40:41], v[38:39]
	v_fma_f64 v[40:41], -v[36:37], v[38:39], 1.0
	v_fma_f64 v[38:39], v[38:39], v[40:41], v[38:39]
	v_div_scale_f64 v[40:41], vcc_lo, 1.0, v[34:35], 1.0
	v_mul_f64 v[42:43], v[40:41], v[38:39]
	v_fma_f64 v[36:37], -v[36:37], v[42:43], v[40:41]
	v_div_fmas_f64 v[36:37], v[36:37], v[38:39], v[42:43]
	v_div_fixup_f64 v[34:35], v[36:37], v[34:35], 1.0
	ds_write_b64 v1, v[34:35]
.LBB123_214:
	s_or_b32 exec_lo, exec_lo, s1
	s_waitcnt lgkmcnt(0)
	s_barrier
	buffer_gl0_inv
	ds_read_b64 v[34:35], v1
	s_mov_b32 s1, exec_lo
	v_cmpx_lt_u32_e32 42, v0
	s_cbranch_execz .LBB123_216
; %bb.215:
	s_waitcnt lgkmcnt(0)
	v_mul_f64 v[188:189], v[34:35], v[188:189]
	ds_read2_b64 v[36:39], v74 offset0:43 offset1:44
	s_waitcnt lgkmcnt(0)
	v_fma_f64 v[144:145], -v[188:189], v[36:37], v[144:145]
	v_fma_f64 v[186:187], -v[188:189], v[38:39], v[186:187]
	ds_read2_b64 v[36:39], v74 offset0:45 offset1:46
	s_waitcnt lgkmcnt(0)
	v_fma_f64 v[142:143], -v[188:189], v[36:37], v[142:143]
	v_fma_f64 v[184:185], -v[188:189], v[38:39], v[184:185]
	;; [unrolled: 4-line block ×8, first 2 shown]
	ds_read2_b64 v[36:39], v74 offset0:59 offset1:60
	s_waitcnt lgkmcnt(0)
	v_fma_f64 v[128:129], -v[188:189], v[36:37], v[128:129]
	ds_read_b64 v[36:37], v74 offset:488
	v_fma_f64 v[170:171], -v[188:189], v[38:39], v[170:171]
	s_waitcnt lgkmcnt(0)
	v_fma_f64 v[250:251], -v[188:189], v[36:37], v[250:251]
.LBB123_216:
	s_or_b32 exec_lo, exec_lo, s1
	s_mov_b32 s1, exec_lo
	s_waitcnt lgkmcnt(0)
	s_barrier
	buffer_gl0_inv
	v_cmpx_eq_u32_e32 43, v0
	s_cbranch_execz .LBB123_219
; %bb.217:
	v_mov_b32_e32 v36, v186
	v_mov_b32_e32 v37, v187
	;; [unrolled: 1-line block ×4, first 2 shown]
	ds_write_b64 v1, v[144:145]
	ds_write2_b64 v74, v[36:37], v[38:39] offset0:44 offset1:45
	v_mov_b32_e32 v36, v184
	v_mov_b32_e32 v37, v185
	v_mov_b32_e32 v38, v140
	v_mov_b32_e32 v39, v141
	ds_write2_b64 v74, v[36:37], v[38:39] offset0:46 offset1:47
	v_mov_b32_e32 v36, v182
	v_mov_b32_e32 v37, v183
	v_mov_b32_e32 v38, v138
	v_mov_b32_e32 v39, v139
	;; [unrolled: 5-line block ×7, first 2 shown]
	ds_write2_b64 v74, v[36:37], v[38:39] offset0:58 offset1:59
	v_mov_b32_e32 v36, v170
	v_mov_b32_e32 v37, v171
	ds_write2_b64 v74, v[36:37], v[250:251] offset0:60 offset1:61
	ds_read_b64 v[36:37], v1
	s_waitcnt lgkmcnt(0)
	v_cmp_neq_f64_e32 vcc_lo, 0, v[36:37]
	s_and_b32 exec_lo, exec_lo, vcc_lo
	s_cbranch_execz .LBB123_219
; %bb.218:
	v_div_scale_f64 v[38:39], null, v[36:37], v[36:37], 1.0
	v_rcp_f64_e32 v[40:41], v[38:39]
	v_fma_f64 v[42:43], -v[38:39], v[40:41], 1.0
	v_fma_f64 v[40:41], v[40:41], v[42:43], v[40:41]
	v_fma_f64 v[42:43], -v[38:39], v[40:41], 1.0
	v_fma_f64 v[40:41], v[40:41], v[42:43], v[40:41]
	v_div_scale_f64 v[42:43], vcc_lo, 1.0, v[36:37], 1.0
	v_mul_f64 v[44:45], v[42:43], v[40:41]
	v_fma_f64 v[38:39], -v[38:39], v[44:45], v[42:43]
	v_div_fmas_f64 v[38:39], v[38:39], v[40:41], v[44:45]
	v_div_fixup_f64 v[36:37], v[38:39], v[36:37], 1.0
	ds_write_b64 v1, v[36:37]
.LBB123_219:
	s_or_b32 exec_lo, exec_lo, s1
	s_waitcnt lgkmcnt(0)
	s_barrier
	buffer_gl0_inv
	ds_read_b64 v[36:37], v1
	s_mov_b32 s1, exec_lo
	v_cmpx_lt_u32_e32 43, v0
	s_cbranch_execz .LBB123_221
; %bb.220:
	s_waitcnt lgkmcnt(0)
	v_mul_f64 v[144:145], v[36:37], v[144:145]
	ds_read2_b64 v[38:41], v74 offset0:44 offset1:45
	s_waitcnt lgkmcnt(0)
	v_fma_f64 v[186:187], -v[144:145], v[38:39], v[186:187]
	v_fma_f64 v[142:143], -v[144:145], v[40:41], v[142:143]
	ds_read2_b64 v[38:41], v74 offset0:46 offset1:47
	s_waitcnt lgkmcnt(0)
	v_fma_f64 v[184:185], -v[144:145], v[38:39], v[184:185]
	v_fma_f64 v[140:141], -v[144:145], v[40:41], v[140:141]
	;; [unrolled: 4-line block ×9, first 2 shown]
.LBB123_221:
	s_or_b32 exec_lo, exec_lo, s1
	s_mov_b32 s1, exec_lo
	s_waitcnt lgkmcnt(0)
	s_barrier
	buffer_gl0_inv
	v_cmpx_eq_u32_e32 44, v0
	s_cbranch_execz .LBB123_224
; %bb.222:
	ds_write_b64 v1, v[186:187]
	ds_write2_b64 v74, v[142:143], v[184:185] offset0:45 offset1:46
	ds_write2_b64 v74, v[140:141], v[182:183] offset0:47 offset1:48
	ds_write2_b64 v74, v[138:139], v[180:181] offset0:49 offset1:50
	ds_write2_b64 v74, v[136:137], v[178:179] offset0:51 offset1:52
	ds_write2_b64 v74, v[134:135], v[176:177] offset0:53 offset1:54
	ds_write2_b64 v74, v[132:133], v[174:175] offset0:55 offset1:56
	ds_write2_b64 v74, v[130:131], v[172:173] offset0:57 offset1:58
	ds_write2_b64 v74, v[128:129], v[170:171] offset0:59 offset1:60
	ds_write_b64 v74, v[250:251] offset:488
	ds_read_b64 v[38:39], v1
	s_waitcnt lgkmcnt(0)
	v_cmp_neq_f64_e32 vcc_lo, 0, v[38:39]
	s_and_b32 exec_lo, exec_lo, vcc_lo
	s_cbranch_execz .LBB123_224
; %bb.223:
	v_div_scale_f64 v[40:41], null, v[38:39], v[38:39], 1.0
	v_rcp_f64_e32 v[42:43], v[40:41]
	v_fma_f64 v[44:45], -v[40:41], v[42:43], 1.0
	v_fma_f64 v[42:43], v[42:43], v[44:45], v[42:43]
	v_fma_f64 v[44:45], -v[40:41], v[42:43], 1.0
	v_fma_f64 v[42:43], v[42:43], v[44:45], v[42:43]
	v_div_scale_f64 v[44:45], vcc_lo, 1.0, v[38:39], 1.0
	v_mul_f64 v[46:47], v[44:45], v[42:43]
	v_fma_f64 v[40:41], -v[40:41], v[46:47], v[44:45]
	v_div_fmas_f64 v[40:41], v[40:41], v[42:43], v[46:47]
	v_div_fixup_f64 v[38:39], v[40:41], v[38:39], 1.0
	ds_write_b64 v1, v[38:39]
.LBB123_224:
	s_or_b32 exec_lo, exec_lo, s1
	s_waitcnt lgkmcnt(0)
	s_barrier
	buffer_gl0_inv
	ds_read_b64 v[38:39], v1
	s_mov_b32 s1, exec_lo
	v_cmpx_lt_u32_e32 44, v0
	s_cbranch_execz .LBB123_226
; %bb.225:
	s_waitcnt lgkmcnt(0)
	v_mul_f64 v[186:187], v[38:39], v[186:187]
	ds_read2_b64 v[40:43], v74 offset0:45 offset1:46
	s_waitcnt lgkmcnt(0)
	v_fma_f64 v[142:143], -v[186:187], v[40:41], v[142:143]
	v_fma_f64 v[184:185], -v[186:187], v[42:43], v[184:185]
	ds_read2_b64 v[40:43], v74 offset0:47 offset1:48
	s_waitcnt lgkmcnt(0)
	v_fma_f64 v[140:141], -v[186:187], v[40:41], v[140:141]
	v_fma_f64 v[182:183], -v[186:187], v[42:43], v[182:183]
	;; [unrolled: 4-line block ×7, first 2 shown]
	ds_read2_b64 v[40:43], v74 offset0:59 offset1:60
	s_waitcnt lgkmcnt(0)
	v_fma_f64 v[128:129], -v[186:187], v[40:41], v[128:129]
	ds_read_b64 v[40:41], v74 offset:488
	v_fma_f64 v[170:171], -v[186:187], v[42:43], v[170:171]
	s_waitcnt lgkmcnt(0)
	v_fma_f64 v[250:251], -v[186:187], v[40:41], v[250:251]
.LBB123_226:
	s_or_b32 exec_lo, exec_lo, s1
	s_mov_b32 s1, exec_lo
	s_waitcnt lgkmcnt(0)
	s_barrier
	buffer_gl0_inv
	v_cmpx_eq_u32_e32 45, v0
	s_cbranch_execz .LBB123_229
; %bb.227:
	v_mov_b32_e32 v40, v184
	v_mov_b32_e32 v41, v185
	;; [unrolled: 1-line block ×4, first 2 shown]
	ds_write_b64 v1, v[142:143]
	ds_write2_b64 v74, v[40:41], v[42:43] offset0:46 offset1:47
	v_mov_b32_e32 v40, v182
	v_mov_b32_e32 v41, v183
	v_mov_b32_e32 v42, v138
	v_mov_b32_e32 v43, v139
	ds_write2_b64 v74, v[40:41], v[42:43] offset0:48 offset1:49
	v_mov_b32_e32 v40, v180
	v_mov_b32_e32 v41, v181
	v_mov_b32_e32 v42, v136
	v_mov_b32_e32 v43, v137
	ds_write2_b64 v74, v[40:41], v[42:43] offset0:50 offset1:51
	v_mov_b32_e32 v40, v178
	v_mov_b32_e32 v41, v179
	v_mov_b32_e32 v42, v134
	v_mov_b32_e32 v43, v135
	ds_write2_b64 v74, v[40:41], v[42:43] offset0:52 offset1:53
	v_mov_b32_e32 v40, v176
	v_mov_b32_e32 v41, v177
	v_mov_b32_e32 v42, v132
	v_mov_b32_e32 v43, v133
	ds_write2_b64 v74, v[40:41], v[42:43] offset0:54 offset1:55
	v_mov_b32_e32 v40, v174
	v_mov_b32_e32 v41, v175
	v_mov_b32_e32 v42, v130
	v_mov_b32_e32 v43, v131
	ds_write2_b64 v74, v[40:41], v[42:43] offset0:56 offset1:57
	v_mov_b32_e32 v40, v172
	v_mov_b32_e32 v41, v173
	v_mov_b32_e32 v42, v128
	v_mov_b32_e32 v43, v129
	ds_write2_b64 v74, v[40:41], v[42:43] offset0:58 offset1:59
	v_mov_b32_e32 v40, v170
	v_mov_b32_e32 v41, v171
	ds_write2_b64 v74, v[40:41], v[250:251] offset0:60 offset1:61
	ds_read_b64 v[40:41], v1
	s_waitcnt lgkmcnt(0)
	v_cmp_neq_f64_e32 vcc_lo, 0, v[40:41]
	s_and_b32 exec_lo, exec_lo, vcc_lo
	s_cbranch_execz .LBB123_229
; %bb.228:
	v_div_scale_f64 v[42:43], null, v[40:41], v[40:41], 1.0
	v_rcp_f64_e32 v[44:45], v[42:43]
	v_fma_f64 v[46:47], -v[42:43], v[44:45], 1.0
	v_fma_f64 v[44:45], v[44:45], v[46:47], v[44:45]
	v_fma_f64 v[46:47], -v[42:43], v[44:45], 1.0
	v_fma_f64 v[44:45], v[44:45], v[46:47], v[44:45]
	v_div_scale_f64 v[46:47], vcc_lo, 1.0, v[40:41], 1.0
	v_mul_f64 v[48:49], v[46:47], v[44:45]
	v_fma_f64 v[42:43], -v[42:43], v[48:49], v[46:47]
	v_div_fmas_f64 v[42:43], v[42:43], v[44:45], v[48:49]
	v_div_fixup_f64 v[40:41], v[42:43], v[40:41], 1.0
	ds_write_b64 v1, v[40:41]
.LBB123_229:
	s_or_b32 exec_lo, exec_lo, s1
	s_waitcnt lgkmcnt(0)
	s_barrier
	buffer_gl0_inv
	ds_read_b64 v[40:41], v1
	s_mov_b32 s1, exec_lo
	v_cmpx_lt_u32_e32 45, v0
	s_cbranch_execz .LBB123_231
; %bb.230:
	s_waitcnt lgkmcnt(0)
	v_mul_f64 v[142:143], v[40:41], v[142:143]
	ds_read2_b64 v[42:45], v74 offset0:46 offset1:47
	s_waitcnt lgkmcnt(0)
	v_fma_f64 v[184:185], -v[142:143], v[42:43], v[184:185]
	v_fma_f64 v[140:141], -v[142:143], v[44:45], v[140:141]
	ds_read2_b64 v[42:45], v74 offset0:48 offset1:49
	s_waitcnt lgkmcnt(0)
	v_fma_f64 v[182:183], -v[142:143], v[42:43], v[182:183]
	v_fma_f64 v[138:139], -v[142:143], v[44:45], v[138:139]
	;; [unrolled: 4-line block ×8, first 2 shown]
.LBB123_231:
	s_or_b32 exec_lo, exec_lo, s1
	s_mov_b32 s1, exec_lo
	s_waitcnt lgkmcnt(0)
	s_barrier
	buffer_gl0_inv
	v_cmpx_eq_u32_e32 46, v0
	s_cbranch_execz .LBB123_234
; %bb.232:
	ds_write_b64 v1, v[184:185]
	ds_write2_b64 v74, v[140:141], v[182:183] offset0:47 offset1:48
	ds_write2_b64 v74, v[138:139], v[180:181] offset0:49 offset1:50
	;; [unrolled: 1-line block ×7, first 2 shown]
	ds_write_b64 v74, v[250:251] offset:488
	ds_read_b64 v[42:43], v1
	s_waitcnt lgkmcnt(0)
	v_cmp_neq_f64_e32 vcc_lo, 0, v[42:43]
	s_and_b32 exec_lo, exec_lo, vcc_lo
	s_cbranch_execz .LBB123_234
; %bb.233:
	v_div_scale_f64 v[44:45], null, v[42:43], v[42:43], 1.0
	v_rcp_f64_e32 v[46:47], v[44:45]
	v_fma_f64 v[48:49], -v[44:45], v[46:47], 1.0
	v_fma_f64 v[46:47], v[46:47], v[48:49], v[46:47]
	v_fma_f64 v[48:49], -v[44:45], v[46:47], 1.0
	v_fma_f64 v[46:47], v[46:47], v[48:49], v[46:47]
	v_div_scale_f64 v[48:49], vcc_lo, 1.0, v[42:43], 1.0
	v_mul_f64 v[50:51], v[48:49], v[46:47]
	v_fma_f64 v[44:45], -v[44:45], v[50:51], v[48:49]
	v_div_fmas_f64 v[44:45], v[44:45], v[46:47], v[50:51]
	v_div_fixup_f64 v[42:43], v[44:45], v[42:43], 1.0
	ds_write_b64 v1, v[42:43]
.LBB123_234:
	s_or_b32 exec_lo, exec_lo, s1
	s_waitcnt lgkmcnt(0)
	s_barrier
	buffer_gl0_inv
	ds_read_b64 v[42:43], v1
	s_mov_b32 s1, exec_lo
	v_cmpx_lt_u32_e32 46, v0
	s_cbranch_execz .LBB123_236
; %bb.235:
	s_waitcnt lgkmcnt(0)
	v_mul_f64 v[184:185], v[42:43], v[184:185]
	ds_read2_b64 v[44:47], v74 offset0:47 offset1:48
	s_waitcnt lgkmcnt(0)
	v_fma_f64 v[140:141], -v[184:185], v[44:45], v[140:141]
	v_fma_f64 v[182:183], -v[184:185], v[46:47], v[182:183]
	ds_read2_b64 v[44:47], v74 offset0:49 offset1:50
	s_waitcnt lgkmcnt(0)
	v_fma_f64 v[138:139], -v[184:185], v[44:45], v[138:139]
	v_fma_f64 v[180:181], -v[184:185], v[46:47], v[180:181]
	;; [unrolled: 4-line block ×6, first 2 shown]
	ds_read2_b64 v[44:47], v74 offset0:59 offset1:60
	s_waitcnt lgkmcnt(0)
	v_fma_f64 v[128:129], -v[184:185], v[44:45], v[128:129]
	ds_read_b64 v[44:45], v74 offset:488
	v_fma_f64 v[170:171], -v[184:185], v[46:47], v[170:171]
	s_waitcnt lgkmcnt(0)
	v_fma_f64 v[250:251], -v[184:185], v[44:45], v[250:251]
.LBB123_236:
	s_or_b32 exec_lo, exec_lo, s1
	s_mov_b32 s1, exec_lo
	s_waitcnt lgkmcnt(0)
	s_barrier
	buffer_gl0_inv
	v_cmpx_eq_u32_e32 47, v0
	s_cbranch_execz .LBB123_239
; %bb.237:
	v_mov_b32_e32 v44, v182
	v_mov_b32_e32 v45, v183
	;; [unrolled: 1-line block ×4, first 2 shown]
	ds_write_b64 v1, v[140:141]
	ds_write2_b64 v74, v[44:45], v[46:47] offset0:48 offset1:49
	v_mov_b32_e32 v44, v180
	v_mov_b32_e32 v45, v181
	v_mov_b32_e32 v46, v136
	v_mov_b32_e32 v47, v137
	ds_write2_b64 v74, v[44:45], v[46:47] offset0:50 offset1:51
	v_mov_b32_e32 v44, v178
	v_mov_b32_e32 v45, v179
	v_mov_b32_e32 v46, v134
	v_mov_b32_e32 v47, v135
	;; [unrolled: 5-line block ×5, first 2 shown]
	ds_write2_b64 v74, v[44:45], v[46:47] offset0:58 offset1:59
	v_mov_b32_e32 v44, v170
	v_mov_b32_e32 v45, v171
	ds_write2_b64 v74, v[44:45], v[250:251] offset0:60 offset1:61
	ds_read_b64 v[44:45], v1
	s_waitcnt lgkmcnt(0)
	v_cmp_neq_f64_e32 vcc_lo, 0, v[44:45]
	s_and_b32 exec_lo, exec_lo, vcc_lo
	s_cbranch_execz .LBB123_239
; %bb.238:
	v_div_scale_f64 v[46:47], null, v[44:45], v[44:45], 1.0
	v_rcp_f64_e32 v[48:49], v[46:47]
	v_fma_f64 v[50:51], -v[46:47], v[48:49], 1.0
	v_fma_f64 v[48:49], v[48:49], v[50:51], v[48:49]
	v_fma_f64 v[50:51], -v[46:47], v[48:49], 1.0
	v_fma_f64 v[48:49], v[48:49], v[50:51], v[48:49]
	v_div_scale_f64 v[50:51], vcc_lo, 1.0, v[44:45], 1.0
	v_mul_f64 v[52:53], v[50:51], v[48:49]
	v_fma_f64 v[46:47], -v[46:47], v[52:53], v[50:51]
	v_div_fmas_f64 v[46:47], v[46:47], v[48:49], v[52:53]
	v_div_fixup_f64 v[44:45], v[46:47], v[44:45], 1.0
	ds_write_b64 v1, v[44:45]
.LBB123_239:
	s_or_b32 exec_lo, exec_lo, s1
	s_waitcnt lgkmcnt(0)
	s_barrier
	buffer_gl0_inv
	ds_read_b64 v[44:45], v1
	s_mov_b32 s1, exec_lo
	v_cmpx_lt_u32_e32 47, v0
	s_cbranch_execz .LBB123_241
; %bb.240:
	s_waitcnt lgkmcnt(0)
	v_mul_f64 v[140:141], v[44:45], v[140:141]
	ds_read2_b64 v[46:49], v74 offset0:48 offset1:49
	s_waitcnt lgkmcnt(0)
	v_fma_f64 v[182:183], -v[140:141], v[46:47], v[182:183]
	v_fma_f64 v[138:139], -v[140:141], v[48:49], v[138:139]
	ds_read2_b64 v[46:49], v74 offset0:50 offset1:51
	s_waitcnt lgkmcnt(0)
	v_fma_f64 v[180:181], -v[140:141], v[46:47], v[180:181]
	v_fma_f64 v[136:137], -v[140:141], v[48:49], v[136:137]
	;; [unrolled: 4-line block ×7, first 2 shown]
.LBB123_241:
	s_or_b32 exec_lo, exec_lo, s1
	s_mov_b32 s1, exec_lo
	s_waitcnt lgkmcnt(0)
	s_barrier
	buffer_gl0_inv
	v_cmpx_eq_u32_e32 48, v0
	s_cbranch_execz .LBB123_244
; %bb.242:
	ds_write_b64 v1, v[182:183]
	ds_write2_b64 v74, v[138:139], v[180:181] offset0:49 offset1:50
	ds_write2_b64 v74, v[136:137], v[178:179] offset0:51 offset1:52
	;; [unrolled: 1-line block ×6, first 2 shown]
	ds_write_b64 v74, v[250:251] offset:488
	ds_read_b64 v[46:47], v1
	s_waitcnt lgkmcnt(0)
	v_cmp_neq_f64_e32 vcc_lo, 0, v[46:47]
	s_and_b32 exec_lo, exec_lo, vcc_lo
	s_cbranch_execz .LBB123_244
; %bb.243:
	v_div_scale_f64 v[48:49], null, v[46:47], v[46:47], 1.0
	v_rcp_f64_e32 v[50:51], v[48:49]
	v_fma_f64 v[52:53], -v[48:49], v[50:51], 1.0
	v_fma_f64 v[50:51], v[50:51], v[52:53], v[50:51]
	v_fma_f64 v[52:53], -v[48:49], v[50:51], 1.0
	v_fma_f64 v[50:51], v[50:51], v[52:53], v[50:51]
	v_div_scale_f64 v[52:53], vcc_lo, 1.0, v[46:47], 1.0
	v_mul_f64 v[54:55], v[52:53], v[50:51]
	v_fma_f64 v[48:49], -v[48:49], v[54:55], v[52:53]
	v_div_fmas_f64 v[48:49], v[48:49], v[50:51], v[54:55]
	v_div_fixup_f64 v[46:47], v[48:49], v[46:47], 1.0
	ds_write_b64 v1, v[46:47]
.LBB123_244:
	s_or_b32 exec_lo, exec_lo, s1
	s_waitcnt lgkmcnt(0)
	s_barrier
	buffer_gl0_inv
	ds_read_b64 v[46:47], v1
	s_mov_b32 s1, exec_lo
	v_cmpx_lt_u32_e32 48, v0
	s_cbranch_execz .LBB123_246
; %bb.245:
	s_waitcnt lgkmcnt(0)
	v_mul_f64 v[182:183], v[46:47], v[182:183]
	ds_read2_b64 v[48:51], v74 offset0:49 offset1:50
	s_waitcnt lgkmcnt(0)
	v_fma_f64 v[138:139], -v[182:183], v[48:49], v[138:139]
	v_fma_f64 v[180:181], -v[182:183], v[50:51], v[180:181]
	ds_read2_b64 v[48:51], v74 offset0:51 offset1:52
	s_waitcnt lgkmcnt(0)
	v_fma_f64 v[136:137], -v[182:183], v[48:49], v[136:137]
	v_fma_f64 v[178:179], -v[182:183], v[50:51], v[178:179]
	;; [unrolled: 4-line block ×5, first 2 shown]
	ds_read2_b64 v[48:51], v74 offset0:59 offset1:60
	s_waitcnt lgkmcnt(0)
	v_fma_f64 v[128:129], -v[182:183], v[48:49], v[128:129]
	ds_read_b64 v[48:49], v74 offset:488
	v_fma_f64 v[170:171], -v[182:183], v[50:51], v[170:171]
	s_waitcnt lgkmcnt(0)
	v_fma_f64 v[250:251], -v[182:183], v[48:49], v[250:251]
.LBB123_246:
	s_or_b32 exec_lo, exec_lo, s1
	s_mov_b32 s1, exec_lo
	s_waitcnt lgkmcnt(0)
	s_barrier
	buffer_gl0_inv
	v_cmpx_eq_u32_e32 49, v0
	s_cbranch_execz .LBB123_249
; %bb.247:
	v_mov_b32_e32 v48, v180
	v_mov_b32_e32 v49, v181
	;; [unrolled: 1-line block ×4, first 2 shown]
	ds_write_b64 v1, v[138:139]
	ds_write2_b64 v74, v[48:49], v[50:51] offset0:50 offset1:51
	v_mov_b32_e32 v48, v178
	v_mov_b32_e32 v49, v179
	v_mov_b32_e32 v50, v134
	v_mov_b32_e32 v51, v135
	ds_write2_b64 v74, v[48:49], v[50:51] offset0:52 offset1:53
	v_mov_b32_e32 v48, v176
	v_mov_b32_e32 v49, v177
	v_mov_b32_e32 v50, v132
	v_mov_b32_e32 v51, v133
	;; [unrolled: 5-line block ×4, first 2 shown]
	ds_write2_b64 v74, v[48:49], v[50:51] offset0:58 offset1:59
	v_mov_b32_e32 v48, v170
	v_mov_b32_e32 v49, v171
	ds_write2_b64 v74, v[48:49], v[250:251] offset0:60 offset1:61
	ds_read_b64 v[48:49], v1
	s_waitcnt lgkmcnt(0)
	v_cmp_neq_f64_e32 vcc_lo, 0, v[48:49]
	s_and_b32 exec_lo, exec_lo, vcc_lo
	s_cbranch_execz .LBB123_249
; %bb.248:
	v_div_scale_f64 v[50:51], null, v[48:49], v[48:49], 1.0
	v_rcp_f64_e32 v[52:53], v[50:51]
	v_fma_f64 v[54:55], -v[50:51], v[52:53], 1.0
	v_fma_f64 v[52:53], v[52:53], v[54:55], v[52:53]
	v_fma_f64 v[54:55], -v[50:51], v[52:53], 1.0
	v_fma_f64 v[52:53], v[52:53], v[54:55], v[52:53]
	v_div_scale_f64 v[54:55], vcc_lo, 1.0, v[48:49], 1.0
	v_mul_f64 v[56:57], v[54:55], v[52:53]
	v_fma_f64 v[50:51], -v[50:51], v[56:57], v[54:55]
	v_div_fmas_f64 v[50:51], v[50:51], v[52:53], v[56:57]
	v_div_fixup_f64 v[48:49], v[50:51], v[48:49], 1.0
	ds_write_b64 v1, v[48:49]
.LBB123_249:
	s_or_b32 exec_lo, exec_lo, s1
	s_waitcnt lgkmcnt(0)
	s_barrier
	buffer_gl0_inv
	ds_read_b64 v[48:49], v1
	s_mov_b32 s1, exec_lo
	v_cmpx_lt_u32_e32 49, v0
	s_cbranch_execz .LBB123_251
; %bb.250:
	s_waitcnt lgkmcnt(0)
	v_mul_f64 v[138:139], v[48:49], v[138:139]
	ds_read2_b64 v[50:53], v74 offset0:50 offset1:51
	s_waitcnt lgkmcnt(0)
	v_fma_f64 v[180:181], -v[138:139], v[50:51], v[180:181]
	v_fma_f64 v[136:137], -v[138:139], v[52:53], v[136:137]
	ds_read2_b64 v[50:53], v74 offset0:52 offset1:53
	s_waitcnt lgkmcnt(0)
	v_fma_f64 v[178:179], -v[138:139], v[50:51], v[178:179]
	v_fma_f64 v[134:135], -v[138:139], v[52:53], v[134:135]
	;; [unrolled: 4-line block ×6, first 2 shown]
.LBB123_251:
	s_or_b32 exec_lo, exec_lo, s1
	s_mov_b32 s1, exec_lo
	s_waitcnt lgkmcnt(0)
	s_barrier
	buffer_gl0_inv
	v_cmpx_eq_u32_e32 50, v0
	s_cbranch_execz .LBB123_254
; %bb.252:
	ds_write_b64 v1, v[180:181]
	ds_write2_b64 v74, v[136:137], v[178:179] offset0:51 offset1:52
	ds_write2_b64 v74, v[134:135], v[176:177] offset0:53 offset1:54
	;; [unrolled: 1-line block ×5, first 2 shown]
	ds_write_b64 v74, v[250:251] offset:488
	ds_read_b64 v[50:51], v1
	s_waitcnt lgkmcnt(0)
	v_cmp_neq_f64_e32 vcc_lo, 0, v[50:51]
	s_and_b32 exec_lo, exec_lo, vcc_lo
	s_cbranch_execz .LBB123_254
; %bb.253:
	v_div_scale_f64 v[52:53], null, v[50:51], v[50:51], 1.0
	v_rcp_f64_e32 v[54:55], v[52:53]
	v_fma_f64 v[56:57], -v[52:53], v[54:55], 1.0
	v_fma_f64 v[54:55], v[54:55], v[56:57], v[54:55]
	v_fma_f64 v[56:57], -v[52:53], v[54:55], 1.0
	v_fma_f64 v[54:55], v[54:55], v[56:57], v[54:55]
	v_div_scale_f64 v[56:57], vcc_lo, 1.0, v[50:51], 1.0
	v_mul_f64 v[58:59], v[56:57], v[54:55]
	v_fma_f64 v[52:53], -v[52:53], v[58:59], v[56:57]
	v_div_fmas_f64 v[52:53], v[52:53], v[54:55], v[58:59]
	v_div_fixup_f64 v[50:51], v[52:53], v[50:51], 1.0
	ds_write_b64 v1, v[50:51]
.LBB123_254:
	s_or_b32 exec_lo, exec_lo, s1
	s_waitcnt lgkmcnt(0)
	s_barrier
	buffer_gl0_inv
	ds_read_b64 v[50:51], v1
	s_mov_b32 s1, exec_lo
	v_cmpx_lt_u32_e32 50, v0
	s_cbranch_execz .LBB123_256
; %bb.255:
	s_waitcnt lgkmcnt(0)
	v_mul_f64 v[180:181], v[50:51], v[180:181]
	ds_read2_b64 v[52:55], v74 offset0:51 offset1:52
	s_waitcnt lgkmcnt(0)
	v_fma_f64 v[136:137], -v[180:181], v[52:53], v[136:137]
	v_fma_f64 v[178:179], -v[180:181], v[54:55], v[178:179]
	ds_read2_b64 v[52:55], v74 offset0:53 offset1:54
	s_waitcnt lgkmcnt(0)
	v_fma_f64 v[134:135], -v[180:181], v[52:53], v[134:135]
	v_fma_f64 v[176:177], -v[180:181], v[54:55], v[176:177]
	;; [unrolled: 4-line block ×4, first 2 shown]
	ds_read2_b64 v[52:55], v74 offset0:59 offset1:60
	s_waitcnt lgkmcnt(0)
	v_fma_f64 v[128:129], -v[180:181], v[52:53], v[128:129]
	ds_read_b64 v[52:53], v74 offset:488
	v_fma_f64 v[170:171], -v[180:181], v[54:55], v[170:171]
	s_waitcnt lgkmcnt(0)
	v_fma_f64 v[250:251], -v[180:181], v[52:53], v[250:251]
.LBB123_256:
	s_or_b32 exec_lo, exec_lo, s1
	s_mov_b32 s1, exec_lo
	s_waitcnt lgkmcnt(0)
	s_barrier
	buffer_gl0_inv
	v_cmpx_eq_u32_e32 51, v0
	s_cbranch_execz .LBB123_259
; %bb.257:
	v_mov_b32_e32 v52, v178
	v_mov_b32_e32 v53, v179
	;; [unrolled: 1-line block ×4, first 2 shown]
	ds_write_b64 v1, v[136:137]
	ds_write2_b64 v74, v[52:53], v[54:55] offset0:52 offset1:53
	v_mov_b32_e32 v52, v176
	v_mov_b32_e32 v53, v177
	v_mov_b32_e32 v54, v132
	v_mov_b32_e32 v55, v133
	ds_write2_b64 v74, v[52:53], v[54:55] offset0:54 offset1:55
	v_mov_b32_e32 v52, v174
	v_mov_b32_e32 v53, v175
	v_mov_b32_e32 v54, v130
	v_mov_b32_e32 v55, v131
	;; [unrolled: 5-line block ×3, first 2 shown]
	ds_write2_b64 v74, v[52:53], v[54:55] offset0:58 offset1:59
	v_mov_b32_e32 v52, v170
	v_mov_b32_e32 v53, v171
	ds_write2_b64 v74, v[52:53], v[250:251] offset0:60 offset1:61
	ds_read_b64 v[52:53], v1
	s_waitcnt lgkmcnt(0)
	v_cmp_neq_f64_e32 vcc_lo, 0, v[52:53]
	s_and_b32 exec_lo, exec_lo, vcc_lo
	s_cbranch_execz .LBB123_259
; %bb.258:
	v_div_scale_f64 v[54:55], null, v[52:53], v[52:53], 1.0
	v_rcp_f64_e32 v[56:57], v[54:55]
	v_fma_f64 v[58:59], -v[54:55], v[56:57], 1.0
	v_fma_f64 v[56:57], v[56:57], v[58:59], v[56:57]
	v_fma_f64 v[58:59], -v[54:55], v[56:57], 1.0
	v_fma_f64 v[56:57], v[56:57], v[58:59], v[56:57]
	v_div_scale_f64 v[58:59], vcc_lo, 1.0, v[52:53], 1.0
	v_mul_f64 v[60:61], v[58:59], v[56:57]
	v_fma_f64 v[54:55], -v[54:55], v[60:61], v[58:59]
	v_div_fmas_f64 v[54:55], v[54:55], v[56:57], v[60:61]
	v_div_fixup_f64 v[52:53], v[54:55], v[52:53], 1.0
	ds_write_b64 v1, v[52:53]
.LBB123_259:
	s_or_b32 exec_lo, exec_lo, s1
	s_waitcnt lgkmcnt(0)
	s_barrier
	buffer_gl0_inv
	ds_read_b64 v[52:53], v1
	s_mov_b32 s1, exec_lo
	v_cmpx_lt_u32_e32 51, v0
	s_cbranch_execz .LBB123_261
; %bb.260:
	s_waitcnt lgkmcnt(0)
	v_mul_f64 v[136:137], v[52:53], v[136:137]
	ds_read2_b64 v[54:57], v74 offset0:52 offset1:53
	s_waitcnt lgkmcnt(0)
	v_fma_f64 v[178:179], -v[136:137], v[54:55], v[178:179]
	v_fma_f64 v[134:135], -v[136:137], v[56:57], v[134:135]
	ds_read2_b64 v[54:57], v74 offset0:54 offset1:55
	s_waitcnt lgkmcnt(0)
	v_fma_f64 v[176:177], -v[136:137], v[54:55], v[176:177]
	v_fma_f64 v[132:133], -v[136:137], v[56:57], v[132:133]
	ds_read2_b64 v[54:57], v74 offset0:56 offset1:57
	s_waitcnt lgkmcnt(0)
	v_fma_f64 v[174:175], -v[136:137], v[54:55], v[174:175]
	v_fma_f64 v[130:131], -v[136:137], v[56:57], v[130:131]
	ds_read2_b64 v[54:57], v74 offset0:58 offset1:59
	s_waitcnt lgkmcnt(0)
	v_fma_f64 v[172:173], -v[136:137], v[54:55], v[172:173]
	v_fma_f64 v[128:129], -v[136:137], v[56:57], v[128:129]
	ds_read2_b64 v[54:57], v74 offset0:60 offset1:61
	s_waitcnt lgkmcnt(0)
	v_fma_f64 v[170:171], -v[136:137], v[54:55], v[170:171]
	v_fma_f64 v[250:251], -v[136:137], v[56:57], v[250:251]
.LBB123_261:
	s_or_b32 exec_lo, exec_lo, s1
	s_mov_b32 s1, exec_lo
	s_waitcnt lgkmcnt(0)
	s_barrier
	buffer_gl0_inv
	v_cmpx_eq_u32_e32 52, v0
	s_cbranch_execz .LBB123_264
; %bb.262:
	ds_write_b64 v1, v[178:179]
	ds_write2_b64 v74, v[134:135], v[176:177] offset0:53 offset1:54
	ds_write2_b64 v74, v[132:133], v[174:175] offset0:55 offset1:56
	;; [unrolled: 1-line block ×4, first 2 shown]
	ds_write_b64 v74, v[250:251] offset:488
	ds_read_b64 v[54:55], v1
	s_waitcnt lgkmcnt(0)
	v_cmp_neq_f64_e32 vcc_lo, 0, v[54:55]
	s_and_b32 exec_lo, exec_lo, vcc_lo
	s_cbranch_execz .LBB123_264
; %bb.263:
	v_div_scale_f64 v[56:57], null, v[54:55], v[54:55], 1.0
	v_rcp_f64_e32 v[58:59], v[56:57]
	v_fma_f64 v[60:61], -v[56:57], v[58:59], 1.0
	v_fma_f64 v[58:59], v[58:59], v[60:61], v[58:59]
	v_fma_f64 v[60:61], -v[56:57], v[58:59], 1.0
	v_fma_f64 v[58:59], v[58:59], v[60:61], v[58:59]
	v_div_scale_f64 v[60:61], vcc_lo, 1.0, v[54:55], 1.0
	v_mul_f64 v[62:63], v[60:61], v[58:59]
	v_fma_f64 v[56:57], -v[56:57], v[62:63], v[60:61]
	v_div_fmas_f64 v[56:57], v[56:57], v[58:59], v[62:63]
	v_div_fixup_f64 v[54:55], v[56:57], v[54:55], 1.0
	ds_write_b64 v1, v[54:55]
.LBB123_264:
	s_or_b32 exec_lo, exec_lo, s1
	s_waitcnt lgkmcnt(0)
	s_barrier
	buffer_gl0_inv
	ds_read_b64 v[54:55], v1
	s_mov_b32 s1, exec_lo
	v_cmpx_lt_u32_e32 52, v0
	s_cbranch_execz .LBB123_266
; %bb.265:
	s_waitcnt lgkmcnt(0)
	v_mul_f64 v[178:179], v[54:55], v[178:179]
	ds_read2_b64 v[56:59], v74 offset0:53 offset1:54
	s_waitcnt lgkmcnt(0)
	v_fma_f64 v[134:135], -v[178:179], v[56:57], v[134:135]
	v_fma_f64 v[176:177], -v[178:179], v[58:59], v[176:177]
	ds_read2_b64 v[56:59], v74 offset0:55 offset1:56
	s_waitcnt lgkmcnt(0)
	v_fma_f64 v[132:133], -v[178:179], v[56:57], v[132:133]
	v_fma_f64 v[174:175], -v[178:179], v[58:59], v[174:175]
	;; [unrolled: 4-line block ×3, first 2 shown]
	ds_read2_b64 v[56:59], v74 offset0:59 offset1:60
	s_waitcnt lgkmcnt(0)
	v_fma_f64 v[128:129], -v[178:179], v[56:57], v[128:129]
	ds_read_b64 v[56:57], v74 offset:488
	v_fma_f64 v[170:171], -v[178:179], v[58:59], v[170:171]
	s_waitcnt lgkmcnt(0)
	v_fma_f64 v[250:251], -v[178:179], v[56:57], v[250:251]
.LBB123_266:
	s_or_b32 exec_lo, exec_lo, s1
	s_mov_b32 s1, exec_lo
	s_waitcnt lgkmcnt(0)
	s_barrier
	buffer_gl0_inv
	v_cmpx_eq_u32_e32 53, v0
	s_cbranch_execz .LBB123_269
; %bb.267:
	v_mov_b32_e32 v56, v176
	v_mov_b32_e32 v57, v177
	;; [unrolled: 1-line block ×4, first 2 shown]
	ds_write_b64 v1, v[134:135]
	ds_write2_b64 v74, v[56:57], v[58:59] offset0:54 offset1:55
	v_mov_b32_e32 v56, v174
	v_mov_b32_e32 v57, v175
	;; [unrolled: 1-line block ×4, first 2 shown]
	ds_write2_b64 v74, v[56:57], v[58:59] offset0:56 offset1:57
	v_mov_b32_e32 v56, v172
	v_mov_b32_e32 v57, v173
	;; [unrolled: 1-line block ×4, first 2 shown]
	ds_write2_b64 v74, v[56:57], v[58:59] offset0:58 offset1:59
	v_mov_b32_e32 v56, v170
	v_mov_b32_e32 v57, v171
	ds_write2_b64 v74, v[56:57], v[250:251] offset0:60 offset1:61
	ds_read_b64 v[56:57], v1
	s_waitcnt lgkmcnt(0)
	v_cmp_neq_f64_e32 vcc_lo, 0, v[56:57]
	s_and_b32 exec_lo, exec_lo, vcc_lo
	s_cbranch_execz .LBB123_269
; %bb.268:
	v_div_scale_f64 v[58:59], null, v[56:57], v[56:57], 1.0
	v_rcp_f64_e32 v[60:61], v[58:59]
	v_fma_f64 v[62:63], -v[58:59], v[60:61], 1.0
	v_fma_f64 v[60:61], v[60:61], v[62:63], v[60:61]
	v_fma_f64 v[62:63], -v[58:59], v[60:61], 1.0
	v_fma_f64 v[60:61], v[60:61], v[62:63], v[60:61]
	v_div_scale_f64 v[62:63], vcc_lo, 1.0, v[56:57], 1.0
	v_mul_f64 v[64:65], v[62:63], v[60:61]
	v_fma_f64 v[58:59], -v[58:59], v[64:65], v[62:63]
	v_div_fmas_f64 v[58:59], v[58:59], v[60:61], v[64:65]
	v_div_fixup_f64 v[56:57], v[58:59], v[56:57], 1.0
	ds_write_b64 v1, v[56:57]
.LBB123_269:
	s_or_b32 exec_lo, exec_lo, s1
	s_waitcnt lgkmcnt(0)
	s_barrier
	buffer_gl0_inv
	ds_read_b64 v[56:57], v1
	s_mov_b32 s1, exec_lo
	v_cmpx_lt_u32_e32 53, v0
	s_cbranch_execz .LBB123_271
; %bb.270:
	s_waitcnt lgkmcnt(0)
	v_mul_f64 v[134:135], v[56:57], v[134:135]
	ds_read2_b64 v[58:61], v74 offset0:54 offset1:55
	s_waitcnt lgkmcnt(0)
	v_fma_f64 v[176:177], -v[134:135], v[58:59], v[176:177]
	v_fma_f64 v[132:133], -v[134:135], v[60:61], v[132:133]
	ds_read2_b64 v[58:61], v74 offset0:56 offset1:57
	s_waitcnt lgkmcnt(0)
	v_fma_f64 v[174:175], -v[134:135], v[58:59], v[174:175]
	v_fma_f64 v[130:131], -v[134:135], v[60:61], v[130:131]
	;; [unrolled: 4-line block ×4, first 2 shown]
.LBB123_271:
	s_or_b32 exec_lo, exec_lo, s1
	s_mov_b32 s1, exec_lo
	s_waitcnt lgkmcnt(0)
	s_barrier
	buffer_gl0_inv
	v_cmpx_eq_u32_e32 54, v0
	s_cbranch_execz .LBB123_274
; %bb.272:
	ds_write_b64 v1, v[176:177]
	ds_write2_b64 v74, v[132:133], v[174:175] offset0:55 offset1:56
	ds_write2_b64 v74, v[130:131], v[172:173] offset0:57 offset1:58
	;; [unrolled: 1-line block ×3, first 2 shown]
	ds_write_b64 v74, v[250:251] offset:488
	ds_read_b64 v[58:59], v1
	s_waitcnt lgkmcnt(0)
	v_cmp_neq_f64_e32 vcc_lo, 0, v[58:59]
	s_and_b32 exec_lo, exec_lo, vcc_lo
	s_cbranch_execz .LBB123_274
; %bb.273:
	v_div_scale_f64 v[60:61], null, v[58:59], v[58:59], 1.0
	v_rcp_f64_e32 v[62:63], v[60:61]
	v_fma_f64 v[64:65], -v[60:61], v[62:63], 1.0
	v_fma_f64 v[62:63], v[62:63], v[64:65], v[62:63]
	v_fma_f64 v[64:65], -v[60:61], v[62:63], 1.0
	v_fma_f64 v[62:63], v[62:63], v[64:65], v[62:63]
	v_div_scale_f64 v[64:65], vcc_lo, 1.0, v[58:59], 1.0
	v_mul_f64 v[66:67], v[64:65], v[62:63]
	v_fma_f64 v[60:61], -v[60:61], v[66:67], v[64:65]
	v_div_fmas_f64 v[60:61], v[60:61], v[62:63], v[66:67]
	v_div_fixup_f64 v[58:59], v[60:61], v[58:59], 1.0
	ds_write_b64 v1, v[58:59]
.LBB123_274:
	s_or_b32 exec_lo, exec_lo, s1
	s_waitcnt lgkmcnt(0)
	s_barrier
	buffer_gl0_inv
	ds_read_b64 v[60:61], v1
	s_mov_b32 s1, exec_lo
	v_cmpx_lt_u32_e32 54, v0
	s_cbranch_execz .LBB123_276
; %bb.275:
	s_waitcnt lgkmcnt(0)
	v_mul_f64 v[176:177], v[60:61], v[176:177]
	ds_read2_b64 v[62:65], v74 offset0:55 offset1:56
	ds_read_b64 v[58:59], v74 offset:488
	s_waitcnt lgkmcnt(1)
	v_fma_f64 v[132:133], -v[176:177], v[62:63], v[132:133]
	v_fma_f64 v[174:175], -v[176:177], v[64:65], v[174:175]
	ds_read2_b64 v[62:65], v74 offset0:57 offset1:58
	s_waitcnt lgkmcnt(1)
	v_fma_f64 v[250:251], -v[176:177], v[58:59], v[250:251]
	s_waitcnt lgkmcnt(0)
	v_fma_f64 v[130:131], -v[176:177], v[62:63], v[130:131]
	v_fma_f64 v[172:173], -v[176:177], v[64:65], v[172:173]
	ds_read2_b64 v[62:65], v74 offset0:59 offset1:60
	s_waitcnt lgkmcnt(0)
	v_fma_f64 v[128:129], -v[176:177], v[62:63], v[128:129]
	v_fma_f64 v[170:171], -v[176:177], v[64:65], v[170:171]
.LBB123_276:
	s_or_b32 exec_lo, exec_lo, s1
	s_mov_b32 s1, exec_lo
	s_waitcnt lgkmcnt(0)
	s_barrier
	buffer_gl0_inv
	v_cmpx_eq_u32_e32 55, v0
	s_cbranch_execz .LBB123_279
; %bb.277:
	v_mov_b32_e32 v58, v174
	v_mov_b32_e32 v59, v175
	;; [unrolled: 1-line block ×4, first 2 shown]
	ds_write_b64 v1, v[132:133]
	ds_write2_b64 v74, v[58:59], v[62:63] offset0:56 offset1:57
	v_mov_b32_e32 v58, v172
	v_mov_b32_e32 v59, v173
	;; [unrolled: 1-line block ×4, first 2 shown]
	ds_write2_b64 v74, v[58:59], v[62:63] offset0:58 offset1:59
	v_mov_b32_e32 v58, v170
	v_mov_b32_e32 v59, v171
	ds_write2_b64 v74, v[58:59], v[250:251] offset0:60 offset1:61
	ds_read_b64 v[58:59], v1
	s_waitcnt lgkmcnt(0)
	v_cmp_neq_f64_e32 vcc_lo, 0, v[58:59]
	s_and_b32 exec_lo, exec_lo, vcc_lo
	s_cbranch_execz .LBB123_279
; %bb.278:
	v_div_scale_f64 v[62:63], null, v[58:59], v[58:59], 1.0
	v_rcp_f64_e32 v[64:65], v[62:63]
	v_fma_f64 v[66:67], -v[62:63], v[64:65], 1.0
	v_fma_f64 v[64:65], v[64:65], v[66:67], v[64:65]
	v_fma_f64 v[66:67], -v[62:63], v[64:65], 1.0
	v_fma_f64 v[64:65], v[64:65], v[66:67], v[64:65]
	v_div_scale_f64 v[66:67], vcc_lo, 1.0, v[58:59], 1.0
	v_mul_f64 v[68:69], v[66:67], v[64:65]
	v_fma_f64 v[62:63], -v[62:63], v[68:69], v[66:67]
	v_div_fmas_f64 v[62:63], v[62:63], v[64:65], v[68:69]
	v_div_fixup_f64 v[58:59], v[62:63], v[58:59], 1.0
	ds_write_b64 v1, v[58:59]
.LBB123_279:
	s_or_b32 exec_lo, exec_lo, s1
	s_waitcnt lgkmcnt(0)
	s_barrier
	buffer_gl0_inv
	ds_read_b64 v[62:63], v1
	s_mov_b32 s1, exec_lo
	v_cmpx_lt_u32_e32 55, v0
	s_cbranch_execz .LBB123_281
; %bb.280:
	s_waitcnt lgkmcnt(0)
	v_mul_f64 v[132:133], v[62:63], v[132:133]
	ds_read2_b64 v[64:67], v74 offset0:56 offset1:57
	s_waitcnt lgkmcnt(0)
	v_fma_f64 v[174:175], -v[132:133], v[64:65], v[174:175]
	v_fma_f64 v[130:131], -v[132:133], v[66:67], v[130:131]
	ds_read2_b64 v[64:67], v74 offset0:58 offset1:59
	s_waitcnt lgkmcnt(0)
	v_fma_f64 v[172:173], -v[132:133], v[64:65], v[172:173]
	v_fma_f64 v[128:129], -v[132:133], v[66:67], v[128:129]
	;; [unrolled: 4-line block ×3, first 2 shown]
.LBB123_281:
	s_or_b32 exec_lo, exec_lo, s1
	s_mov_b32 s1, exec_lo
	s_waitcnt lgkmcnt(0)
	s_barrier
	buffer_gl0_inv
	v_cmpx_eq_u32_e32 56, v0
	s_cbranch_execz .LBB123_284
; %bb.282:
	ds_write_b64 v1, v[174:175]
	ds_write2_b64 v74, v[130:131], v[172:173] offset0:57 offset1:58
	ds_write2_b64 v74, v[128:129], v[170:171] offset0:59 offset1:60
	ds_write_b64 v74, v[250:251] offset:488
	ds_read_b64 v[58:59], v1
	s_waitcnt lgkmcnt(0)
	v_cmp_neq_f64_e32 vcc_lo, 0, v[58:59]
	s_and_b32 exec_lo, exec_lo, vcc_lo
	s_cbranch_execz .LBB123_284
; %bb.283:
	v_div_scale_f64 v[64:65], null, v[58:59], v[58:59], 1.0
	v_rcp_f64_e32 v[66:67], v[64:65]
	v_fma_f64 v[68:69], -v[64:65], v[66:67], 1.0
	v_fma_f64 v[66:67], v[66:67], v[68:69], v[66:67]
	v_fma_f64 v[68:69], -v[64:65], v[66:67], 1.0
	v_fma_f64 v[66:67], v[66:67], v[68:69], v[66:67]
	v_div_scale_f64 v[68:69], vcc_lo, 1.0, v[58:59], 1.0
	v_mul_f64 v[70:71], v[68:69], v[66:67]
	v_fma_f64 v[64:65], -v[64:65], v[70:71], v[68:69]
	v_div_fmas_f64 v[64:65], v[64:65], v[66:67], v[70:71]
	v_div_fixup_f64 v[58:59], v[64:65], v[58:59], 1.0
	ds_write_b64 v1, v[58:59]
.LBB123_284:
	s_or_b32 exec_lo, exec_lo, s1
	s_waitcnt lgkmcnt(0)
	s_barrier
	buffer_gl0_inv
	ds_read_b64 v[64:65], v1
	s_mov_b32 s1, exec_lo
	v_cmpx_lt_u32_e32 56, v0
	s_cbranch_execz .LBB123_286
; %bb.285:
	s_waitcnt lgkmcnt(0)
	v_mul_f64 v[174:175], v[64:65], v[174:175]
	ds_read2_b64 v[66:69], v74 offset0:57 offset1:58
	ds_read_b64 v[58:59], v74 offset:488
	s_waitcnt lgkmcnt(1)
	v_fma_f64 v[130:131], -v[174:175], v[66:67], v[130:131]
	v_fma_f64 v[172:173], -v[174:175], v[68:69], v[172:173]
	ds_read2_b64 v[66:69], v74 offset0:59 offset1:60
	s_waitcnt lgkmcnt(1)
	v_fma_f64 v[250:251], -v[174:175], v[58:59], v[250:251]
	s_waitcnt lgkmcnt(0)
	v_fma_f64 v[128:129], -v[174:175], v[66:67], v[128:129]
	v_fma_f64 v[170:171], -v[174:175], v[68:69], v[170:171]
.LBB123_286:
	s_or_b32 exec_lo, exec_lo, s1
	s_mov_b32 s1, exec_lo
	s_waitcnt lgkmcnt(0)
	s_barrier
	buffer_gl0_inv
	v_cmpx_eq_u32_e32 57, v0
	s_cbranch_execz .LBB123_289
; %bb.287:
	v_mov_b32_e32 v58, v172
	v_mov_b32_e32 v59, v173
	;; [unrolled: 1-line block ×4, first 2 shown]
	ds_write_b64 v1, v[130:131]
	ds_write2_b64 v74, v[58:59], v[66:67] offset0:58 offset1:59
	v_mov_b32_e32 v58, v170
	v_mov_b32_e32 v59, v171
	ds_write2_b64 v74, v[58:59], v[250:251] offset0:60 offset1:61
	ds_read_b64 v[58:59], v1
	s_waitcnt lgkmcnt(0)
	v_cmp_neq_f64_e32 vcc_lo, 0, v[58:59]
	s_and_b32 exec_lo, exec_lo, vcc_lo
	s_cbranch_execz .LBB123_289
; %bb.288:
	v_div_scale_f64 v[66:67], null, v[58:59], v[58:59], 1.0
	v_rcp_f64_e32 v[68:69], v[66:67]
	v_fma_f64 v[70:71], -v[66:67], v[68:69], 1.0
	v_fma_f64 v[68:69], v[68:69], v[70:71], v[68:69]
	v_fma_f64 v[70:71], -v[66:67], v[68:69], 1.0
	v_fma_f64 v[68:69], v[68:69], v[70:71], v[68:69]
	v_div_scale_f64 v[70:71], vcc_lo, 1.0, v[58:59], 1.0
	v_mul_f64 v[72:73], v[70:71], v[68:69]
	v_fma_f64 v[66:67], -v[66:67], v[72:73], v[70:71]
	v_div_fmas_f64 v[66:67], v[66:67], v[68:69], v[72:73]
	v_div_fixup_f64 v[58:59], v[66:67], v[58:59], 1.0
	ds_write_b64 v1, v[58:59]
.LBB123_289:
	s_or_b32 exec_lo, exec_lo, s1
	s_waitcnt lgkmcnt(0)
	s_barrier
	buffer_gl0_inv
	ds_read_b64 v[66:67], v1
	s_mov_b32 s1, exec_lo
	v_cmpx_lt_u32_e32 57, v0
	s_cbranch_execz .LBB123_291
; %bb.290:
	s_waitcnt lgkmcnt(0)
	v_mul_f64 v[130:131], v[66:67], v[130:131]
	ds_read2_b64 v[68:71], v74 offset0:58 offset1:59
	s_waitcnt lgkmcnt(0)
	v_fma_f64 v[172:173], -v[130:131], v[68:69], v[172:173]
	v_fma_f64 v[128:129], -v[130:131], v[70:71], v[128:129]
	ds_read2_b64 v[68:71], v74 offset0:60 offset1:61
	s_waitcnt lgkmcnt(0)
	v_fma_f64 v[170:171], -v[130:131], v[68:69], v[170:171]
	v_fma_f64 v[250:251], -v[130:131], v[70:71], v[250:251]
.LBB123_291:
	s_or_b32 exec_lo, exec_lo, s1
	s_mov_b32 s1, exec_lo
	s_waitcnt lgkmcnt(0)
	s_barrier
	buffer_gl0_inv
	v_cmpx_eq_u32_e32 58, v0
	s_cbranch_execz .LBB123_294
; %bb.292:
	ds_write_b64 v1, v[172:173]
	ds_write2_b64 v74, v[128:129], v[170:171] offset0:59 offset1:60
	ds_write_b64 v74, v[250:251] offset:488
	ds_read_b64 v[58:59], v1
	s_waitcnt lgkmcnt(0)
	v_cmp_neq_f64_e32 vcc_lo, 0, v[58:59]
	s_and_b32 exec_lo, exec_lo, vcc_lo
	s_cbranch_execz .LBB123_294
; %bb.293:
	v_div_scale_f64 v[68:69], null, v[58:59], v[58:59], 1.0
	v_rcp_f64_e32 v[70:71], v[68:69]
	v_fma_f64 v[72:73], -v[68:69], v[70:71], 1.0
	v_fma_f64 v[70:71], v[70:71], v[72:73], v[70:71]
	v_fma_f64 v[72:73], -v[68:69], v[70:71], 1.0
	v_fma_f64 v[70:71], v[70:71], v[72:73], v[70:71]
	v_div_scale_f64 v[72:73], vcc_lo, 1.0, v[58:59], 1.0
	v_mul_f64 v[75:76], v[72:73], v[70:71]
	v_fma_f64 v[68:69], -v[68:69], v[75:76], v[72:73]
	v_div_fmas_f64 v[68:69], v[68:69], v[70:71], v[75:76]
	v_div_fixup_f64 v[58:59], v[68:69], v[58:59], 1.0
	ds_write_b64 v1, v[58:59]
.LBB123_294:
	s_or_b32 exec_lo, exec_lo, s1
	s_waitcnt lgkmcnt(0)
	s_barrier
	buffer_gl0_inv
	ds_read_b64 v[68:69], v1
	s_mov_b32 s1, exec_lo
	v_cmpx_lt_u32_e32 58, v0
	s_cbranch_execz .LBB123_296
; %bb.295:
	s_waitcnt lgkmcnt(0)
	v_mul_f64 v[172:173], v[68:69], v[172:173]
	ds_read2_b64 v[70:73], v74 offset0:59 offset1:60
	ds_read_b64 v[58:59], v74 offset:488
	s_waitcnt lgkmcnt(1)
	v_fma_f64 v[128:129], -v[172:173], v[70:71], v[128:129]
	v_fma_f64 v[170:171], -v[172:173], v[72:73], v[170:171]
	s_waitcnt lgkmcnt(0)
	v_fma_f64 v[250:251], -v[172:173], v[58:59], v[250:251]
.LBB123_296:
	s_or_b32 exec_lo, exec_lo, s1
	s_mov_b32 s1, exec_lo
	s_waitcnt lgkmcnt(0)
	s_barrier
	buffer_gl0_inv
	v_cmpx_eq_u32_e32 59, v0
	s_cbranch_execz .LBB123_299
; %bb.297:
	v_mov_b32_e32 v58, v170
	v_mov_b32_e32 v59, v171
	ds_write_b64 v1, v[128:129]
	ds_write2_b64 v74, v[58:59], v[250:251] offset0:60 offset1:61
	ds_read_b64 v[58:59], v1
	s_waitcnt lgkmcnt(0)
	v_cmp_neq_f64_e32 vcc_lo, 0, v[58:59]
	s_and_b32 exec_lo, exec_lo, vcc_lo
	s_cbranch_execz .LBB123_299
; %bb.298:
	v_div_scale_f64 v[70:71], null, v[58:59], v[58:59], 1.0
	v_rcp_f64_e32 v[72:73], v[70:71]
	v_fma_f64 v[75:76], -v[70:71], v[72:73], 1.0
	v_fma_f64 v[72:73], v[72:73], v[75:76], v[72:73]
	v_fma_f64 v[75:76], -v[70:71], v[72:73], 1.0
	v_fma_f64 v[72:73], v[72:73], v[75:76], v[72:73]
	v_div_scale_f64 v[75:76], vcc_lo, 1.0, v[58:59], 1.0
	v_mul_f64 v[77:78], v[75:76], v[72:73]
	v_fma_f64 v[70:71], -v[70:71], v[77:78], v[75:76]
	v_div_fmas_f64 v[70:71], v[70:71], v[72:73], v[77:78]
	v_div_fixup_f64 v[58:59], v[70:71], v[58:59], 1.0
	ds_write_b64 v1, v[58:59]
.LBB123_299:
	s_or_b32 exec_lo, exec_lo, s1
	s_waitcnt lgkmcnt(0)
	s_barrier
	buffer_gl0_inv
	ds_read_b64 v[70:71], v1
	s_mov_b32 s1, exec_lo
	v_cmpx_lt_u32_e32 59, v0
	s_cbranch_execz .LBB123_301
; %bb.300:
	s_waitcnt lgkmcnt(0)
	v_mul_f64 v[128:129], v[70:71], v[128:129]
	ds_read2_b64 v[75:78], v74 offset0:60 offset1:61
	s_waitcnt lgkmcnt(0)
	v_fma_f64 v[170:171], -v[128:129], v[75:76], v[170:171]
	v_fma_f64 v[250:251], -v[128:129], v[77:78], v[250:251]
.LBB123_301:
	s_or_b32 exec_lo, exec_lo, s1
	s_mov_b32 s1, exec_lo
	s_waitcnt lgkmcnt(0)
	s_barrier
	buffer_gl0_inv
	v_cmpx_eq_u32_e32 60, v0
	s_cbranch_execz .LBB123_304
; %bb.302:
	ds_write_b64 v1, v[170:171]
	ds_write_b64 v74, v[250:251] offset:488
	ds_read_b64 v[58:59], v1
	s_waitcnt lgkmcnt(0)
	v_cmp_neq_f64_e32 vcc_lo, 0, v[58:59]
	s_and_b32 exec_lo, exec_lo, vcc_lo
	s_cbranch_execz .LBB123_304
; %bb.303:
	v_div_scale_f64 v[72:73], null, v[58:59], v[58:59], 1.0
	v_mov_b32_e32 v106, v105
	v_mov_b32_e32 v105, v104
	;; [unrolled: 1-line block ×20, first 2 shown]
	v_rcp_f64_e32 v[75:76], v[72:73]
	v_mov_b32_e32 v86, v85
	v_mov_b32_e32 v85, v84
	;; [unrolled: 1-line block ×23, first 2 shown]
	v_fma_f64 v[77:78], -v[72:73], v[75:76], 1.0
	v_mov_b32_e32 v120, v119
	v_mov_b32_e32 v5, v253
	;; [unrolled: 1-line block ×21, first 2 shown]
	v_fma_f64 v[75:76], v[75:76], v[77:78], v[75:76]
	v_mov_b32_e32 v115, v116
	v_mov_b32_e32 v116, v117
	;; [unrolled: 1-line block ×14, first 2 shown]
	v_fma_f64 v[77:78], -v[72:73], v[75:76], 1.0
	v_fma_f64 v[75:76], v[75:76], v[77:78], v[75:76]
	v_div_scale_f64 v[77:78], vcc_lo, 1.0, v[58:59], 1.0
	v_mul_f64 v[79:80], v[77:78], v[75:76]
	v_fma_f64 v[72:73], -v[72:73], v[79:80], v[77:78]
	v_div_fmas_f64 v[72:73], v[72:73], v[75:76], v[79:80]
	v_mov_b32_e32 v80, v81
	v_mov_b32_e32 v81, v82
	;; [unrolled: 1-line block ×21, first 2 shown]
	v_div_fixup_f64 v[58:59], v[72:73], v[58:59], 1.0
	v_mov_b32_e32 v101, v102
	v_mov_b32_e32 v102, v103
	;; [unrolled: 1-line block ×5, first 2 shown]
	ds_write_b64 v1, v[58:59]
.LBB123_304:
	s_or_b32 exec_lo, exec_lo, s1
	s_waitcnt lgkmcnt(0)
	s_barrier
	buffer_gl0_inv
	ds_read_b64 v[72:73], v1
	s_mov_b32 s1, exec_lo
	v_cmpx_lt_u32_e32 60, v0
	s_cbranch_execz .LBB123_306
; %bb.305:
	s_waitcnt lgkmcnt(0)
	v_mul_f64 v[170:171], v[72:73], v[170:171]
	ds_read_b64 v[58:59], v74 offset:488
	s_waitcnt lgkmcnt(0)
	v_fma_f64 v[250:251], -v[170:171], v[58:59], v[250:251]
.LBB123_306:
	s_or_b32 exec_lo, exec_lo, s1
	s_mov_b32 s1, exec_lo
	s_waitcnt lgkmcnt(0)
	s_barrier
	buffer_gl0_inv
	v_cmpx_eq_u32_e32 61, v0
	s_cbranch_execz .LBB123_309
; %bb.307:
	v_cmp_neq_f64_e32 vcc_lo, 0, v[250:251]
	ds_write_b64 v1, v[250:251]
	s_and_b32 exec_lo, exec_lo, vcc_lo
	s_cbranch_execz .LBB123_309
; %bb.308:
	v_div_scale_f64 v[58:59], null, v[250:251], v[250:251], 1.0
	v_rcp_f64_e32 v[74:75], v[58:59]
	v_fma_f64 v[76:77], -v[58:59], v[74:75], 1.0
	v_fma_f64 v[74:75], v[74:75], v[76:77], v[74:75]
	v_fma_f64 v[76:77], -v[58:59], v[74:75], 1.0
	v_fma_f64 v[74:75], v[74:75], v[76:77], v[74:75]
	v_div_scale_f64 v[76:77], vcc_lo, 1.0, v[250:251], 1.0
	v_mul_f64 v[78:79], v[76:77], v[74:75]
	v_fma_f64 v[58:59], -v[58:59], v[78:79], v[76:77]
	v_div_fmas_f64 v[58:59], v[58:59], v[74:75], v[78:79]
	v_div_fixup_f64 v[58:59], v[58:59], v[250:251], 1.0
	ds_write_b64 v1, v[58:59]
.LBB123_309:
	s_or_b32 exec_lo, exec_lo, s1
	s_waitcnt lgkmcnt(0)
	s_barrier
	buffer_gl0_inv
	ds_read_b64 v[58:59], v1
	s_waitcnt lgkmcnt(0)
	s_barrier
	buffer_gl0_inv
	s_and_saveexec_b32 s1, s0
	s_cbranch_execz .LBB123_312
; %bb.310:
	v_mov_b32_e32 v75, v5
	v_mov_b32_e32 v74, v4
	s_clause 0x1
	buffer_load_dword v4, off, s[12:15], 0 offset:288
	buffer_load_dword v5, off, s[12:15], 0 offset:292
	s_load_dwordx2 s[2:3], s[4:5], 0x28
	s_waitcnt vmcnt(0)
	v_cmp_eq_f64_e32 vcc_lo, 0, v[4:5]
	s_clause 0x1
	buffer_load_dword v4, off, s[12:15], 0 offset:296
	buffer_load_dword v5, off, s[12:15], 0 offset:300
	v_cndmask_b32_e64 v1, 0, 1, vcc_lo
	s_waitcnt vmcnt(0)
	v_cmp_neq_f64_e64 s0, 0, v[4:5]
	s_clause 0x1
	buffer_load_dword v4, off, s[12:15], 0 offset:304
	buffer_load_dword v5, off, s[12:15], 0 offset:308
	s_or_b32 vcc_lo, s0, vcc_lo
	v_cndmask_b32_e32 v1, 2, v1, vcc_lo
	v_cmp_eq_u32_e64 s0, 0, v1
	s_waitcnt vmcnt(0)
	v_cmp_eq_f64_e32 vcc_lo, 0, v[4:5]
	s_clause 0x1
	buffer_load_dword v4, off, s[12:15], 0 offset:312
	buffer_load_dword v5, off, s[12:15], 0 offset:316
	s_and_b32 s0, vcc_lo, s0
	v_cndmask_b32_e64 v1, v1, 3, s0
	v_cmp_eq_u32_e64 s0, 0, v1
	s_waitcnt vmcnt(0)
	v_cmp_eq_f64_e32 vcc_lo, 0, v[4:5]
	s_clause 0x1
	buffer_load_dword v4, off, s[12:15], 0 offset:320
	buffer_load_dword v5, off, s[12:15], 0 offset:324
	s_and_b32 s0, vcc_lo, s0
	v_cndmask_b32_e64 v1, v1, 4, s0
	;; [unrolled: 8-line block ×24, first 2 shown]
	v_cmp_eq_u32_e64 s0, 0, v1
	s_waitcnt vmcnt(0)
	v_cmp_eq_f64_e32 vcc_lo, 0, v[4:5]
	s_and_b32 s0, vcc_lo, s0
	v_cmp_eq_f64_e32 vcc_lo, 0, v[74:75]
	v_cndmask_b32_e64 v1, v1, 27, s0
	v_cmp_eq_u32_e64 s0, 0, v1
	s_and_b32 s0, vcc_lo, s0
	v_cmp_eq_f64_e32 vcc_lo, 0, v[6:7]
	v_cndmask_b32_e64 v1, v1, 28, s0
	v_cmp_eq_u32_e64 s0, 0, v1
	;; [unrolled: 4-line block ×35, first 2 shown]
	s_and_b32 s0, vcc_lo, s0
	v_cndmask_b32_e64 v4, v1, 62, s0
	v_lshlrev_b64 v[1:2], 2, v[2:3]
	v_cmp_ne_u32_e64 s0, 0, v4
	s_waitcnt lgkmcnt(0)
	v_add_co_u32 v1, vcc_lo, s2, v1
	v_add_co_ci_u32_e64 v2, null, s3, v2, vcc_lo
	global_load_dword v3, v[1:2], off
	s_waitcnt vmcnt(0)
	v_cmp_eq_u32_e32 vcc_lo, 0, v3
	s_and_b32 s0, vcc_lo, s0
	s_and_b32 exec_lo, exec_lo, s0
	s_cbranch_execz .LBB123_312
; %bb.311:
	v_add_nc_u32_e32 v3, s9, v4
	global_store_dword v[1:2], v3, off
.LBB123_312:
	s_or_b32 exec_lo, exec_lo, s1
	flat_store_dwordx2 v[124:125], v[212:213]
	s_clause 0x1
	buffer_load_dword v3, off, s[12:15], 0 offset:280
	buffer_load_dword v4, off, s[12:15], 0 offset:284
	v_mul_f64 v[1:2], v[58:59], v[250:251]
	v_cmp_lt_u32_e32 vcc_lo, 61, v0
	s_waitcnt vmcnt(0)
	flat_store_dwordx2 v[3:4], v[230:231]
	flat_store_dwordx2 v[80:81], v[248:249]
	;; [unrolled: 1-line block ×14, first 2 shown]
	s_clause 0x1
	buffer_load_dword v3, off, s[12:15], 0 offset:504
	buffer_load_dword v4, off, s[12:15], 0 offset:508
	v_cndmask_b32_e32 v2, v251, v2, vcc_lo
	v_cndmask_b32_e32 v1, v250, v1, vcc_lo
	s_waitcnt vmcnt(0)
	flat_store_dwordx2 v[3:4], v[216:217]
	s_clause 0x1
	buffer_load_dword v3, off, s[12:15], 0 offset:512
	buffer_load_dword v4, off, s[12:15], 0 offset:516
	s_waitcnt vmcnt(0)
	flat_store_dwordx2 v[3:4], v[234:235]
	s_clause 0x1
	buffer_load_dword v3, off, s[12:15], 0 offset:520
	buffer_load_dword v4, off, s[12:15], 0 offset:524
	s_waitcnt vmcnt(0)
	flat_store_dwordx2 v[3:4], v[214:215]
	flat_store_dwordx2 v[114:115], v[232:233]
	;; [unrolled: 1-line block ×10, first 2 shown]
	s_clause 0x1
	buffer_load_dword v3, off, s[12:15], 0
	buffer_load_dword v4, off, s[12:15], 0 offset:4
	s_waitcnt vmcnt(0)
	flat_store_dwordx2 v[3:4], v[160:161]
	s_clause 0x1
	buffer_load_dword v3, off, s[12:15], 0 offset:8
	buffer_load_dword v4, off, s[12:15], 0 offset:12
	s_waitcnt vmcnt(0)
	flat_store_dwordx2 v[3:4], v[202:203]
	s_clause 0x1
	buffer_load_dword v3, off, s[12:15], 0 offset:16
	;; [unrolled: 5-line block ×34, first 2 shown]
	buffer_load_dword v4, off, s[12:15], 0 offset:276
	s_waitcnt vmcnt(0)
	flat_store_dwordx2 v[3:4], v[1:2]
.LBB123_313:
	s_endpgm
	.section	.rodata,"a",@progbits
	.p2align	6, 0x0
	.amdhsa_kernel _ZN9rocsolver6v33100L23getf2_npvt_small_kernelILi62EdiiPKPdEEvT1_T3_lS5_lPT2_S5_S5_
		.amdhsa_group_segment_fixed_size 0
		.amdhsa_private_segment_fixed_size 532
		.amdhsa_kernarg_size 312
		.amdhsa_user_sgpr_count 6
		.amdhsa_user_sgpr_private_segment_buffer 1
		.amdhsa_user_sgpr_dispatch_ptr 0
		.amdhsa_user_sgpr_queue_ptr 0
		.amdhsa_user_sgpr_kernarg_segment_ptr 1
		.amdhsa_user_sgpr_dispatch_id 0
		.amdhsa_user_sgpr_flat_scratch_init 0
		.amdhsa_user_sgpr_private_segment_size 0
		.amdhsa_wavefront_size32 1
		.amdhsa_uses_dynamic_stack 0
		.amdhsa_system_sgpr_private_segment_wavefront_offset 1
		.amdhsa_system_sgpr_workgroup_id_x 1
		.amdhsa_system_sgpr_workgroup_id_y 1
		.amdhsa_system_sgpr_workgroup_id_z 0
		.amdhsa_system_sgpr_workgroup_info 0
		.amdhsa_system_vgpr_workitem_id 1
		.amdhsa_next_free_vgpr 256
		.amdhsa_next_free_sgpr 16
		.amdhsa_reserve_vcc 1
		.amdhsa_reserve_flat_scratch 1
		.amdhsa_float_round_mode_32 0
		.amdhsa_float_round_mode_16_64 0
		.amdhsa_float_denorm_mode_32 3
		.amdhsa_float_denorm_mode_16_64 3
		.amdhsa_dx10_clamp 1
		.amdhsa_ieee_mode 1
		.amdhsa_fp16_overflow 0
		.amdhsa_workgroup_processor_mode 1
		.amdhsa_memory_ordered 1
		.amdhsa_forward_progress 1
		.amdhsa_shared_vgpr_count 0
		.amdhsa_exception_fp_ieee_invalid_op 0
		.amdhsa_exception_fp_denorm_src 0
		.amdhsa_exception_fp_ieee_div_zero 0
		.amdhsa_exception_fp_ieee_overflow 0
		.amdhsa_exception_fp_ieee_underflow 0
		.amdhsa_exception_fp_ieee_inexact 0
		.amdhsa_exception_int_div_zero 0
	.end_amdhsa_kernel
	.section	.text._ZN9rocsolver6v33100L23getf2_npvt_small_kernelILi62EdiiPKPdEEvT1_T3_lS5_lPT2_S5_S5_,"axG",@progbits,_ZN9rocsolver6v33100L23getf2_npvt_small_kernelILi62EdiiPKPdEEvT1_T3_lS5_lPT2_S5_S5_,comdat
.Lfunc_end123:
	.size	_ZN9rocsolver6v33100L23getf2_npvt_small_kernelILi62EdiiPKPdEEvT1_T3_lS5_lPT2_S5_S5_, .Lfunc_end123-_ZN9rocsolver6v33100L23getf2_npvt_small_kernelILi62EdiiPKPdEEvT1_T3_lS5_lPT2_S5_S5_
                                        ; -- End function
	.set _ZN9rocsolver6v33100L23getf2_npvt_small_kernelILi62EdiiPKPdEEvT1_T3_lS5_lPT2_S5_S5_.num_vgpr, 256
	.set _ZN9rocsolver6v33100L23getf2_npvt_small_kernelILi62EdiiPKPdEEvT1_T3_lS5_lPT2_S5_S5_.num_agpr, 0
	.set _ZN9rocsolver6v33100L23getf2_npvt_small_kernelILi62EdiiPKPdEEvT1_T3_lS5_lPT2_S5_S5_.numbered_sgpr, 16
	.set _ZN9rocsolver6v33100L23getf2_npvt_small_kernelILi62EdiiPKPdEEvT1_T3_lS5_lPT2_S5_S5_.num_named_barrier, 0
	.set _ZN9rocsolver6v33100L23getf2_npvt_small_kernelILi62EdiiPKPdEEvT1_T3_lS5_lPT2_S5_S5_.private_seg_size, 532
	.set _ZN9rocsolver6v33100L23getf2_npvt_small_kernelILi62EdiiPKPdEEvT1_T3_lS5_lPT2_S5_S5_.uses_vcc, 1
	.set _ZN9rocsolver6v33100L23getf2_npvt_small_kernelILi62EdiiPKPdEEvT1_T3_lS5_lPT2_S5_S5_.uses_flat_scratch, 1
	.set _ZN9rocsolver6v33100L23getf2_npvt_small_kernelILi62EdiiPKPdEEvT1_T3_lS5_lPT2_S5_S5_.has_dyn_sized_stack, 0
	.set _ZN9rocsolver6v33100L23getf2_npvt_small_kernelILi62EdiiPKPdEEvT1_T3_lS5_lPT2_S5_S5_.has_recursion, 0
	.set _ZN9rocsolver6v33100L23getf2_npvt_small_kernelILi62EdiiPKPdEEvT1_T3_lS5_lPT2_S5_S5_.has_indirect_call, 0
	.section	.AMDGPU.csdata,"",@progbits
; Kernel info:
; codeLenInByte = 63096
; TotalNumSgprs: 18
; NumVgprs: 256
; ScratchSize: 532
; MemoryBound: 0
; FloatMode: 240
; IeeeMode: 1
; LDSByteSize: 0 bytes/workgroup (compile time only)
; SGPRBlocks: 0
; VGPRBlocks: 31
; NumSGPRsForWavesPerEU: 18
; NumVGPRsForWavesPerEU: 256
; Occupancy: 4
; WaveLimiterHint : 1
; COMPUTE_PGM_RSRC2:SCRATCH_EN: 1
; COMPUTE_PGM_RSRC2:USER_SGPR: 6
; COMPUTE_PGM_RSRC2:TRAP_HANDLER: 0
; COMPUTE_PGM_RSRC2:TGID_X_EN: 1
; COMPUTE_PGM_RSRC2:TGID_Y_EN: 1
; COMPUTE_PGM_RSRC2:TGID_Z_EN: 0
; COMPUTE_PGM_RSRC2:TIDIG_COMP_CNT: 1
	.section	.text._ZN9rocsolver6v33100L18getf2_small_kernelILi63EdiiPKPdEEvT1_T3_lS5_lPS5_llPT2_S5_S5_S7_l,"axG",@progbits,_ZN9rocsolver6v33100L18getf2_small_kernelILi63EdiiPKPdEEvT1_T3_lS5_lPS5_llPT2_S5_S5_S7_l,comdat
	.globl	_ZN9rocsolver6v33100L18getf2_small_kernelILi63EdiiPKPdEEvT1_T3_lS5_lPS5_llPT2_S5_S5_S7_l ; -- Begin function _ZN9rocsolver6v33100L18getf2_small_kernelILi63EdiiPKPdEEvT1_T3_lS5_lPS5_llPT2_S5_S5_S7_l
	.p2align	8
	.type	_ZN9rocsolver6v33100L18getf2_small_kernelILi63EdiiPKPdEEvT1_T3_lS5_lPS5_llPT2_S5_S5_S7_l,@function
_ZN9rocsolver6v33100L18getf2_small_kernelILi63EdiiPKPdEEvT1_T3_lS5_lPS5_llPT2_S5_S5_S7_l: ; @_ZN9rocsolver6v33100L18getf2_small_kernelILi63EdiiPKPdEEvT1_T3_lS5_lPS5_llPT2_S5_S5_S7_l
; %bb.0:
	s_clause 0x1
	s_load_dword s0, s[4:5], 0x6c
	s_load_dwordx2 s[12:13], s[4:5], 0x48
	s_waitcnt lgkmcnt(0)
	s_lshr_b32 s0, s0, 16
	v_mad_u64_u32 v[2:3], null, s7, s0, v[1:2]
	s_mov_b32 s0, exec_lo
	v_cmpx_gt_i32_e64 s12, v2
	s_cbranch_execz .LBB124_1068
; %bb.1:
	s_clause 0x1
	s_load_dwordx4 s[0:3], s[4:5], 0x8
	s_load_dwordx4 s[8:11], s[4:5], 0x50
	v_ashrrev_i32_e32 v3, 31, v2
	v_lshlrev_b64 v[4:5], 3, v[2:3]
	s_waitcnt lgkmcnt(0)
	v_add_co_u32 v4, vcc_lo, s0, v4
	v_add_co_ci_u32_e64 v5, null, s1, v5, vcc_lo
	s_cmp_eq_u64 s[8:9], 0
	s_cselect_b32 s6, -1, 0
	global_load_dwordx2 v[6:7], v[4:5], off
	v_mov_b32_e32 v4, 0
	v_mov_b32_e32 v5, 0
	s_and_b32 vcc_lo, exec_lo, s6
	s_cbranch_vccnz .LBB124_3
; %bb.2:
	v_mul_lo_u32 v8, s11, v2
	v_mul_lo_u32 v9, s10, v3
	v_mad_u64_u32 v[4:5], null, s10, v2, 0
	v_add3_u32 v5, v5, v9, v8
	v_lshlrev_b64 v[4:5], 2, v[4:5]
	v_add_co_u32 v4, vcc_lo, s8, v4
	v_add_co_ci_u32_e64 v5, null, s9, v5, vcc_lo
.LBB124_3:
	s_clause 0x1
	s_load_dword s8, s[4:5], 0x18
	s_load_dword s7, s[4:5], 0x0
	s_lshl_b64 s[0:1], s[2:3], 3
	v_lshlrev_b32_e32 v192, 3, v0
	s_waitcnt vmcnt(0)
	v_add_co_u32 v136, vcc_lo, v6, s0
	v_add_co_ci_u32_e64 v137, null, s1, v7, vcc_lo
	s_waitcnt lgkmcnt(0)
	v_add3_u32 v8, s8, s8, v0
	s_ashr_i32 s9, s8, 31
	s_max_i32 s0, s7, 63
	s_lshl_b64 s[10:11], s[8:9], 3
	v_mul_lo_u32 v1, s0, v1
	v_add_nc_u32_e32 v10, s8, v8
	v_ashrrev_i32_e32 v9, 31, v8
	s_cmp_lt_i32 s7, 2
	v_ashrrev_i32_e32 v11, 31, v10
	v_add_nc_u32_e32 v12, s8, v10
	v_lshlrev_b64 v[8:9], 3, v[8:9]
	v_lshlrev_b64 v[6:7], 3, v[10:11]
	v_add_nc_u32_e32 v10, s8, v12
	v_ashrrev_i32_e32 v13, 31, v12
	v_add_co_u32 v8, vcc_lo, v136, v8
	v_add_co_ci_u32_e64 v9, null, v137, v9, vcc_lo
	v_add_nc_u32_e32 v14, s8, v10
	v_ashrrev_i32_e32 v11, 31, v10
	v_lshlrev_b64 v[12:13], 3, v[12:13]
	v_add_co_u32 v6, vcc_lo, v136, v6
	v_add_nc_u32_e32 v16, s8, v14
	v_ashrrev_i32_e32 v15, 31, v14
	v_lshlrev_b64 v[10:11], 3, v[10:11]
	v_add_co_ci_u32_e64 v7, null, v137, v7, vcc_lo
	v_add_nc_u32_e32 v18, s8, v16
	v_ashrrev_i32_e32 v17, 31, v16
	v_lshlrev_b64 v[14:15], 3, v[14:15]
	v_add_co_u32 v12, vcc_lo, v136, v12
	v_add_nc_u32_e32 v20, s8, v18
	v_ashrrev_i32_e32 v19, 31, v18
	v_lshlrev_b64 v[16:17], 3, v[16:17]
	v_add_co_ci_u32_e64 v13, null, v137, v13, vcc_lo
	v_add_nc_u32_e32 v22, s8, v20
	v_ashrrev_i32_e32 v21, 31, v20
	v_add_co_u32 v10, vcc_lo, v136, v10
	v_lshlrev_b64 v[18:19], 3, v[18:19]
	v_add_nc_u32_e32 v24, s8, v22
	v_ashrrev_i32_e32 v23, 31, v22
	v_add_co_ci_u32_e64 v11, null, v137, v11, vcc_lo
	v_add_co_u32 v14, vcc_lo, v136, v14
	v_add_nc_u32_e32 v26, s8, v24
	v_ashrrev_i32_e32 v25, 31, v24
	v_lshlrev_b64 v[20:21], 3, v[20:21]
	v_add_co_ci_u32_e64 v15, null, v137, v15, vcc_lo
	v_add_nc_u32_e32 v28, s8, v26
	v_ashrrev_i32_e32 v27, 31, v26
	v_add_co_u32 v16, vcc_lo, v136, v16
	v_lshlrev_b64 v[22:23], 3, v[22:23]
	v_add_nc_u32_e32 v30, s8, v28
	v_ashrrev_i32_e32 v29, 31, v28
	v_add_co_ci_u32_e64 v17, null, v137, v17, vcc_lo
	v_add_co_u32 v18, vcc_lo, v136, v18
	v_add_nc_u32_e32 v32, s8, v30
	v_lshlrev_b64 v[24:25], 3, v[24:25]
	v_ashrrev_i32_e32 v31, 31, v30
	v_add_co_ci_u32_e64 v19, null, v137, v19, vcc_lo
	v_add_nc_u32_e32 v34, s8, v32
	v_add_co_u32 v20, vcc_lo, v136, v20
	v_lshlrev_b64 v[26:27], 3, v[26:27]
	v_ashrrev_i32_e32 v33, 31, v32
	v_add_nc_u32_e32 v36, s8, v34
	v_add_co_ci_u32_e64 v21, null, v137, v21, vcc_lo
	v_add_co_u32 v22, vcc_lo, v136, v22
	v_add_nc_u32_e32 v38, s8, v36
	v_lshlrev_b64 v[28:29], 3, v[28:29]
	v_ashrrev_i32_e32 v35, 31, v34
	v_add_co_ci_u32_e64 v23, null, v137, v23, vcc_lo
	v_add_nc_u32_e32 v40, s8, v38
	v_add_co_u32 v24, vcc_lo, v136, v24
	v_lshlrev_b64 v[30:31], 3, v[30:31]
	v_ashrrev_i32_e32 v37, 31, v36
	v_add_nc_u32_e32 v42, s8, v40
	v_add_co_ci_u32_e64 v25, null, v137, v25, vcc_lo
	v_add_co_u32 v26, vcc_lo, v136, v26
	v_add_nc_u32_e32 v44, s8, v42
	v_lshlrev_b64 v[32:33], 3, v[32:33]
	v_ashrrev_i32_e32 v39, 31, v38
	v_add_co_ci_u32_e64 v27, null, v137, v27, vcc_lo
	v_add_nc_u32_e32 v46, s8, v44
	v_add_co_u32 v28, vcc_lo, v136, v28
	v_lshlrev_b64 v[34:35], 3, v[34:35]
	v_ashrrev_i32_e32 v41, 31, v40
	v_add_nc_u32_e32 v48, s8, v46
	v_add_co_ci_u32_e64 v29, null, v137, v29, vcc_lo
	v_add_co_u32 v30, vcc_lo, v136, v30
	v_add_nc_u32_e32 v50, s8, v48
	v_lshlrev_b64 v[36:37], 3, v[36:37]
	v_ashrrev_i32_e32 v43, 31, v42
	v_add_co_ci_u32_e64 v31, null, v137, v31, vcc_lo
	v_add_nc_u32_e32 v52, s8, v50
	v_add_co_u32 v32, vcc_lo, v136, v32
	v_lshlrev_b64 v[38:39], 3, v[38:39]
	v_ashrrev_i32_e32 v45, 31, v44
	v_add_nc_u32_e32 v54, s8, v52
	v_add_co_ci_u32_e64 v33, null, v137, v33, vcc_lo
	v_add_co_u32 v34, vcc_lo, v136, v34
	v_add_nc_u32_e32 v56, s8, v54
	v_lshlrev_b64 v[40:41], 3, v[40:41]
	v_ashrrev_i32_e32 v47, 31, v46
	v_add_co_ci_u32_e64 v35, null, v137, v35, vcc_lo
	v_add_nc_u32_e32 v58, s8, v56
	v_add_co_u32 v36, vcc_lo, v136, v36
	v_lshlrev_b64 v[42:43], 3, v[42:43]
	v_ashrrev_i32_e32 v49, 31, v48
	v_add_nc_u32_e32 v60, s8, v58
	v_add_co_ci_u32_e64 v37, null, v137, v37, vcc_lo
	v_add_co_u32 v38, vcc_lo, v136, v38
	v_add_nc_u32_e32 v62, s8, v60
	v_lshlrev_b64 v[44:45], 3, v[44:45]
	v_ashrrev_i32_e32 v51, 31, v50
	v_add_co_ci_u32_e64 v39, null, v137, v39, vcc_lo
	v_add_co_u32 v40, vcc_lo, v136, v40
	v_lshlrev_b64 v[46:47], 3, v[46:47]
	v_add_nc_u32_e32 v64, s8, v62
	v_ashrrev_i32_e32 v53, 31, v52
	v_add_co_ci_u32_e64 v41, null, v137, v41, vcc_lo
	v_add_co_u32 v42, vcc_lo, v136, v42
	v_lshlrev_b64 v[48:49], 3, v[48:49]
	v_ashrrev_i32_e32 v55, 31, v54
	v_add_co_ci_u32_e64 v43, null, v137, v43, vcc_lo
	v_add_co_u32 v44, vcc_lo, v136, v44
	v_lshlrev_b64 v[50:51], 3, v[50:51]
	v_ashrrev_i32_e32 v57, 31, v56
	v_add_nc_u32_e32 v66, s8, v64
	v_add_co_ci_u32_e64 v45, null, v137, v45, vcc_lo
	v_add_co_u32 v46, vcc_lo, v136, v46
	v_lshlrev_b64 v[52:53], 3, v[52:53]
	v_ashrrev_i32_e32 v59, 31, v58
	v_add_co_ci_u32_e64 v47, null, v137, v47, vcc_lo
	v_add_co_u32 v48, vcc_lo, v136, v48
	v_lshlrev_b64 v[54:55], 3, v[54:55]
	v_ashrrev_i32_e32 v61, 31, v60
	v_add_co_ci_u32_e64 v49, null, v137, v49, vcc_lo
	v_add_co_u32 v50, vcc_lo, v136, v50
	v_lshlrev_b64 v[56:57], 3, v[56:57]
	v_add_nc_u32_e32 v68, s8, v66
	v_ashrrev_i32_e32 v63, 31, v62
	v_add_co_ci_u32_e64 v51, null, v137, v51, vcc_lo
	v_add_co_u32 v52, vcc_lo, v136, v52
	v_lshlrev_b64 v[58:59], 3, v[58:59]
	v_ashrrev_i32_e32 v65, 31, v64
	v_add_co_ci_u32_e64 v53, null, v137, v53, vcc_lo
	v_add_co_u32 v54, vcc_lo, v136, v54
	v_lshlrev_b64 v[60:61], 3, v[60:61]
	v_ashrrev_i32_e32 v67, 31, v66
	v_add_nc_u32_e32 v70, s8, v68
	v_add_co_ci_u32_e64 v55, null, v137, v55, vcc_lo
	v_add_co_u32 v56, vcc_lo, v136, v56
	v_lshlrev_b64 v[62:63], 3, v[62:63]
	v_ashrrev_i32_e32 v69, 31, v68
	v_add_co_ci_u32_e64 v57, null, v137, v57, vcc_lo
	v_add_co_u32 v58, vcc_lo, v136, v58
	v_lshlrev_b64 v[64:65], 3, v[64:65]
	v_add_co_ci_u32_e64 v59, null, v137, v59, vcc_lo
	v_add_co_u32 v60, vcc_lo, v136, v60
	v_lshlrev_b64 v[66:67], 3, v[66:67]
	v_add_nc_u32_e32 v72, s8, v70
	v_add_co_ci_u32_e64 v61, null, v137, v61, vcc_lo
	v_add_co_u32 v62, vcc_lo, v136, v62
	v_lshlrev_b64 v[68:69], 3, v[68:69]
	v_ashrrev_i32_e32 v71, 31, v70
	v_add_co_ci_u32_e64 v63, null, v137, v63, vcc_lo
	v_add_co_u32 v64, vcc_lo, v136, v64
	v_ashrrev_i32_e32 v73, 31, v72
	v_add_nc_u32_e32 v74, s8, v72
	v_add_co_ci_u32_e64 v65, null, v137, v65, vcc_lo
	v_add_co_u32 v66, vcc_lo, v136, v66
	v_lshlrev_b64 v[70:71], 3, v[70:71]
	v_add_co_ci_u32_e64 v67, null, v137, v67, vcc_lo
	v_add_co_u32 v130, vcc_lo, v136, v68
	v_add_co_ci_u32_e64 v131, null, v137, v69, vcc_lo
	v_lshlrev_b64 v[68:69], 3, v[72:73]
	v_ashrrev_i32_e32 v75, 31, v74
	v_add_nc_u32_e32 v72, s8, v74
	v_add_co_u32 v132, vcc_lo, v136, v70
	v_add_co_ci_u32_e64 v133, null, v137, v71, vcc_lo
	v_lshlrev_b64 v[70:71], 3, v[74:75]
	v_ashrrev_i32_e32 v73, 31, v72
	v_add_nc_u32_e32 v74, s8, v72
	;; [unrolled: 5-line block ×24, first 2 shown]
	v_add_co_u32 v180, vcc_lo, v136, v68
	v_add_co_ci_u32_e64 v181, null, v137, v69, vcc_lo
	v_lshlrev_b64 v[68:69], 3, v[72:73]
	v_add_nc_u32_e32 v72, s8, v74
	v_ashrrev_i32_e32 v75, 31, v74
	v_add_co_u32 v182, vcc_lo, v136, v70
	v_add_co_ci_u32_e64 v183, null, v137, v71, vcc_lo
	v_ashrrev_i32_e32 v73, 31, v72
	v_lshlrev_b64 v[70:71], 3, v[74:75]
	v_add_co_u32 v184, vcc_lo, v136, v68
	v_add_co_ci_u32_e64 v185, null, v137, v69, vcc_lo
	v_lshlrev_b64 v[68:69], 3, v[72:73]
	v_add_nc_u32_e32 v72, s8, v72
	v_add_co_u32 v186, vcc_lo, v136, v70
	v_add_co_ci_u32_e64 v187, null, v137, v71, vcc_lo
	v_ashrrev_i32_e32 v73, 31, v72
	v_add_co_u32 v188, vcc_lo, v136, v68
	v_add_co_ci_u32_e64 v189, null, v137, v69, vcc_lo
	v_add_co_u32 v70, vcc_lo, v136, v192
	v_add_co_ci_u32_e64 v71, null, 0, v137, vcc_lo
	v_lshlrev_b64 v[68:69], 3, v[72:73]
	v_add_co_u32 v72, vcc_lo, v70, s10
	v_add_co_ci_u32_e64 v73, null, s11, v71, vcc_lo
	v_add_co_u32 v190, vcc_lo, v136, v68
	v_add_co_ci_u32_e64 v191, null, v137, v69, vcc_lo
	s_clause 0x3e
	flat_load_dwordx2 v[128:129], v[70:71]
	flat_load_dwordx2 v[124:125], v[72:73]
	flat_load_dwordx2 v[126:127], v[8:9]
	flat_load_dwordx2 v[122:123], v[6:7]
	flat_load_dwordx2 v[120:121], v[12:13]
	flat_load_dwordx2 v[118:119], v[10:11]
	flat_load_dwordx2 v[116:117], v[14:15]
	flat_load_dwordx2 v[114:115], v[16:17]
	flat_load_dwordx2 v[112:113], v[18:19]
	flat_load_dwordx2 v[108:109], v[20:21]
	flat_load_dwordx2 v[110:111], v[22:23]
	flat_load_dwordx2 v[104:105], v[24:25]
	flat_load_dwordx2 v[106:107], v[26:27]
	flat_load_dwordx2 v[102:103], v[28:29]
	flat_load_dwordx2 v[100:101], v[30:31]
	flat_load_dwordx2 v[98:99], v[32:33]
	flat_load_dwordx2 v[96:97], v[34:35]
	flat_load_dwordx2 v[94:95], v[36:37]
	flat_load_dwordx2 v[92:93], v[38:39]
	flat_load_dwordx2 v[88:89], v[40:41]
	flat_load_dwordx2 v[90:91], v[42:43]
	flat_load_dwordx2 v[84:85], v[44:45]
	flat_load_dwordx2 v[86:87], v[46:47]
	flat_load_dwordx2 v[82:83], v[48:49]
	flat_load_dwordx2 v[80:81], v[50:51]
	flat_load_dwordx2 v[78:79], v[52:53]
	flat_load_dwordx2 v[76:77], v[54:55]
	flat_load_dwordx2 v[74:75], v[56:57]
	flat_load_dwordx2 v[72:73], v[58:59]
	flat_load_dwordx2 v[68:69], v[60:61]
	flat_load_dwordx2 v[70:71], v[62:63]
	flat_load_dwordx2 v[64:65], v[64:65]
	flat_load_dwordx2 v[66:67], v[66:67]
	flat_load_dwordx2 v[62:63], v[130:131]
	flat_load_dwordx2 v[60:61], v[132:133]
	flat_load_dwordx2 v[58:59], v[134:135]
	flat_load_dwordx2 v[56:57], v[138:139]
	flat_load_dwordx2 v[54:55], v[140:141]
	flat_load_dwordx2 v[52:53], v[142:143]
	flat_load_dwordx2 v[48:49], v[144:145]
	flat_load_dwordx2 v[50:51], v[146:147]
	flat_load_dwordx2 v[44:45], v[148:149]
	flat_load_dwordx2 v[46:47], v[150:151]
	flat_load_dwordx2 v[42:43], v[152:153]
	flat_load_dwordx2 v[40:41], v[154:155]
	flat_load_dwordx2 v[38:39], v[156:157]
	flat_load_dwordx2 v[36:37], v[158:159]
	flat_load_dwordx2 v[34:35], v[160:161]
	flat_load_dwordx2 v[32:33], v[162:163]
	flat_load_dwordx2 v[28:29], v[164:165]
	flat_load_dwordx2 v[30:31], v[166:167]
	flat_load_dwordx2 v[24:25], v[168:169]
	flat_load_dwordx2 v[26:27], v[170:171]
	flat_load_dwordx2 v[22:23], v[172:173]
	flat_load_dwordx2 v[20:21], v[174:175]
	flat_load_dwordx2 v[18:19], v[176:177]
	flat_load_dwordx2 v[16:17], v[178:179]
	flat_load_dwordx2 v[14:15], v[180:181]
	flat_load_dwordx2 v[12:13], v[182:183]
	flat_load_dwordx2 v[8:9], v[184:185]
	flat_load_dwordx2 v[10:11], v[186:187]
	flat_load_dwordx2 v[6:7], v[188:189]
	flat_load_dwordx2 v[130:131], v[190:191]
	v_lshl_add_u32 v138, v1, 3, 0
	v_lshlrev_b32_e32 v139, 3, v1
	v_mov_b32_e32 v134, 0
	v_add_nc_u32_e32 v132, v138, v192
	s_waitcnt vmcnt(62) lgkmcnt(62)
	ds_write_b64 v132, v[128:129]
	s_waitcnt vmcnt(0) lgkmcnt(0)
	s_barrier
	buffer_gl0_inv
	ds_read_b64 v[132:133], v138
	s_cbranch_scc1 .LBB124_6
; %bb.4:
	v_add3_u32 v1, v139, 0, 8
	v_mov_b32_e32 v134, 0
	s_mov_b32 s0, 1
.LBB124_5:                              ; =>This Inner Loop Header: Depth=1
	ds_read_b64 v[140:141], v1
	v_add_nc_u32_e32 v1, 8, v1
	s_waitcnt lgkmcnt(0)
	v_cmp_lt_f64_e64 vcc_lo, |v[132:133]|, |v[140:141]|
	v_cndmask_b32_e32 v133, v133, v141, vcc_lo
	v_cndmask_b32_e32 v132, v132, v140, vcc_lo
	v_cndmask_b32_e64 v134, v134, s0, vcc_lo
	s_add_i32 s0, s0, 1
	s_cmp_eq_u32 s7, s0
	s_cbranch_scc0 .LBB124_5
.LBB124_6:
	s_mov_b32 s0, exec_lo
                                        ; implicit-def: $vgpr141
	v_cmpx_ne_u32_e64 v0, v134
	s_xor_b32 s0, exec_lo, s0
	s_cbranch_execz .LBB124_12
; %bb.7:
	s_mov_b32 s1, exec_lo
	v_cmpx_eq_u32_e32 0, v0
	s_cbranch_execz .LBB124_11
; %bb.8:
	v_cmp_ne_u32_e32 vcc_lo, 0, v134
	s_xor_b32 s2, s6, -1
	s_and_b32 s3, s2, vcc_lo
	s_and_saveexec_b32 s2, s3
	s_cbranch_execz .LBB124_10
; %bb.9:
	v_ashrrev_i32_e32 v135, 31, v134
	v_lshlrev_b64 v[0:1], 2, v[134:135]
	v_add_co_u32 v0, vcc_lo, v4, v0
	v_add_co_ci_u32_e64 v1, null, v5, v1, vcc_lo
	s_clause 0x1
	global_load_dword v135, v[0:1], off
	global_load_dword v140, v[4:5], off
	s_waitcnt vmcnt(1)
	global_store_dword v[4:5], v135, off
	s_waitcnt vmcnt(0)
	global_store_dword v[0:1], v140, off
.LBB124_10:
	s_or_b32 exec_lo, exec_lo, s2
	v_mov_b32_e32 v0, v134
.LBB124_11:
	s_or_b32 exec_lo, exec_lo, s1
	v_mov_b32_e32 v141, v0
                                        ; implicit-def: $vgpr0
.LBB124_12:
	s_or_saveexec_b32 s0, s0
	v_mov_b32_e32 v140, v141
	s_xor_b32 exec_lo, exec_lo, s0
	s_cbranch_execz .LBB124_14
; %bb.13:
	v_mov_b32_e32 v141, 0
	v_mov_b32_e32 v140, v0
	ds_write2_b64 v138, v[124:125], v[126:127] offset0:1 offset1:2
	ds_write2_b64 v138, v[122:123], v[120:121] offset0:3 offset1:4
	;; [unrolled: 1-line block ×31, first 2 shown]
.LBB124_14:
	s_or_b32 exec_lo, exec_lo, s0
	s_waitcnt lgkmcnt(0)
	v_cmp_eq_f64_e64 s0, 0, v[132:133]
	s_mov_b32 s1, exec_lo
	s_waitcnt_vscnt null, 0x0
	s_barrier
	buffer_gl0_inv
	v_cmpx_lt_i32_e32 0, v141
	s_cbranch_execz .LBB124_16
; %bb.15:
	v_div_scale_f64 v[0:1], null, v[132:133], v[132:133], 1.0
	v_div_scale_f64 v[144:145], vcc_lo, 1.0, v[132:133], 1.0
	v_rcp_f64_e32 v[134:135], v[0:1]
	v_fma_f64 v[142:143], -v[0:1], v[134:135], 1.0
	v_fma_f64 v[134:135], v[134:135], v[142:143], v[134:135]
	v_fma_f64 v[142:143], -v[0:1], v[134:135], 1.0
	v_fma_f64 v[134:135], v[134:135], v[142:143], v[134:135]
	v_mul_f64 v[142:143], v[144:145], v[134:135]
	v_fma_f64 v[0:1], -v[0:1], v[142:143], v[144:145]
	v_div_fmas_f64 v[0:1], v[0:1], v[134:135], v[142:143]
	v_div_fixup_f64 v[0:1], v[0:1], v[132:133], 1.0
	v_cndmask_b32_e64 v1, v1, v133, s0
	v_cndmask_b32_e64 v0, v0, v132, s0
	ds_read2_b64 v[132:135], v138 offset0:1 offset1:2
	ds_read2_b64 v[142:145], v138 offset0:3 offset1:4
	;; [unrolled: 1-line block ×3, first 2 shown]
	v_mul_f64 v[128:129], v[0:1], v[128:129]
	s_waitcnt lgkmcnt(2)
	v_fma_f64 v[124:125], -v[128:129], v[132:133], v[124:125]
	v_fma_f64 v[126:127], -v[128:129], v[134:135], v[126:127]
	ds_read2_b64 v[132:135], v138 offset0:7 offset1:8
	s_waitcnt lgkmcnt(2)
	v_fma_f64 v[122:123], -v[128:129], v[142:143], v[122:123]
	v_fma_f64 v[120:121], -v[128:129], v[144:145], v[120:121]
	ds_read2_b64 v[142:145], v138 offset0:9 offset1:10
	;; [unrolled: 4-line block ×25, first 2 shown]
	s_waitcnt lgkmcnt(2)
	v_fma_f64 v[24:25], -v[128:129], v[142:143], v[24:25]
	v_fma_f64 v[26:27], -v[128:129], v[144:145], v[26:27]
	s_waitcnt lgkmcnt(1)
	v_fma_f64 v[22:23], -v[128:129], v[146:147], v[22:23]
	v_fma_f64 v[20:21], -v[128:129], v[148:149], v[20:21]
	ds_read2_b64 v[142:145], v138 offset0:57 offset1:58
	ds_read2_b64 v[146:149], v138 offset0:59 offset1:60
	s_waitcnt lgkmcnt(2)
	v_fma_f64 v[18:19], -v[128:129], v[132:133], v[18:19]
	v_fma_f64 v[16:17], -v[128:129], v[134:135], v[16:17]
	ds_read2_b64 v[132:135], v138 offset0:61 offset1:62
	s_waitcnt lgkmcnt(2)
	v_fma_f64 v[14:15], -v[128:129], v[142:143], v[14:15]
	v_fma_f64 v[12:13], -v[128:129], v[144:145], v[12:13]
	s_waitcnt lgkmcnt(1)
	v_fma_f64 v[8:9], -v[128:129], v[146:147], v[8:9]
	v_fma_f64 v[10:11], -v[128:129], v[148:149], v[10:11]
	;; [unrolled: 3-line block ×3, first 2 shown]
.LBB124_16:
	s_or_b32 exec_lo, exec_lo, s1
	v_lshl_add_u32 v0, v141, 3, v138
	s_barrier
	buffer_gl0_inv
	v_mov_b32_e32 v132, 1
	ds_write_b64 v0, v[124:125]
	s_waitcnt lgkmcnt(0)
	s_barrier
	buffer_gl0_inv
	ds_read_b64 v[0:1], v138 offset:8
	s_cmp_lt_i32 s7, 3
	s_cbranch_scc1 .LBB124_19
; %bb.17:
	v_add3_u32 v133, v139, 0, 16
	v_mov_b32_e32 v132, 1
	s_mov_b32 s1, 2
.LBB124_18:                             ; =>This Inner Loop Header: Depth=1
	ds_read_b64 v[134:135], v133
	v_add_nc_u32_e32 v133, 8, v133
	s_waitcnt lgkmcnt(0)
	v_cmp_lt_f64_e64 vcc_lo, |v[0:1]|, |v[134:135]|
	v_cndmask_b32_e32 v1, v1, v135, vcc_lo
	v_cndmask_b32_e32 v0, v0, v134, vcc_lo
	v_cndmask_b32_e64 v132, v132, s1, vcc_lo
	s_add_i32 s1, s1, 1
	s_cmp_lg_u32 s7, s1
	s_cbranch_scc1 .LBB124_18
.LBB124_19:
	s_mov_b32 s1, exec_lo
	v_cmpx_ne_u32_e64 v141, v132
	s_xor_b32 s1, exec_lo, s1
	s_cbranch_execz .LBB124_25
; %bb.20:
	s_mov_b32 s2, exec_lo
	v_cmpx_eq_u32_e32 1, v141
	s_cbranch_execz .LBB124_24
; %bb.21:
	v_cmp_ne_u32_e32 vcc_lo, 1, v132
	s_xor_b32 s3, s6, -1
	s_and_b32 s9, s3, vcc_lo
	s_and_saveexec_b32 s3, s9
	s_cbranch_execz .LBB124_23
; %bb.22:
	v_ashrrev_i32_e32 v133, 31, v132
	v_lshlrev_b64 v[133:134], 2, v[132:133]
	v_add_co_u32 v133, vcc_lo, v4, v133
	v_add_co_ci_u32_e64 v134, null, v5, v134, vcc_lo
	s_clause 0x1
	global_load_dword v135, v[133:134], off
	global_load_dword v140, v[4:5], off offset:4
	s_waitcnt vmcnt(1)
	global_store_dword v[4:5], v135, off offset:4
	s_waitcnt vmcnt(0)
	global_store_dword v[133:134], v140, off
.LBB124_23:
	s_or_b32 exec_lo, exec_lo, s3
	v_mov_b32_e32 v140, v132
	v_mov_b32_e32 v141, v132
.LBB124_24:
	s_or_b32 exec_lo, exec_lo, s2
.LBB124_25:
	s_andn2_saveexec_b32 s1, s1
	s_cbranch_execz .LBB124_27
; %bb.26:
	v_mov_b32_e32 v132, v126
	v_mov_b32_e32 v133, v127
	;; [unrolled: 1-line block ×8, first 2 shown]
	ds_write2_b64 v138, v[132:133], v[134:135] offset0:2 offset1:3
	v_mov_b32_e32 v132, v118
	v_mov_b32_e32 v133, v119
	v_mov_b32_e32 v134, v116
	v_mov_b32_e32 v135, v117
	v_mov_b32_e32 v145, v112
	v_mov_b32_e32 v146, v113
	v_mov_b32_e32 v147, v108
	v_mov_b32_e32 v148, v109
	v_mov_b32_e32 v149, v110
	v_mov_b32_e32 v150, v111
	v_mov_b32_e32 v151, v104
	v_mov_b32_e32 v152, v105
	v_mov_b32_e32 v153, v106
	v_mov_b32_e32 v154, v107
	v_mov_b32_e32 v155, v102
	v_mov_b32_e32 v156, v103
	ds_write2_b64 v138, v[141:142], v[132:133] offset0:4 offset1:5
	ds_write2_b64 v138, v[134:135], v[143:144] offset0:6 offset1:7
	ds_write2_b64 v138, v[145:146], v[147:148] offset0:8 offset1:9
	ds_write2_b64 v138, v[149:150], v[151:152] offset0:10 offset1:11
	ds_write2_b64 v138, v[153:154], v[155:156] offset0:12 offset1:13
	v_mov_b32_e32 v132, v100
	v_mov_b32_e32 v133, v101
	v_mov_b32_e32 v134, v98
	v_mov_b32_e32 v135, v99
	v_mov_b32_e32 v141, v96
	v_mov_b32_e32 v142, v97
	v_mov_b32_e32 v143, v94
	v_mov_b32_e32 v144, v95
	v_mov_b32_e32 v145, v92
	v_mov_b32_e32 v146, v93
	v_mov_b32_e32 v147, v88
	v_mov_b32_e32 v148, v89
	v_mov_b32_e32 v149, v90
	v_mov_b32_e32 v150, v91
	v_mov_b32_e32 v151, v84
	v_mov_b32_e32 v152, v85
	v_mov_b32_e32 v153, v86
	v_mov_b32_e32 v154, v87
	v_mov_b32_e32 v155, v82
	v_mov_b32_e32 v156, v83
	ds_write2_b64 v138, v[132:133], v[134:135] offset0:14 offset1:15
	ds_write2_b64 v138, v[141:142], v[143:144] offset0:16 offset1:17
	ds_write2_b64 v138, v[145:146], v[147:148] offset0:18 offset1:19
	ds_write2_b64 v138, v[149:150], v[151:152] offset0:20 offset1:21
	ds_write2_b64 v138, v[153:154], v[155:156] offset0:22 offset1:23
	v_mov_b32_e32 v132, v80
	v_mov_b32_e32 v133, v81
	v_mov_b32_e32 v134, v78
	v_mov_b32_e32 v135, v79
	v_mov_b32_e32 v141, v76
	v_mov_b32_e32 v142, v77
	v_mov_b32_e32 v143, v74
	v_mov_b32_e32 v144, v75
	v_mov_b32_e32 v145, v72
	v_mov_b32_e32 v146, v73
	v_mov_b32_e32 v147, v68
	v_mov_b32_e32 v148, v69
	v_mov_b32_e32 v149, v70
	v_mov_b32_e32 v150, v71
	v_mov_b32_e32 v151, v64
	v_mov_b32_e32 v152, v65
	v_mov_b32_e32 v153, v66
	v_mov_b32_e32 v154, v67
	v_mov_b32_e32 v155, v62
	v_mov_b32_e32 v156, v63
	ds_write2_b64 v138, v[132:133], v[134:135] offset0:24 offset1:25
	ds_write2_b64 v138, v[141:142], v[143:144] offset0:26 offset1:27
	ds_write2_b64 v138, v[145:146], v[147:148] offset0:28 offset1:29
	ds_write2_b64 v138, v[149:150], v[151:152] offset0:30 offset1:31
	ds_write2_b64 v138, v[153:154], v[155:156] offset0:32 offset1:33
	v_mov_b32_e32 v132, v60
	v_mov_b32_e32 v133, v61
	v_mov_b32_e32 v134, v58
	v_mov_b32_e32 v135, v59
	v_mov_b32_e32 v141, v56
	v_mov_b32_e32 v142, v57
	v_mov_b32_e32 v143, v54
	v_mov_b32_e32 v144, v55
	v_mov_b32_e32 v145, v52
	v_mov_b32_e32 v146, v53
	v_mov_b32_e32 v147, v48
	v_mov_b32_e32 v148, v49
	v_mov_b32_e32 v149, v50
	v_mov_b32_e32 v150, v51
	v_mov_b32_e32 v151, v44
	v_mov_b32_e32 v152, v45
	v_mov_b32_e32 v153, v46
	v_mov_b32_e32 v154, v47
	v_mov_b32_e32 v155, v42
	v_mov_b32_e32 v156, v43
	ds_write2_b64 v138, v[132:133], v[134:135] offset0:34 offset1:35
	ds_write2_b64 v138, v[141:142], v[143:144] offset0:36 offset1:37
	ds_write2_b64 v138, v[145:146], v[147:148] offset0:38 offset1:39
	ds_write2_b64 v138, v[149:150], v[151:152] offset0:40 offset1:41
	ds_write2_b64 v138, v[153:154], v[155:156] offset0:42 offset1:43
	v_mov_b32_e32 v132, v40
	v_mov_b32_e32 v133, v41
	v_mov_b32_e32 v134, v38
	v_mov_b32_e32 v135, v39
	v_mov_b32_e32 v141, v36
	v_mov_b32_e32 v142, v37
	v_mov_b32_e32 v143, v34
	v_mov_b32_e32 v144, v35
	v_mov_b32_e32 v145, v32
	v_mov_b32_e32 v146, v33
	v_mov_b32_e32 v147, v28
	v_mov_b32_e32 v148, v29
	v_mov_b32_e32 v149, v30
	v_mov_b32_e32 v150, v31
	v_mov_b32_e32 v151, v24
	v_mov_b32_e32 v152, v25
	v_mov_b32_e32 v153, v26
	v_mov_b32_e32 v154, v27
	v_mov_b32_e32 v155, v22
	v_mov_b32_e32 v156, v23
	ds_write2_b64 v138, v[132:133], v[134:135] offset0:44 offset1:45
	ds_write2_b64 v138, v[141:142], v[143:144] offset0:46 offset1:47
	ds_write2_b64 v138, v[145:146], v[147:148] offset0:48 offset1:49
	ds_write2_b64 v138, v[149:150], v[151:152] offset0:50 offset1:51
	ds_write2_b64 v138, v[153:154], v[155:156] offset0:52 offset1:53
	v_mov_b32_e32 v132, v20
	v_mov_b32_e32 v133, v21
	v_mov_b32_e32 v134, v18
	v_mov_b32_e32 v135, v19
	v_mov_b32_e32 v142, v16
	v_mov_b32_e32 v143, v17
	;; [unrolled: 1-line block ×13, first 2 shown]
	ds_write2_b64 v138, v[132:133], v[134:135] offset0:54 offset1:55
	ds_write2_b64 v138, v[142:143], v[144:145] offset0:56 offset1:57
	;; [unrolled: 1-line block ×4, first 2 shown]
	ds_write_b64 v138, v[130:131] offset:496
.LBB124_27:
	s_or_b32 exec_lo, exec_lo, s1
	s_waitcnt lgkmcnt(0)
	v_cmp_neq_f64_e64 s1, 0, v[0:1]
	s_mov_b32 s2, exec_lo
	s_waitcnt_vscnt null, 0x0
	s_barrier
	buffer_gl0_inv
	v_cmpx_lt_i32_e32 1, v141
	s_cbranch_execz .LBB124_29
; %bb.28:
	v_div_scale_f64 v[132:133], null, v[0:1], v[0:1], 1.0
	v_div_scale_f64 v[144:145], vcc_lo, 1.0, v[0:1], 1.0
	v_rcp_f64_e32 v[134:135], v[132:133]
	v_fma_f64 v[142:143], -v[132:133], v[134:135], 1.0
	v_fma_f64 v[134:135], v[134:135], v[142:143], v[134:135]
	v_fma_f64 v[142:143], -v[132:133], v[134:135], 1.0
	v_fma_f64 v[134:135], v[134:135], v[142:143], v[134:135]
	v_mul_f64 v[142:143], v[144:145], v[134:135]
	v_fma_f64 v[132:133], -v[132:133], v[142:143], v[144:145]
	v_div_fmas_f64 v[132:133], v[132:133], v[134:135], v[142:143]
	v_div_fixup_f64 v[132:133], v[132:133], v[0:1], 1.0
	v_cndmask_b32_e64 v1, v1, v133, s1
	v_cndmask_b32_e64 v0, v0, v132, s1
	ds_read2_b64 v[132:135], v138 offset0:2 offset1:3
	ds_read2_b64 v[142:145], v138 offset0:4 offset1:5
	ds_read2_b64 v[146:149], v138 offset0:6 offset1:7
	ds_read2_b64 v[150:153], v138 offset0:8 offset1:9
	ds_read2_b64 v[154:157], v138 offset0:10 offset1:11
	ds_read2_b64 v[158:161], v138 offset0:12 offset1:13
	ds_read2_b64 v[162:165], v138 offset0:14 offset1:15
	v_mul_f64 v[124:125], v[0:1], v[124:125]
	s_waitcnt lgkmcnt(6)
	v_fma_f64 v[126:127], -v[124:125], v[132:133], v[126:127]
	v_fma_f64 v[122:123], -v[124:125], v[134:135], v[122:123]
	ds_read2_b64 v[132:135], v138 offset0:16 offset1:17
	s_waitcnt lgkmcnt(6)
	v_fma_f64 v[120:121], -v[124:125], v[142:143], v[120:121]
	v_fma_f64 v[118:119], -v[124:125], v[144:145], v[118:119]
	ds_read2_b64 v[142:145], v138 offset0:18 offset1:19
	;; [unrolled: 4-line block ×17, first 2 shown]
	s_waitcnt lgkmcnt(6)
	v_fma_f64 v[56:57], -v[124:125], v[150:151], v[56:57]
	v_fma_f64 v[54:55], -v[124:125], v[152:153], v[54:55]
	s_waitcnt lgkmcnt(5)
	v_fma_f64 v[52:53], -v[124:125], v[154:155], v[52:53]
	v_fma_f64 v[48:49], -v[124:125], v[156:157], v[48:49]
	ds_read2_b64 v[150:153], v138 offset0:50 offset1:51
	ds_read2_b64 v[154:157], v138 offset0:52 offset1:53
	s_waitcnt lgkmcnt(6)
	v_fma_f64 v[50:51], -v[124:125], v[158:159], v[50:51]
	v_fma_f64 v[44:45], -v[124:125], v[160:161], v[44:45]
	s_waitcnt lgkmcnt(5)
	v_fma_f64 v[46:47], -v[124:125], v[162:163], v[46:47]
	v_fma_f64 v[42:43], -v[124:125], v[164:165], v[42:43]
	ds_read2_b64 v[158:161], v138 offset0:54 offset1:55
	ds_read2_b64 v[162:165], v138 offset0:56 offset1:57
	s_waitcnt lgkmcnt(6)
	v_fma_f64 v[40:41], -v[124:125], v[132:133], v[40:41]
	v_fma_f64 v[38:39], -v[124:125], v[134:135], v[38:39]
	ds_read2_b64 v[132:135], v138 offset0:58 offset1:59
	s_waitcnt lgkmcnt(6)
	v_fma_f64 v[36:37], -v[124:125], v[142:143], v[36:37]
	v_fma_f64 v[34:35], -v[124:125], v[144:145], v[34:35]
	ds_read2_b64 v[142:145], v138 offset0:60 offset1:61
	ds_read_b64 v[0:1], v138 offset:496
	s_waitcnt lgkmcnt(7)
	v_fma_f64 v[32:33], -v[124:125], v[146:147], v[32:33]
	v_fma_f64 v[28:29], -v[124:125], v[148:149], v[28:29]
	s_waitcnt lgkmcnt(6)
	v_fma_f64 v[30:31], -v[124:125], v[150:151], v[30:31]
	v_fma_f64 v[24:25], -v[124:125], v[152:153], v[24:25]
	;; [unrolled: 3-line block ×7, first 2 shown]
	s_waitcnt lgkmcnt(0)
	v_fma_f64 v[130:131], -v[124:125], v[0:1], v[130:131]
.LBB124_29:
	s_or_b32 exec_lo, exec_lo, s2
	v_lshl_add_u32 v0, v141, 3, v138
	s_barrier
	buffer_gl0_inv
	v_mov_b32_e32 v132, 2
	ds_write_b64 v0, v[126:127]
	s_waitcnt lgkmcnt(0)
	s_barrier
	buffer_gl0_inv
	ds_read_b64 v[0:1], v138 offset:16
	s_cmp_lt_i32 s7, 4
	s_mov_b32 s2, 3
	s_cbranch_scc1 .LBB124_32
; %bb.30:
	v_add3_u32 v133, v139, 0, 24
	v_mov_b32_e32 v132, 2
.LBB124_31:                             ; =>This Inner Loop Header: Depth=1
	ds_read_b64 v[134:135], v133
	v_add_nc_u32_e32 v133, 8, v133
	s_waitcnt lgkmcnt(0)
	v_cmp_lt_f64_e64 vcc_lo, |v[0:1]|, |v[134:135]|
	v_cndmask_b32_e32 v1, v1, v135, vcc_lo
	v_cndmask_b32_e32 v0, v0, v134, vcc_lo
	v_cndmask_b32_e64 v132, v132, s2, vcc_lo
	s_add_i32 s2, s2, 1
	s_cmp_lg_u32 s7, s2
	s_cbranch_scc1 .LBB124_31
.LBB124_32:
	v_cndmask_b32_e64 v133, 2, 1, s0
	v_cndmask_b32_e64 v134, 0, 1, s0
	s_mov_b32 s0, exec_lo
	v_cndmask_b32_e64 v135, v133, v134, s1
	s_waitcnt lgkmcnt(0)
	v_cmpx_eq_f64_e32 0, v[0:1]
	s_xor_b32 s0, exec_lo, s0
; %bb.33:
	v_cmp_ne_u32_e32 vcc_lo, 0, v135
	v_cndmask_b32_e32 v135, 3, v135, vcc_lo
; %bb.34:
	s_andn2_saveexec_b32 s0, s0
	s_cbranch_execz .LBB124_36
; %bb.35:
	v_div_scale_f64 v[133:134], null, v[0:1], v[0:1], 1.0
	v_rcp_f64_e32 v[142:143], v[133:134]
	v_fma_f64 v[144:145], -v[133:134], v[142:143], 1.0
	v_fma_f64 v[142:143], v[142:143], v[144:145], v[142:143]
	v_fma_f64 v[144:145], -v[133:134], v[142:143], 1.0
	v_fma_f64 v[142:143], v[142:143], v[144:145], v[142:143]
	v_div_scale_f64 v[144:145], vcc_lo, 1.0, v[0:1], 1.0
	v_mul_f64 v[146:147], v[144:145], v[142:143]
	v_fma_f64 v[133:134], -v[133:134], v[146:147], v[144:145]
	v_div_fmas_f64 v[133:134], v[133:134], v[142:143], v[146:147]
	v_div_fixup_f64 v[0:1], v[133:134], v[0:1], 1.0
.LBB124_36:
	s_or_b32 exec_lo, exec_lo, s0
	s_mov_b32 s0, exec_lo
	v_cmpx_ne_u32_e64 v141, v132
	s_xor_b32 s0, exec_lo, s0
	s_cbranch_execz .LBB124_42
; %bb.37:
	s_mov_b32 s1, exec_lo
	v_cmpx_eq_u32_e32 2, v141
	s_cbranch_execz .LBB124_41
; %bb.38:
	v_cmp_ne_u32_e32 vcc_lo, 2, v132
	s_xor_b32 s2, s6, -1
	s_and_b32 s3, s2, vcc_lo
	s_and_saveexec_b32 s2, s3
	s_cbranch_execz .LBB124_40
; %bb.39:
	v_ashrrev_i32_e32 v133, 31, v132
	v_lshlrev_b64 v[133:134], 2, v[132:133]
	v_add_co_u32 v133, vcc_lo, v4, v133
	v_add_co_ci_u32_e64 v134, null, v5, v134, vcc_lo
	s_clause 0x1
	global_load_dword v140, v[133:134], off
	global_load_dword v141, v[4:5], off offset:8
	s_waitcnt vmcnt(1)
	global_store_dword v[4:5], v140, off offset:8
	s_waitcnt vmcnt(0)
	global_store_dword v[133:134], v141, off
.LBB124_40:
	s_or_b32 exec_lo, exec_lo, s2
	v_mov_b32_e32 v140, v132
	v_mov_b32_e32 v141, v132
.LBB124_41:
	s_or_b32 exec_lo, exec_lo, s1
.LBB124_42:
	s_andn2_saveexec_b32 s0, s0
	s_cbranch_execz .LBB124_44
; %bb.43:
	v_mov_b32_e32 v141, 2
	ds_write2_b64 v138, v[122:123], v[120:121] offset0:3 offset1:4
	ds_write2_b64 v138, v[118:119], v[116:117] offset0:5 offset1:6
	;; [unrolled: 1-line block ×30, first 2 shown]
.LBB124_44:
	s_or_b32 exec_lo, exec_lo, s0
	s_mov_b32 s0, exec_lo
	s_waitcnt lgkmcnt(0)
	s_waitcnt_vscnt null, 0x0
	s_barrier
	buffer_gl0_inv
	v_cmpx_lt_i32_e32 2, v141
	s_cbranch_execz .LBB124_46
; %bb.45:
	v_mul_f64 v[126:127], v[0:1], v[126:127]
	ds_read2_b64 v[142:145], v138 offset0:3 offset1:4
	ds_read2_b64 v[146:149], v138 offset0:5 offset1:6
	;; [unrolled: 1-line block ×12, first 2 shown]
	s_waitcnt lgkmcnt(11)
	v_fma_f64 v[122:123], -v[126:127], v[142:143], v[122:123]
	v_fma_f64 v[120:121], -v[126:127], v[144:145], v[120:121]
	s_waitcnt lgkmcnt(10)
	v_fma_f64 v[118:119], -v[126:127], v[146:147], v[118:119]
	v_fma_f64 v[116:117], -v[126:127], v[148:149], v[116:117]
	;; [unrolled: 3-line block ×5, first 2 shown]
	ds_read2_b64 v[142:145], v138 offset0:27 offset1:28
	ds_read2_b64 v[146:149], v138 offset0:29 offset1:30
	s_waitcnt lgkmcnt(8)
	v_fma_f64 v[102:103], -v[126:127], v[162:163], v[102:103]
	v_fma_f64 v[100:101], -v[126:127], v[164:165], v[100:101]
	s_waitcnt lgkmcnt(7)
	v_fma_f64 v[98:99], -v[126:127], v[166:167], v[98:99]
	v_fma_f64 v[96:97], -v[126:127], v[168:169], v[96:97]
	ds_read2_b64 v[150:153], v138 offset0:31 offset1:32
	ds_read2_b64 v[154:157], v138 offset0:33 offset1:34
	;; [unrolled: 1-line block ×5, first 2 shown]
	s_waitcnt lgkmcnt(11)
	v_fma_f64 v[94:95], -v[126:127], v[170:171], v[94:95]
	v_fma_f64 v[92:93], -v[126:127], v[172:173], v[92:93]
	s_waitcnt lgkmcnt(10)
	v_fma_f64 v[88:89], -v[126:127], v[174:175], v[88:89]
	v_fma_f64 v[90:91], -v[126:127], v[176:177], v[90:91]
	;; [unrolled: 3-line block ×4, first 2 shown]
	ds_read2_b64 v[170:173], v138 offset0:49 offset1:50
	s_waitcnt lgkmcnt(7)
	v_fma_f64 v[74:75], -v[126:127], v[142:143], v[74:75]
	v_fma_f64 v[72:73], -v[126:127], v[144:145], v[72:73]
	s_waitcnt lgkmcnt(6)
	v_fma_f64 v[68:69], -v[126:127], v[146:147], v[68:69]
	v_fma_f64 v[70:71], -v[126:127], v[148:149], v[70:71]
	ds_read2_b64 v[142:145], v138 offset0:41 offset1:42
	ds_read2_b64 v[146:149], v138 offset0:43 offset1:44
	s_waitcnt lgkmcnt(7)
	v_fma_f64 v[64:65], -v[126:127], v[150:151], v[64:65]
	v_fma_f64 v[66:67], -v[126:127], v[152:153], v[66:67]
	s_waitcnt lgkmcnt(6)
	v_fma_f64 v[62:63], -v[126:127], v[154:155], v[62:63]
	ds_read2_b64 v[150:153], v138 offset0:45 offset1:46
	v_fma_f64 v[60:61], -v[126:127], v[156:157], v[60:61]
	ds_read2_b64 v[154:157], v138 offset0:47 offset1:48
	s_waitcnt lgkmcnt(7)
	v_fma_f64 v[58:59], -v[126:127], v[158:159], v[58:59]
	v_fma_f64 v[56:57], -v[126:127], v[160:161], v[56:57]
	ds_read2_b64 v[158:161], v138 offset0:51 offset1:52
	ds_read2_b64 v[174:177], v138 offset0:53 offset1:54
	s_waitcnt lgkmcnt(8)
	v_fma_f64 v[54:55], -v[126:127], v[162:163], v[54:55]
	v_fma_f64 v[52:53], -v[126:127], v[164:165], v[52:53]
	ds_read2_b64 v[162:165], v138 offset0:55 offset1:56
	ds_read2_b64 v[178:181], v138 offset0:57 offset1:58
	s_waitcnt lgkmcnt(9)
	v_fma_f64 v[48:49], -v[126:127], v[166:167], v[48:49]
	v_fma_f64 v[50:51], -v[126:127], v[168:169], v[50:51]
	ds_read2_b64 v[166:169], v138 offset0:59 offset1:60
	ds_read2_b64 v[182:185], v138 offset0:61 offset1:62
	v_fma_f64 v[78:79], -v[126:127], v[186:187], v[78:79]
	v_fma_f64 v[76:77], -v[126:127], v[188:189], v[76:77]
	s_waitcnt lgkmcnt(9)
	v_fma_f64 v[44:45], -v[126:127], v[142:143], v[44:45]
	v_fma_f64 v[46:47], -v[126:127], v[144:145], v[46:47]
	s_waitcnt lgkmcnt(8)
	;; [unrolled: 3-line block ×4, first 2 shown]
	v_fma_f64 v[34:35], -v[126:127], v[154:155], v[34:35]
	v_fma_f64 v[32:33], -v[126:127], v[156:157], v[32:33]
	;; [unrolled: 1-line block ×4, first 2 shown]
	s_waitcnt lgkmcnt(5)
	v_fma_f64 v[24:25], -v[126:127], v[158:159], v[24:25]
	v_fma_f64 v[26:27], -v[126:127], v[160:161], v[26:27]
	s_waitcnt lgkmcnt(4)
	v_fma_f64 v[22:23], -v[126:127], v[174:175], v[22:23]
	v_fma_f64 v[20:21], -v[126:127], v[176:177], v[20:21]
	;; [unrolled: 3-line block ×6, first 2 shown]
.LBB124_46:
	s_or_b32 exec_lo, exec_lo, s0
	v_lshl_add_u32 v0, v141, 3, v138
	s_barrier
	buffer_gl0_inv
	v_mov_b32_e32 v132, 3
	ds_write_b64 v0, v[122:123]
	s_waitcnt lgkmcnt(0)
	s_barrier
	buffer_gl0_inv
	ds_read_b64 v[0:1], v138 offset:24
	s_cmp_lt_i32 s7, 5
	s_cbranch_scc1 .LBB124_49
; %bb.47:
	v_mov_b32_e32 v132, 3
	v_add3_u32 v133, v139, 0, 32
	s_mov_b32 s0, 4
.LBB124_48:                             ; =>This Inner Loop Header: Depth=1
	ds_read_b64 v[142:143], v133
	v_add_nc_u32_e32 v133, 8, v133
	s_waitcnt lgkmcnt(0)
	v_cmp_lt_f64_e64 vcc_lo, |v[0:1]|, |v[142:143]|
	v_cndmask_b32_e32 v1, v1, v143, vcc_lo
	v_cndmask_b32_e32 v0, v0, v142, vcc_lo
	v_cndmask_b32_e64 v132, v132, s0, vcc_lo
	s_add_i32 s0, s0, 1
	s_cmp_lg_u32 s7, s0
	s_cbranch_scc1 .LBB124_48
.LBB124_49:
	s_mov_b32 s0, exec_lo
	s_waitcnt lgkmcnt(0)
	v_cmpx_eq_f64_e32 0, v[0:1]
	s_xor_b32 s0, exec_lo, s0
; %bb.50:
	v_cmp_ne_u32_e32 vcc_lo, 0, v135
	v_cndmask_b32_e32 v135, 4, v135, vcc_lo
; %bb.51:
	s_andn2_saveexec_b32 s0, s0
	s_cbranch_execz .LBB124_53
; %bb.52:
	v_div_scale_f64 v[133:134], null, v[0:1], v[0:1], 1.0
	v_rcp_f64_e32 v[142:143], v[133:134]
	v_fma_f64 v[144:145], -v[133:134], v[142:143], 1.0
	v_fma_f64 v[142:143], v[142:143], v[144:145], v[142:143]
	v_fma_f64 v[144:145], -v[133:134], v[142:143], 1.0
	v_fma_f64 v[142:143], v[142:143], v[144:145], v[142:143]
	v_div_scale_f64 v[144:145], vcc_lo, 1.0, v[0:1], 1.0
	v_mul_f64 v[146:147], v[144:145], v[142:143]
	v_fma_f64 v[133:134], -v[133:134], v[146:147], v[144:145]
	v_div_fmas_f64 v[133:134], v[133:134], v[142:143], v[146:147]
	v_div_fixup_f64 v[0:1], v[133:134], v[0:1], 1.0
.LBB124_53:
	s_or_b32 exec_lo, exec_lo, s0
	s_mov_b32 s0, exec_lo
	v_cmpx_ne_u32_e64 v141, v132
	s_xor_b32 s0, exec_lo, s0
	s_cbranch_execz .LBB124_59
; %bb.54:
	s_mov_b32 s1, exec_lo
	v_cmpx_eq_u32_e32 3, v141
	s_cbranch_execz .LBB124_58
; %bb.55:
	v_cmp_ne_u32_e32 vcc_lo, 3, v132
	s_xor_b32 s2, s6, -1
	s_and_b32 s3, s2, vcc_lo
	s_and_saveexec_b32 s2, s3
	s_cbranch_execz .LBB124_57
; %bb.56:
	v_ashrrev_i32_e32 v133, 31, v132
	v_lshlrev_b64 v[133:134], 2, v[132:133]
	v_add_co_u32 v133, vcc_lo, v4, v133
	v_add_co_ci_u32_e64 v134, null, v5, v134, vcc_lo
	s_clause 0x1
	global_load_dword v140, v[133:134], off
	global_load_dword v141, v[4:5], off offset:12
	s_waitcnt vmcnt(1)
	global_store_dword v[4:5], v140, off offset:12
	s_waitcnt vmcnt(0)
	global_store_dword v[133:134], v141, off
.LBB124_57:
	s_or_b32 exec_lo, exec_lo, s2
	v_mov_b32_e32 v140, v132
	v_mov_b32_e32 v141, v132
.LBB124_58:
	s_or_b32 exec_lo, exec_lo, s1
.LBB124_59:
	s_andn2_saveexec_b32 s0, s0
	s_cbranch_execz .LBB124_61
; %bb.60:
	v_mov_b32_e32 v132, v120
	v_mov_b32_e32 v133, v121
	v_mov_b32_e32 v141, v118
	v_mov_b32_e32 v142, v119
	v_mov_b32_e32 v143, v116
	v_mov_b32_e32 v144, v117
	v_mov_b32_e32 v145, v114
	v_mov_b32_e32 v146, v115
	v_mov_b32_e32 v147, v112
	v_mov_b32_e32 v148, v113
	v_mov_b32_e32 v149, v108
	v_mov_b32_e32 v150, v109
	v_mov_b32_e32 v151, v110
	v_mov_b32_e32 v152, v111
	v_mov_b32_e32 v153, v104
	v_mov_b32_e32 v154, v105
	v_mov_b32_e32 v155, v106
	v_mov_b32_e32 v156, v107
	v_mov_b32_e32 v157, v102
	v_mov_b32_e32 v158, v103
	ds_write2_b64 v138, v[132:133], v[141:142] offset0:4 offset1:5
	ds_write2_b64 v138, v[143:144], v[145:146] offset0:6 offset1:7
	ds_write2_b64 v138, v[147:148], v[149:150] offset0:8 offset1:9
	ds_write2_b64 v138, v[151:152], v[153:154] offset0:10 offset1:11
	ds_write2_b64 v138, v[155:156], v[157:158] offset0:12 offset1:13
	v_mov_b32_e32 v132, v100
	v_mov_b32_e32 v133, v101
	v_mov_b32_e32 v141, v98
	v_mov_b32_e32 v142, v99
	v_mov_b32_e32 v143, v96
	v_mov_b32_e32 v144, v97
	v_mov_b32_e32 v145, v94
	v_mov_b32_e32 v146, v95
	v_mov_b32_e32 v147, v92
	v_mov_b32_e32 v148, v93
	v_mov_b32_e32 v149, v88
	v_mov_b32_e32 v150, v89
	v_mov_b32_e32 v151, v90
	v_mov_b32_e32 v152, v91
	v_mov_b32_e32 v153, v84
	v_mov_b32_e32 v154, v85
	v_mov_b32_e32 v155, v86
	v_mov_b32_e32 v156, v87
	v_mov_b32_e32 v157, v82
	v_mov_b32_e32 v158, v83
	ds_write2_b64 v138, v[132:133], v[141:142] offset0:14 offset1:15
	ds_write2_b64 v138, v[143:144], v[145:146] offset0:16 offset1:17
	ds_write2_b64 v138, v[147:148], v[149:150] offset0:18 offset1:19
	ds_write2_b64 v138, v[151:152], v[153:154] offset0:20 offset1:21
	ds_write2_b64 v138, v[155:156], v[157:158] offset0:22 offset1:23
	;; [unrolled: 25-line block ×5, first 2 shown]
	v_mov_b32_e32 v132, v20
	v_mov_b32_e32 v133, v21
	;; [unrolled: 1-line block ×8, first 2 shown]
	ds_write2_b64 v138, v[132:133], v[141:142] offset0:54 offset1:55
	v_mov_b32_e32 v141, 3
	v_mov_b32_e32 v147, v12
	;; [unrolled: 1-line block ×9, first 2 shown]
	ds_write2_b64 v138, v[143:144], v[145:146] offset0:56 offset1:57
	ds_write2_b64 v138, v[147:148], v[149:150] offset0:58 offset1:59
	;; [unrolled: 1-line block ×3, first 2 shown]
	ds_write_b64 v138, v[130:131] offset:496
.LBB124_61:
	s_or_b32 exec_lo, exec_lo, s0
	s_mov_b32 s0, exec_lo
	s_waitcnt lgkmcnt(0)
	s_waitcnt_vscnt null, 0x0
	s_barrier
	buffer_gl0_inv
	v_cmpx_lt_i32_e32 3, v141
	s_cbranch_execz .LBB124_63
; %bb.62:
	v_mul_f64 v[122:123], v[0:1], v[122:123]
	ds_read2_b64 v[142:145], v138 offset0:4 offset1:5
	ds_read2_b64 v[146:149], v138 offset0:6 offset1:7
	;; [unrolled: 1-line block ×12, first 2 shown]
	ds_read_b64 v[0:1], v138 offset:496
	s_waitcnt lgkmcnt(12)
	v_fma_f64 v[120:121], -v[122:123], v[142:143], v[120:121]
	v_fma_f64 v[118:119], -v[122:123], v[144:145], v[118:119]
	s_waitcnt lgkmcnt(11)
	v_fma_f64 v[116:117], -v[122:123], v[146:147], v[116:117]
	v_fma_f64 v[114:115], -v[122:123], v[148:149], v[114:115]
	;; [unrolled: 3-line block ×5, first 2 shown]
	ds_read2_b64 v[142:145], v138 offset0:28 offset1:29
	ds_read2_b64 v[146:149], v138 offset0:30 offset1:31
	s_waitcnt lgkmcnt(9)
	v_fma_f64 v[100:101], -v[122:123], v[162:163], v[100:101]
	v_fma_f64 v[98:99], -v[122:123], v[164:165], v[98:99]
	s_waitcnt lgkmcnt(8)
	v_fma_f64 v[96:97], -v[122:123], v[166:167], v[96:97]
	v_fma_f64 v[94:95], -v[122:123], v[168:169], v[94:95]
	ds_read2_b64 v[150:153], v138 offset0:32 offset1:33
	ds_read2_b64 v[154:157], v138 offset0:34 offset1:35
	;; [unrolled: 1-line block ×5, first 2 shown]
	s_waitcnt lgkmcnt(12)
	v_fma_f64 v[92:93], -v[122:123], v[170:171], v[92:93]
	v_fma_f64 v[88:89], -v[122:123], v[172:173], v[88:89]
	s_waitcnt lgkmcnt(11)
	v_fma_f64 v[90:91], -v[122:123], v[174:175], v[90:91]
	v_fma_f64 v[84:85], -v[122:123], v[176:177], v[84:85]
	;; [unrolled: 3-line block ×3, first 2 shown]
	ds_read2_b64 v[170:173], v138 offset0:50 offset1:51
	ds_read2_b64 v[174:177], v138 offset0:54 offset1:55
	;; [unrolled: 1-line block ×3, first 2 shown]
	s_waitcnt lgkmcnt(9)
	v_fma_f64 v[72:73], -v[122:123], v[142:143], v[72:73]
	v_fma_f64 v[68:69], -v[122:123], v[144:145], v[68:69]
	s_waitcnt lgkmcnt(8)
	v_fma_f64 v[70:71], -v[122:123], v[146:147], v[70:71]
	v_fma_f64 v[64:65], -v[122:123], v[148:149], v[64:65]
	ds_read2_b64 v[142:145], v138 offset0:42 offset1:43
	ds_read2_b64 v[146:149], v138 offset0:44 offset1:45
	s_waitcnt lgkmcnt(9)
	v_fma_f64 v[66:67], -v[122:123], v[150:151], v[66:67]
	v_fma_f64 v[62:63], -v[122:123], v[152:153], v[62:63]
	s_waitcnt lgkmcnt(8)
	v_fma_f64 v[60:61], -v[122:123], v[154:155], v[60:61]
	ds_read2_b64 v[150:153], v138 offset0:46 offset1:47
	v_fma_f64 v[58:59], -v[122:123], v[156:157], v[58:59]
	ds_read2_b64 v[154:157], v138 offset0:48 offset1:49
	s_waitcnt lgkmcnt(9)
	v_fma_f64 v[56:57], -v[122:123], v[158:159], v[56:57]
	v_fma_f64 v[54:55], -v[122:123], v[160:161], v[54:55]
	ds_read2_b64 v[158:161], v138 offset0:52 offset1:53
	s_waitcnt lgkmcnt(9)
	v_fma_f64 v[52:53], -v[122:123], v[162:163], v[52:53]
	;; [unrolled: 4-line block ×3, first 2 shown]
	v_fma_f64 v[44:45], -v[122:123], v[168:169], v[44:45]
	ds_read2_b64 v[166:169], v138 offset0:60 offset1:61
	v_fma_f64 v[80:81], -v[122:123], v[182:183], v[80:81]
	v_fma_f64 v[78:79], -v[122:123], v[184:185], v[78:79]
	;; [unrolled: 1-line block ×4, first 2 shown]
	s_waitcnt lgkmcnt(6)
	v_fma_f64 v[46:47], -v[122:123], v[142:143], v[46:47]
	v_fma_f64 v[42:43], -v[122:123], v[144:145], v[42:43]
	s_waitcnt lgkmcnt(5)
	v_fma_f64 v[40:41], -v[122:123], v[146:147], v[40:41]
	v_fma_f64 v[38:39], -v[122:123], v[148:149], v[38:39]
	;; [unrolled: 3-line block ×4, first 2 shown]
	v_fma_f64 v[30:31], -v[122:123], v[170:171], v[30:31]
	v_fma_f64 v[24:25], -v[122:123], v[172:173], v[24:25]
	s_waitcnt lgkmcnt(2)
	v_fma_f64 v[26:27], -v[122:123], v[158:159], v[26:27]
	v_fma_f64 v[22:23], -v[122:123], v[160:161], v[22:23]
	v_fma_f64 v[20:21], -v[122:123], v[174:175], v[20:21]
	v_fma_f64 v[18:19], -v[122:123], v[176:177], v[18:19]
	s_waitcnt lgkmcnt(1)
	v_fma_f64 v[16:17], -v[122:123], v[162:163], v[16:17]
	v_fma_f64 v[14:15], -v[122:123], v[164:165], v[14:15]
	;; [unrolled: 5-line block ×3, first 2 shown]
	v_fma_f64 v[130:131], -v[122:123], v[0:1], v[130:131]
.LBB124_63:
	s_or_b32 exec_lo, exec_lo, s0
	v_lshl_add_u32 v0, v141, 3, v138
	s_barrier
	buffer_gl0_inv
	v_mov_b32_e32 v132, 4
	ds_write_b64 v0, v[120:121]
	s_waitcnt lgkmcnt(0)
	s_barrier
	buffer_gl0_inv
	ds_read_b64 v[0:1], v138 offset:32
	s_cmp_lt_i32 s7, 6
	s_cbranch_scc1 .LBB124_66
; %bb.64:
	v_add3_u32 v133, v139, 0, 40
	v_mov_b32_e32 v132, 4
	s_mov_b32 s0, 5
.LBB124_65:                             ; =>This Inner Loop Header: Depth=1
	ds_read_b64 v[142:143], v133
	v_add_nc_u32_e32 v133, 8, v133
	s_waitcnt lgkmcnt(0)
	v_cmp_lt_f64_e64 vcc_lo, |v[0:1]|, |v[142:143]|
	v_cndmask_b32_e32 v1, v1, v143, vcc_lo
	v_cndmask_b32_e32 v0, v0, v142, vcc_lo
	v_cndmask_b32_e64 v132, v132, s0, vcc_lo
	s_add_i32 s0, s0, 1
	s_cmp_lg_u32 s7, s0
	s_cbranch_scc1 .LBB124_65
.LBB124_66:
	s_mov_b32 s0, exec_lo
	s_waitcnt lgkmcnt(0)
	v_cmpx_eq_f64_e32 0, v[0:1]
	s_xor_b32 s0, exec_lo, s0
; %bb.67:
	v_cmp_ne_u32_e32 vcc_lo, 0, v135
	v_cndmask_b32_e32 v135, 5, v135, vcc_lo
; %bb.68:
	s_andn2_saveexec_b32 s0, s0
	s_cbranch_execz .LBB124_70
; %bb.69:
	v_div_scale_f64 v[133:134], null, v[0:1], v[0:1], 1.0
	v_rcp_f64_e32 v[142:143], v[133:134]
	v_fma_f64 v[144:145], -v[133:134], v[142:143], 1.0
	v_fma_f64 v[142:143], v[142:143], v[144:145], v[142:143]
	v_fma_f64 v[144:145], -v[133:134], v[142:143], 1.0
	v_fma_f64 v[142:143], v[142:143], v[144:145], v[142:143]
	v_div_scale_f64 v[144:145], vcc_lo, 1.0, v[0:1], 1.0
	v_mul_f64 v[146:147], v[144:145], v[142:143]
	v_fma_f64 v[133:134], -v[133:134], v[146:147], v[144:145]
	v_div_fmas_f64 v[133:134], v[133:134], v[142:143], v[146:147]
	v_div_fixup_f64 v[0:1], v[133:134], v[0:1], 1.0
.LBB124_70:
	s_or_b32 exec_lo, exec_lo, s0
	s_mov_b32 s0, exec_lo
	v_cmpx_ne_u32_e64 v141, v132
	s_xor_b32 s0, exec_lo, s0
	s_cbranch_execz .LBB124_76
; %bb.71:
	s_mov_b32 s1, exec_lo
	v_cmpx_eq_u32_e32 4, v141
	s_cbranch_execz .LBB124_75
; %bb.72:
	v_cmp_ne_u32_e32 vcc_lo, 4, v132
	s_xor_b32 s2, s6, -1
	s_and_b32 s3, s2, vcc_lo
	s_and_saveexec_b32 s2, s3
	s_cbranch_execz .LBB124_74
; %bb.73:
	v_ashrrev_i32_e32 v133, 31, v132
	v_lshlrev_b64 v[133:134], 2, v[132:133]
	v_add_co_u32 v133, vcc_lo, v4, v133
	v_add_co_ci_u32_e64 v134, null, v5, v134, vcc_lo
	s_clause 0x1
	global_load_dword v140, v[133:134], off
	global_load_dword v141, v[4:5], off offset:16
	s_waitcnt vmcnt(1)
	global_store_dword v[4:5], v140, off offset:16
	s_waitcnt vmcnt(0)
	global_store_dword v[133:134], v141, off
.LBB124_74:
	s_or_b32 exec_lo, exec_lo, s2
	v_mov_b32_e32 v140, v132
	v_mov_b32_e32 v141, v132
.LBB124_75:
	s_or_b32 exec_lo, exec_lo, s1
.LBB124_76:
	s_andn2_saveexec_b32 s0, s0
	s_cbranch_execz .LBB124_78
; %bb.77:
	v_mov_b32_e32 v141, 4
	ds_write2_b64 v138, v[118:119], v[116:117] offset0:5 offset1:6
	ds_write2_b64 v138, v[114:115], v[112:113] offset0:7 offset1:8
	;; [unrolled: 1-line block ×29, first 2 shown]
.LBB124_78:
	s_or_b32 exec_lo, exec_lo, s0
	s_mov_b32 s0, exec_lo
	s_waitcnt lgkmcnt(0)
	s_waitcnt_vscnt null, 0x0
	s_barrier
	buffer_gl0_inv
	v_cmpx_lt_i32_e32 4, v141
	s_cbranch_execz .LBB124_80
; %bb.79:
	v_mul_f64 v[120:121], v[0:1], v[120:121]
	ds_read2_b64 v[142:145], v138 offset0:5 offset1:6
	ds_read2_b64 v[146:149], v138 offset0:7 offset1:8
	;; [unrolled: 1-line block ×12, first 2 shown]
	s_waitcnt lgkmcnt(11)
	v_fma_f64 v[118:119], -v[120:121], v[142:143], v[118:119]
	v_fma_f64 v[116:117], -v[120:121], v[144:145], v[116:117]
	s_waitcnt lgkmcnt(10)
	v_fma_f64 v[114:115], -v[120:121], v[146:147], v[114:115]
	v_fma_f64 v[112:113], -v[120:121], v[148:149], v[112:113]
	;; [unrolled: 3-line block ×5, first 2 shown]
	ds_read2_b64 v[142:145], v138 offset0:29 offset1:30
	ds_read2_b64 v[146:149], v138 offset0:31 offset1:32
	s_waitcnt lgkmcnt(8)
	v_fma_f64 v[98:99], -v[120:121], v[162:163], v[98:99]
	v_fma_f64 v[96:97], -v[120:121], v[164:165], v[96:97]
	ds_read2_b64 v[150:153], v138 offset0:33 offset1:34
	ds_read2_b64 v[154:157], v138 offset0:35 offset1:36
	;; [unrolled: 1-line block ×4, first 2 shown]
	s_waitcnt lgkmcnt(11)
	v_fma_f64 v[94:95], -v[120:121], v[166:167], v[94:95]
	v_fma_f64 v[92:93], -v[120:121], v[168:169], v[92:93]
	s_waitcnt lgkmcnt(10)
	v_fma_f64 v[88:89], -v[120:121], v[170:171], v[88:89]
	v_fma_f64 v[90:91], -v[120:121], v[172:173], v[90:91]
	;; [unrolled: 3-line block ×5, first 2 shown]
	ds_read2_b64 v[166:169], v138 offset0:45 offset1:46
	ds_read2_b64 v[170:173], v138 offset0:49 offset1:50
	s_waitcnt lgkmcnt(7)
	v_fma_f64 v[68:69], -v[120:121], v[142:143], v[68:69]
	v_fma_f64 v[70:71], -v[120:121], v[144:145], v[70:71]
	ds_read2_b64 v[142:145], v138 offset0:41 offset1:42
	s_waitcnt lgkmcnt(7)
	v_fma_f64 v[64:65], -v[120:121], v[146:147], v[64:65]
	v_fma_f64 v[66:67], -v[120:121], v[148:149], v[66:67]
	;; [unrolled: 4-line block ×4, first 2 shown]
	ds_read2_b64 v[154:157], v138 offset0:51 offset1:52
	s_waitcnt lgkmcnt(7)
	v_fma_f64 v[54:55], -v[120:121], v[158:159], v[54:55]
	ds_read2_b64 v[174:177], v138 offset0:53 offset1:54
	v_fma_f64 v[52:53], -v[120:121], v[160:161], v[52:53]
	ds_read2_b64 v[158:161], v138 offset0:55 offset1:56
	s_waitcnt lgkmcnt(8)
	v_fma_f64 v[48:49], -v[120:121], v[162:163], v[48:49]
	ds_read2_b64 v[178:181], v138 offset0:57 offset1:58
	v_fma_f64 v[50:51], -v[120:121], v[164:165], v[50:51]
	ds_read2_b64 v[162:165], v138 offset0:59 offset1:60
	ds_read2_b64 v[182:185], v138 offset0:61 offset1:62
	v_fma_f64 v[74:75], -v[120:121], v[186:187], v[74:75]
	v_fma_f64 v[72:73], -v[120:121], v[188:189], v[72:73]
	s_waitcnt lgkmcnt(8)
	v_fma_f64 v[44:45], -v[120:121], v[142:143], v[44:45]
	v_fma_f64 v[46:47], -v[120:121], v[144:145], v[46:47]
	s_waitcnt lgkmcnt(7)
	v_fma_f64 v[42:43], -v[120:121], v[146:147], v[42:43]
	v_fma_f64 v[40:41], -v[120:121], v[148:149], v[40:41]
	v_fma_f64 v[38:39], -v[120:121], v[166:167], v[38:39]
	v_fma_f64 v[36:37], -v[120:121], v[168:169], v[36:37]
	s_waitcnt lgkmcnt(6)
	v_fma_f64 v[34:35], -v[120:121], v[150:151], v[34:35]
	v_fma_f64 v[32:33], -v[120:121], v[152:153], v[32:33]
	;; [unrolled: 5-line block ×3, first 2 shown]
	s_waitcnt lgkmcnt(4)
	v_fma_f64 v[22:23], -v[120:121], v[174:175], v[22:23]
	v_fma_f64 v[20:21], -v[120:121], v[176:177], v[20:21]
	s_waitcnt lgkmcnt(3)
	v_fma_f64 v[18:19], -v[120:121], v[158:159], v[18:19]
	v_fma_f64 v[16:17], -v[120:121], v[160:161], v[16:17]
	;; [unrolled: 3-line block ×5, first 2 shown]
.LBB124_80:
	s_or_b32 exec_lo, exec_lo, s0
	v_lshl_add_u32 v0, v141, 3, v138
	s_barrier
	buffer_gl0_inv
	v_mov_b32_e32 v132, 5
	ds_write_b64 v0, v[118:119]
	s_waitcnt lgkmcnt(0)
	s_barrier
	buffer_gl0_inv
	ds_read_b64 v[0:1], v138 offset:40
	s_cmp_lt_i32 s7, 7
	s_cbranch_scc1 .LBB124_83
; %bb.81:
	v_add3_u32 v133, v139, 0, 48
	v_mov_b32_e32 v132, 5
	s_mov_b32 s0, 6
.LBB124_82:                             ; =>This Inner Loop Header: Depth=1
	ds_read_b64 v[142:143], v133
	v_add_nc_u32_e32 v133, 8, v133
	s_waitcnt lgkmcnt(0)
	v_cmp_lt_f64_e64 vcc_lo, |v[0:1]|, |v[142:143]|
	v_cndmask_b32_e32 v1, v1, v143, vcc_lo
	v_cndmask_b32_e32 v0, v0, v142, vcc_lo
	v_cndmask_b32_e64 v132, v132, s0, vcc_lo
	s_add_i32 s0, s0, 1
	s_cmp_lg_u32 s7, s0
	s_cbranch_scc1 .LBB124_82
.LBB124_83:
	s_mov_b32 s0, exec_lo
	s_waitcnt lgkmcnt(0)
	v_cmpx_eq_f64_e32 0, v[0:1]
	s_xor_b32 s0, exec_lo, s0
; %bb.84:
	v_cmp_ne_u32_e32 vcc_lo, 0, v135
	v_cndmask_b32_e32 v135, 6, v135, vcc_lo
; %bb.85:
	s_andn2_saveexec_b32 s0, s0
	s_cbranch_execz .LBB124_87
; %bb.86:
	v_div_scale_f64 v[133:134], null, v[0:1], v[0:1], 1.0
	v_rcp_f64_e32 v[142:143], v[133:134]
	v_fma_f64 v[144:145], -v[133:134], v[142:143], 1.0
	v_fma_f64 v[142:143], v[142:143], v[144:145], v[142:143]
	v_fma_f64 v[144:145], -v[133:134], v[142:143], 1.0
	v_fma_f64 v[142:143], v[142:143], v[144:145], v[142:143]
	v_div_scale_f64 v[144:145], vcc_lo, 1.0, v[0:1], 1.0
	v_mul_f64 v[146:147], v[144:145], v[142:143]
	v_fma_f64 v[133:134], -v[133:134], v[146:147], v[144:145]
	v_div_fmas_f64 v[133:134], v[133:134], v[142:143], v[146:147]
	v_div_fixup_f64 v[0:1], v[133:134], v[0:1], 1.0
.LBB124_87:
	s_or_b32 exec_lo, exec_lo, s0
	s_mov_b32 s0, exec_lo
	v_cmpx_ne_u32_e64 v141, v132
	s_xor_b32 s0, exec_lo, s0
	s_cbranch_execz .LBB124_93
; %bb.88:
	s_mov_b32 s1, exec_lo
	v_cmpx_eq_u32_e32 5, v141
	s_cbranch_execz .LBB124_92
; %bb.89:
	v_cmp_ne_u32_e32 vcc_lo, 5, v132
	s_xor_b32 s2, s6, -1
	s_and_b32 s3, s2, vcc_lo
	s_and_saveexec_b32 s2, s3
	s_cbranch_execz .LBB124_91
; %bb.90:
	v_ashrrev_i32_e32 v133, 31, v132
	v_lshlrev_b64 v[133:134], 2, v[132:133]
	v_add_co_u32 v133, vcc_lo, v4, v133
	v_add_co_ci_u32_e64 v134, null, v5, v134, vcc_lo
	s_clause 0x1
	global_load_dword v140, v[133:134], off
	global_load_dword v141, v[4:5], off offset:20
	s_waitcnt vmcnt(1)
	global_store_dword v[4:5], v140, off offset:20
	s_waitcnt vmcnt(0)
	global_store_dword v[133:134], v141, off
.LBB124_91:
	s_or_b32 exec_lo, exec_lo, s2
	v_mov_b32_e32 v140, v132
	v_mov_b32_e32 v141, v132
.LBB124_92:
	s_or_b32 exec_lo, exec_lo, s1
.LBB124_93:
	s_andn2_saveexec_b32 s0, s0
	s_cbranch_execz .LBB124_95
; %bb.94:
	v_mov_b32_e32 v132, v116
	v_mov_b32_e32 v133, v117
	v_mov_b32_e32 v141, v114
	v_mov_b32_e32 v142, v115
	v_mov_b32_e32 v143, v112
	v_mov_b32_e32 v144, v113
	v_mov_b32_e32 v145, v108
	v_mov_b32_e32 v146, v109
	v_mov_b32_e32 v147, v110
	v_mov_b32_e32 v148, v111
	v_mov_b32_e32 v149, v104
	v_mov_b32_e32 v150, v105
	v_mov_b32_e32 v151, v106
	v_mov_b32_e32 v152, v107
	v_mov_b32_e32 v153, v102
	v_mov_b32_e32 v154, v103
	ds_write2_b64 v138, v[132:133], v[141:142] offset0:6 offset1:7
	ds_write2_b64 v138, v[143:144], v[145:146] offset0:8 offset1:9
	ds_write2_b64 v138, v[147:148], v[149:150] offset0:10 offset1:11
	ds_write2_b64 v138, v[151:152], v[153:154] offset0:12 offset1:13
	v_mov_b32_e32 v132, v100
	v_mov_b32_e32 v133, v101
	v_mov_b32_e32 v141, v98
	v_mov_b32_e32 v142, v99
	v_mov_b32_e32 v143, v96
	v_mov_b32_e32 v144, v97
	v_mov_b32_e32 v145, v94
	v_mov_b32_e32 v146, v95
	v_mov_b32_e32 v147, v92
	v_mov_b32_e32 v148, v93
	v_mov_b32_e32 v149, v88
	v_mov_b32_e32 v150, v89
	v_mov_b32_e32 v151, v90
	v_mov_b32_e32 v152, v91
	v_mov_b32_e32 v153, v84
	v_mov_b32_e32 v154, v85
	v_mov_b32_e32 v155, v86
	v_mov_b32_e32 v156, v87
	v_mov_b32_e32 v157, v82
	v_mov_b32_e32 v158, v83
	ds_write2_b64 v138, v[132:133], v[141:142] offset0:14 offset1:15
	ds_write2_b64 v138, v[143:144], v[145:146] offset0:16 offset1:17
	ds_write2_b64 v138, v[147:148], v[149:150] offset0:18 offset1:19
	ds_write2_b64 v138, v[151:152], v[153:154] offset0:20 offset1:21
	ds_write2_b64 v138, v[155:156], v[157:158] offset0:22 offset1:23
	v_mov_b32_e32 v132, v80
	v_mov_b32_e32 v133, v81
	v_mov_b32_e32 v141, v78
	v_mov_b32_e32 v142, v79
	v_mov_b32_e32 v143, v76
	v_mov_b32_e32 v144, v77
	v_mov_b32_e32 v145, v74
	v_mov_b32_e32 v146, v75
	v_mov_b32_e32 v147, v72
	v_mov_b32_e32 v148, v73
	v_mov_b32_e32 v149, v68
	v_mov_b32_e32 v150, v69
	v_mov_b32_e32 v151, v70
	v_mov_b32_e32 v152, v71
	v_mov_b32_e32 v153, v64
	v_mov_b32_e32 v154, v65
	v_mov_b32_e32 v155, v66
	v_mov_b32_e32 v156, v67
	v_mov_b32_e32 v157, v62
	v_mov_b32_e32 v158, v63
	ds_write2_b64 v138, v[132:133], v[141:142] offset0:24 offset1:25
	;; [unrolled: 25-line block ×4, first 2 shown]
	ds_write2_b64 v138, v[143:144], v[145:146] offset0:46 offset1:47
	ds_write2_b64 v138, v[147:148], v[149:150] offset0:48 offset1:49
	ds_write2_b64 v138, v[151:152], v[153:154] offset0:50 offset1:51
	ds_write2_b64 v138, v[155:156], v[157:158] offset0:52 offset1:53
	v_mov_b32_e32 v132, v20
	v_mov_b32_e32 v133, v21
	;; [unrolled: 1-line block ×8, first 2 shown]
	ds_write2_b64 v138, v[132:133], v[141:142] offset0:54 offset1:55
	v_mov_b32_e32 v141, 5
	v_mov_b32_e32 v147, v12
	v_mov_b32_e32 v148, v13
	v_mov_b32_e32 v149, v8
	v_mov_b32_e32 v150, v9
	v_mov_b32_e32 v151, v10
	v_mov_b32_e32 v152, v11
	v_mov_b32_e32 v153, v6
	v_mov_b32_e32 v154, v7
	ds_write2_b64 v138, v[143:144], v[145:146] offset0:56 offset1:57
	ds_write2_b64 v138, v[147:148], v[149:150] offset0:58 offset1:59
	;; [unrolled: 1-line block ×3, first 2 shown]
	ds_write_b64 v138, v[130:131] offset:496
.LBB124_95:
	s_or_b32 exec_lo, exec_lo, s0
	s_mov_b32 s0, exec_lo
	s_waitcnt lgkmcnt(0)
	s_waitcnt_vscnt null, 0x0
	s_barrier
	buffer_gl0_inv
	v_cmpx_lt_i32_e32 5, v141
	s_cbranch_execz .LBB124_97
; %bb.96:
	v_mul_f64 v[118:119], v[0:1], v[118:119]
	ds_read2_b64 v[142:145], v138 offset0:6 offset1:7
	ds_read2_b64 v[146:149], v138 offset0:8 offset1:9
	;; [unrolled: 1-line block ×12, first 2 shown]
	ds_read_b64 v[0:1], v138 offset:496
	s_waitcnt lgkmcnt(12)
	v_fma_f64 v[116:117], -v[118:119], v[142:143], v[116:117]
	v_fma_f64 v[114:115], -v[118:119], v[144:145], v[114:115]
	s_waitcnt lgkmcnt(11)
	v_fma_f64 v[112:113], -v[118:119], v[146:147], v[112:113]
	v_fma_f64 v[108:109], -v[118:119], v[148:149], v[108:109]
	;; [unrolled: 3-line block ×5, first 2 shown]
	ds_read2_b64 v[142:145], v138 offset0:30 offset1:31
	ds_read2_b64 v[146:149], v138 offset0:32 offset1:33
	s_waitcnt lgkmcnt(9)
	v_fma_f64 v[96:97], -v[118:119], v[162:163], v[96:97]
	v_fma_f64 v[94:95], -v[118:119], v[164:165], v[94:95]
	ds_read2_b64 v[150:153], v138 offset0:34 offset1:35
	ds_read2_b64 v[154:157], v138 offset0:36 offset1:37
	;; [unrolled: 1-line block ×4, first 2 shown]
	s_waitcnt lgkmcnt(12)
	v_fma_f64 v[92:93], -v[118:119], v[166:167], v[92:93]
	v_fma_f64 v[88:89], -v[118:119], v[168:169], v[88:89]
	s_waitcnt lgkmcnt(11)
	v_fma_f64 v[90:91], -v[118:119], v[170:171], v[90:91]
	v_fma_f64 v[84:85], -v[118:119], v[172:173], v[84:85]
	;; [unrolled: 3-line block ×4, first 2 shown]
	ds_read2_b64 v[166:169], v138 offset0:46 offset1:47
	ds_read2_b64 v[170:173], v138 offset0:50 offset1:51
	;; [unrolled: 1-line block ×4, first 2 shown]
	s_waitcnt lgkmcnt(9)
	v_fma_f64 v[70:71], -v[118:119], v[142:143], v[70:71]
	v_fma_f64 v[64:65], -v[118:119], v[144:145], v[64:65]
	ds_read2_b64 v[142:145], v138 offset0:42 offset1:43
	s_waitcnt lgkmcnt(9)
	v_fma_f64 v[66:67], -v[118:119], v[146:147], v[66:67]
	v_fma_f64 v[62:63], -v[118:119], v[148:149], v[62:63]
	ds_read2_b64 v[146:149], v138 offset0:44 offset1:45
	;; [unrolled: 4-line block ×6, first 2 shown]
	v_fma_f64 v[76:77], -v[118:119], v[182:183], v[76:77]
	v_fma_f64 v[74:75], -v[118:119], v[184:185], v[74:75]
	;; [unrolled: 1-line block ×4, first 2 shown]
	s_waitcnt lgkmcnt(5)
	v_fma_f64 v[46:47], -v[118:119], v[142:143], v[46:47]
	v_fma_f64 v[42:43], -v[118:119], v[144:145], v[42:43]
	v_fma_f64 v[36:37], -v[118:119], v[166:167], v[36:37]
	s_waitcnt lgkmcnt(4)
	v_fma_f64 v[40:41], -v[118:119], v[146:147], v[40:41]
	v_fma_f64 v[38:39], -v[118:119], v[148:149], v[38:39]
	v_fma_f64 v[34:35], -v[118:119], v[168:169], v[34:35]
	;; [unrolled: 4-line block ×3, first 2 shown]
	v_fma_f64 v[24:25], -v[118:119], v[172:173], v[24:25]
	s_waitcnt lgkmcnt(2)
	v_fma_f64 v[26:27], -v[118:119], v[154:155], v[26:27]
	v_fma_f64 v[22:23], -v[118:119], v[156:157], v[22:23]
	v_fma_f64 v[20:21], -v[118:119], v[174:175], v[20:21]
	v_fma_f64 v[18:19], -v[118:119], v[176:177], v[18:19]
	s_waitcnt lgkmcnt(1)
	v_fma_f64 v[16:17], -v[118:119], v[158:159], v[16:17]
	v_fma_f64 v[14:15], -v[118:119], v[160:161], v[14:15]
	v_fma_f64 v[12:13], -v[118:119], v[178:179], v[12:13]
	;; [unrolled: 5-line block ×3, first 2 shown]
.LBB124_97:
	s_or_b32 exec_lo, exec_lo, s0
	v_lshl_add_u32 v0, v141, 3, v138
	s_barrier
	buffer_gl0_inv
	v_mov_b32_e32 v132, 6
	ds_write_b64 v0, v[116:117]
	s_waitcnt lgkmcnt(0)
	s_barrier
	buffer_gl0_inv
	ds_read_b64 v[0:1], v138 offset:48
	s_cmp_lt_i32 s7, 8
	s_cbranch_scc1 .LBB124_100
; %bb.98:
	v_add3_u32 v133, v139, 0, 56
	v_mov_b32_e32 v132, 6
	s_mov_b32 s0, 7
.LBB124_99:                             ; =>This Inner Loop Header: Depth=1
	ds_read_b64 v[142:143], v133
	v_add_nc_u32_e32 v133, 8, v133
	s_waitcnt lgkmcnt(0)
	v_cmp_lt_f64_e64 vcc_lo, |v[0:1]|, |v[142:143]|
	v_cndmask_b32_e32 v1, v1, v143, vcc_lo
	v_cndmask_b32_e32 v0, v0, v142, vcc_lo
	v_cndmask_b32_e64 v132, v132, s0, vcc_lo
	s_add_i32 s0, s0, 1
	s_cmp_lg_u32 s7, s0
	s_cbranch_scc1 .LBB124_99
.LBB124_100:
	s_mov_b32 s0, exec_lo
	s_waitcnt lgkmcnt(0)
	v_cmpx_eq_f64_e32 0, v[0:1]
	s_xor_b32 s0, exec_lo, s0
; %bb.101:
	v_cmp_ne_u32_e32 vcc_lo, 0, v135
	v_cndmask_b32_e32 v135, 7, v135, vcc_lo
; %bb.102:
	s_andn2_saveexec_b32 s0, s0
	s_cbranch_execz .LBB124_104
; %bb.103:
	v_div_scale_f64 v[133:134], null, v[0:1], v[0:1], 1.0
	v_rcp_f64_e32 v[142:143], v[133:134]
	v_fma_f64 v[144:145], -v[133:134], v[142:143], 1.0
	v_fma_f64 v[142:143], v[142:143], v[144:145], v[142:143]
	v_fma_f64 v[144:145], -v[133:134], v[142:143], 1.0
	v_fma_f64 v[142:143], v[142:143], v[144:145], v[142:143]
	v_div_scale_f64 v[144:145], vcc_lo, 1.0, v[0:1], 1.0
	v_mul_f64 v[146:147], v[144:145], v[142:143]
	v_fma_f64 v[133:134], -v[133:134], v[146:147], v[144:145]
	v_div_fmas_f64 v[133:134], v[133:134], v[142:143], v[146:147]
	v_div_fixup_f64 v[0:1], v[133:134], v[0:1], 1.0
.LBB124_104:
	s_or_b32 exec_lo, exec_lo, s0
	s_mov_b32 s0, exec_lo
	v_cmpx_ne_u32_e64 v141, v132
	s_xor_b32 s0, exec_lo, s0
	s_cbranch_execz .LBB124_110
; %bb.105:
	s_mov_b32 s1, exec_lo
	v_cmpx_eq_u32_e32 6, v141
	s_cbranch_execz .LBB124_109
; %bb.106:
	v_cmp_ne_u32_e32 vcc_lo, 6, v132
	s_xor_b32 s2, s6, -1
	s_and_b32 s3, s2, vcc_lo
	s_and_saveexec_b32 s2, s3
	s_cbranch_execz .LBB124_108
; %bb.107:
	v_ashrrev_i32_e32 v133, 31, v132
	v_lshlrev_b64 v[133:134], 2, v[132:133]
	v_add_co_u32 v133, vcc_lo, v4, v133
	v_add_co_ci_u32_e64 v134, null, v5, v134, vcc_lo
	s_clause 0x1
	global_load_dword v140, v[133:134], off
	global_load_dword v141, v[4:5], off offset:24
	s_waitcnt vmcnt(1)
	global_store_dword v[4:5], v140, off offset:24
	s_waitcnt vmcnt(0)
	global_store_dword v[133:134], v141, off
.LBB124_108:
	s_or_b32 exec_lo, exec_lo, s2
	v_mov_b32_e32 v140, v132
	v_mov_b32_e32 v141, v132
.LBB124_109:
	s_or_b32 exec_lo, exec_lo, s1
.LBB124_110:
	s_andn2_saveexec_b32 s0, s0
	s_cbranch_execz .LBB124_112
; %bb.111:
	v_mov_b32_e32 v141, 6
	ds_write2_b64 v138, v[114:115], v[112:113] offset0:7 offset1:8
	ds_write2_b64 v138, v[108:109], v[110:111] offset0:9 offset1:10
	ds_write2_b64 v138, v[104:105], v[106:107] offset0:11 offset1:12
	ds_write2_b64 v138, v[102:103], v[100:101] offset0:13 offset1:14
	ds_write2_b64 v138, v[98:99], v[96:97] offset0:15 offset1:16
	ds_write2_b64 v138, v[94:95], v[92:93] offset0:17 offset1:18
	ds_write2_b64 v138, v[88:89], v[90:91] offset0:19 offset1:20
	ds_write2_b64 v138, v[84:85], v[86:87] offset0:21 offset1:22
	ds_write2_b64 v138, v[82:83], v[80:81] offset0:23 offset1:24
	ds_write2_b64 v138, v[78:79], v[76:77] offset0:25 offset1:26
	ds_write2_b64 v138, v[74:75], v[72:73] offset0:27 offset1:28
	ds_write2_b64 v138, v[68:69], v[70:71] offset0:29 offset1:30
	ds_write2_b64 v138, v[64:65], v[66:67] offset0:31 offset1:32
	ds_write2_b64 v138, v[62:63], v[60:61] offset0:33 offset1:34
	ds_write2_b64 v138, v[58:59], v[56:57] offset0:35 offset1:36
	ds_write2_b64 v138, v[54:55], v[52:53] offset0:37 offset1:38
	ds_write2_b64 v138, v[48:49], v[50:51] offset0:39 offset1:40
	ds_write2_b64 v138, v[44:45], v[46:47] offset0:41 offset1:42
	ds_write2_b64 v138, v[42:43], v[40:41] offset0:43 offset1:44
	ds_write2_b64 v138, v[38:39], v[36:37] offset0:45 offset1:46
	ds_write2_b64 v138, v[34:35], v[32:33] offset0:47 offset1:48
	ds_write2_b64 v138, v[28:29], v[30:31] offset0:49 offset1:50
	ds_write2_b64 v138, v[24:25], v[26:27] offset0:51 offset1:52
	ds_write2_b64 v138, v[22:23], v[20:21] offset0:53 offset1:54
	ds_write2_b64 v138, v[18:19], v[16:17] offset0:55 offset1:56
	ds_write2_b64 v138, v[14:15], v[12:13] offset0:57 offset1:58
	ds_write2_b64 v138, v[8:9], v[10:11] offset0:59 offset1:60
	ds_write2_b64 v138, v[6:7], v[130:131] offset0:61 offset1:62
.LBB124_112:
	s_or_b32 exec_lo, exec_lo, s0
	s_mov_b32 s0, exec_lo
	s_waitcnt lgkmcnt(0)
	s_waitcnt_vscnt null, 0x0
	s_barrier
	buffer_gl0_inv
	v_cmpx_lt_i32_e32 6, v141
	s_cbranch_execz .LBB124_114
; %bb.113:
	v_mul_f64 v[116:117], v[0:1], v[116:117]
	ds_read2_b64 v[142:145], v138 offset0:7 offset1:8
	ds_read2_b64 v[146:149], v138 offset0:9 offset1:10
	;; [unrolled: 1-line block ×12, first 2 shown]
	s_waitcnt lgkmcnt(11)
	v_fma_f64 v[114:115], -v[116:117], v[142:143], v[114:115]
	v_fma_f64 v[112:113], -v[116:117], v[144:145], v[112:113]
	s_waitcnt lgkmcnt(10)
	v_fma_f64 v[108:109], -v[116:117], v[146:147], v[108:109]
	v_fma_f64 v[110:111], -v[116:117], v[148:149], v[110:111]
	;; [unrolled: 3-line block ×5, first 2 shown]
	ds_read2_b64 v[142:145], v138 offset0:31 offset1:32
	ds_read2_b64 v[146:149], v138 offset0:33 offset1:34
	;; [unrolled: 1-line block ×5, first 2 shown]
	s_waitcnt lgkmcnt(11)
	v_fma_f64 v[94:95], -v[116:117], v[162:163], v[94:95]
	v_fma_f64 v[92:93], -v[116:117], v[164:165], v[92:93]
	s_waitcnt lgkmcnt(10)
	v_fma_f64 v[88:89], -v[116:117], v[166:167], v[88:89]
	v_fma_f64 v[90:91], -v[116:117], v[168:169], v[90:91]
	;; [unrolled: 3-line block ×6, first 2 shown]
	ds_read2_b64 v[162:165], v138 offset0:41 offset1:42
	ds_read2_b64 v[166:169], v138 offset0:45 offset1:46
	;; [unrolled: 1-line block ×3, first 2 shown]
	s_waitcnt lgkmcnt(7)
	v_fma_f64 v[64:65], -v[116:117], v[142:143], v[64:65]
	v_fma_f64 v[66:67], -v[116:117], v[144:145], v[66:67]
	ds_read2_b64 v[142:145], v138 offset0:43 offset1:44
	s_waitcnt lgkmcnt(7)
	v_fma_f64 v[62:63], -v[116:117], v[146:147], v[62:63]
	v_fma_f64 v[60:61], -v[116:117], v[148:149], v[60:61]
	ds_read2_b64 v[146:149], v138 offset0:47 offset1:48
	;; [unrolled: 4-line block ×3, first 2 shown]
	ds_read2_b64 v[174:177], v138 offset0:53 offset1:54
	s_waitcnt lgkmcnt(8)
	v_fma_f64 v[54:55], -v[116:117], v[154:155], v[54:55]
	v_fma_f64 v[52:53], -v[116:117], v[156:157], v[52:53]
	ds_read2_b64 v[154:157], v138 offset0:55 offset1:56
	ds_read2_b64 v[178:181], v138 offset0:57 offset1:58
	s_waitcnt lgkmcnt(9)
	v_fma_f64 v[48:49], -v[116:117], v[158:159], v[48:49]
	v_fma_f64 v[50:51], -v[116:117], v[160:161], v[50:51]
	ds_read2_b64 v[158:161], v138 offset0:59 offset1:60
	ds_read2_b64 v[182:185], v138 offset0:61 offset1:62
	v_fma_f64 v[68:69], -v[116:117], v[186:187], v[68:69]
	v_fma_f64 v[70:71], -v[116:117], v[188:189], v[70:71]
	s_waitcnt lgkmcnt(10)
	v_fma_f64 v[44:45], -v[116:117], v[162:163], v[44:45]
	v_fma_f64 v[46:47], -v[116:117], v[164:165], v[46:47]
	s_waitcnt lgkmcnt(7)
	v_fma_f64 v[42:43], -v[116:117], v[142:143], v[42:43]
	v_fma_f64 v[40:41], -v[116:117], v[144:145], v[40:41]
	v_fma_f64 v[38:39], -v[116:117], v[166:167], v[38:39]
	v_fma_f64 v[36:37], -v[116:117], v[168:169], v[36:37]
	s_waitcnt lgkmcnt(6)
	v_fma_f64 v[34:35], -v[116:117], v[146:147], v[34:35]
	v_fma_f64 v[32:33], -v[116:117], v[148:149], v[32:33]
	v_fma_f64 v[28:29], -v[116:117], v[170:171], v[28:29]
	v_fma_f64 v[30:31], -v[116:117], v[172:173], v[30:31]
	s_waitcnt lgkmcnt(5)
	v_fma_f64 v[24:25], -v[116:117], v[150:151], v[24:25]
	v_fma_f64 v[26:27], -v[116:117], v[152:153], v[26:27]
	s_waitcnt lgkmcnt(4)
	v_fma_f64 v[22:23], -v[116:117], v[174:175], v[22:23]
	v_fma_f64 v[20:21], -v[116:117], v[176:177], v[20:21]
	s_waitcnt lgkmcnt(3)
	v_fma_f64 v[18:19], -v[116:117], v[154:155], v[18:19]
	v_fma_f64 v[16:17], -v[116:117], v[156:157], v[16:17]
	;; [unrolled: 3-line block ×5, first 2 shown]
.LBB124_114:
	s_or_b32 exec_lo, exec_lo, s0
	v_lshl_add_u32 v0, v141, 3, v138
	s_barrier
	buffer_gl0_inv
	v_mov_b32_e32 v132, 7
	ds_write_b64 v0, v[114:115]
	s_waitcnt lgkmcnt(0)
	s_barrier
	buffer_gl0_inv
	ds_read_b64 v[0:1], v138 offset:56
	s_cmp_lt_i32 s7, 9
	s_cbranch_scc1 .LBB124_117
; %bb.115:
	v_add3_u32 v133, v139, 0, 64
	v_mov_b32_e32 v132, 7
	s_mov_b32 s0, 8
.LBB124_116:                            ; =>This Inner Loop Header: Depth=1
	ds_read_b64 v[142:143], v133
	v_add_nc_u32_e32 v133, 8, v133
	s_waitcnt lgkmcnt(0)
	v_cmp_lt_f64_e64 vcc_lo, |v[0:1]|, |v[142:143]|
	v_cndmask_b32_e32 v1, v1, v143, vcc_lo
	v_cndmask_b32_e32 v0, v0, v142, vcc_lo
	v_cndmask_b32_e64 v132, v132, s0, vcc_lo
	s_add_i32 s0, s0, 1
	s_cmp_lg_u32 s7, s0
	s_cbranch_scc1 .LBB124_116
.LBB124_117:
	s_mov_b32 s0, exec_lo
	s_waitcnt lgkmcnt(0)
	v_cmpx_eq_f64_e32 0, v[0:1]
	s_xor_b32 s0, exec_lo, s0
; %bb.118:
	v_cmp_ne_u32_e32 vcc_lo, 0, v135
	v_cndmask_b32_e32 v135, 8, v135, vcc_lo
; %bb.119:
	s_andn2_saveexec_b32 s0, s0
	s_cbranch_execz .LBB124_121
; %bb.120:
	v_div_scale_f64 v[133:134], null, v[0:1], v[0:1], 1.0
	v_rcp_f64_e32 v[142:143], v[133:134]
	v_fma_f64 v[144:145], -v[133:134], v[142:143], 1.0
	v_fma_f64 v[142:143], v[142:143], v[144:145], v[142:143]
	v_fma_f64 v[144:145], -v[133:134], v[142:143], 1.0
	v_fma_f64 v[142:143], v[142:143], v[144:145], v[142:143]
	v_div_scale_f64 v[144:145], vcc_lo, 1.0, v[0:1], 1.0
	v_mul_f64 v[146:147], v[144:145], v[142:143]
	v_fma_f64 v[133:134], -v[133:134], v[146:147], v[144:145]
	v_div_fmas_f64 v[133:134], v[133:134], v[142:143], v[146:147]
	v_div_fixup_f64 v[0:1], v[133:134], v[0:1], 1.0
.LBB124_121:
	s_or_b32 exec_lo, exec_lo, s0
	s_mov_b32 s0, exec_lo
	v_cmpx_ne_u32_e64 v141, v132
	s_xor_b32 s0, exec_lo, s0
	s_cbranch_execz .LBB124_127
; %bb.122:
	s_mov_b32 s1, exec_lo
	v_cmpx_eq_u32_e32 7, v141
	s_cbranch_execz .LBB124_126
; %bb.123:
	v_cmp_ne_u32_e32 vcc_lo, 7, v132
	s_xor_b32 s2, s6, -1
	s_and_b32 s3, s2, vcc_lo
	s_and_saveexec_b32 s2, s3
	s_cbranch_execz .LBB124_125
; %bb.124:
	v_ashrrev_i32_e32 v133, 31, v132
	v_lshlrev_b64 v[133:134], 2, v[132:133]
	v_add_co_u32 v133, vcc_lo, v4, v133
	v_add_co_ci_u32_e64 v134, null, v5, v134, vcc_lo
	s_clause 0x1
	global_load_dword v140, v[133:134], off
	global_load_dword v141, v[4:5], off offset:28
	s_waitcnt vmcnt(1)
	global_store_dword v[4:5], v140, off offset:28
	s_waitcnt vmcnt(0)
	global_store_dword v[133:134], v141, off
.LBB124_125:
	s_or_b32 exec_lo, exec_lo, s2
	v_mov_b32_e32 v140, v132
	v_mov_b32_e32 v141, v132
.LBB124_126:
	s_or_b32 exec_lo, exec_lo, s1
.LBB124_127:
	s_andn2_saveexec_b32 s0, s0
	s_cbranch_execz .LBB124_129
; %bb.128:
	v_mov_b32_e32 v132, v112
	v_mov_b32_e32 v133, v113
	;; [unrolled: 1-line block ×12, first 2 shown]
	ds_write2_b64 v138, v[132:133], v[141:142] offset0:8 offset1:9
	ds_write2_b64 v138, v[143:144], v[145:146] offset0:10 offset1:11
	ds_write2_b64 v138, v[147:148], v[149:150] offset0:12 offset1:13
	v_mov_b32_e32 v132, v100
	v_mov_b32_e32 v133, v101
	v_mov_b32_e32 v141, v98
	v_mov_b32_e32 v142, v99
	v_mov_b32_e32 v143, v96
	v_mov_b32_e32 v144, v97
	v_mov_b32_e32 v145, v94
	v_mov_b32_e32 v146, v95
	v_mov_b32_e32 v147, v92
	v_mov_b32_e32 v148, v93
	v_mov_b32_e32 v149, v88
	v_mov_b32_e32 v150, v89
	v_mov_b32_e32 v151, v90
	v_mov_b32_e32 v152, v91
	v_mov_b32_e32 v153, v84
	v_mov_b32_e32 v154, v85
	v_mov_b32_e32 v155, v86
	v_mov_b32_e32 v156, v87
	v_mov_b32_e32 v157, v82
	v_mov_b32_e32 v158, v83
	ds_write2_b64 v138, v[132:133], v[141:142] offset0:14 offset1:15
	ds_write2_b64 v138, v[143:144], v[145:146] offset0:16 offset1:17
	ds_write2_b64 v138, v[147:148], v[149:150] offset0:18 offset1:19
	ds_write2_b64 v138, v[151:152], v[153:154] offset0:20 offset1:21
	ds_write2_b64 v138, v[155:156], v[157:158] offset0:22 offset1:23
	v_mov_b32_e32 v132, v80
	v_mov_b32_e32 v133, v81
	v_mov_b32_e32 v141, v78
	v_mov_b32_e32 v142, v79
	v_mov_b32_e32 v143, v76
	v_mov_b32_e32 v144, v77
	v_mov_b32_e32 v145, v74
	v_mov_b32_e32 v146, v75
	v_mov_b32_e32 v147, v72
	v_mov_b32_e32 v148, v73
	v_mov_b32_e32 v149, v68
	v_mov_b32_e32 v150, v69
	v_mov_b32_e32 v151, v70
	v_mov_b32_e32 v152, v71
	v_mov_b32_e32 v153, v64
	v_mov_b32_e32 v154, v65
	v_mov_b32_e32 v155, v66
	v_mov_b32_e32 v156, v67
	v_mov_b32_e32 v157, v62
	v_mov_b32_e32 v158, v63
	ds_write2_b64 v138, v[132:133], v[141:142] offset0:24 offset1:25
	ds_write2_b64 v138, v[143:144], v[145:146] offset0:26 offset1:27
	;; [unrolled: 25-line block ×4, first 2 shown]
	ds_write2_b64 v138, v[147:148], v[149:150] offset0:48 offset1:49
	ds_write2_b64 v138, v[151:152], v[153:154] offset0:50 offset1:51
	ds_write2_b64 v138, v[155:156], v[157:158] offset0:52 offset1:53
	v_mov_b32_e32 v132, v20
	v_mov_b32_e32 v133, v21
	;; [unrolled: 1-line block ×8, first 2 shown]
	ds_write2_b64 v138, v[132:133], v[141:142] offset0:54 offset1:55
	v_mov_b32_e32 v141, 7
	v_mov_b32_e32 v147, v12
	;; [unrolled: 1-line block ×9, first 2 shown]
	ds_write2_b64 v138, v[143:144], v[145:146] offset0:56 offset1:57
	ds_write2_b64 v138, v[147:148], v[149:150] offset0:58 offset1:59
	;; [unrolled: 1-line block ×3, first 2 shown]
	ds_write_b64 v138, v[130:131] offset:496
.LBB124_129:
	s_or_b32 exec_lo, exec_lo, s0
	s_mov_b32 s0, exec_lo
	s_waitcnt lgkmcnt(0)
	s_waitcnt_vscnt null, 0x0
	s_barrier
	buffer_gl0_inv
	v_cmpx_lt_i32_e32 7, v141
	s_cbranch_execz .LBB124_131
; %bb.130:
	v_mul_f64 v[114:115], v[0:1], v[114:115]
	ds_read2_b64 v[142:145], v138 offset0:8 offset1:9
	ds_read2_b64 v[146:149], v138 offset0:10 offset1:11
	;; [unrolled: 1-line block ×12, first 2 shown]
	ds_read_b64 v[0:1], v138 offset:496
	s_waitcnt lgkmcnt(12)
	v_fma_f64 v[112:113], -v[114:115], v[142:143], v[112:113]
	v_fma_f64 v[108:109], -v[114:115], v[144:145], v[108:109]
	s_waitcnt lgkmcnt(11)
	v_fma_f64 v[110:111], -v[114:115], v[146:147], v[110:111]
	v_fma_f64 v[104:105], -v[114:115], v[148:149], v[104:105]
	;; [unrolled: 3-line block ×5, first 2 shown]
	ds_read2_b64 v[142:145], v138 offset0:32 offset1:33
	ds_read2_b64 v[146:149], v138 offset0:34 offset1:35
	;; [unrolled: 1-line block ×5, first 2 shown]
	s_waitcnt lgkmcnt(12)
	v_fma_f64 v[92:93], -v[114:115], v[162:163], v[92:93]
	v_fma_f64 v[88:89], -v[114:115], v[164:165], v[88:89]
	s_waitcnt lgkmcnt(11)
	v_fma_f64 v[90:91], -v[114:115], v[166:167], v[90:91]
	v_fma_f64 v[84:85], -v[114:115], v[168:169], v[84:85]
	;; [unrolled: 3-line block ×5, first 2 shown]
	ds_read2_b64 v[162:165], v138 offset0:42 offset1:43
	ds_read2_b64 v[166:169], v138 offset0:46 offset1:47
	;; [unrolled: 1-line block ×5, first 2 shown]
	s_waitcnt lgkmcnt(9)
	v_fma_f64 v[66:67], -v[114:115], v[142:143], v[66:67]
	v_fma_f64 v[62:63], -v[114:115], v[144:145], v[62:63]
	ds_read2_b64 v[142:145], v138 offset0:44 offset1:45
	s_waitcnt lgkmcnt(9)
	v_fma_f64 v[60:61], -v[114:115], v[146:147], v[60:61]
	v_fma_f64 v[58:59], -v[114:115], v[148:149], v[58:59]
	ds_read2_b64 v[146:149], v138 offset0:48 offset1:49
	;; [unrolled: 4-line block ×5, first 2 shown]
	v_fma_f64 v[72:73], -v[114:115], v[182:183], v[72:73]
	v_fma_f64 v[68:69], -v[114:115], v[184:185], v[68:69]
	;; [unrolled: 1-line block ×4, first 2 shown]
	s_waitcnt lgkmcnt(9)
	v_fma_f64 v[46:47], -v[114:115], v[162:163], v[46:47]
	v_fma_f64 v[42:43], -v[114:115], v[164:165], v[42:43]
	s_waitcnt lgkmcnt(8)
	v_fma_f64 v[36:37], -v[114:115], v[166:167], v[36:37]
	s_waitcnt lgkmcnt(4)
	v_fma_f64 v[40:41], -v[114:115], v[142:143], v[40:41]
	v_fma_f64 v[38:39], -v[114:115], v[144:145], v[38:39]
	v_fma_f64 v[34:35], -v[114:115], v[168:169], v[34:35]
	s_waitcnt lgkmcnt(3)
	v_fma_f64 v[32:33], -v[114:115], v[146:147], v[32:33]
	v_fma_f64 v[28:29], -v[114:115], v[148:149], v[28:29]
	v_fma_f64 v[30:31], -v[114:115], v[170:171], v[30:31]
	v_fma_f64 v[24:25], -v[114:115], v[172:173], v[24:25]
	s_waitcnt lgkmcnt(2)
	v_fma_f64 v[26:27], -v[114:115], v[150:151], v[26:27]
	;; [unrolled: 5-line block ×4, first 2 shown]
	v_fma_f64 v[6:7], -v[114:115], v[160:161], v[6:7]
	v_fma_f64 v[130:131], -v[114:115], v[0:1], v[130:131]
.LBB124_131:
	s_or_b32 exec_lo, exec_lo, s0
	v_lshl_add_u32 v0, v141, 3, v138
	s_barrier
	buffer_gl0_inv
	v_mov_b32_e32 v132, 8
	ds_write_b64 v0, v[112:113]
	s_waitcnt lgkmcnt(0)
	s_barrier
	buffer_gl0_inv
	ds_read_b64 v[0:1], v138 offset:64
	s_cmp_lt_i32 s7, 10
	s_cbranch_scc1 .LBB124_134
; %bb.132:
	v_add3_u32 v133, v139, 0, 0x48
	v_mov_b32_e32 v132, 8
	s_mov_b32 s0, 9
.LBB124_133:                            ; =>This Inner Loop Header: Depth=1
	ds_read_b64 v[142:143], v133
	v_add_nc_u32_e32 v133, 8, v133
	s_waitcnt lgkmcnt(0)
	v_cmp_lt_f64_e64 vcc_lo, |v[0:1]|, |v[142:143]|
	v_cndmask_b32_e32 v1, v1, v143, vcc_lo
	v_cndmask_b32_e32 v0, v0, v142, vcc_lo
	v_cndmask_b32_e64 v132, v132, s0, vcc_lo
	s_add_i32 s0, s0, 1
	s_cmp_lg_u32 s7, s0
	s_cbranch_scc1 .LBB124_133
.LBB124_134:
	s_mov_b32 s0, exec_lo
	s_waitcnt lgkmcnt(0)
	v_cmpx_eq_f64_e32 0, v[0:1]
	s_xor_b32 s0, exec_lo, s0
; %bb.135:
	v_cmp_ne_u32_e32 vcc_lo, 0, v135
	v_cndmask_b32_e32 v135, 9, v135, vcc_lo
; %bb.136:
	s_andn2_saveexec_b32 s0, s0
	s_cbranch_execz .LBB124_138
; %bb.137:
	v_div_scale_f64 v[133:134], null, v[0:1], v[0:1], 1.0
	v_rcp_f64_e32 v[142:143], v[133:134]
	v_fma_f64 v[144:145], -v[133:134], v[142:143], 1.0
	v_fma_f64 v[142:143], v[142:143], v[144:145], v[142:143]
	v_fma_f64 v[144:145], -v[133:134], v[142:143], 1.0
	v_fma_f64 v[142:143], v[142:143], v[144:145], v[142:143]
	v_div_scale_f64 v[144:145], vcc_lo, 1.0, v[0:1], 1.0
	v_mul_f64 v[146:147], v[144:145], v[142:143]
	v_fma_f64 v[133:134], -v[133:134], v[146:147], v[144:145]
	v_div_fmas_f64 v[133:134], v[133:134], v[142:143], v[146:147]
	v_div_fixup_f64 v[0:1], v[133:134], v[0:1], 1.0
.LBB124_138:
	s_or_b32 exec_lo, exec_lo, s0
	s_mov_b32 s0, exec_lo
	v_cmpx_ne_u32_e64 v141, v132
	s_xor_b32 s0, exec_lo, s0
	s_cbranch_execz .LBB124_144
; %bb.139:
	s_mov_b32 s1, exec_lo
	v_cmpx_eq_u32_e32 8, v141
	s_cbranch_execz .LBB124_143
; %bb.140:
	v_cmp_ne_u32_e32 vcc_lo, 8, v132
	s_xor_b32 s2, s6, -1
	s_and_b32 s3, s2, vcc_lo
	s_and_saveexec_b32 s2, s3
	s_cbranch_execz .LBB124_142
; %bb.141:
	v_ashrrev_i32_e32 v133, 31, v132
	v_lshlrev_b64 v[133:134], 2, v[132:133]
	v_add_co_u32 v133, vcc_lo, v4, v133
	v_add_co_ci_u32_e64 v134, null, v5, v134, vcc_lo
	s_clause 0x1
	global_load_dword v140, v[133:134], off
	global_load_dword v141, v[4:5], off offset:32
	s_waitcnt vmcnt(1)
	global_store_dword v[4:5], v140, off offset:32
	s_waitcnt vmcnt(0)
	global_store_dword v[133:134], v141, off
.LBB124_142:
	s_or_b32 exec_lo, exec_lo, s2
	v_mov_b32_e32 v140, v132
	v_mov_b32_e32 v141, v132
.LBB124_143:
	s_or_b32 exec_lo, exec_lo, s1
.LBB124_144:
	s_andn2_saveexec_b32 s0, s0
	s_cbranch_execz .LBB124_146
; %bb.145:
	v_mov_b32_e32 v141, 8
	ds_write2_b64 v138, v[108:109], v[110:111] offset0:9 offset1:10
	ds_write2_b64 v138, v[104:105], v[106:107] offset0:11 offset1:12
	;; [unrolled: 1-line block ×27, first 2 shown]
.LBB124_146:
	s_or_b32 exec_lo, exec_lo, s0
	s_mov_b32 s0, exec_lo
	s_waitcnt lgkmcnt(0)
	s_waitcnt_vscnt null, 0x0
	s_barrier
	buffer_gl0_inv
	v_cmpx_lt_i32_e32 8, v141
	s_cbranch_execz .LBB124_148
; %bb.147:
	v_mul_f64 v[112:113], v[0:1], v[112:113]
	ds_read2_b64 v[142:145], v138 offset0:9 offset1:10
	ds_read2_b64 v[146:149], v138 offset0:11 offset1:12
	;; [unrolled: 1-line block ×12, first 2 shown]
	s_waitcnt lgkmcnt(11)
	v_fma_f64 v[108:109], -v[112:113], v[142:143], v[108:109]
	v_fma_f64 v[110:111], -v[112:113], v[144:145], v[110:111]
	s_waitcnt lgkmcnt(10)
	v_fma_f64 v[104:105], -v[112:113], v[146:147], v[104:105]
	v_fma_f64 v[106:107], -v[112:113], v[148:149], v[106:107]
	;; [unrolled: 3-line block ×4, first 2 shown]
	ds_read2_b64 v[142:145], v138 offset0:33 offset1:34
	ds_read2_b64 v[146:149], v138 offset0:35 offset1:36
	ds_read2_b64 v[150:153], v138 offset0:37 offset1:38
	ds_read2_b64 v[154:157], v138 offset0:39 offset1:40
	s_waitcnt lgkmcnt(11)
	v_fma_f64 v[94:95], -v[112:113], v[158:159], v[94:95]
	v_fma_f64 v[92:93], -v[112:113], v[160:161], v[92:93]
	s_waitcnt lgkmcnt(10)
	v_fma_f64 v[88:89], -v[112:113], v[162:163], v[88:89]
	v_fma_f64 v[90:91], -v[112:113], v[164:165], v[90:91]
	;; [unrolled: 3-line block ×7, first 2 shown]
	ds_read2_b64 v[158:161], v138 offset0:41 offset1:42
	ds_read2_b64 v[162:165], v138 offset0:43 offset1:44
	s_waitcnt lgkmcnt(5)
	v_fma_f64 v[62:63], -v[112:113], v[142:143], v[62:63]
	ds_read2_b64 v[166:169], v138 offset0:45 offset1:46
	v_fma_f64 v[60:61], -v[112:113], v[144:145], v[60:61]
	ds_read2_b64 v[142:145], v138 offset0:47 offset1:48
	s_waitcnt lgkmcnt(6)
	v_fma_f64 v[58:59], -v[112:113], v[146:147], v[58:59]
	ds_read2_b64 v[170:173], v138 offset0:49 offset1:50
	v_fma_f64 v[56:57], -v[112:113], v[148:149], v[56:57]
	;; [unrolled: 5-line block ×4, first 2 shown]
	ds_read2_b64 v[154:157], v138 offset0:59 offset1:60
	ds_read2_b64 v[182:185], v138 offset0:61 offset1:62
	v_fma_f64 v[64:65], -v[112:113], v[186:187], v[64:65]
	v_fma_f64 v[66:67], -v[112:113], v[188:189], v[66:67]
	s_waitcnt lgkmcnt(10)
	v_fma_f64 v[44:45], -v[112:113], v[158:159], v[44:45]
	v_fma_f64 v[46:47], -v[112:113], v[160:161], v[46:47]
	s_waitcnt lgkmcnt(9)
	;; [unrolled: 3-line block ×11, first 2 shown]
	v_fma_f64 v[6:7], -v[112:113], v[182:183], v[6:7]
	v_fma_f64 v[130:131], -v[112:113], v[184:185], v[130:131]
.LBB124_148:
	s_or_b32 exec_lo, exec_lo, s0
	v_lshl_add_u32 v0, v141, 3, v138
	s_barrier
	buffer_gl0_inv
	v_mov_b32_e32 v132, 9
	ds_write_b64 v0, v[108:109]
	s_waitcnt lgkmcnt(0)
	s_barrier
	buffer_gl0_inv
	ds_read_b64 v[0:1], v138 offset:72
	s_cmp_lt_i32 s7, 11
	s_cbranch_scc1 .LBB124_151
; %bb.149:
	v_add3_u32 v133, v139, 0, 0x50
	v_mov_b32_e32 v132, 9
	s_mov_b32 s0, 10
.LBB124_150:                            ; =>This Inner Loop Header: Depth=1
	ds_read_b64 v[142:143], v133
	v_add_nc_u32_e32 v133, 8, v133
	s_waitcnt lgkmcnt(0)
	v_cmp_lt_f64_e64 vcc_lo, |v[0:1]|, |v[142:143]|
	v_cndmask_b32_e32 v1, v1, v143, vcc_lo
	v_cndmask_b32_e32 v0, v0, v142, vcc_lo
	v_cndmask_b32_e64 v132, v132, s0, vcc_lo
	s_add_i32 s0, s0, 1
	s_cmp_lg_u32 s7, s0
	s_cbranch_scc1 .LBB124_150
.LBB124_151:
	s_mov_b32 s0, exec_lo
	s_waitcnt lgkmcnt(0)
	v_cmpx_eq_f64_e32 0, v[0:1]
	s_xor_b32 s0, exec_lo, s0
; %bb.152:
	v_cmp_ne_u32_e32 vcc_lo, 0, v135
	v_cndmask_b32_e32 v135, 10, v135, vcc_lo
; %bb.153:
	s_andn2_saveexec_b32 s0, s0
	s_cbranch_execz .LBB124_155
; %bb.154:
	v_div_scale_f64 v[133:134], null, v[0:1], v[0:1], 1.0
	v_rcp_f64_e32 v[142:143], v[133:134]
	v_fma_f64 v[144:145], -v[133:134], v[142:143], 1.0
	v_fma_f64 v[142:143], v[142:143], v[144:145], v[142:143]
	v_fma_f64 v[144:145], -v[133:134], v[142:143], 1.0
	v_fma_f64 v[142:143], v[142:143], v[144:145], v[142:143]
	v_div_scale_f64 v[144:145], vcc_lo, 1.0, v[0:1], 1.0
	v_mul_f64 v[146:147], v[144:145], v[142:143]
	v_fma_f64 v[133:134], -v[133:134], v[146:147], v[144:145]
	v_div_fmas_f64 v[133:134], v[133:134], v[142:143], v[146:147]
	v_div_fixup_f64 v[0:1], v[133:134], v[0:1], 1.0
.LBB124_155:
	s_or_b32 exec_lo, exec_lo, s0
	s_mov_b32 s0, exec_lo
	v_cmpx_ne_u32_e64 v141, v132
	s_xor_b32 s0, exec_lo, s0
	s_cbranch_execz .LBB124_161
; %bb.156:
	s_mov_b32 s1, exec_lo
	v_cmpx_eq_u32_e32 9, v141
	s_cbranch_execz .LBB124_160
; %bb.157:
	v_cmp_ne_u32_e32 vcc_lo, 9, v132
	s_xor_b32 s2, s6, -1
	s_and_b32 s3, s2, vcc_lo
	s_and_saveexec_b32 s2, s3
	s_cbranch_execz .LBB124_159
; %bb.158:
	v_ashrrev_i32_e32 v133, 31, v132
	v_lshlrev_b64 v[133:134], 2, v[132:133]
	v_add_co_u32 v133, vcc_lo, v4, v133
	v_add_co_ci_u32_e64 v134, null, v5, v134, vcc_lo
	s_clause 0x1
	global_load_dword v140, v[133:134], off
	global_load_dword v141, v[4:5], off offset:36
	s_waitcnt vmcnt(1)
	global_store_dword v[4:5], v140, off offset:36
	s_waitcnt vmcnt(0)
	global_store_dword v[133:134], v141, off
.LBB124_159:
	s_or_b32 exec_lo, exec_lo, s2
	v_mov_b32_e32 v140, v132
	v_mov_b32_e32 v141, v132
.LBB124_160:
	s_or_b32 exec_lo, exec_lo, s1
.LBB124_161:
	s_andn2_saveexec_b32 s0, s0
	s_cbranch_execz .LBB124_163
; %bb.162:
	v_mov_b32_e32 v132, v110
	v_mov_b32_e32 v133, v111
	;; [unrolled: 1-line block ×8, first 2 shown]
	ds_write2_b64 v138, v[132:133], v[141:142] offset0:10 offset1:11
	ds_write2_b64 v138, v[143:144], v[145:146] offset0:12 offset1:13
	v_mov_b32_e32 v132, v100
	v_mov_b32_e32 v133, v101
	v_mov_b32_e32 v141, v98
	v_mov_b32_e32 v142, v99
	v_mov_b32_e32 v143, v96
	v_mov_b32_e32 v144, v97
	v_mov_b32_e32 v145, v94
	v_mov_b32_e32 v146, v95
	v_mov_b32_e32 v147, v92
	v_mov_b32_e32 v148, v93
	v_mov_b32_e32 v149, v88
	v_mov_b32_e32 v150, v89
	v_mov_b32_e32 v151, v90
	v_mov_b32_e32 v152, v91
	v_mov_b32_e32 v153, v84
	v_mov_b32_e32 v154, v85
	v_mov_b32_e32 v155, v86
	v_mov_b32_e32 v156, v87
	v_mov_b32_e32 v157, v82
	v_mov_b32_e32 v158, v83
	ds_write2_b64 v138, v[132:133], v[141:142] offset0:14 offset1:15
	ds_write2_b64 v138, v[143:144], v[145:146] offset0:16 offset1:17
	ds_write2_b64 v138, v[147:148], v[149:150] offset0:18 offset1:19
	ds_write2_b64 v138, v[151:152], v[153:154] offset0:20 offset1:21
	ds_write2_b64 v138, v[155:156], v[157:158] offset0:22 offset1:23
	v_mov_b32_e32 v132, v80
	v_mov_b32_e32 v133, v81
	v_mov_b32_e32 v141, v78
	v_mov_b32_e32 v142, v79
	v_mov_b32_e32 v143, v76
	v_mov_b32_e32 v144, v77
	v_mov_b32_e32 v145, v74
	v_mov_b32_e32 v146, v75
	v_mov_b32_e32 v147, v72
	v_mov_b32_e32 v148, v73
	v_mov_b32_e32 v149, v68
	v_mov_b32_e32 v150, v69
	v_mov_b32_e32 v151, v70
	v_mov_b32_e32 v152, v71
	v_mov_b32_e32 v153, v64
	v_mov_b32_e32 v154, v65
	v_mov_b32_e32 v155, v66
	v_mov_b32_e32 v156, v67
	v_mov_b32_e32 v157, v62
	v_mov_b32_e32 v158, v63
	ds_write2_b64 v138, v[132:133], v[141:142] offset0:24 offset1:25
	ds_write2_b64 v138, v[143:144], v[145:146] offset0:26 offset1:27
	ds_write2_b64 v138, v[147:148], v[149:150] offset0:28 offset1:29
	;; [unrolled: 25-line block ×4, first 2 shown]
	ds_write2_b64 v138, v[151:152], v[153:154] offset0:50 offset1:51
	ds_write2_b64 v138, v[155:156], v[157:158] offset0:52 offset1:53
	v_mov_b32_e32 v132, v20
	v_mov_b32_e32 v133, v21
	;; [unrolled: 1-line block ×8, first 2 shown]
	ds_write2_b64 v138, v[132:133], v[141:142] offset0:54 offset1:55
	v_mov_b32_e32 v141, 9
	v_mov_b32_e32 v147, v12
	;; [unrolled: 1-line block ×9, first 2 shown]
	ds_write2_b64 v138, v[143:144], v[145:146] offset0:56 offset1:57
	ds_write2_b64 v138, v[147:148], v[149:150] offset0:58 offset1:59
	ds_write2_b64 v138, v[151:152], v[153:154] offset0:60 offset1:61
	ds_write_b64 v138, v[130:131] offset:496
.LBB124_163:
	s_or_b32 exec_lo, exec_lo, s0
	s_mov_b32 s0, exec_lo
	s_waitcnt lgkmcnt(0)
	s_waitcnt_vscnt null, 0x0
	s_barrier
	buffer_gl0_inv
	v_cmpx_lt_i32_e32 9, v141
	s_cbranch_execz .LBB124_165
; %bb.164:
	v_mul_f64 v[108:109], v[0:1], v[108:109]
	ds_read2_b64 v[142:145], v138 offset0:10 offset1:11
	ds_read2_b64 v[146:149], v138 offset0:12 offset1:13
	;; [unrolled: 1-line block ×12, first 2 shown]
	ds_read_b64 v[0:1], v138 offset:496
	s_waitcnt lgkmcnt(12)
	v_fma_f64 v[110:111], -v[108:109], v[142:143], v[110:111]
	v_fma_f64 v[104:105], -v[108:109], v[144:145], v[104:105]
	s_waitcnt lgkmcnt(11)
	v_fma_f64 v[106:107], -v[108:109], v[146:147], v[106:107]
	v_fma_f64 v[102:103], -v[108:109], v[148:149], v[102:103]
	;; [unrolled: 3-line block ×4, first 2 shown]
	ds_read2_b64 v[142:145], v138 offset0:34 offset1:35
	ds_read2_b64 v[146:149], v138 offset0:36 offset1:37
	;; [unrolled: 1-line block ×4, first 2 shown]
	s_waitcnt lgkmcnt(12)
	v_fma_f64 v[92:93], -v[108:109], v[158:159], v[92:93]
	v_fma_f64 v[88:89], -v[108:109], v[160:161], v[88:89]
	s_waitcnt lgkmcnt(11)
	v_fma_f64 v[90:91], -v[108:109], v[162:163], v[90:91]
	v_fma_f64 v[84:85], -v[108:109], v[164:165], v[84:85]
	;; [unrolled: 3-line block ×6, first 2 shown]
	ds_read2_b64 v[158:161], v138 offset0:42 offset1:43
	ds_read2_b64 v[162:165], v138 offset0:44 offset1:45
	;; [unrolled: 1-line block ×4, first 2 shown]
	s_waitcnt lgkmcnt(7)
	v_fma_f64 v[60:61], -v[108:109], v[142:143], v[60:61]
	v_fma_f64 v[58:59], -v[108:109], v[144:145], v[58:59]
	ds_read2_b64 v[142:145], v138 offset0:48 offset1:49
	s_waitcnt lgkmcnt(7)
	v_fma_f64 v[56:57], -v[108:109], v[146:147], v[56:57]
	v_fma_f64 v[54:55], -v[108:109], v[148:149], v[54:55]
	ds_read2_b64 v[146:149], v138 offset0:52 offset1:53
	s_waitcnt lgkmcnt(7)
	v_fma_f64 v[52:53], -v[108:109], v[150:151], v[52:53]
	ds_read2_b64 v[174:177], v138 offset0:54 offset1:55
	v_fma_f64 v[48:49], -v[108:109], v[152:153], v[48:49]
	ds_read2_b64 v[150:153], v138 offset0:56 offset1:57
	s_waitcnt lgkmcnt(8)
	v_fma_f64 v[50:51], -v[108:109], v[154:155], v[50:51]
	ds_read2_b64 v[178:181], v138 offset0:58 offset1:59
	v_fma_f64 v[44:45], -v[108:109], v[156:157], v[44:45]
	ds_read2_b64 v[154:157], v138 offset0:60 offset1:61
	v_fma_f64 v[70:71], -v[108:109], v[182:183], v[70:71]
	v_fma_f64 v[64:65], -v[108:109], v[184:185], v[64:65]
	;; [unrolled: 1-line block ×4, first 2 shown]
	s_waitcnt lgkmcnt(9)
	v_fma_f64 v[46:47], -v[108:109], v[158:159], v[46:47]
	v_fma_f64 v[42:43], -v[108:109], v[160:161], v[42:43]
	s_waitcnt lgkmcnt(8)
	v_fma_f64 v[40:41], -v[108:109], v[162:163], v[40:41]
	v_fma_f64 v[38:39], -v[108:109], v[164:165], v[38:39]
	;; [unrolled: 3-line block ×4, first 2 shown]
	v_fma_f64 v[30:31], -v[108:109], v[170:171], v[30:31]
	v_fma_f64 v[24:25], -v[108:109], v[172:173], v[24:25]
	s_waitcnt lgkmcnt(4)
	v_fma_f64 v[26:27], -v[108:109], v[146:147], v[26:27]
	v_fma_f64 v[22:23], -v[108:109], v[148:149], v[22:23]
	s_waitcnt lgkmcnt(3)
	;; [unrolled: 3-line block ×5, first 2 shown]
	v_fma_f64 v[10:11], -v[108:109], v[154:155], v[10:11]
	v_fma_f64 v[6:7], -v[108:109], v[156:157], v[6:7]
	v_fma_f64 v[130:131], -v[108:109], v[0:1], v[130:131]
.LBB124_165:
	s_or_b32 exec_lo, exec_lo, s0
	v_lshl_add_u32 v0, v141, 3, v138
	s_barrier
	buffer_gl0_inv
	v_mov_b32_e32 v132, 10
	ds_write_b64 v0, v[110:111]
	s_waitcnt lgkmcnt(0)
	s_barrier
	buffer_gl0_inv
	ds_read_b64 v[0:1], v138 offset:80
	s_cmp_lt_i32 s7, 12
	s_cbranch_scc1 .LBB124_168
; %bb.166:
	v_add3_u32 v133, v139, 0, 0x58
	v_mov_b32_e32 v132, 10
	s_mov_b32 s0, 11
.LBB124_167:                            ; =>This Inner Loop Header: Depth=1
	ds_read_b64 v[142:143], v133
	v_add_nc_u32_e32 v133, 8, v133
	s_waitcnt lgkmcnt(0)
	v_cmp_lt_f64_e64 vcc_lo, |v[0:1]|, |v[142:143]|
	v_cndmask_b32_e32 v1, v1, v143, vcc_lo
	v_cndmask_b32_e32 v0, v0, v142, vcc_lo
	v_cndmask_b32_e64 v132, v132, s0, vcc_lo
	s_add_i32 s0, s0, 1
	s_cmp_lg_u32 s7, s0
	s_cbranch_scc1 .LBB124_167
.LBB124_168:
	s_mov_b32 s0, exec_lo
	s_waitcnt lgkmcnt(0)
	v_cmpx_eq_f64_e32 0, v[0:1]
	s_xor_b32 s0, exec_lo, s0
; %bb.169:
	v_cmp_ne_u32_e32 vcc_lo, 0, v135
	v_cndmask_b32_e32 v135, 11, v135, vcc_lo
; %bb.170:
	s_andn2_saveexec_b32 s0, s0
	s_cbranch_execz .LBB124_172
; %bb.171:
	v_div_scale_f64 v[133:134], null, v[0:1], v[0:1], 1.0
	v_rcp_f64_e32 v[142:143], v[133:134]
	v_fma_f64 v[144:145], -v[133:134], v[142:143], 1.0
	v_fma_f64 v[142:143], v[142:143], v[144:145], v[142:143]
	v_fma_f64 v[144:145], -v[133:134], v[142:143], 1.0
	v_fma_f64 v[142:143], v[142:143], v[144:145], v[142:143]
	v_div_scale_f64 v[144:145], vcc_lo, 1.0, v[0:1], 1.0
	v_mul_f64 v[146:147], v[144:145], v[142:143]
	v_fma_f64 v[133:134], -v[133:134], v[146:147], v[144:145]
	v_div_fmas_f64 v[133:134], v[133:134], v[142:143], v[146:147]
	v_div_fixup_f64 v[0:1], v[133:134], v[0:1], 1.0
.LBB124_172:
	s_or_b32 exec_lo, exec_lo, s0
	s_mov_b32 s0, exec_lo
	v_cmpx_ne_u32_e64 v141, v132
	s_xor_b32 s0, exec_lo, s0
	s_cbranch_execz .LBB124_178
; %bb.173:
	s_mov_b32 s1, exec_lo
	v_cmpx_eq_u32_e32 10, v141
	s_cbranch_execz .LBB124_177
; %bb.174:
	v_cmp_ne_u32_e32 vcc_lo, 10, v132
	s_xor_b32 s2, s6, -1
	s_and_b32 s3, s2, vcc_lo
	s_and_saveexec_b32 s2, s3
	s_cbranch_execz .LBB124_176
; %bb.175:
	v_ashrrev_i32_e32 v133, 31, v132
	v_lshlrev_b64 v[133:134], 2, v[132:133]
	v_add_co_u32 v133, vcc_lo, v4, v133
	v_add_co_ci_u32_e64 v134, null, v5, v134, vcc_lo
	s_clause 0x1
	global_load_dword v140, v[133:134], off
	global_load_dword v141, v[4:5], off offset:40
	s_waitcnt vmcnt(1)
	global_store_dword v[4:5], v140, off offset:40
	s_waitcnt vmcnt(0)
	global_store_dword v[133:134], v141, off
.LBB124_176:
	s_or_b32 exec_lo, exec_lo, s2
	v_mov_b32_e32 v140, v132
	v_mov_b32_e32 v141, v132
.LBB124_177:
	s_or_b32 exec_lo, exec_lo, s1
.LBB124_178:
	s_andn2_saveexec_b32 s0, s0
	s_cbranch_execz .LBB124_180
; %bb.179:
	v_mov_b32_e32 v141, 10
	ds_write2_b64 v138, v[104:105], v[106:107] offset0:11 offset1:12
	ds_write2_b64 v138, v[102:103], v[100:101] offset0:13 offset1:14
	;; [unrolled: 1-line block ×26, first 2 shown]
.LBB124_180:
	s_or_b32 exec_lo, exec_lo, s0
	s_mov_b32 s0, exec_lo
	s_waitcnt lgkmcnt(0)
	s_waitcnt_vscnt null, 0x0
	s_barrier
	buffer_gl0_inv
	v_cmpx_lt_i32_e32 10, v141
	s_cbranch_execz .LBB124_182
; %bb.181:
	v_mul_f64 v[110:111], v[0:1], v[110:111]
	ds_read2_b64 v[142:145], v138 offset0:11 offset1:12
	ds_read2_b64 v[146:149], v138 offset0:13 offset1:14
	;; [unrolled: 1-line block ×12, first 2 shown]
	s_waitcnt lgkmcnt(11)
	v_fma_f64 v[104:105], -v[110:111], v[142:143], v[104:105]
	v_fma_f64 v[106:107], -v[110:111], v[144:145], v[106:107]
	s_waitcnt lgkmcnt(10)
	v_fma_f64 v[102:103], -v[110:111], v[146:147], v[102:103]
	v_fma_f64 v[100:101], -v[110:111], v[148:149], v[100:101]
	;; [unrolled: 3-line block ×3, first 2 shown]
	ds_read2_b64 v[142:145], v138 offset0:35 offset1:36
	ds_read2_b64 v[146:149], v138 offset0:37 offset1:38
	;; [unrolled: 1-line block ×3, first 2 shown]
	s_waitcnt lgkmcnt(11)
	v_fma_f64 v[94:95], -v[110:111], v[154:155], v[94:95]
	v_fma_f64 v[92:93], -v[110:111], v[156:157], v[92:93]
	s_waitcnt lgkmcnt(10)
	v_fma_f64 v[88:89], -v[110:111], v[158:159], v[88:89]
	v_fma_f64 v[90:91], -v[110:111], v[160:161], v[90:91]
	;; [unrolled: 3-line block ×7, first 2 shown]
	ds_read2_b64 v[154:157], v138 offset0:41 offset1:42
	s_waitcnt lgkmcnt(5)
	v_fma_f64 v[64:65], -v[110:111], v[182:183], v[64:65]
	v_fma_f64 v[66:67], -v[110:111], v[184:185], v[66:67]
	ds_read2_b64 v[158:161], v138 offset0:43 offset1:44
	ds_read2_b64 v[162:165], v138 offset0:45 offset1:46
	;; [unrolled: 1-line block ×4, first 2 shown]
	s_waitcnt lgkmcnt(7)
	v_fma_f64 v[58:59], -v[110:111], v[142:143], v[58:59]
	v_fma_f64 v[56:57], -v[110:111], v[144:145], v[56:57]
	ds_read2_b64 v[142:145], v138 offset0:51 offset1:52
	ds_read2_b64 v[174:177], v138 offset0:53 offset1:54
	s_waitcnt lgkmcnt(8)
	v_fma_f64 v[54:55], -v[110:111], v[146:147], v[54:55]
	v_fma_f64 v[52:53], -v[110:111], v[148:149], v[52:53]
	ds_read2_b64 v[146:149], v138 offset0:55 offset1:56
	ds_read2_b64 v[178:181], v138 offset0:57 offset1:58
	;; [unrolled: 5-line block ×3, first 2 shown]
	v_fma_f64 v[62:63], -v[110:111], v[186:187], v[62:63]
	v_fma_f64 v[60:61], -v[110:111], v[188:189], v[60:61]
	s_waitcnt lgkmcnt(10)
	v_fma_f64 v[44:45], -v[110:111], v[154:155], v[44:45]
	v_fma_f64 v[46:47], -v[110:111], v[156:157], v[46:47]
	s_waitcnt lgkmcnt(9)
	;; [unrolled: 3-line block ×11, first 2 shown]
	v_fma_f64 v[6:7], -v[110:111], v[182:183], v[6:7]
	v_fma_f64 v[130:131], -v[110:111], v[184:185], v[130:131]
.LBB124_182:
	s_or_b32 exec_lo, exec_lo, s0
	v_lshl_add_u32 v0, v141, 3, v138
	s_barrier
	buffer_gl0_inv
	v_mov_b32_e32 v132, 11
	ds_write_b64 v0, v[104:105]
	s_waitcnt lgkmcnt(0)
	s_barrier
	buffer_gl0_inv
	ds_read_b64 v[0:1], v138 offset:88
	s_cmp_lt_i32 s7, 13
	s_cbranch_scc1 .LBB124_185
; %bb.183:
	v_add3_u32 v133, v139, 0, 0x60
	v_mov_b32_e32 v132, 11
	s_mov_b32 s0, 12
.LBB124_184:                            ; =>This Inner Loop Header: Depth=1
	ds_read_b64 v[142:143], v133
	v_add_nc_u32_e32 v133, 8, v133
	s_waitcnt lgkmcnt(0)
	v_cmp_lt_f64_e64 vcc_lo, |v[0:1]|, |v[142:143]|
	v_cndmask_b32_e32 v1, v1, v143, vcc_lo
	v_cndmask_b32_e32 v0, v0, v142, vcc_lo
	v_cndmask_b32_e64 v132, v132, s0, vcc_lo
	s_add_i32 s0, s0, 1
	s_cmp_lg_u32 s7, s0
	s_cbranch_scc1 .LBB124_184
.LBB124_185:
	s_mov_b32 s0, exec_lo
	s_waitcnt lgkmcnt(0)
	v_cmpx_eq_f64_e32 0, v[0:1]
	s_xor_b32 s0, exec_lo, s0
; %bb.186:
	v_cmp_ne_u32_e32 vcc_lo, 0, v135
	v_cndmask_b32_e32 v135, 12, v135, vcc_lo
; %bb.187:
	s_andn2_saveexec_b32 s0, s0
	s_cbranch_execz .LBB124_189
; %bb.188:
	v_div_scale_f64 v[133:134], null, v[0:1], v[0:1], 1.0
	v_rcp_f64_e32 v[142:143], v[133:134]
	v_fma_f64 v[144:145], -v[133:134], v[142:143], 1.0
	v_fma_f64 v[142:143], v[142:143], v[144:145], v[142:143]
	v_fma_f64 v[144:145], -v[133:134], v[142:143], 1.0
	v_fma_f64 v[142:143], v[142:143], v[144:145], v[142:143]
	v_div_scale_f64 v[144:145], vcc_lo, 1.0, v[0:1], 1.0
	v_mul_f64 v[146:147], v[144:145], v[142:143]
	v_fma_f64 v[133:134], -v[133:134], v[146:147], v[144:145]
	v_div_fmas_f64 v[133:134], v[133:134], v[142:143], v[146:147]
	v_div_fixup_f64 v[0:1], v[133:134], v[0:1], 1.0
.LBB124_189:
	s_or_b32 exec_lo, exec_lo, s0
	s_mov_b32 s0, exec_lo
	v_cmpx_ne_u32_e64 v141, v132
	s_xor_b32 s0, exec_lo, s0
	s_cbranch_execz .LBB124_195
; %bb.190:
	s_mov_b32 s1, exec_lo
	v_cmpx_eq_u32_e32 11, v141
	s_cbranch_execz .LBB124_194
; %bb.191:
	v_cmp_ne_u32_e32 vcc_lo, 11, v132
	s_xor_b32 s2, s6, -1
	s_and_b32 s3, s2, vcc_lo
	s_and_saveexec_b32 s2, s3
	s_cbranch_execz .LBB124_193
; %bb.192:
	v_ashrrev_i32_e32 v133, 31, v132
	v_lshlrev_b64 v[133:134], 2, v[132:133]
	v_add_co_u32 v133, vcc_lo, v4, v133
	v_add_co_ci_u32_e64 v134, null, v5, v134, vcc_lo
	s_clause 0x1
	global_load_dword v140, v[133:134], off
	global_load_dword v141, v[4:5], off offset:44
	s_waitcnt vmcnt(1)
	global_store_dword v[4:5], v140, off offset:44
	s_waitcnt vmcnt(0)
	global_store_dword v[133:134], v141, off
.LBB124_193:
	s_or_b32 exec_lo, exec_lo, s2
	v_mov_b32_e32 v140, v132
	v_mov_b32_e32 v141, v132
.LBB124_194:
	s_or_b32 exec_lo, exec_lo, s1
.LBB124_195:
	s_andn2_saveexec_b32 s0, s0
	s_cbranch_execz .LBB124_197
; %bb.196:
	v_mov_b32_e32 v132, v106
	v_mov_b32_e32 v133, v107
	;; [unrolled: 1-line block ×8, first 2 shown]
	ds_write2_b64 v138, v[132:133], v[141:142] offset0:12 offset1:13
	v_mov_b32_e32 v132, v98
	v_mov_b32_e32 v133, v99
	v_mov_b32_e32 v141, v96
	v_mov_b32_e32 v142, v97
	v_mov_b32_e32 v147, v92
	v_mov_b32_e32 v148, v93
	v_mov_b32_e32 v149, v88
	v_mov_b32_e32 v150, v89
	v_mov_b32_e32 v151, v90
	v_mov_b32_e32 v152, v91
	v_mov_b32_e32 v153, v84
	v_mov_b32_e32 v154, v85
	v_mov_b32_e32 v155, v86
	v_mov_b32_e32 v156, v87
	v_mov_b32_e32 v157, v82
	v_mov_b32_e32 v158, v83
	ds_write2_b64 v138, v[143:144], v[132:133] offset0:14 offset1:15
	ds_write2_b64 v138, v[141:142], v[145:146] offset0:16 offset1:17
	ds_write2_b64 v138, v[147:148], v[149:150] offset0:18 offset1:19
	ds_write2_b64 v138, v[151:152], v[153:154] offset0:20 offset1:21
	ds_write2_b64 v138, v[155:156], v[157:158] offset0:22 offset1:23
	v_mov_b32_e32 v132, v80
	v_mov_b32_e32 v133, v81
	v_mov_b32_e32 v141, v78
	v_mov_b32_e32 v142, v79
	v_mov_b32_e32 v143, v76
	v_mov_b32_e32 v144, v77
	v_mov_b32_e32 v145, v74
	v_mov_b32_e32 v146, v75
	v_mov_b32_e32 v147, v72
	v_mov_b32_e32 v148, v73
	v_mov_b32_e32 v149, v68
	v_mov_b32_e32 v150, v69
	v_mov_b32_e32 v151, v70
	v_mov_b32_e32 v152, v71
	v_mov_b32_e32 v153, v64
	v_mov_b32_e32 v154, v65
	v_mov_b32_e32 v155, v66
	v_mov_b32_e32 v156, v67
	v_mov_b32_e32 v157, v62
	v_mov_b32_e32 v158, v63
	ds_write2_b64 v138, v[132:133], v[141:142] offset0:24 offset1:25
	ds_write2_b64 v138, v[143:144], v[145:146] offset0:26 offset1:27
	ds_write2_b64 v138, v[147:148], v[149:150] offset0:28 offset1:29
	ds_write2_b64 v138, v[151:152], v[153:154] offset0:30 offset1:31
	ds_write2_b64 v138, v[155:156], v[157:158] offset0:32 offset1:33
	v_mov_b32_e32 v132, v60
	v_mov_b32_e32 v133, v61
	v_mov_b32_e32 v141, v58
	v_mov_b32_e32 v142, v59
	v_mov_b32_e32 v143, v56
	v_mov_b32_e32 v144, v57
	v_mov_b32_e32 v145, v54
	v_mov_b32_e32 v146, v55
	v_mov_b32_e32 v147, v52
	v_mov_b32_e32 v148, v53
	v_mov_b32_e32 v149, v48
	v_mov_b32_e32 v150, v49
	v_mov_b32_e32 v151, v50
	v_mov_b32_e32 v152, v51
	v_mov_b32_e32 v153, v44
	v_mov_b32_e32 v154, v45
	v_mov_b32_e32 v155, v46
	v_mov_b32_e32 v156, v47
	v_mov_b32_e32 v157, v42
	v_mov_b32_e32 v158, v43
	ds_write2_b64 v138, v[132:133], v[141:142] offset0:34 offset1:35
	ds_write2_b64 v138, v[143:144], v[145:146] offset0:36 offset1:37
	ds_write2_b64 v138, v[147:148], v[149:150] offset0:38 offset1:39
	ds_write2_b64 v138, v[151:152], v[153:154] offset0:40 offset1:41
	ds_write2_b64 v138, v[155:156], v[157:158] offset0:42 offset1:43
	v_mov_b32_e32 v132, v40
	v_mov_b32_e32 v133, v41
	v_mov_b32_e32 v141, v38
	v_mov_b32_e32 v142, v39
	v_mov_b32_e32 v143, v36
	v_mov_b32_e32 v144, v37
	v_mov_b32_e32 v145, v34
	v_mov_b32_e32 v146, v35
	v_mov_b32_e32 v147, v32
	v_mov_b32_e32 v148, v33
	v_mov_b32_e32 v149, v28
	v_mov_b32_e32 v150, v29
	v_mov_b32_e32 v151, v30
	v_mov_b32_e32 v152, v31
	v_mov_b32_e32 v153, v24
	v_mov_b32_e32 v154, v25
	v_mov_b32_e32 v155, v26
	v_mov_b32_e32 v156, v27
	v_mov_b32_e32 v157, v22
	v_mov_b32_e32 v158, v23
	ds_write2_b64 v138, v[132:133], v[141:142] offset0:44 offset1:45
	ds_write2_b64 v138, v[143:144], v[145:146] offset0:46 offset1:47
	ds_write2_b64 v138, v[147:148], v[149:150] offset0:48 offset1:49
	ds_write2_b64 v138, v[151:152], v[153:154] offset0:50 offset1:51
	ds_write2_b64 v138, v[155:156], v[157:158] offset0:52 offset1:53
	v_mov_b32_e32 v132, v20
	v_mov_b32_e32 v133, v21
	v_mov_b32_e32 v141, v18
	v_mov_b32_e32 v142, v19
	v_mov_b32_e32 v143, v16
	v_mov_b32_e32 v144, v17
	;; [unrolled: 1-line block ×4, first 2 shown]
	ds_write2_b64 v138, v[132:133], v[141:142] offset0:54 offset1:55
	v_mov_b32_e32 v141, 11
	v_mov_b32_e32 v147, v12
	;; [unrolled: 1-line block ×9, first 2 shown]
	ds_write2_b64 v138, v[143:144], v[145:146] offset0:56 offset1:57
	ds_write2_b64 v138, v[147:148], v[149:150] offset0:58 offset1:59
	;; [unrolled: 1-line block ×3, first 2 shown]
	ds_write_b64 v138, v[130:131] offset:496
.LBB124_197:
	s_or_b32 exec_lo, exec_lo, s0
	s_mov_b32 s0, exec_lo
	s_waitcnt lgkmcnt(0)
	s_waitcnt_vscnt null, 0x0
	s_barrier
	buffer_gl0_inv
	v_cmpx_lt_i32_e32 11, v141
	s_cbranch_execz .LBB124_199
; %bb.198:
	v_mul_f64 v[104:105], v[0:1], v[104:105]
	ds_read2_b64 v[142:145], v138 offset0:12 offset1:13
	ds_read2_b64 v[146:149], v138 offset0:14 offset1:15
	;; [unrolled: 1-line block ×12, first 2 shown]
	ds_read_b64 v[0:1], v138 offset:496
	s_waitcnt lgkmcnt(12)
	v_fma_f64 v[106:107], -v[104:105], v[142:143], v[106:107]
	v_fma_f64 v[102:103], -v[104:105], v[144:145], v[102:103]
	s_waitcnt lgkmcnt(11)
	v_fma_f64 v[100:101], -v[104:105], v[146:147], v[100:101]
	v_fma_f64 v[98:99], -v[104:105], v[148:149], v[98:99]
	;; [unrolled: 3-line block ×3, first 2 shown]
	ds_read2_b64 v[142:145], v138 offset0:36 offset1:37
	ds_read2_b64 v[146:149], v138 offset0:38 offset1:39
	;; [unrolled: 1-line block ×3, first 2 shown]
	s_waitcnt lgkmcnt(12)
	v_fma_f64 v[92:93], -v[104:105], v[154:155], v[92:93]
	v_fma_f64 v[88:89], -v[104:105], v[156:157], v[88:89]
	s_waitcnt lgkmcnt(11)
	v_fma_f64 v[90:91], -v[104:105], v[158:159], v[90:91]
	v_fma_f64 v[84:85], -v[104:105], v[160:161], v[84:85]
	;; [unrolled: 3-line block ×7, first 2 shown]
	ds_read2_b64 v[154:157], v138 offset0:42 offset1:43
	ds_read2_b64 v[158:161], v138 offset0:44 offset1:45
	;; [unrolled: 1-line block ×5, first 2 shown]
	s_waitcnt lgkmcnt(7)
	v_fma_f64 v[56:57], -v[104:105], v[142:143], v[56:57]
	v_fma_f64 v[54:55], -v[104:105], v[144:145], v[54:55]
	ds_read2_b64 v[142:145], v138 offset0:52 offset1:53
	ds_read2_b64 v[174:177], v138 offset0:54 offset1:55
	s_waitcnt lgkmcnt(8)
	v_fma_f64 v[52:53], -v[104:105], v[146:147], v[52:53]
	v_fma_f64 v[48:49], -v[104:105], v[148:149], v[48:49]
	ds_read2_b64 v[146:149], v138 offset0:56 offset1:57
	ds_read2_b64 v[178:181], v138 offset0:58 offset1:59
	s_waitcnt lgkmcnt(9)
	v_fma_f64 v[50:51], -v[104:105], v[150:151], v[50:51]
	v_fma_f64 v[44:45], -v[104:105], v[152:153], v[44:45]
	ds_read2_b64 v[150:153], v138 offset0:60 offset1:61
	v_fma_f64 v[66:67], -v[104:105], v[182:183], v[66:67]
	v_fma_f64 v[62:63], -v[104:105], v[184:185], v[62:63]
	;; [unrolled: 1-line block ×4, first 2 shown]
	s_waitcnt lgkmcnt(9)
	v_fma_f64 v[46:47], -v[104:105], v[154:155], v[46:47]
	v_fma_f64 v[42:43], -v[104:105], v[156:157], v[42:43]
	s_waitcnt lgkmcnt(8)
	v_fma_f64 v[40:41], -v[104:105], v[158:159], v[40:41]
	v_fma_f64 v[38:39], -v[104:105], v[160:161], v[38:39]
	;; [unrolled: 3-line block ×10, first 2 shown]
	v_fma_f64 v[130:131], -v[104:105], v[0:1], v[130:131]
.LBB124_199:
	s_or_b32 exec_lo, exec_lo, s0
	v_lshl_add_u32 v0, v141, 3, v138
	s_barrier
	buffer_gl0_inv
	v_mov_b32_e32 v132, 12
	ds_write_b64 v0, v[106:107]
	s_waitcnt lgkmcnt(0)
	s_barrier
	buffer_gl0_inv
	ds_read_b64 v[0:1], v138 offset:96
	s_cmp_lt_i32 s7, 14
	s_cbranch_scc1 .LBB124_202
; %bb.200:
	v_add3_u32 v133, v139, 0, 0x68
	v_mov_b32_e32 v132, 12
	s_mov_b32 s0, 13
.LBB124_201:                            ; =>This Inner Loop Header: Depth=1
	ds_read_b64 v[142:143], v133
	v_add_nc_u32_e32 v133, 8, v133
	s_waitcnt lgkmcnt(0)
	v_cmp_lt_f64_e64 vcc_lo, |v[0:1]|, |v[142:143]|
	v_cndmask_b32_e32 v1, v1, v143, vcc_lo
	v_cndmask_b32_e32 v0, v0, v142, vcc_lo
	v_cndmask_b32_e64 v132, v132, s0, vcc_lo
	s_add_i32 s0, s0, 1
	s_cmp_lg_u32 s7, s0
	s_cbranch_scc1 .LBB124_201
.LBB124_202:
	s_mov_b32 s0, exec_lo
	s_waitcnt lgkmcnt(0)
	v_cmpx_eq_f64_e32 0, v[0:1]
	s_xor_b32 s0, exec_lo, s0
; %bb.203:
	v_cmp_ne_u32_e32 vcc_lo, 0, v135
	v_cndmask_b32_e32 v135, 13, v135, vcc_lo
; %bb.204:
	s_andn2_saveexec_b32 s0, s0
	s_cbranch_execz .LBB124_206
; %bb.205:
	v_div_scale_f64 v[133:134], null, v[0:1], v[0:1], 1.0
	v_rcp_f64_e32 v[142:143], v[133:134]
	v_fma_f64 v[144:145], -v[133:134], v[142:143], 1.0
	v_fma_f64 v[142:143], v[142:143], v[144:145], v[142:143]
	v_fma_f64 v[144:145], -v[133:134], v[142:143], 1.0
	v_fma_f64 v[142:143], v[142:143], v[144:145], v[142:143]
	v_div_scale_f64 v[144:145], vcc_lo, 1.0, v[0:1], 1.0
	v_mul_f64 v[146:147], v[144:145], v[142:143]
	v_fma_f64 v[133:134], -v[133:134], v[146:147], v[144:145]
	v_div_fmas_f64 v[133:134], v[133:134], v[142:143], v[146:147]
	v_div_fixup_f64 v[0:1], v[133:134], v[0:1], 1.0
.LBB124_206:
	s_or_b32 exec_lo, exec_lo, s0
	s_mov_b32 s0, exec_lo
	v_cmpx_ne_u32_e64 v141, v132
	s_xor_b32 s0, exec_lo, s0
	s_cbranch_execz .LBB124_212
; %bb.207:
	s_mov_b32 s1, exec_lo
	v_cmpx_eq_u32_e32 12, v141
	s_cbranch_execz .LBB124_211
; %bb.208:
	v_cmp_ne_u32_e32 vcc_lo, 12, v132
	s_xor_b32 s2, s6, -1
	s_and_b32 s3, s2, vcc_lo
	s_and_saveexec_b32 s2, s3
	s_cbranch_execz .LBB124_210
; %bb.209:
	v_ashrrev_i32_e32 v133, 31, v132
	v_lshlrev_b64 v[133:134], 2, v[132:133]
	v_add_co_u32 v133, vcc_lo, v4, v133
	v_add_co_ci_u32_e64 v134, null, v5, v134, vcc_lo
	s_clause 0x1
	global_load_dword v140, v[133:134], off
	global_load_dword v141, v[4:5], off offset:48
	s_waitcnt vmcnt(1)
	global_store_dword v[4:5], v140, off offset:48
	s_waitcnt vmcnt(0)
	global_store_dword v[133:134], v141, off
.LBB124_210:
	s_or_b32 exec_lo, exec_lo, s2
	v_mov_b32_e32 v140, v132
	v_mov_b32_e32 v141, v132
.LBB124_211:
	s_or_b32 exec_lo, exec_lo, s1
.LBB124_212:
	s_andn2_saveexec_b32 s0, s0
	s_cbranch_execz .LBB124_214
; %bb.213:
	v_mov_b32_e32 v141, 12
	ds_write2_b64 v138, v[102:103], v[100:101] offset0:13 offset1:14
	ds_write2_b64 v138, v[98:99], v[96:97] offset0:15 offset1:16
	;; [unrolled: 1-line block ×25, first 2 shown]
.LBB124_214:
	s_or_b32 exec_lo, exec_lo, s0
	s_mov_b32 s0, exec_lo
	s_waitcnt lgkmcnt(0)
	s_waitcnt_vscnt null, 0x0
	s_barrier
	buffer_gl0_inv
	v_cmpx_lt_i32_e32 12, v141
	s_cbranch_execz .LBB124_216
; %bb.215:
	v_mul_f64 v[106:107], v[0:1], v[106:107]
	ds_read2_b64 v[142:145], v138 offset0:13 offset1:14
	ds_read2_b64 v[146:149], v138 offset0:15 offset1:16
	;; [unrolled: 1-line block ×12, first 2 shown]
	s_waitcnt lgkmcnt(11)
	v_fma_f64 v[102:103], -v[106:107], v[142:143], v[102:103]
	v_fma_f64 v[100:101], -v[106:107], v[144:145], v[100:101]
	s_waitcnt lgkmcnt(10)
	v_fma_f64 v[98:99], -v[106:107], v[146:147], v[98:99]
	v_fma_f64 v[96:97], -v[106:107], v[148:149], v[96:97]
	ds_read2_b64 v[142:145], v138 offset0:37 offset1:38
	ds_read2_b64 v[146:149], v138 offset0:39 offset1:40
	s_waitcnt lgkmcnt(11)
	v_fma_f64 v[94:95], -v[106:107], v[150:151], v[94:95]
	v_fma_f64 v[92:93], -v[106:107], v[152:153], v[92:93]
	s_waitcnt lgkmcnt(10)
	v_fma_f64 v[88:89], -v[106:107], v[154:155], v[88:89]
	v_fma_f64 v[90:91], -v[106:107], v[156:157], v[90:91]
	;; [unrolled: 3-line block ×7, first 2 shown]
	ds_read2_b64 v[150:153], v138 offset0:41 offset1:42
	ds_read2_b64 v[154:157], v138 offset0:43 offset1:44
	s_waitcnt lgkmcnt(6)
	v_fma_f64 v[64:65], -v[106:107], v[178:179], v[64:65]
	v_fma_f64 v[66:67], -v[106:107], v[180:181], v[66:67]
	s_waitcnt lgkmcnt(5)
	v_fma_f64 v[62:63], -v[106:107], v[182:183], v[62:63]
	ds_read2_b64 v[158:161], v138 offset0:45 offset1:46
	ds_read2_b64 v[162:165], v138 offset0:47 offset1:48
	v_fma_f64 v[60:61], -v[106:107], v[184:185], v[60:61]
	ds_read2_b64 v[166:169], v138 offset0:49 offset1:50
	ds_read2_b64 v[170:173], v138 offset0:51 offset1:52
	s_waitcnt lgkmcnt(7)
	v_fma_f64 v[54:55], -v[106:107], v[142:143], v[54:55]
	ds_read2_b64 v[174:177], v138 offset0:53 offset1:54
	v_fma_f64 v[52:53], -v[106:107], v[144:145], v[52:53]
	ds_read2_b64 v[142:145], v138 offset0:55 offset1:56
	s_waitcnt lgkmcnt(8)
	v_fma_f64 v[48:49], -v[106:107], v[146:147], v[48:49]
	ds_read2_b64 v[178:181], v138 offset0:57 offset1:58
	v_fma_f64 v[50:51], -v[106:107], v[148:149], v[50:51]
	ds_read2_b64 v[146:149], v138 offset0:59 offset1:60
	ds_read2_b64 v[182:185], v138 offset0:61 offset1:62
	v_fma_f64 v[58:59], -v[106:107], v[186:187], v[58:59]
	v_fma_f64 v[56:57], -v[106:107], v[188:189], v[56:57]
	s_waitcnt lgkmcnt(10)
	v_fma_f64 v[44:45], -v[106:107], v[150:151], v[44:45]
	v_fma_f64 v[46:47], -v[106:107], v[152:153], v[46:47]
	s_waitcnt lgkmcnt(9)
	;; [unrolled: 3-line block ×11, first 2 shown]
	v_fma_f64 v[6:7], -v[106:107], v[182:183], v[6:7]
	v_fma_f64 v[130:131], -v[106:107], v[184:185], v[130:131]
.LBB124_216:
	s_or_b32 exec_lo, exec_lo, s0
	v_lshl_add_u32 v0, v141, 3, v138
	s_barrier
	buffer_gl0_inv
	v_mov_b32_e32 v132, 13
	ds_write_b64 v0, v[102:103]
	s_waitcnt lgkmcnt(0)
	s_barrier
	buffer_gl0_inv
	ds_read_b64 v[0:1], v138 offset:104
	s_cmp_lt_i32 s7, 15
	s_cbranch_scc1 .LBB124_219
; %bb.217:
	v_add3_u32 v133, v139, 0, 0x70
	v_mov_b32_e32 v132, 13
	s_mov_b32 s0, 14
.LBB124_218:                            ; =>This Inner Loop Header: Depth=1
	ds_read_b64 v[142:143], v133
	v_add_nc_u32_e32 v133, 8, v133
	s_waitcnt lgkmcnt(0)
	v_cmp_lt_f64_e64 vcc_lo, |v[0:1]|, |v[142:143]|
	v_cndmask_b32_e32 v1, v1, v143, vcc_lo
	v_cndmask_b32_e32 v0, v0, v142, vcc_lo
	v_cndmask_b32_e64 v132, v132, s0, vcc_lo
	s_add_i32 s0, s0, 1
	s_cmp_lg_u32 s7, s0
	s_cbranch_scc1 .LBB124_218
.LBB124_219:
	s_mov_b32 s0, exec_lo
	s_waitcnt lgkmcnt(0)
	v_cmpx_eq_f64_e32 0, v[0:1]
	s_xor_b32 s0, exec_lo, s0
; %bb.220:
	v_cmp_ne_u32_e32 vcc_lo, 0, v135
	v_cndmask_b32_e32 v135, 14, v135, vcc_lo
; %bb.221:
	s_andn2_saveexec_b32 s0, s0
	s_cbranch_execz .LBB124_223
; %bb.222:
	v_div_scale_f64 v[133:134], null, v[0:1], v[0:1], 1.0
	v_rcp_f64_e32 v[142:143], v[133:134]
	v_fma_f64 v[144:145], -v[133:134], v[142:143], 1.0
	v_fma_f64 v[142:143], v[142:143], v[144:145], v[142:143]
	v_fma_f64 v[144:145], -v[133:134], v[142:143], 1.0
	v_fma_f64 v[142:143], v[142:143], v[144:145], v[142:143]
	v_div_scale_f64 v[144:145], vcc_lo, 1.0, v[0:1], 1.0
	v_mul_f64 v[146:147], v[144:145], v[142:143]
	v_fma_f64 v[133:134], -v[133:134], v[146:147], v[144:145]
	v_div_fmas_f64 v[133:134], v[133:134], v[142:143], v[146:147]
	v_div_fixup_f64 v[0:1], v[133:134], v[0:1], 1.0
.LBB124_223:
	s_or_b32 exec_lo, exec_lo, s0
	s_mov_b32 s0, exec_lo
	v_cmpx_ne_u32_e64 v141, v132
	s_xor_b32 s0, exec_lo, s0
	s_cbranch_execz .LBB124_229
; %bb.224:
	s_mov_b32 s1, exec_lo
	v_cmpx_eq_u32_e32 13, v141
	s_cbranch_execz .LBB124_228
; %bb.225:
	v_cmp_ne_u32_e32 vcc_lo, 13, v132
	s_xor_b32 s2, s6, -1
	s_and_b32 s3, s2, vcc_lo
	s_and_saveexec_b32 s2, s3
	s_cbranch_execz .LBB124_227
; %bb.226:
	v_ashrrev_i32_e32 v133, 31, v132
	v_lshlrev_b64 v[133:134], 2, v[132:133]
	v_add_co_u32 v133, vcc_lo, v4, v133
	v_add_co_ci_u32_e64 v134, null, v5, v134, vcc_lo
	s_clause 0x1
	global_load_dword v140, v[133:134], off
	global_load_dword v141, v[4:5], off offset:52
	s_waitcnt vmcnt(1)
	global_store_dword v[4:5], v140, off offset:52
	s_waitcnt vmcnt(0)
	global_store_dword v[133:134], v141, off
.LBB124_227:
	s_or_b32 exec_lo, exec_lo, s2
	v_mov_b32_e32 v140, v132
	v_mov_b32_e32 v141, v132
.LBB124_228:
	s_or_b32 exec_lo, exec_lo, s1
.LBB124_229:
	s_andn2_saveexec_b32 s0, s0
	s_cbranch_execz .LBB124_231
; %bb.230:
	v_mov_b32_e32 v132, v100
	v_mov_b32_e32 v133, v101
	v_mov_b32_e32 v141, v98
	v_mov_b32_e32 v142, v99
	v_mov_b32_e32 v143, v96
	v_mov_b32_e32 v144, v97
	v_mov_b32_e32 v145, v94
	v_mov_b32_e32 v146, v95
	v_mov_b32_e32 v147, v92
	v_mov_b32_e32 v148, v93
	v_mov_b32_e32 v149, v88
	v_mov_b32_e32 v150, v89
	v_mov_b32_e32 v151, v90
	v_mov_b32_e32 v152, v91
	v_mov_b32_e32 v153, v84
	v_mov_b32_e32 v154, v85
	v_mov_b32_e32 v155, v86
	v_mov_b32_e32 v156, v87
	v_mov_b32_e32 v157, v82
	v_mov_b32_e32 v158, v83
	ds_write2_b64 v138, v[132:133], v[141:142] offset0:14 offset1:15
	ds_write2_b64 v138, v[143:144], v[145:146] offset0:16 offset1:17
	ds_write2_b64 v138, v[147:148], v[149:150] offset0:18 offset1:19
	ds_write2_b64 v138, v[151:152], v[153:154] offset0:20 offset1:21
	ds_write2_b64 v138, v[155:156], v[157:158] offset0:22 offset1:23
	v_mov_b32_e32 v132, v80
	v_mov_b32_e32 v133, v81
	v_mov_b32_e32 v141, v78
	v_mov_b32_e32 v142, v79
	v_mov_b32_e32 v143, v76
	v_mov_b32_e32 v144, v77
	v_mov_b32_e32 v145, v74
	v_mov_b32_e32 v146, v75
	v_mov_b32_e32 v147, v72
	v_mov_b32_e32 v148, v73
	v_mov_b32_e32 v149, v68
	v_mov_b32_e32 v150, v69
	v_mov_b32_e32 v151, v70
	v_mov_b32_e32 v152, v71
	v_mov_b32_e32 v153, v64
	v_mov_b32_e32 v154, v65
	v_mov_b32_e32 v155, v66
	v_mov_b32_e32 v156, v67
	v_mov_b32_e32 v157, v62
	v_mov_b32_e32 v158, v63
	ds_write2_b64 v138, v[132:133], v[141:142] offset0:24 offset1:25
	ds_write2_b64 v138, v[143:144], v[145:146] offset0:26 offset1:27
	ds_write2_b64 v138, v[147:148], v[149:150] offset0:28 offset1:29
	ds_write2_b64 v138, v[151:152], v[153:154] offset0:30 offset1:31
	ds_write2_b64 v138, v[155:156], v[157:158] offset0:32 offset1:33
	v_mov_b32_e32 v132, v60
	v_mov_b32_e32 v133, v61
	v_mov_b32_e32 v141, v58
	v_mov_b32_e32 v142, v59
	v_mov_b32_e32 v143, v56
	v_mov_b32_e32 v144, v57
	v_mov_b32_e32 v145, v54
	v_mov_b32_e32 v146, v55
	v_mov_b32_e32 v147, v52
	v_mov_b32_e32 v148, v53
	v_mov_b32_e32 v149, v48
	v_mov_b32_e32 v150, v49
	v_mov_b32_e32 v151, v50
	v_mov_b32_e32 v152, v51
	v_mov_b32_e32 v153, v44
	v_mov_b32_e32 v154, v45
	v_mov_b32_e32 v155, v46
	v_mov_b32_e32 v156, v47
	v_mov_b32_e32 v157, v42
	v_mov_b32_e32 v158, v43
	ds_write2_b64 v138, v[132:133], v[141:142] offset0:34 offset1:35
	ds_write2_b64 v138, v[143:144], v[145:146] offset0:36 offset1:37
	ds_write2_b64 v138, v[147:148], v[149:150] offset0:38 offset1:39
	ds_write2_b64 v138, v[151:152], v[153:154] offset0:40 offset1:41
	ds_write2_b64 v138, v[155:156], v[157:158] offset0:42 offset1:43
	v_mov_b32_e32 v132, v40
	v_mov_b32_e32 v133, v41
	v_mov_b32_e32 v141, v38
	v_mov_b32_e32 v142, v39
	v_mov_b32_e32 v143, v36
	v_mov_b32_e32 v144, v37
	v_mov_b32_e32 v145, v34
	v_mov_b32_e32 v146, v35
	v_mov_b32_e32 v147, v32
	v_mov_b32_e32 v148, v33
	v_mov_b32_e32 v149, v28
	v_mov_b32_e32 v150, v29
	v_mov_b32_e32 v151, v30
	v_mov_b32_e32 v152, v31
	v_mov_b32_e32 v153, v24
	v_mov_b32_e32 v154, v25
	v_mov_b32_e32 v155, v26
	v_mov_b32_e32 v156, v27
	v_mov_b32_e32 v157, v22
	v_mov_b32_e32 v158, v23
	ds_write2_b64 v138, v[132:133], v[141:142] offset0:44 offset1:45
	ds_write2_b64 v138, v[143:144], v[145:146] offset0:46 offset1:47
	ds_write2_b64 v138, v[147:148], v[149:150] offset0:48 offset1:49
	ds_write2_b64 v138, v[151:152], v[153:154] offset0:50 offset1:51
	ds_write2_b64 v138, v[155:156], v[157:158] offset0:52 offset1:53
	v_mov_b32_e32 v132, v20
	v_mov_b32_e32 v133, v21
	;; [unrolled: 1-line block ×8, first 2 shown]
	ds_write2_b64 v138, v[132:133], v[141:142] offset0:54 offset1:55
	v_mov_b32_e32 v141, 13
	v_mov_b32_e32 v147, v12
	;; [unrolled: 1-line block ×9, first 2 shown]
	ds_write2_b64 v138, v[143:144], v[145:146] offset0:56 offset1:57
	ds_write2_b64 v138, v[147:148], v[149:150] offset0:58 offset1:59
	;; [unrolled: 1-line block ×3, first 2 shown]
	ds_write_b64 v138, v[130:131] offset:496
.LBB124_231:
	s_or_b32 exec_lo, exec_lo, s0
	s_mov_b32 s0, exec_lo
	s_waitcnt lgkmcnt(0)
	s_waitcnt_vscnt null, 0x0
	s_barrier
	buffer_gl0_inv
	v_cmpx_lt_i32_e32 13, v141
	s_cbranch_execz .LBB124_233
; %bb.232:
	v_mul_f64 v[102:103], v[0:1], v[102:103]
	ds_read2_b64 v[142:145], v138 offset0:14 offset1:15
	ds_read2_b64 v[146:149], v138 offset0:16 offset1:17
	;; [unrolled: 1-line block ×12, first 2 shown]
	ds_read_b64 v[0:1], v138 offset:496
	s_waitcnt lgkmcnt(12)
	v_fma_f64 v[100:101], -v[102:103], v[142:143], v[100:101]
	v_fma_f64 v[98:99], -v[102:103], v[144:145], v[98:99]
	s_waitcnt lgkmcnt(11)
	v_fma_f64 v[96:97], -v[102:103], v[146:147], v[96:97]
	v_fma_f64 v[94:95], -v[102:103], v[148:149], v[94:95]
	ds_read2_b64 v[142:145], v138 offset0:38 offset1:39
	ds_read2_b64 v[146:149], v138 offset0:40 offset1:41
	s_waitcnt lgkmcnt(12)
	v_fma_f64 v[92:93], -v[102:103], v[150:151], v[92:93]
	v_fma_f64 v[88:89], -v[102:103], v[152:153], v[88:89]
	s_waitcnt lgkmcnt(11)
	v_fma_f64 v[90:91], -v[102:103], v[154:155], v[90:91]
	v_fma_f64 v[84:85], -v[102:103], v[156:157], v[84:85]
	;; [unrolled: 3-line block ×7, first 2 shown]
	ds_read2_b64 v[150:153], v138 offset0:42 offset1:43
	ds_read2_b64 v[154:157], v138 offset0:44 offset1:45
	s_waitcnt lgkmcnt(7)
	v_fma_f64 v[66:67], -v[102:103], v[178:179], v[66:67]
	v_fma_f64 v[62:63], -v[102:103], v[180:181], v[62:63]
	ds_read2_b64 v[158:161], v138 offset0:46 offset1:47
	ds_read2_b64 v[162:165], v138 offset0:48 offset1:49
	;; [unrolled: 1-line block ×4, first 2 shown]
	s_waitcnt lgkmcnt(7)
	v_fma_f64 v[52:53], -v[102:103], v[142:143], v[52:53]
	ds_read2_b64 v[174:177], v138 offset0:54 offset1:55
	v_fma_f64 v[48:49], -v[102:103], v[144:145], v[48:49]
	ds_read2_b64 v[142:145], v138 offset0:56 offset1:57
	s_waitcnt lgkmcnt(8)
	v_fma_f64 v[50:51], -v[102:103], v[146:147], v[50:51]
	ds_read2_b64 v[178:181], v138 offset0:58 offset1:59
	v_fma_f64 v[44:45], -v[102:103], v[148:149], v[44:45]
	ds_read2_b64 v[146:149], v138 offset0:60 offset1:61
	v_fma_f64 v[60:61], -v[102:103], v[182:183], v[60:61]
	v_fma_f64 v[58:59], -v[102:103], v[184:185], v[58:59]
	v_fma_f64 v[56:57], -v[102:103], v[186:187], v[56:57]
	v_fma_f64 v[54:55], -v[102:103], v[188:189], v[54:55]
	s_waitcnt lgkmcnt(9)
	v_fma_f64 v[46:47], -v[102:103], v[150:151], v[46:47]
	v_fma_f64 v[42:43], -v[102:103], v[152:153], v[42:43]
	s_waitcnt lgkmcnt(8)
	v_fma_f64 v[40:41], -v[102:103], v[154:155], v[40:41]
	v_fma_f64 v[38:39], -v[102:103], v[156:157], v[38:39]
	;; [unrolled: 3-line block ×10, first 2 shown]
	v_fma_f64 v[130:131], -v[102:103], v[0:1], v[130:131]
.LBB124_233:
	s_or_b32 exec_lo, exec_lo, s0
	v_lshl_add_u32 v0, v141, 3, v138
	s_barrier
	buffer_gl0_inv
	v_mov_b32_e32 v132, 14
	ds_write_b64 v0, v[100:101]
	s_waitcnt lgkmcnt(0)
	s_barrier
	buffer_gl0_inv
	ds_read_b64 v[0:1], v138 offset:112
	s_cmp_lt_i32 s7, 16
	s_cbranch_scc1 .LBB124_236
; %bb.234:
	v_add3_u32 v133, v139, 0, 0x78
	v_mov_b32_e32 v132, 14
	s_mov_b32 s0, 15
.LBB124_235:                            ; =>This Inner Loop Header: Depth=1
	ds_read_b64 v[142:143], v133
	v_add_nc_u32_e32 v133, 8, v133
	s_waitcnt lgkmcnt(0)
	v_cmp_lt_f64_e64 vcc_lo, |v[0:1]|, |v[142:143]|
	v_cndmask_b32_e32 v1, v1, v143, vcc_lo
	v_cndmask_b32_e32 v0, v0, v142, vcc_lo
	v_cndmask_b32_e64 v132, v132, s0, vcc_lo
	s_add_i32 s0, s0, 1
	s_cmp_lg_u32 s7, s0
	s_cbranch_scc1 .LBB124_235
.LBB124_236:
	s_mov_b32 s0, exec_lo
	s_waitcnt lgkmcnt(0)
	v_cmpx_eq_f64_e32 0, v[0:1]
	s_xor_b32 s0, exec_lo, s0
; %bb.237:
	v_cmp_ne_u32_e32 vcc_lo, 0, v135
	v_cndmask_b32_e32 v135, 15, v135, vcc_lo
; %bb.238:
	s_andn2_saveexec_b32 s0, s0
	s_cbranch_execz .LBB124_240
; %bb.239:
	v_div_scale_f64 v[133:134], null, v[0:1], v[0:1], 1.0
	v_rcp_f64_e32 v[142:143], v[133:134]
	v_fma_f64 v[144:145], -v[133:134], v[142:143], 1.0
	v_fma_f64 v[142:143], v[142:143], v[144:145], v[142:143]
	v_fma_f64 v[144:145], -v[133:134], v[142:143], 1.0
	v_fma_f64 v[142:143], v[142:143], v[144:145], v[142:143]
	v_div_scale_f64 v[144:145], vcc_lo, 1.0, v[0:1], 1.0
	v_mul_f64 v[146:147], v[144:145], v[142:143]
	v_fma_f64 v[133:134], -v[133:134], v[146:147], v[144:145]
	v_div_fmas_f64 v[133:134], v[133:134], v[142:143], v[146:147]
	v_div_fixup_f64 v[0:1], v[133:134], v[0:1], 1.0
.LBB124_240:
	s_or_b32 exec_lo, exec_lo, s0
	s_mov_b32 s0, exec_lo
	v_cmpx_ne_u32_e64 v141, v132
	s_xor_b32 s0, exec_lo, s0
	s_cbranch_execz .LBB124_246
; %bb.241:
	s_mov_b32 s1, exec_lo
	v_cmpx_eq_u32_e32 14, v141
	s_cbranch_execz .LBB124_245
; %bb.242:
	v_cmp_ne_u32_e32 vcc_lo, 14, v132
	s_xor_b32 s2, s6, -1
	s_and_b32 s3, s2, vcc_lo
	s_and_saveexec_b32 s2, s3
	s_cbranch_execz .LBB124_244
; %bb.243:
	v_ashrrev_i32_e32 v133, 31, v132
	v_lshlrev_b64 v[133:134], 2, v[132:133]
	v_add_co_u32 v133, vcc_lo, v4, v133
	v_add_co_ci_u32_e64 v134, null, v5, v134, vcc_lo
	s_clause 0x1
	global_load_dword v140, v[133:134], off
	global_load_dword v141, v[4:5], off offset:56
	s_waitcnt vmcnt(1)
	global_store_dword v[4:5], v140, off offset:56
	s_waitcnt vmcnt(0)
	global_store_dword v[133:134], v141, off
.LBB124_244:
	s_or_b32 exec_lo, exec_lo, s2
	v_mov_b32_e32 v140, v132
	v_mov_b32_e32 v141, v132
.LBB124_245:
	s_or_b32 exec_lo, exec_lo, s1
.LBB124_246:
	s_andn2_saveexec_b32 s0, s0
	s_cbranch_execz .LBB124_248
; %bb.247:
	v_mov_b32_e32 v141, 14
	ds_write2_b64 v138, v[98:99], v[96:97] offset0:15 offset1:16
	ds_write2_b64 v138, v[94:95], v[92:93] offset0:17 offset1:18
	;; [unrolled: 1-line block ×24, first 2 shown]
.LBB124_248:
	s_or_b32 exec_lo, exec_lo, s0
	s_mov_b32 s0, exec_lo
	s_waitcnt lgkmcnt(0)
	s_waitcnt_vscnt null, 0x0
	s_barrier
	buffer_gl0_inv
	v_cmpx_lt_i32_e32 14, v141
	s_cbranch_execz .LBB124_250
; %bb.249:
	v_mul_f64 v[100:101], v[0:1], v[100:101]
	ds_read2_b64 v[142:145], v138 offset0:15 offset1:16
	ds_read2_b64 v[146:149], v138 offset0:17 offset1:18
	;; [unrolled: 1-line block ×12, first 2 shown]
	s_waitcnt lgkmcnt(11)
	v_fma_f64 v[98:99], -v[100:101], v[142:143], v[98:99]
	v_fma_f64 v[96:97], -v[100:101], v[144:145], v[96:97]
	ds_read2_b64 v[142:145], v138 offset0:39 offset1:40
	s_waitcnt lgkmcnt(11)
	v_fma_f64 v[94:95], -v[100:101], v[146:147], v[94:95]
	v_fma_f64 v[92:93], -v[100:101], v[148:149], v[92:93]
	s_waitcnt lgkmcnt(10)
	v_fma_f64 v[88:89], -v[100:101], v[150:151], v[88:89]
	v_fma_f64 v[90:91], -v[100:101], v[152:153], v[90:91]
	;; [unrolled: 3-line block ×7, first 2 shown]
	ds_read2_b64 v[146:149], v138 offset0:41 offset1:42
	s_waitcnt lgkmcnt(5)
	v_fma_f64 v[64:65], -v[100:101], v[174:175], v[64:65]
	v_fma_f64 v[66:67], -v[100:101], v[176:177], v[66:67]
	ds_read2_b64 v[150:153], v138 offset0:43 offset1:44
	ds_read2_b64 v[154:157], v138 offset0:45 offset1:46
	s_waitcnt lgkmcnt(6)
	v_fma_f64 v[62:63], -v[100:101], v[178:179], v[62:63]
	v_fma_f64 v[60:61], -v[100:101], v[180:181], v[60:61]
	ds_read2_b64 v[158:161], v138 offset0:47 offset1:48
	ds_read2_b64 v[162:165], v138 offset0:49 offset1:50
	s_waitcnt lgkmcnt(7)
	v_fma_f64 v[58:59], -v[100:101], v[182:183], v[58:59]
	v_fma_f64 v[56:57], -v[100:101], v[184:185], v[56:57]
	ds_read2_b64 v[166:169], v138 offset0:51 offset1:52
	ds_read2_b64 v[170:173], v138 offset0:53 offset1:54
	ds_read2_b64 v[174:177], v138 offset0:55 offset1:56
	;; [unrolled: 1-line block ×3, first 2 shown]
	s_waitcnt lgkmcnt(9)
	v_fma_f64 v[48:49], -v[100:101], v[142:143], v[48:49]
	v_fma_f64 v[50:51], -v[100:101], v[144:145], v[50:51]
	ds_read2_b64 v[142:145], v138 offset0:59 offset1:60
	ds_read2_b64 v[182:185], v138 offset0:61 offset1:62
	v_fma_f64 v[54:55], -v[100:101], v[186:187], v[54:55]
	v_fma_f64 v[52:53], -v[100:101], v[188:189], v[52:53]
	s_waitcnt lgkmcnt(10)
	v_fma_f64 v[44:45], -v[100:101], v[146:147], v[44:45]
	v_fma_f64 v[46:47], -v[100:101], v[148:149], v[46:47]
	s_waitcnt lgkmcnt(9)
	;; [unrolled: 3-line block ×11, first 2 shown]
	v_fma_f64 v[6:7], -v[100:101], v[182:183], v[6:7]
	v_fma_f64 v[130:131], -v[100:101], v[184:185], v[130:131]
.LBB124_250:
	s_or_b32 exec_lo, exec_lo, s0
	v_lshl_add_u32 v0, v141, 3, v138
	s_barrier
	buffer_gl0_inv
	v_mov_b32_e32 v132, 15
	ds_write_b64 v0, v[98:99]
	s_waitcnt lgkmcnt(0)
	s_barrier
	buffer_gl0_inv
	ds_read_b64 v[0:1], v138 offset:120
	s_cmp_lt_i32 s7, 17
	s_cbranch_scc1 .LBB124_253
; %bb.251:
	v_add3_u32 v133, v139, 0, 0x80
	v_mov_b32_e32 v132, 15
	s_mov_b32 s0, 16
.LBB124_252:                            ; =>This Inner Loop Header: Depth=1
	ds_read_b64 v[142:143], v133
	v_add_nc_u32_e32 v133, 8, v133
	s_waitcnt lgkmcnt(0)
	v_cmp_lt_f64_e64 vcc_lo, |v[0:1]|, |v[142:143]|
	v_cndmask_b32_e32 v1, v1, v143, vcc_lo
	v_cndmask_b32_e32 v0, v0, v142, vcc_lo
	v_cndmask_b32_e64 v132, v132, s0, vcc_lo
	s_add_i32 s0, s0, 1
	s_cmp_lg_u32 s7, s0
	s_cbranch_scc1 .LBB124_252
.LBB124_253:
	s_mov_b32 s0, exec_lo
	s_waitcnt lgkmcnt(0)
	v_cmpx_eq_f64_e32 0, v[0:1]
	s_xor_b32 s0, exec_lo, s0
; %bb.254:
	v_cmp_ne_u32_e32 vcc_lo, 0, v135
	v_cndmask_b32_e32 v135, 16, v135, vcc_lo
; %bb.255:
	s_andn2_saveexec_b32 s0, s0
	s_cbranch_execz .LBB124_257
; %bb.256:
	v_div_scale_f64 v[133:134], null, v[0:1], v[0:1], 1.0
	v_rcp_f64_e32 v[142:143], v[133:134]
	v_fma_f64 v[144:145], -v[133:134], v[142:143], 1.0
	v_fma_f64 v[142:143], v[142:143], v[144:145], v[142:143]
	v_fma_f64 v[144:145], -v[133:134], v[142:143], 1.0
	v_fma_f64 v[142:143], v[142:143], v[144:145], v[142:143]
	v_div_scale_f64 v[144:145], vcc_lo, 1.0, v[0:1], 1.0
	v_mul_f64 v[146:147], v[144:145], v[142:143]
	v_fma_f64 v[133:134], -v[133:134], v[146:147], v[144:145]
	v_div_fmas_f64 v[133:134], v[133:134], v[142:143], v[146:147]
	v_div_fixup_f64 v[0:1], v[133:134], v[0:1], 1.0
.LBB124_257:
	s_or_b32 exec_lo, exec_lo, s0
	s_mov_b32 s0, exec_lo
	v_cmpx_ne_u32_e64 v141, v132
	s_xor_b32 s0, exec_lo, s0
	s_cbranch_execz .LBB124_263
; %bb.258:
	s_mov_b32 s1, exec_lo
	v_cmpx_eq_u32_e32 15, v141
	s_cbranch_execz .LBB124_262
; %bb.259:
	v_cmp_ne_u32_e32 vcc_lo, 15, v132
	s_xor_b32 s2, s6, -1
	s_and_b32 s3, s2, vcc_lo
	s_and_saveexec_b32 s2, s3
	s_cbranch_execz .LBB124_261
; %bb.260:
	v_ashrrev_i32_e32 v133, 31, v132
	v_lshlrev_b64 v[133:134], 2, v[132:133]
	v_add_co_u32 v133, vcc_lo, v4, v133
	v_add_co_ci_u32_e64 v134, null, v5, v134, vcc_lo
	s_clause 0x1
	global_load_dword v140, v[133:134], off
	global_load_dword v141, v[4:5], off offset:60
	s_waitcnt vmcnt(1)
	global_store_dword v[4:5], v140, off offset:60
	s_waitcnt vmcnt(0)
	global_store_dword v[133:134], v141, off
.LBB124_261:
	s_or_b32 exec_lo, exec_lo, s2
	v_mov_b32_e32 v140, v132
	v_mov_b32_e32 v141, v132
.LBB124_262:
	s_or_b32 exec_lo, exec_lo, s1
.LBB124_263:
	s_andn2_saveexec_b32 s0, s0
	s_cbranch_execz .LBB124_265
; %bb.264:
	v_mov_b32_e32 v132, v96
	v_mov_b32_e32 v133, v97
	;; [unrolled: 1-line block ×16, first 2 shown]
	ds_write2_b64 v138, v[132:133], v[141:142] offset0:16 offset1:17
	ds_write2_b64 v138, v[143:144], v[145:146] offset0:18 offset1:19
	ds_write2_b64 v138, v[147:148], v[149:150] offset0:20 offset1:21
	ds_write2_b64 v138, v[151:152], v[153:154] offset0:22 offset1:23
	v_mov_b32_e32 v132, v80
	v_mov_b32_e32 v133, v81
	v_mov_b32_e32 v141, v78
	v_mov_b32_e32 v142, v79
	v_mov_b32_e32 v143, v76
	v_mov_b32_e32 v144, v77
	v_mov_b32_e32 v145, v74
	v_mov_b32_e32 v146, v75
	v_mov_b32_e32 v147, v72
	v_mov_b32_e32 v148, v73
	v_mov_b32_e32 v149, v68
	v_mov_b32_e32 v150, v69
	v_mov_b32_e32 v151, v70
	v_mov_b32_e32 v152, v71
	v_mov_b32_e32 v153, v64
	v_mov_b32_e32 v154, v65
	v_mov_b32_e32 v155, v66
	v_mov_b32_e32 v156, v67
	v_mov_b32_e32 v157, v62
	v_mov_b32_e32 v158, v63
	ds_write2_b64 v138, v[132:133], v[141:142] offset0:24 offset1:25
	ds_write2_b64 v138, v[143:144], v[145:146] offset0:26 offset1:27
	ds_write2_b64 v138, v[147:148], v[149:150] offset0:28 offset1:29
	ds_write2_b64 v138, v[151:152], v[153:154] offset0:30 offset1:31
	ds_write2_b64 v138, v[155:156], v[157:158] offset0:32 offset1:33
	v_mov_b32_e32 v132, v60
	v_mov_b32_e32 v133, v61
	v_mov_b32_e32 v141, v58
	v_mov_b32_e32 v142, v59
	v_mov_b32_e32 v143, v56
	v_mov_b32_e32 v144, v57
	v_mov_b32_e32 v145, v54
	v_mov_b32_e32 v146, v55
	v_mov_b32_e32 v147, v52
	v_mov_b32_e32 v148, v53
	v_mov_b32_e32 v149, v48
	v_mov_b32_e32 v150, v49
	v_mov_b32_e32 v151, v50
	v_mov_b32_e32 v152, v51
	v_mov_b32_e32 v153, v44
	v_mov_b32_e32 v154, v45
	v_mov_b32_e32 v155, v46
	v_mov_b32_e32 v156, v47
	v_mov_b32_e32 v157, v42
	v_mov_b32_e32 v158, v43
	ds_write2_b64 v138, v[132:133], v[141:142] offset0:34 offset1:35
	;; [unrolled: 25-line block ×3, first 2 shown]
	ds_write2_b64 v138, v[143:144], v[145:146] offset0:46 offset1:47
	ds_write2_b64 v138, v[147:148], v[149:150] offset0:48 offset1:49
	;; [unrolled: 1-line block ×4, first 2 shown]
	v_mov_b32_e32 v132, v20
	v_mov_b32_e32 v133, v21
	;; [unrolled: 1-line block ×8, first 2 shown]
	ds_write2_b64 v138, v[132:133], v[141:142] offset0:54 offset1:55
	v_mov_b32_e32 v141, 15
	v_mov_b32_e32 v147, v12
	;; [unrolled: 1-line block ×9, first 2 shown]
	ds_write2_b64 v138, v[143:144], v[145:146] offset0:56 offset1:57
	ds_write2_b64 v138, v[147:148], v[149:150] offset0:58 offset1:59
	;; [unrolled: 1-line block ×3, first 2 shown]
	ds_write_b64 v138, v[130:131] offset:496
.LBB124_265:
	s_or_b32 exec_lo, exec_lo, s0
	s_mov_b32 s0, exec_lo
	s_waitcnt lgkmcnt(0)
	s_waitcnt_vscnt null, 0x0
	s_barrier
	buffer_gl0_inv
	v_cmpx_lt_i32_e32 15, v141
	s_cbranch_execz .LBB124_267
; %bb.266:
	v_mul_f64 v[98:99], v[0:1], v[98:99]
	ds_read2_b64 v[142:145], v138 offset0:16 offset1:17
	ds_read2_b64 v[146:149], v138 offset0:18 offset1:19
	;; [unrolled: 1-line block ×12, first 2 shown]
	ds_read_b64 v[0:1], v138 offset:496
	s_waitcnt lgkmcnt(12)
	v_fma_f64 v[96:97], -v[98:99], v[142:143], v[96:97]
	v_fma_f64 v[94:95], -v[98:99], v[144:145], v[94:95]
	ds_read2_b64 v[142:145], v138 offset0:40 offset1:41
	s_waitcnt lgkmcnt(12)
	v_fma_f64 v[92:93], -v[98:99], v[146:147], v[92:93]
	v_fma_f64 v[88:89], -v[98:99], v[148:149], v[88:89]
	s_waitcnt lgkmcnt(11)
	v_fma_f64 v[90:91], -v[98:99], v[150:151], v[90:91]
	v_fma_f64 v[84:85], -v[98:99], v[152:153], v[84:85]
	;; [unrolled: 3-line block ×7, first 2 shown]
	ds_read2_b64 v[146:149], v138 offset0:42 offset1:43
	s_waitcnt lgkmcnt(6)
	v_fma_f64 v[66:67], -v[98:99], v[174:175], v[66:67]
	v_fma_f64 v[62:63], -v[98:99], v[176:177], v[62:63]
	ds_read2_b64 v[150:153], v138 offset0:44 offset1:45
	ds_read2_b64 v[154:157], v138 offset0:46 offset1:47
	s_waitcnt lgkmcnt(7)
	v_fma_f64 v[60:61], -v[98:99], v[178:179], v[60:61]
	v_fma_f64 v[58:59], -v[98:99], v[180:181], v[58:59]
	ds_read2_b64 v[158:161], v138 offset0:48 offset1:49
	ds_read2_b64 v[162:165], v138 offset0:50 offset1:51
	;; [unrolled: 1-line block ×6, first 2 shown]
	s_waitcnt lgkmcnt(9)
	v_fma_f64 v[50:51], -v[98:99], v[142:143], v[50:51]
	v_fma_f64 v[44:45], -v[98:99], v[144:145], v[44:45]
	ds_read2_b64 v[142:145], v138 offset0:60 offset1:61
	v_fma_f64 v[56:57], -v[98:99], v[182:183], v[56:57]
	v_fma_f64 v[54:55], -v[98:99], v[184:185], v[54:55]
	;; [unrolled: 1-line block ×4, first 2 shown]
	s_waitcnt lgkmcnt(9)
	v_fma_f64 v[46:47], -v[98:99], v[146:147], v[46:47]
	v_fma_f64 v[42:43], -v[98:99], v[148:149], v[42:43]
	v_fma_f64 v[130:131], -v[98:99], v[0:1], v[130:131]
	s_waitcnt lgkmcnt(8)
	v_fma_f64 v[40:41], -v[98:99], v[150:151], v[40:41]
	v_fma_f64 v[38:39], -v[98:99], v[152:153], v[38:39]
	s_waitcnt lgkmcnt(7)
	v_fma_f64 v[36:37], -v[98:99], v[154:155], v[36:37]
	v_fma_f64 v[34:35], -v[98:99], v[156:157], v[34:35]
	;; [unrolled: 3-line block ×9, first 2 shown]
.LBB124_267:
	s_or_b32 exec_lo, exec_lo, s0
	v_lshl_add_u32 v0, v141, 3, v138
	s_barrier
	buffer_gl0_inv
	v_mov_b32_e32 v132, 16
	ds_write_b64 v0, v[96:97]
	s_waitcnt lgkmcnt(0)
	s_barrier
	buffer_gl0_inv
	ds_read_b64 v[0:1], v138 offset:128
	s_cmp_lt_i32 s7, 18
	s_cbranch_scc1 .LBB124_270
; %bb.268:
	v_add3_u32 v133, v139, 0, 0x88
	v_mov_b32_e32 v132, 16
	s_mov_b32 s0, 17
.LBB124_269:                            ; =>This Inner Loop Header: Depth=1
	ds_read_b64 v[142:143], v133
	v_add_nc_u32_e32 v133, 8, v133
	s_waitcnt lgkmcnt(0)
	v_cmp_lt_f64_e64 vcc_lo, |v[0:1]|, |v[142:143]|
	v_cndmask_b32_e32 v1, v1, v143, vcc_lo
	v_cndmask_b32_e32 v0, v0, v142, vcc_lo
	v_cndmask_b32_e64 v132, v132, s0, vcc_lo
	s_add_i32 s0, s0, 1
	s_cmp_lg_u32 s7, s0
	s_cbranch_scc1 .LBB124_269
.LBB124_270:
	s_mov_b32 s0, exec_lo
	s_waitcnt lgkmcnt(0)
	v_cmpx_eq_f64_e32 0, v[0:1]
	s_xor_b32 s0, exec_lo, s0
; %bb.271:
	v_cmp_ne_u32_e32 vcc_lo, 0, v135
	v_cndmask_b32_e32 v135, 17, v135, vcc_lo
; %bb.272:
	s_andn2_saveexec_b32 s0, s0
	s_cbranch_execz .LBB124_274
; %bb.273:
	v_div_scale_f64 v[133:134], null, v[0:1], v[0:1], 1.0
	v_rcp_f64_e32 v[142:143], v[133:134]
	v_fma_f64 v[144:145], -v[133:134], v[142:143], 1.0
	v_fma_f64 v[142:143], v[142:143], v[144:145], v[142:143]
	v_fma_f64 v[144:145], -v[133:134], v[142:143], 1.0
	v_fma_f64 v[142:143], v[142:143], v[144:145], v[142:143]
	v_div_scale_f64 v[144:145], vcc_lo, 1.0, v[0:1], 1.0
	v_mul_f64 v[146:147], v[144:145], v[142:143]
	v_fma_f64 v[133:134], -v[133:134], v[146:147], v[144:145]
	v_div_fmas_f64 v[133:134], v[133:134], v[142:143], v[146:147]
	v_div_fixup_f64 v[0:1], v[133:134], v[0:1], 1.0
.LBB124_274:
	s_or_b32 exec_lo, exec_lo, s0
	s_mov_b32 s0, exec_lo
	v_cmpx_ne_u32_e64 v141, v132
	s_xor_b32 s0, exec_lo, s0
	s_cbranch_execz .LBB124_280
; %bb.275:
	s_mov_b32 s1, exec_lo
	v_cmpx_eq_u32_e32 16, v141
	s_cbranch_execz .LBB124_279
; %bb.276:
	v_cmp_ne_u32_e32 vcc_lo, 16, v132
	s_xor_b32 s2, s6, -1
	s_and_b32 s3, s2, vcc_lo
	s_and_saveexec_b32 s2, s3
	s_cbranch_execz .LBB124_278
; %bb.277:
	v_ashrrev_i32_e32 v133, 31, v132
	v_lshlrev_b64 v[133:134], 2, v[132:133]
	v_add_co_u32 v133, vcc_lo, v4, v133
	v_add_co_ci_u32_e64 v134, null, v5, v134, vcc_lo
	s_clause 0x1
	global_load_dword v140, v[133:134], off
	global_load_dword v141, v[4:5], off offset:64
	s_waitcnt vmcnt(1)
	global_store_dword v[4:5], v140, off offset:64
	s_waitcnt vmcnt(0)
	global_store_dword v[133:134], v141, off
.LBB124_278:
	s_or_b32 exec_lo, exec_lo, s2
	v_mov_b32_e32 v140, v132
	v_mov_b32_e32 v141, v132
.LBB124_279:
	s_or_b32 exec_lo, exec_lo, s1
.LBB124_280:
	s_andn2_saveexec_b32 s0, s0
	s_cbranch_execz .LBB124_282
; %bb.281:
	v_mov_b32_e32 v141, 16
	ds_write2_b64 v138, v[94:95], v[92:93] offset0:17 offset1:18
	ds_write2_b64 v138, v[88:89], v[90:91] offset0:19 offset1:20
	;; [unrolled: 1-line block ×23, first 2 shown]
.LBB124_282:
	s_or_b32 exec_lo, exec_lo, s0
	s_mov_b32 s0, exec_lo
	s_waitcnt lgkmcnt(0)
	s_waitcnt_vscnt null, 0x0
	s_barrier
	buffer_gl0_inv
	v_cmpx_lt_i32_e32 16, v141
	s_cbranch_execz .LBB124_284
; %bb.283:
	v_mul_f64 v[96:97], v[0:1], v[96:97]
	ds_read2_b64 v[142:145], v138 offset0:17 offset1:18
	ds_read2_b64 v[146:149], v138 offset0:19 offset1:20
	;; [unrolled: 1-line block ×11, first 2 shown]
	s_waitcnt lgkmcnt(10)
	v_fma_f64 v[94:95], -v[96:97], v[142:143], v[94:95]
	v_fma_f64 v[92:93], -v[96:97], v[144:145], v[92:93]
	ds_read2_b64 v[142:145], v138 offset0:39 offset1:40
	s_waitcnt lgkmcnt(10)
	v_fma_f64 v[88:89], -v[96:97], v[146:147], v[88:89]
	v_fma_f64 v[90:91], -v[96:97], v[148:149], v[90:91]
	s_waitcnt lgkmcnt(9)
	v_fma_f64 v[84:85], -v[96:97], v[150:151], v[84:85]
	v_fma_f64 v[86:87], -v[96:97], v[152:153], v[86:87]
	s_waitcnt lgkmcnt(8)
	v_fma_f64 v[82:83], -v[96:97], v[154:155], v[82:83]
	v_fma_f64 v[80:81], -v[96:97], v[156:157], v[80:81]
	s_waitcnt lgkmcnt(7)
	v_fma_f64 v[78:79], -v[96:97], v[158:159], v[78:79]
	v_fma_f64 v[76:77], -v[96:97], v[160:161], v[76:77]
	s_waitcnt lgkmcnt(6)
	v_fma_f64 v[74:75], -v[96:97], v[162:163], v[74:75]
	v_fma_f64 v[72:73], -v[96:97], v[164:165], v[72:73]
	s_waitcnt lgkmcnt(5)
	v_fma_f64 v[68:69], -v[96:97], v[166:167], v[68:69]
	v_fma_f64 v[70:71], -v[96:97], v[168:169], v[70:71]
	ds_read2_b64 v[146:149], v138 offset0:41 offset1:42
	s_waitcnt lgkmcnt(5)
	v_fma_f64 v[64:65], -v[96:97], v[170:171], v[64:65]
	v_fma_f64 v[66:67], -v[96:97], v[172:173], v[66:67]
	ds_read2_b64 v[150:153], v138 offset0:43 offset1:44
	ds_read2_b64 v[154:157], v138 offset0:45 offset1:46
	s_waitcnt lgkmcnt(6)
	v_fma_f64 v[62:63], -v[96:97], v[174:175], v[62:63]
	v_fma_f64 v[60:61], -v[96:97], v[176:177], v[60:61]
	ds_read2_b64 v[158:161], v138 offset0:47 offset1:48
	ds_read2_b64 v[162:165], v138 offset0:49 offset1:50
	s_waitcnt lgkmcnt(7)
	v_fma_f64 v[58:59], -v[96:97], v[178:179], v[58:59]
	v_fma_f64 v[56:57], -v[96:97], v[180:181], v[56:57]
	ds_read2_b64 v[166:169], v138 offset0:51 offset1:52
	ds_read2_b64 v[170:173], v138 offset0:53 offset1:54
	s_waitcnt lgkmcnt(8)
	v_fma_f64 v[54:55], -v[96:97], v[182:183], v[54:55]
	v_fma_f64 v[52:53], -v[96:97], v[184:185], v[52:53]
	ds_read2_b64 v[174:177], v138 offset0:55 offset1:56
	ds_read2_b64 v[178:181], v138 offset0:57 offset1:58
	s_waitcnt lgkmcnt(9)
	v_fma_f64 v[48:49], -v[96:97], v[142:143], v[48:49]
	v_fma_f64 v[50:51], -v[96:97], v[144:145], v[50:51]
	ds_read2_b64 v[142:145], v138 offset0:59 offset1:60
	ds_read2_b64 v[182:185], v138 offset0:61 offset1:62
	s_waitcnt lgkmcnt(10)
	v_fma_f64 v[44:45], -v[96:97], v[146:147], v[44:45]
	v_fma_f64 v[46:47], -v[96:97], v[148:149], v[46:47]
	s_waitcnt lgkmcnt(9)
	v_fma_f64 v[42:43], -v[96:97], v[150:151], v[42:43]
	v_fma_f64 v[40:41], -v[96:97], v[152:153], v[40:41]
	;; [unrolled: 3-line block ×11, first 2 shown]
.LBB124_284:
	s_or_b32 exec_lo, exec_lo, s0
	v_lshl_add_u32 v0, v141, 3, v138
	s_barrier
	buffer_gl0_inv
	v_mov_b32_e32 v132, 17
	ds_write_b64 v0, v[94:95]
	s_waitcnt lgkmcnt(0)
	s_barrier
	buffer_gl0_inv
	ds_read_b64 v[0:1], v138 offset:136
	s_cmp_lt_i32 s7, 19
	s_cbranch_scc1 .LBB124_287
; %bb.285:
	v_add3_u32 v133, v139, 0, 0x90
	v_mov_b32_e32 v132, 17
	s_mov_b32 s0, 18
.LBB124_286:                            ; =>This Inner Loop Header: Depth=1
	ds_read_b64 v[142:143], v133
	v_add_nc_u32_e32 v133, 8, v133
	s_waitcnt lgkmcnt(0)
	v_cmp_lt_f64_e64 vcc_lo, |v[0:1]|, |v[142:143]|
	v_cndmask_b32_e32 v1, v1, v143, vcc_lo
	v_cndmask_b32_e32 v0, v0, v142, vcc_lo
	v_cndmask_b32_e64 v132, v132, s0, vcc_lo
	s_add_i32 s0, s0, 1
	s_cmp_lg_u32 s7, s0
	s_cbranch_scc1 .LBB124_286
.LBB124_287:
	s_mov_b32 s0, exec_lo
	s_waitcnt lgkmcnt(0)
	v_cmpx_eq_f64_e32 0, v[0:1]
	s_xor_b32 s0, exec_lo, s0
; %bb.288:
	v_cmp_ne_u32_e32 vcc_lo, 0, v135
	v_cndmask_b32_e32 v135, 18, v135, vcc_lo
; %bb.289:
	s_andn2_saveexec_b32 s0, s0
	s_cbranch_execz .LBB124_291
; %bb.290:
	v_div_scale_f64 v[133:134], null, v[0:1], v[0:1], 1.0
	v_rcp_f64_e32 v[142:143], v[133:134]
	v_fma_f64 v[144:145], -v[133:134], v[142:143], 1.0
	v_fma_f64 v[142:143], v[142:143], v[144:145], v[142:143]
	v_fma_f64 v[144:145], -v[133:134], v[142:143], 1.0
	v_fma_f64 v[142:143], v[142:143], v[144:145], v[142:143]
	v_div_scale_f64 v[144:145], vcc_lo, 1.0, v[0:1], 1.0
	v_mul_f64 v[146:147], v[144:145], v[142:143]
	v_fma_f64 v[133:134], -v[133:134], v[146:147], v[144:145]
	v_div_fmas_f64 v[133:134], v[133:134], v[142:143], v[146:147]
	v_div_fixup_f64 v[0:1], v[133:134], v[0:1], 1.0
.LBB124_291:
	s_or_b32 exec_lo, exec_lo, s0
	s_mov_b32 s0, exec_lo
	v_cmpx_ne_u32_e64 v141, v132
	s_xor_b32 s0, exec_lo, s0
	s_cbranch_execz .LBB124_297
; %bb.292:
	s_mov_b32 s1, exec_lo
	v_cmpx_eq_u32_e32 17, v141
	s_cbranch_execz .LBB124_296
; %bb.293:
	v_cmp_ne_u32_e32 vcc_lo, 17, v132
	s_xor_b32 s2, s6, -1
	s_and_b32 s3, s2, vcc_lo
	s_and_saveexec_b32 s2, s3
	s_cbranch_execz .LBB124_295
; %bb.294:
	v_ashrrev_i32_e32 v133, 31, v132
	v_lshlrev_b64 v[133:134], 2, v[132:133]
	v_add_co_u32 v133, vcc_lo, v4, v133
	v_add_co_ci_u32_e64 v134, null, v5, v134, vcc_lo
	s_clause 0x1
	global_load_dword v140, v[133:134], off
	global_load_dword v141, v[4:5], off offset:68
	s_waitcnt vmcnt(1)
	global_store_dword v[4:5], v140, off offset:68
	s_waitcnt vmcnt(0)
	global_store_dword v[133:134], v141, off
.LBB124_295:
	s_or_b32 exec_lo, exec_lo, s2
	v_mov_b32_e32 v140, v132
	v_mov_b32_e32 v141, v132
.LBB124_296:
	s_or_b32 exec_lo, exec_lo, s1
.LBB124_297:
	s_andn2_saveexec_b32 s0, s0
	s_cbranch_execz .LBB124_299
; %bb.298:
	v_mov_b32_e32 v132, v92
	v_mov_b32_e32 v133, v93
	;; [unrolled: 1-line block ×12, first 2 shown]
	ds_write2_b64 v138, v[132:133], v[141:142] offset0:18 offset1:19
	ds_write2_b64 v138, v[143:144], v[145:146] offset0:20 offset1:21
	ds_write2_b64 v138, v[147:148], v[149:150] offset0:22 offset1:23
	v_mov_b32_e32 v132, v80
	v_mov_b32_e32 v133, v81
	v_mov_b32_e32 v141, v78
	v_mov_b32_e32 v142, v79
	v_mov_b32_e32 v143, v76
	v_mov_b32_e32 v144, v77
	v_mov_b32_e32 v145, v74
	v_mov_b32_e32 v146, v75
	v_mov_b32_e32 v147, v72
	v_mov_b32_e32 v148, v73
	v_mov_b32_e32 v149, v68
	v_mov_b32_e32 v150, v69
	v_mov_b32_e32 v151, v70
	v_mov_b32_e32 v152, v71
	v_mov_b32_e32 v153, v64
	v_mov_b32_e32 v154, v65
	v_mov_b32_e32 v155, v66
	v_mov_b32_e32 v156, v67
	v_mov_b32_e32 v157, v62
	v_mov_b32_e32 v158, v63
	ds_write2_b64 v138, v[132:133], v[141:142] offset0:24 offset1:25
	ds_write2_b64 v138, v[143:144], v[145:146] offset0:26 offset1:27
	ds_write2_b64 v138, v[147:148], v[149:150] offset0:28 offset1:29
	ds_write2_b64 v138, v[151:152], v[153:154] offset0:30 offset1:31
	ds_write2_b64 v138, v[155:156], v[157:158] offset0:32 offset1:33
	v_mov_b32_e32 v132, v60
	v_mov_b32_e32 v133, v61
	v_mov_b32_e32 v141, v58
	v_mov_b32_e32 v142, v59
	v_mov_b32_e32 v143, v56
	v_mov_b32_e32 v144, v57
	v_mov_b32_e32 v145, v54
	v_mov_b32_e32 v146, v55
	v_mov_b32_e32 v147, v52
	v_mov_b32_e32 v148, v53
	v_mov_b32_e32 v149, v48
	v_mov_b32_e32 v150, v49
	v_mov_b32_e32 v151, v50
	v_mov_b32_e32 v152, v51
	v_mov_b32_e32 v153, v44
	v_mov_b32_e32 v154, v45
	v_mov_b32_e32 v155, v46
	v_mov_b32_e32 v156, v47
	v_mov_b32_e32 v157, v42
	v_mov_b32_e32 v158, v43
	ds_write2_b64 v138, v[132:133], v[141:142] offset0:34 offset1:35
	ds_write2_b64 v138, v[143:144], v[145:146] offset0:36 offset1:37
	ds_write2_b64 v138, v[147:148], v[149:150] offset0:38 offset1:39
	ds_write2_b64 v138, v[151:152], v[153:154] offset0:40 offset1:41
	ds_write2_b64 v138, v[155:156], v[157:158] offset0:42 offset1:43
	v_mov_b32_e32 v132, v40
	v_mov_b32_e32 v133, v41
	v_mov_b32_e32 v141, v38
	v_mov_b32_e32 v142, v39
	v_mov_b32_e32 v143, v36
	v_mov_b32_e32 v144, v37
	v_mov_b32_e32 v145, v34
	v_mov_b32_e32 v146, v35
	v_mov_b32_e32 v147, v32
	v_mov_b32_e32 v148, v33
	v_mov_b32_e32 v149, v28
	v_mov_b32_e32 v150, v29
	v_mov_b32_e32 v151, v30
	v_mov_b32_e32 v152, v31
	v_mov_b32_e32 v153, v24
	v_mov_b32_e32 v154, v25
	v_mov_b32_e32 v155, v26
	v_mov_b32_e32 v156, v27
	v_mov_b32_e32 v157, v22
	v_mov_b32_e32 v158, v23
	ds_write2_b64 v138, v[132:133], v[141:142] offset0:44 offset1:45
	ds_write2_b64 v138, v[143:144], v[145:146] offset0:46 offset1:47
	ds_write2_b64 v138, v[147:148], v[149:150] offset0:48 offset1:49
	ds_write2_b64 v138, v[151:152], v[153:154] offset0:50 offset1:51
	;; [unrolled: 1-line block ×3, first 2 shown]
	v_mov_b32_e32 v132, v20
	v_mov_b32_e32 v133, v21
	;; [unrolled: 1-line block ×8, first 2 shown]
	ds_write2_b64 v138, v[132:133], v[141:142] offset0:54 offset1:55
	v_mov_b32_e32 v141, 17
	v_mov_b32_e32 v147, v12
	;; [unrolled: 1-line block ×9, first 2 shown]
	ds_write2_b64 v138, v[143:144], v[145:146] offset0:56 offset1:57
	ds_write2_b64 v138, v[147:148], v[149:150] offset0:58 offset1:59
	;; [unrolled: 1-line block ×3, first 2 shown]
	ds_write_b64 v138, v[130:131] offset:496
.LBB124_299:
	s_or_b32 exec_lo, exec_lo, s0
	s_mov_b32 s0, exec_lo
	s_waitcnt lgkmcnt(0)
	s_waitcnt_vscnt null, 0x0
	s_barrier
	buffer_gl0_inv
	v_cmpx_lt_i32_e32 17, v141
	s_cbranch_execz .LBB124_301
; %bb.300:
	v_mul_f64 v[94:95], v[0:1], v[94:95]
	ds_read2_b64 v[142:145], v138 offset0:18 offset1:19
	ds_read2_b64 v[146:149], v138 offset0:20 offset1:21
	;; [unrolled: 1-line block ×11, first 2 shown]
	ds_read_b64 v[0:1], v138 offset:496
	s_waitcnt lgkmcnt(11)
	v_fma_f64 v[92:93], -v[94:95], v[142:143], v[92:93]
	v_fma_f64 v[88:89], -v[94:95], v[144:145], v[88:89]
	ds_read2_b64 v[142:145], v138 offset0:40 offset1:41
	s_waitcnt lgkmcnt(11)
	v_fma_f64 v[90:91], -v[94:95], v[146:147], v[90:91]
	v_fma_f64 v[84:85], -v[94:95], v[148:149], v[84:85]
	s_waitcnt lgkmcnt(10)
	v_fma_f64 v[86:87], -v[94:95], v[150:151], v[86:87]
	v_fma_f64 v[82:83], -v[94:95], v[152:153], v[82:83]
	s_waitcnt lgkmcnt(9)
	v_fma_f64 v[80:81], -v[94:95], v[154:155], v[80:81]
	v_fma_f64 v[78:79], -v[94:95], v[156:157], v[78:79]
	s_waitcnt lgkmcnt(8)
	v_fma_f64 v[76:77], -v[94:95], v[158:159], v[76:77]
	v_fma_f64 v[74:75], -v[94:95], v[160:161], v[74:75]
	s_waitcnt lgkmcnt(7)
	v_fma_f64 v[72:73], -v[94:95], v[162:163], v[72:73]
	v_fma_f64 v[68:69], -v[94:95], v[164:165], v[68:69]
	s_waitcnt lgkmcnt(6)
	v_fma_f64 v[70:71], -v[94:95], v[166:167], v[70:71]
	v_fma_f64 v[64:65], -v[94:95], v[168:169], v[64:65]
	ds_read2_b64 v[146:149], v138 offset0:42 offset1:43
	s_waitcnt lgkmcnt(6)
	v_fma_f64 v[66:67], -v[94:95], v[170:171], v[66:67]
	v_fma_f64 v[62:63], -v[94:95], v[172:173], v[62:63]
	ds_read2_b64 v[150:153], v138 offset0:44 offset1:45
	ds_read2_b64 v[154:157], v138 offset0:46 offset1:47
	s_waitcnt lgkmcnt(7)
	v_fma_f64 v[60:61], -v[94:95], v[174:175], v[60:61]
	v_fma_f64 v[58:59], -v[94:95], v[176:177], v[58:59]
	ds_read2_b64 v[158:161], v138 offset0:48 offset1:49
	;; [unrolled: 5-line block ×3, first 2 shown]
	ds_read2_b64 v[170:173], v138 offset0:54 offset1:55
	ds_read2_b64 v[174:177], v138 offset0:56 offset1:57
	;; [unrolled: 1-line block ×3, first 2 shown]
	s_waitcnt lgkmcnt(9)
	v_fma_f64 v[50:51], -v[94:95], v[142:143], v[50:51]
	v_fma_f64 v[44:45], -v[94:95], v[144:145], v[44:45]
	ds_read2_b64 v[142:145], v138 offset0:60 offset1:61
	v_fma_f64 v[52:53], -v[94:95], v[182:183], v[52:53]
	v_fma_f64 v[48:49], -v[94:95], v[184:185], v[48:49]
	s_waitcnt lgkmcnt(9)
	v_fma_f64 v[46:47], -v[94:95], v[146:147], v[46:47]
	v_fma_f64 v[42:43], -v[94:95], v[148:149], v[42:43]
	;; [unrolled: 1-line block ×3, first 2 shown]
	s_waitcnt lgkmcnt(8)
	v_fma_f64 v[40:41], -v[94:95], v[150:151], v[40:41]
	v_fma_f64 v[38:39], -v[94:95], v[152:153], v[38:39]
	s_waitcnt lgkmcnt(7)
	v_fma_f64 v[36:37], -v[94:95], v[154:155], v[36:37]
	v_fma_f64 v[34:35], -v[94:95], v[156:157], v[34:35]
	;; [unrolled: 3-line block ×9, first 2 shown]
.LBB124_301:
	s_or_b32 exec_lo, exec_lo, s0
	v_lshl_add_u32 v0, v141, 3, v138
	s_barrier
	buffer_gl0_inv
	v_mov_b32_e32 v132, 18
	ds_write_b64 v0, v[92:93]
	s_waitcnt lgkmcnt(0)
	s_barrier
	buffer_gl0_inv
	ds_read_b64 v[0:1], v138 offset:144
	s_cmp_lt_i32 s7, 20
	s_cbranch_scc1 .LBB124_304
; %bb.302:
	v_add3_u32 v133, v139, 0, 0x98
	v_mov_b32_e32 v132, 18
	s_mov_b32 s0, 19
.LBB124_303:                            ; =>This Inner Loop Header: Depth=1
	ds_read_b64 v[142:143], v133
	v_add_nc_u32_e32 v133, 8, v133
	s_waitcnt lgkmcnt(0)
	v_cmp_lt_f64_e64 vcc_lo, |v[0:1]|, |v[142:143]|
	v_cndmask_b32_e32 v1, v1, v143, vcc_lo
	v_cndmask_b32_e32 v0, v0, v142, vcc_lo
	v_cndmask_b32_e64 v132, v132, s0, vcc_lo
	s_add_i32 s0, s0, 1
	s_cmp_lg_u32 s7, s0
	s_cbranch_scc1 .LBB124_303
.LBB124_304:
	s_mov_b32 s0, exec_lo
	s_waitcnt lgkmcnt(0)
	v_cmpx_eq_f64_e32 0, v[0:1]
	s_xor_b32 s0, exec_lo, s0
; %bb.305:
	v_cmp_ne_u32_e32 vcc_lo, 0, v135
	v_cndmask_b32_e32 v135, 19, v135, vcc_lo
; %bb.306:
	s_andn2_saveexec_b32 s0, s0
	s_cbranch_execz .LBB124_308
; %bb.307:
	v_div_scale_f64 v[133:134], null, v[0:1], v[0:1], 1.0
	v_rcp_f64_e32 v[142:143], v[133:134]
	v_fma_f64 v[144:145], -v[133:134], v[142:143], 1.0
	v_fma_f64 v[142:143], v[142:143], v[144:145], v[142:143]
	v_fma_f64 v[144:145], -v[133:134], v[142:143], 1.0
	v_fma_f64 v[142:143], v[142:143], v[144:145], v[142:143]
	v_div_scale_f64 v[144:145], vcc_lo, 1.0, v[0:1], 1.0
	v_mul_f64 v[146:147], v[144:145], v[142:143]
	v_fma_f64 v[133:134], -v[133:134], v[146:147], v[144:145]
	v_div_fmas_f64 v[133:134], v[133:134], v[142:143], v[146:147]
	v_div_fixup_f64 v[0:1], v[133:134], v[0:1], 1.0
.LBB124_308:
	s_or_b32 exec_lo, exec_lo, s0
	s_mov_b32 s0, exec_lo
	v_cmpx_ne_u32_e64 v141, v132
	s_xor_b32 s0, exec_lo, s0
	s_cbranch_execz .LBB124_314
; %bb.309:
	s_mov_b32 s1, exec_lo
	v_cmpx_eq_u32_e32 18, v141
	s_cbranch_execz .LBB124_313
; %bb.310:
	v_cmp_ne_u32_e32 vcc_lo, 18, v132
	s_xor_b32 s2, s6, -1
	s_and_b32 s3, s2, vcc_lo
	s_and_saveexec_b32 s2, s3
	s_cbranch_execz .LBB124_312
; %bb.311:
	v_ashrrev_i32_e32 v133, 31, v132
	v_lshlrev_b64 v[133:134], 2, v[132:133]
	v_add_co_u32 v133, vcc_lo, v4, v133
	v_add_co_ci_u32_e64 v134, null, v5, v134, vcc_lo
	s_clause 0x1
	global_load_dword v140, v[133:134], off
	global_load_dword v141, v[4:5], off offset:72
	s_waitcnt vmcnt(1)
	global_store_dword v[4:5], v140, off offset:72
	s_waitcnt vmcnt(0)
	global_store_dword v[133:134], v141, off
.LBB124_312:
	s_or_b32 exec_lo, exec_lo, s2
	v_mov_b32_e32 v140, v132
	v_mov_b32_e32 v141, v132
.LBB124_313:
	s_or_b32 exec_lo, exec_lo, s1
.LBB124_314:
	s_andn2_saveexec_b32 s0, s0
	s_cbranch_execz .LBB124_316
; %bb.315:
	v_mov_b32_e32 v141, 18
	ds_write2_b64 v138, v[88:89], v[90:91] offset0:19 offset1:20
	ds_write2_b64 v138, v[84:85], v[86:87] offset0:21 offset1:22
	;; [unrolled: 1-line block ×22, first 2 shown]
.LBB124_316:
	s_or_b32 exec_lo, exec_lo, s0
	s_mov_b32 s0, exec_lo
	s_waitcnt lgkmcnt(0)
	s_waitcnt_vscnt null, 0x0
	s_barrier
	buffer_gl0_inv
	v_cmpx_lt_i32_e32 18, v141
	s_cbranch_execz .LBB124_318
; %bb.317:
	v_mul_f64 v[92:93], v[0:1], v[92:93]
	ds_read2_b64 v[142:145], v138 offset0:19 offset1:20
	ds_read2_b64 v[146:149], v138 offset0:21 offset1:22
	;; [unrolled: 1-line block ×11, first 2 shown]
	s_waitcnt lgkmcnt(10)
	v_fma_f64 v[88:89], -v[92:93], v[142:143], v[88:89]
	v_fma_f64 v[90:91], -v[92:93], v[144:145], v[90:91]
	s_waitcnt lgkmcnt(9)
	v_fma_f64 v[84:85], -v[92:93], v[146:147], v[84:85]
	v_fma_f64 v[86:87], -v[92:93], v[148:149], v[86:87]
	;; [unrolled: 3-line block ×6, first 2 shown]
	ds_read2_b64 v[142:145], v138 offset0:41 offset1:42
	ds_read2_b64 v[146:149], v138 offset0:43 offset1:44
	s_waitcnt lgkmcnt(6)
	v_fma_f64 v[64:65], -v[92:93], v[166:167], v[64:65]
	v_fma_f64 v[66:67], -v[92:93], v[168:169], v[66:67]
	s_waitcnt lgkmcnt(5)
	v_fma_f64 v[62:63], -v[92:93], v[170:171], v[62:63]
	ds_read2_b64 v[150:153], v138 offset0:45 offset1:46
	ds_read2_b64 v[154:157], v138 offset0:47 offset1:48
	v_fma_f64 v[60:61], -v[92:93], v[172:173], v[60:61]
	s_waitcnt lgkmcnt(6)
	v_fma_f64 v[58:59], -v[92:93], v[174:175], v[58:59]
	ds_read2_b64 v[158:161], v138 offset0:49 offset1:50
	ds_read2_b64 v[162:165], v138 offset0:51 offset1:52
	v_fma_f64 v[56:57], -v[92:93], v[176:177], v[56:57]
	s_waitcnt lgkmcnt(7)
	v_fma_f64 v[54:55], -v[92:93], v[178:179], v[54:55]
	ds_read2_b64 v[166:169], v138 offset0:53 offset1:54
	ds_read2_b64 v[170:173], v138 offset0:55 offset1:56
	v_fma_f64 v[52:53], -v[92:93], v[180:181], v[52:53]
	s_waitcnt lgkmcnt(8)
	v_fma_f64 v[48:49], -v[92:93], v[182:183], v[48:49]
	ds_read2_b64 v[174:177], v138 offset0:57 offset1:58
	ds_read2_b64 v[178:181], v138 offset0:59 offset1:60
	v_fma_f64 v[50:51], -v[92:93], v[184:185], v[50:51]
	ds_read2_b64 v[182:185], v138 offset0:61 offset1:62
	s_waitcnt lgkmcnt(10)
	v_fma_f64 v[44:45], -v[92:93], v[142:143], v[44:45]
	v_fma_f64 v[46:47], -v[92:93], v[144:145], v[46:47]
	s_waitcnt lgkmcnt(9)
	v_fma_f64 v[42:43], -v[92:93], v[146:147], v[42:43]
	v_fma_f64 v[40:41], -v[92:93], v[148:149], v[40:41]
	;; [unrolled: 3-line block ×11, first 2 shown]
.LBB124_318:
	s_or_b32 exec_lo, exec_lo, s0
	v_lshl_add_u32 v0, v141, 3, v138
	s_barrier
	buffer_gl0_inv
	v_mov_b32_e32 v132, 19
	ds_write_b64 v0, v[88:89]
	s_waitcnt lgkmcnt(0)
	s_barrier
	buffer_gl0_inv
	ds_read_b64 v[0:1], v138 offset:152
	s_cmp_lt_i32 s7, 21
	s_cbranch_scc1 .LBB124_321
; %bb.319:
	v_add3_u32 v133, v139, 0, 0xa0
	v_mov_b32_e32 v132, 19
	s_mov_b32 s0, 20
.LBB124_320:                            ; =>This Inner Loop Header: Depth=1
	ds_read_b64 v[142:143], v133
	v_add_nc_u32_e32 v133, 8, v133
	s_waitcnt lgkmcnt(0)
	v_cmp_lt_f64_e64 vcc_lo, |v[0:1]|, |v[142:143]|
	v_cndmask_b32_e32 v1, v1, v143, vcc_lo
	v_cndmask_b32_e32 v0, v0, v142, vcc_lo
	v_cndmask_b32_e64 v132, v132, s0, vcc_lo
	s_add_i32 s0, s0, 1
	s_cmp_lg_u32 s7, s0
	s_cbranch_scc1 .LBB124_320
.LBB124_321:
	s_mov_b32 s0, exec_lo
	s_waitcnt lgkmcnt(0)
	v_cmpx_eq_f64_e32 0, v[0:1]
	s_xor_b32 s0, exec_lo, s0
; %bb.322:
	v_cmp_ne_u32_e32 vcc_lo, 0, v135
	v_cndmask_b32_e32 v135, 20, v135, vcc_lo
; %bb.323:
	s_andn2_saveexec_b32 s0, s0
	s_cbranch_execz .LBB124_325
; %bb.324:
	v_div_scale_f64 v[133:134], null, v[0:1], v[0:1], 1.0
	v_rcp_f64_e32 v[142:143], v[133:134]
	v_fma_f64 v[144:145], -v[133:134], v[142:143], 1.0
	v_fma_f64 v[142:143], v[142:143], v[144:145], v[142:143]
	v_fma_f64 v[144:145], -v[133:134], v[142:143], 1.0
	v_fma_f64 v[142:143], v[142:143], v[144:145], v[142:143]
	v_div_scale_f64 v[144:145], vcc_lo, 1.0, v[0:1], 1.0
	v_mul_f64 v[146:147], v[144:145], v[142:143]
	v_fma_f64 v[133:134], -v[133:134], v[146:147], v[144:145]
	v_div_fmas_f64 v[133:134], v[133:134], v[142:143], v[146:147]
	v_div_fixup_f64 v[0:1], v[133:134], v[0:1], 1.0
.LBB124_325:
	s_or_b32 exec_lo, exec_lo, s0
	s_mov_b32 s0, exec_lo
	v_cmpx_ne_u32_e64 v141, v132
	s_xor_b32 s0, exec_lo, s0
	s_cbranch_execz .LBB124_331
; %bb.326:
	s_mov_b32 s1, exec_lo
	v_cmpx_eq_u32_e32 19, v141
	s_cbranch_execz .LBB124_330
; %bb.327:
	v_cmp_ne_u32_e32 vcc_lo, 19, v132
	s_xor_b32 s2, s6, -1
	s_and_b32 s3, s2, vcc_lo
	s_and_saveexec_b32 s2, s3
	s_cbranch_execz .LBB124_329
; %bb.328:
	v_ashrrev_i32_e32 v133, 31, v132
	v_lshlrev_b64 v[133:134], 2, v[132:133]
	v_add_co_u32 v133, vcc_lo, v4, v133
	v_add_co_ci_u32_e64 v134, null, v5, v134, vcc_lo
	s_clause 0x1
	global_load_dword v140, v[133:134], off
	global_load_dword v141, v[4:5], off offset:76
	s_waitcnt vmcnt(1)
	global_store_dword v[4:5], v140, off offset:76
	s_waitcnt vmcnt(0)
	global_store_dword v[133:134], v141, off
.LBB124_329:
	s_or_b32 exec_lo, exec_lo, s2
	v_mov_b32_e32 v140, v132
	v_mov_b32_e32 v141, v132
.LBB124_330:
	s_or_b32 exec_lo, exec_lo, s1
.LBB124_331:
	s_andn2_saveexec_b32 s0, s0
	s_cbranch_execz .LBB124_333
; %bb.332:
	v_mov_b32_e32 v132, v90
	v_mov_b32_e32 v133, v91
	;; [unrolled: 1-line block ×8, first 2 shown]
	ds_write2_b64 v138, v[132:133], v[141:142] offset0:20 offset1:21
	ds_write2_b64 v138, v[143:144], v[145:146] offset0:22 offset1:23
	v_mov_b32_e32 v132, v80
	v_mov_b32_e32 v133, v81
	v_mov_b32_e32 v141, v78
	v_mov_b32_e32 v142, v79
	v_mov_b32_e32 v143, v76
	v_mov_b32_e32 v144, v77
	v_mov_b32_e32 v145, v74
	v_mov_b32_e32 v146, v75
	v_mov_b32_e32 v147, v72
	v_mov_b32_e32 v148, v73
	v_mov_b32_e32 v149, v68
	v_mov_b32_e32 v150, v69
	v_mov_b32_e32 v151, v70
	v_mov_b32_e32 v152, v71
	v_mov_b32_e32 v153, v64
	v_mov_b32_e32 v154, v65
	v_mov_b32_e32 v155, v66
	v_mov_b32_e32 v156, v67
	v_mov_b32_e32 v157, v62
	v_mov_b32_e32 v158, v63
	ds_write2_b64 v138, v[132:133], v[141:142] offset0:24 offset1:25
	ds_write2_b64 v138, v[143:144], v[145:146] offset0:26 offset1:27
	ds_write2_b64 v138, v[147:148], v[149:150] offset0:28 offset1:29
	ds_write2_b64 v138, v[151:152], v[153:154] offset0:30 offset1:31
	ds_write2_b64 v138, v[155:156], v[157:158] offset0:32 offset1:33
	v_mov_b32_e32 v132, v60
	v_mov_b32_e32 v133, v61
	v_mov_b32_e32 v141, v58
	v_mov_b32_e32 v142, v59
	v_mov_b32_e32 v143, v56
	v_mov_b32_e32 v144, v57
	v_mov_b32_e32 v145, v54
	v_mov_b32_e32 v146, v55
	v_mov_b32_e32 v147, v52
	v_mov_b32_e32 v148, v53
	v_mov_b32_e32 v149, v48
	v_mov_b32_e32 v150, v49
	v_mov_b32_e32 v151, v50
	v_mov_b32_e32 v152, v51
	v_mov_b32_e32 v153, v44
	v_mov_b32_e32 v154, v45
	v_mov_b32_e32 v155, v46
	v_mov_b32_e32 v156, v47
	v_mov_b32_e32 v157, v42
	v_mov_b32_e32 v158, v43
	ds_write2_b64 v138, v[132:133], v[141:142] offset0:34 offset1:35
	ds_write2_b64 v138, v[143:144], v[145:146] offset0:36 offset1:37
	ds_write2_b64 v138, v[147:148], v[149:150] offset0:38 offset1:39
	ds_write2_b64 v138, v[151:152], v[153:154] offset0:40 offset1:41
	ds_write2_b64 v138, v[155:156], v[157:158] offset0:42 offset1:43
	v_mov_b32_e32 v132, v40
	v_mov_b32_e32 v133, v41
	v_mov_b32_e32 v141, v38
	v_mov_b32_e32 v142, v39
	v_mov_b32_e32 v143, v36
	v_mov_b32_e32 v144, v37
	v_mov_b32_e32 v145, v34
	v_mov_b32_e32 v146, v35
	v_mov_b32_e32 v147, v32
	v_mov_b32_e32 v148, v33
	v_mov_b32_e32 v149, v28
	v_mov_b32_e32 v150, v29
	v_mov_b32_e32 v151, v30
	v_mov_b32_e32 v152, v31
	v_mov_b32_e32 v153, v24
	v_mov_b32_e32 v154, v25
	v_mov_b32_e32 v155, v26
	v_mov_b32_e32 v156, v27
	v_mov_b32_e32 v157, v22
	v_mov_b32_e32 v158, v23
	ds_write2_b64 v138, v[132:133], v[141:142] offset0:44 offset1:45
	ds_write2_b64 v138, v[143:144], v[145:146] offset0:46 offset1:47
	ds_write2_b64 v138, v[147:148], v[149:150] offset0:48 offset1:49
	ds_write2_b64 v138, v[151:152], v[153:154] offset0:50 offset1:51
	ds_write2_b64 v138, v[155:156], v[157:158] offset0:52 offset1:53
	v_mov_b32_e32 v132, v20
	v_mov_b32_e32 v133, v21
	;; [unrolled: 1-line block ×8, first 2 shown]
	ds_write2_b64 v138, v[132:133], v[141:142] offset0:54 offset1:55
	v_mov_b32_e32 v141, 19
	v_mov_b32_e32 v147, v12
	;; [unrolled: 1-line block ×9, first 2 shown]
	ds_write2_b64 v138, v[143:144], v[145:146] offset0:56 offset1:57
	ds_write2_b64 v138, v[147:148], v[149:150] offset0:58 offset1:59
	;; [unrolled: 1-line block ×3, first 2 shown]
	ds_write_b64 v138, v[130:131] offset:496
.LBB124_333:
	s_or_b32 exec_lo, exec_lo, s0
	s_mov_b32 s0, exec_lo
	s_waitcnt lgkmcnt(0)
	s_waitcnt_vscnt null, 0x0
	s_barrier
	buffer_gl0_inv
	v_cmpx_lt_i32_e32 19, v141
	s_cbranch_execz .LBB124_335
; %bb.334:
	v_mul_f64 v[88:89], v[0:1], v[88:89]
	ds_read2_b64 v[142:145], v138 offset0:20 offset1:21
	ds_read2_b64 v[146:149], v138 offset0:22 offset1:23
	;; [unrolled: 1-line block ×11, first 2 shown]
	ds_read_b64 v[0:1], v138 offset:496
	s_waitcnt lgkmcnt(11)
	v_fma_f64 v[90:91], -v[88:89], v[142:143], v[90:91]
	v_fma_f64 v[84:85], -v[88:89], v[144:145], v[84:85]
	s_waitcnt lgkmcnt(10)
	v_fma_f64 v[86:87], -v[88:89], v[146:147], v[86:87]
	v_fma_f64 v[82:83], -v[88:89], v[148:149], v[82:83]
	;; [unrolled: 3-line block ×6, first 2 shown]
	ds_read2_b64 v[142:145], v138 offset0:42 offset1:43
	ds_read2_b64 v[146:149], v138 offset0:44 offset1:45
	s_waitcnt lgkmcnt(7)
	v_fma_f64 v[66:67], -v[88:89], v[166:167], v[66:67]
	v_fma_f64 v[62:63], -v[88:89], v[168:169], v[62:63]
	s_waitcnt lgkmcnt(6)
	v_fma_f64 v[60:61], -v[88:89], v[170:171], v[60:61]
	ds_read2_b64 v[150:153], v138 offset0:46 offset1:47
	ds_read2_b64 v[154:157], v138 offset0:48 offset1:49
	v_fma_f64 v[58:59], -v[88:89], v[172:173], v[58:59]
	s_waitcnt lgkmcnt(7)
	v_fma_f64 v[56:57], -v[88:89], v[174:175], v[56:57]
	ds_read2_b64 v[158:161], v138 offset0:50 offset1:51
	ds_read2_b64 v[162:165], v138 offset0:52 offset1:53
	;; [unrolled: 5-line block ×3, first 2 shown]
	v_fma_f64 v[48:49], -v[88:89], v[180:181], v[48:49]
	ds_read2_b64 v[174:177], v138 offset0:58 offset1:59
	ds_read2_b64 v[178:181], v138 offset0:60 offset1:61
	s_waitcnt lgkmcnt(11)
	v_fma_f64 v[50:51], -v[88:89], v[182:183], v[50:51]
	v_fma_f64 v[44:45], -v[88:89], v[184:185], v[44:45]
	s_waitcnt lgkmcnt(9)
	v_fma_f64 v[46:47], -v[88:89], v[142:143], v[46:47]
	v_fma_f64 v[42:43], -v[88:89], v[144:145], v[42:43]
	;; [unrolled: 3-line block ×3, first 2 shown]
	v_fma_f64 v[130:131], -v[88:89], v[0:1], v[130:131]
	s_waitcnt lgkmcnt(7)
	v_fma_f64 v[36:37], -v[88:89], v[150:151], v[36:37]
	v_fma_f64 v[34:35], -v[88:89], v[152:153], v[34:35]
	s_waitcnt lgkmcnt(6)
	v_fma_f64 v[32:33], -v[88:89], v[154:155], v[32:33]
	;; [unrolled: 3-line block ×8, first 2 shown]
	v_fma_f64 v[6:7], -v[88:89], v[180:181], v[6:7]
.LBB124_335:
	s_or_b32 exec_lo, exec_lo, s0
	v_lshl_add_u32 v0, v141, 3, v138
	s_barrier
	buffer_gl0_inv
	v_mov_b32_e32 v132, 20
	ds_write_b64 v0, v[90:91]
	s_waitcnt lgkmcnt(0)
	s_barrier
	buffer_gl0_inv
	ds_read_b64 v[0:1], v138 offset:160
	s_cmp_lt_i32 s7, 22
	s_cbranch_scc1 .LBB124_338
; %bb.336:
	v_add3_u32 v133, v139, 0, 0xa8
	v_mov_b32_e32 v132, 20
	s_mov_b32 s0, 21
.LBB124_337:                            ; =>This Inner Loop Header: Depth=1
	ds_read_b64 v[142:143], v133
	v_add_nc_u32_e32 v133, 8, v133
	s_waitcnt lgkmcnt(0)
	v_cmp_lt_f64_e64 vcc_lo, |v[0:1]|, |v[142:143]|
	v_cndmask_b32_e32 v1, v1, v143, vcc_lo
	v_cndmask_b32_e32 v0, v0, v142, vcc_lo
	v_cndmask_b32_e64 v132, v132, s0, vcc_lo
	s_add_i32 s0, s0, 1
	s_cmp_lg_u32 s7, s0
	s_cbranch_scc1 .LBB124_337
.LBB124_338:
	s_mov_b32 s0, exec_lo
	s_waitcnt lgkmcnt(0)
	v_cmpx_eq_f64_e32 0, v[0:1]
	s_xor_b32 s0, exec_lo, s0
; %bb.339:
	v_cmp_ne_u32_e32 vcc_lo, 0, v135
	v_cndmask_b32_e32 v135, 21, v135, vcc_lo
; %bb.340:
	s_andn2_saveexec_b32 s0, s0
	s_cbranch_execz .LBB124_342
; %bb.341:
	v_div_scale_f64 v[133:134], null, v[0:1], v[0:1], 1.0
	v_rcp_f64_e32 v[142:143], v[133:134]
	v_fma_f64 v[144:145], -v[133:134], v[142:143], 1.0
	v_fma_f64 v[142:143], v[142:143], v[144:145], v[142:143]
	v_fma_f64 v[144:145], -v[133:134], v[142:143], 1.0
	v_fma_f64 v[142:143], v[142:143], v[144:145], v[142:143]
	v_div_scale_f64 v[144:145], vcc_lo, 1.0, v[0:1], 1.0
	v_mul_f64 v[146:147], v[144:145], v[142:143]
	v_fma_f64 v[133:134], -v[133:134], v[146:147], v[144:145]
	v_div_fmas_f64 v[133:134], v[133:134], v[142:143], v[146:147]
	v_div_fixup_f64 v[0:1], v[133:134], v[0:1], 1.0
.LBB124_342:
	s_or_b32 exec_lo, exec_lo, s0
	s_mov_b32 s0, exec_lo
	v_cmpx_ne_u32_e64 v141, v132
	s_xor_b32 s0, exec_lo, s0
	s_cbranch_execz .LBB124_348
; %bb.343:
	s_mov_b32 s1, exec_lo
	v_cmpx_eq_u32_e32 20, v141
	s_cbranch_execz .LBB124_347
; %bb.344:
	v_cmp_ne_u32_e32 vcc_lo, 20, v132
	s_xor_b32 s2, s6, -1
	s_and_b32 s3, s2, vcc_lo
	s_and_saveexec_b32 s2, s3
	s_cbranch_execz .LBB124_346
; %bb.345:
	v_ashrrev_i32_e32 v133, 31, v132
	v_lshlrev_b64 v[133:134], 2, v[132:133]
	v_add_co_u32 v133, vcc_lo, v4, v133
	v_add_co_ci_u32_e64 v134, null, v5, v134, vcc_lo
	s_clause 0x1
	global_load_dword v140, v[133:134], off
	global_load_dword v141, v[4:5], off offset:80
	s_waitcnt vmcnt(1)
	global_store_dword v[4:5], v140, off offset:80
	s_waitcnt vmcnt(0)
	global_store_dword v[133:134], v141, off
.LBB124_346:
	s_or_b32 exec_lo, exec_lo, s2
	v_mov_b32_e32 v140, v132
	v_mov_b32_e32 v141, v132
.LBB124_347:
	s_or_b32 exec_lo, exec_lo, s1
.LBB124_348:
	s_andn2_saveexec_b32 s0, s0
	s_cbranch_execz .LBB124_350
; %bb.349:
	v_mov_b32_e32 v141, 20
	ds_write2_b64 v138, v[84:85], v[86:87] offset0:21 offset1:22
	ds_write2_b64 v138, v[82:83], v[80:81] offset0:23 offset1:24
	;; [unrolled: 1-line block ×21, first 2 shown]
.LBB124_350:
	s_or_b32 exec_lo, exec_lo, s0
	s_mov_b32 s0, exec_lo
	s_waitcnt lgkmcnt(0)
	s_waitcnt_vscnt null, 0x0
	s_barrier
	buffer_gl0_inv
	v_cmpx_lt_i32_e32 20, v141
	s_cbranch_execz .LBB124_352
; %bb.351:
	v_mul_f64 v[90:91], v[0:1], v[90:91]
	ds_read2_b64 v[142:145], v138 offset0:21 offset1:22
	ds_read2_b64 v[146:149], v138 offset0:23 offset1:24
	;; [unrolled: 1-line block ×11, first 2 shown]
	s_waitcnt lgkmcnt(10)
	v_fma_f64 v[84:85], -v[90:91], v[142:143], v[84:85]
	v_fma_f64 v[86:87], -v[90:91], v[144:145], v[86:87]
	s_waitcnt lgkmcnt(9)
	v_fma_f64 v[82:83], -v[90:91], v[146:147], v[82:83]
	v_fma_f64 v[80:81], -v[90:91], v[148:149], v[80:81]
	;; [unrolled: 3-line block ×6, first 2 shown]
	ds_read2_b64 v[142:145], v138 offset0:43 offset1:44
	ds_read2_b64 v[146:149], v138 offset0:45 offset1:46
	s_waitcnt lgkmcnt(6)
	v_fma_f64 v[62:63], -v[90:91], v[166:167], v[62:63]
	v_fma_f64 v[60:61], -v[90:91], v[168:169], v[60:61]
	ds_read2_b64 v[150:153], v138 offset0:47 offset1:48
	ds_read2_b64 v[154:157], v138 offset0:49 offset1:50
	s_waitcnt lgkmcnt(7)
	v_fma_f64 v[58:59], -v[90:91], v[170:171], v[58:59]
	v_fma_f64 v[56:57], -v[90:91], v[172:173], v[56:57]
	;; [unrolled: 5-line block ×5, first 2 shown]
	s_waitcnt lgkmcnt(9)
	v_fma_f64 v[42:43], -v[90:91], v[142:143], v[42:43]
	v_fma_f64 v[40:41], -v[90:91], v[144:145], v[40:41]
	s_waitcnt lgkmcnt(8)
	v_fma_f64 v[38:39], -v[90:91], v[146:147], v[38:39]
	v_fma_f64 v[36:37], -v[90:91], v[148:149], v[36:37]
	;; [unrolled: 3-line block ×10, first 2 shown]
.LBB124_352:
	s_or_b32 exec_lo, exec_lo, s0
	v_lshl_add_u32 v0, v141, 3, v138
	s_barrier
	buffer_gl0_inv
	v_mov_b32_e32 v132, 21
	ds_write_b64 v0, v[84:85]
	s_waitcnt lgkmcnt(0)
	s_barrier
	buffer_gl0_inv
	ds_read_b64 v[0:1], v138 offset:168
	s_cmp_lt_i32 s7, 23
	s_cbranch_scc1 .LBB124_355
; %bb.353:
	v_add3_u32 v133, v139, 0, 0xb0
	v_mov_b32_e32 v132, 21
	s_mov_b32 s0, 22
.LBB124_354:                            ; =>This Inner Loop Header: Depth=1
	ds_read_b64 v[142:143], v133
	v_add_nc_u32_e32 v133, 8, v133
	s_waitcnt lgkmcnt(0)
	v_cmp_lt_f64_e64 vcc_lo, |v[0:1]|, |v[142:143]|
	v_cndmask_b32_e32 v1, v1, v143, vcc_lo
	v_cndmask_b32_e32 v0, v0, v142, vcc_lo
	v_cndmask_b32_e64 v132, v132, s0, vcc_lo
	s_add_i32 s0, s0, 1
	s_cmp_lg_u32 s7, s0
	s_cbranch_scc1 .LBB124_354
.LBB124_355:
	s_mov_b32 s0, exec_lo
	s_waitcnt lgkmcnt(0)
	v_cmpx_eq_f64_e32 0, v[0:1]
	s_xor_b32 s0, exec_lo, s0
; %bb.356:
	v_cmp_ne_u32_e32 vcc_lo, 0, v135
	v_cndmask_b32_e32 v135, 22, v135, vcc_lo
; %bb.357:
	s_andn2_saveexec_b32 s0, s0
	s_cbranch_execz .LBB124_359
; %bb.358:
	v_div_scale_f64 v[133:134], null, v[0:1], v[0:1], 1.0
	v_rcp_f64_e32 v[142:143], v[133:134]
	v_fma_f64 v[144:145], -v[133:134], v[142:143], 1.0
	v_fma_f64 v[142:143], v[142:143], v[144:145], v[142:143]
	v_fma_f64 v[144:145], -v[133:134], v[142:143], 1.0
	v_fma_f64 v[142:143], v[142:143], v[144:145], v[142:143]
	v_div_scale_f64 v[144:145], vcc_lo, 1.0, v[0:1], 1.0
	v_mul_f64 v[146:147], v[144:145], v[142:143]
	v_fma_f64 v[133:134], -v[133:134], v[146:147], v[144:145]
	v_div_fmas_f64 v[133:134], v[133:134], v[142:143], v[146:147]
	v_div_fixup_f64 v[0:1], v[133:134], v[0:1], 1.0
.LBB124_359:
	s_or_b32 exec_lo, exec_lo, s0
	s_mov_b32 s0, exec_lo
	v_cmpx_ne_u32_e64 v141, v132
	s_xor_b32 s0, exec_lo, s0
	s_cbranch_execz .LBB124_365
; %bb.360:
	s_mov_b32 s1, exec_lo
	v_cmpx_eq_u32_e32 21, v141
	s_cbranch_execz .LBB124_364
; %bb.361:
	v_cmp_ne_u32_e32 vcc_lo, 21, v132
	s_xor_b32 s2, s6, -1
	s_and_b32 s3, s2, vcc_lo
	s_and_saveexec_b32 s2, s3
	s_cbranch_execz .LBB124_363
; %bb.362:
	v_ashrrev_i32_e32 v133, 31, v132
	v_lshlrev_b64 v[133:134], 2, v[132:133]
	v_add_co_u32 v133, vcc_lo, v4, v133
	v_add_co_ci_u32_e64 v134, null, v5, v134, vcc_lo
	s_clause 0x1
	global_load_dword v140, v[133:134], off
	global_load_dword v141, v[4:5], off offset:84
	s_waitcnt vmcnt(1)
	global_store_dword v[4:5], v140, off offset:84
	s_waitcnt vmcnt(0)
	global_store_dword v[133:134], v141, off
.LBB124_363:
	s_or_b32 exec_lo, exec_lo, s2
	v_mov_b32_e32 v140, v132
	v_mov_b32_e32 v141, v132
.LBB124_364:
	s_or_b32 exec_lo, exec_lo, s1
.LBB124_365:
	s_andn2_saveexec_b32 s0, s0
	s_cbranch_execz .LBB124_367
; %bb.366:
	v_mov_b32_e32 v132, v86
	v_mov_b32_e32 v133, v87
	;; [unrolled: 1-line block ×8, first 2 shown]
	ds_write2_b64 v138, v[132:133], v[141:142] offset0:22 offset1:23
	v_mov_b32_e32 v132, v78
	v_mov_b32_e32 v133, v79
	v_mov_b32_e32 v141, v76
	v_mov_b32_e32 v142, v77
	v_mov_b32_e32 v147, v72
	v_mov_b32_e32 v148, v73
	v_mov_b32_e32 v149, v68
	v_mov_b32_e32 v150, v69
	v_mov_b32_e32 v151, v70
	v_mov_b32_e32 v152, v71
	v_mov_b32_e32 v153, v64
	v_mov_b32_e32 v154, v65
	v_mov_b32_e32 v155, v66
	v_mov_b32_e32 v156, v67
	v_mov_b32_e32 v157, v62
	v_mov_b32_e32 v158, v63
	ds_write2_b64 v138, v[143:144], v[132:133] offset0:24 offset1:25
	ds_write2_b64 v138, v[141:142], v[145:146] offset0:26 offset1:27
	ds_write2_b64 v138, v[147:148], v[149:150] offset0:28 offset1:29
	ds_write2_b64 v138, v[151:152], v[153:154] offset0:30 offset1:31
	ds_write2_b64 v138, v[155:156], v[157:158] offset0:32 offset1:33
	v_mov_b32_e32 v132, v60
	v_mov_b32_e32 v133, v61
	v_mov_b32_e32 v141, v58
	v_mov_b32_e32 v142, v59
	v_mov_b32_e32 v143, v56
	v_mov_b32_e32 v144, v57
	v_mov_b32_e32 v145, v54
	v_mov_b32_e32 v146, v55
	v_mov_b32_e32 v147, v52
	v_mov_b32_e32 v148, v53
	v_mov_b32_e32 v149, v48
	v_mov_b32_e32 v150, v49
	v_mov_b32_e32 v151, v50
	v_mov_b32_e32 v152, v51
	v_mov_b32_e32 v153, v44
	v_mov_b32_e32 v154, v45
	v_mov_b32_e32 v155, v46
	v_mov_b32_e32 v156, v47
	v_mov_b32_e32 v157, v42
	v_mov_b32_e32 v158, v43
	ds_write2_b64 v138, v[132:133], v[141:142] offset0:34 offset1:35
	ds_write2_b64 v138, v[143:144], v[145:146] offset0:36 offset1:37
	ds_write2_b64 v138, v[147:148], v[149:150] offset0:38 offset1:39
	ds_write2_b64 v138, v[151:152], v[153:154] offset0:40 offset1:41
	ds_write2_b64 v138, v[155:156], v[157:158] offset0:42 offset1:43
	v_mov_b32_e32 v132, v40
	v_mov_b32_e32 v133, v41
	v_mov_b32_e32 v141, v38
	v_mov_b32_e32 v142, v39
	;; [unrolled: 25-line block ×3, first 2 shown]
	v_mov_b32_e32 v143, v16
	v_mov_b32_e32 v144, v17
	;; [unrolled: 1-line block ×4, first 2 shown]
	ds_write2_b64 v138, v[132:133], v[141:142] offset0:54 offset1:55
	v_mov_b32_e32 v141, 21
	v_mov_b32_e32 v147, v12
	;; [unrolled: 1-line block ×9, first 2 shown]
	ds_write2_b64 v138, v[143:144], v[145:146] offset0:56 offset1:57
	ds_write2_b64 v138, v[147:148], v[149:150] offset0:58 offset1:59
	;; [unrolled: 1-line block ×3, first 2 shown]
	ds_write_b64 v138, v[130:131] offset:496
.LBB124_367:
	s_or_b32 exec_lo, exec_lo, s0
	s_mov_b32 s0, exec_lo
	s_waitcnt lgkmcnt(0)
	s_waitcnt_vscnt null, 0x0
	s_barrier
	buffer_gl0_inv
	v_cmpx_lt_i32_e32 21, v141
	s_cbranch_execz .LBB124_369
; %bb.368:
	v_mul_f64 v[84:85], v[0:1], v[84:85]
	ds_read2_b64 v[142:145], v138 offset0:22 offset1:23
	ds_read2_b64 v[146:149], v138 offset0:24 offset1:25
	;; [unrolled: 1-line block ×11, first 2 shown]
	ds_read_b64 v[0:1], v138 offset:496
	s_waitcnt lgkmcnt(11)
	v_fma_f64 v[86:87], -v[84:85], v[142:143], v[86:87]
	v_fma_f64 v[82:83], -v[84:85], v[144:145], v[82:83]
	s_waitcnt lgkmcnt(10)
	v_fma_f64 v[80:81], -v[84:85], v[146:147], v[80:81]
	v_fma_f64 v[78:79], -v[84:85], v[148:149], v[78:79]
	;; [unrolled: 3-line block ×6, first 2 shown]
	ds_read2_b64 v[142:145], v138 offset0:44 offset1:45
	ds_read2_b64 v[146:149], v138 offset0:46 offset1:47
	s_waitcnt lgkmcnt(7)
	v_fma_f64 v[60:61], -v[84:85], v[166:167], v[60:61]
	v_fma_f64 v[58:59], -v[84:85], v[168:169], v[58:59]
	ds_read2_b64 v[150:153], v138 offset0:48 offset1:49
	ds_read2_b64 v[154:157], v138 offset0:50 offset1:51
	s_waitcnt lgkmcnt(8)
	v_fma_f64 v[56:57], -v[84:85], v[170:171], v[56:57]
	v_fma_f64 v[54:55], -v[84:85], v[172:173], v[54:55]
	;; [unrolled: 5-line block ×3, first 2 shown]
	ds_read2_b64 v[166:169], v138 offset0:56 offset1:57
	ds_read2_b64 v[170:173], v138 offset0:58 offset1:59
	ds_read2_b64 v[174:177], v138 offset0:60 offset1:61
	s_waitcnt lgkmcnt(11)
	v_fma_f64 v[50:51], -v[84:85], v[178:179], v[50:51]
	v_fma_f64 v[44:45], -v[84:85], v[180:181], v[44:45]
	s_waitcnt lgkmcnt(10)
	v_fma_f64 v[46:47], -v[84:85], v[182:183], v[46:47]
	v_fma_f64 v[42:43], -v[84:85], v[184:185], v[42:43]
	s_waitcnt lgkmcnt(9)
	v_fma_f64 v[130:131], -v[84:85], v[0:1], v[130:131]
	s_waitcnt lgkmcnt(8)
	v_fma_f64 v[40:41], -v[84:85], v[142:143], v[40:41]
	v_fma_f64 v[38:39], -v[84:85], v[144:145], v[38:39]
	s_waitcnt lgkmcnt(7)
	v_fma_f64 v[36:37], -v[84:85], v[146:147], v[36:37]
	;; [unrolled: 3-line block ×9, first 2 shown]
	v_fma_f64 v[6:7], -v[84:85], v[176:177], v[6:7]
.LBB124_369:
	s_or_b32 exec_lo, exec_lo, s0
	v_lshl_add_u32 v0, v141, 3, v138
	s_barrier
	buffer_gl0_inv
	v_mov_b32_e32 v132, 22
	ds_write_b64 v0, v[86:87]
	s_waitcnt lgkmcnt(0)
	s_barrier
	buffer_gl0_inv
	ds_read_b64 v[0:1], v138 offset:176
	s_cmp_lt_i32 s7, 24
	s_cbranch_scc1 .LBB124_372
; %bb.370:
	v_add3_u32 v133, v139, 0, 0xb8
	v_mov_b32_e32 v132, 22
	s_mov_b32 s0, 23
.LBB124_371:                            ; =>This Inner Loop Header: Depth=1
	ds_read_b64 v[142:143], v133
	v_add_nc_u32_e32 v133, 8, v133
	s_waitcnt lgkmcnt(0)
	v_cmp_lt_f64_e64 vcc_lo, |v[0:1]|, |v[142:143]|
	v_cndmask_b32_e32 v1, v1, v143, vcc_lo
	v_cndmask_b32_e32 v0, v0, v142, vcc_lo
	v_cndmask_b32_e64 v132, v132, s0, vcc_lo
	s_add_i32 s0, s0, 1
	s_cmp_lg_u32 s7, s0
	s_cbranch_scc1 .LBB124_371
.LBB124_372:
	s_mov_b32 s0, exec_lo
	s_waitcnt lgkmcnt(0)
	v_cmpx_eq_f64_e32 0, v[0:1]
	s_xor_b32 s0, exec_lo, s0
; %bb.373:
	v_cmp_ne_u32_e32 vcc_lo, 0, v135
	v_cndmask_b32_e32 v135, 23, v135, vcc_lo
; %bb.374:
	s_andn2_saveexec_b32 s0, s0
	s_cbranch_execz .LBB124_376
; %bb.375:
	v_div_scale_f64 v[133:134], null, v[0:1], v[0:1], 1.0
	v_rcp_f64_e32 v[142:143], v[133:134]
	v_fma_f64 v[144:145], -v[133:134], v[142:143], 1.0
	v_fma_f64 v[142:143], v[142:143], v[144:145], v[142:143]
	v_fma_f64 v[144:145], -v[133:134], v[142:143], 1.0
	v_fma_f64 v[142:143], v[142:143], v[144:145], v[142:143]
	v_div_scale_f64 v[144:145], vcc_lo, 1.0, v[0:1], 1.0
	v_mul_f64 v[146:147], v[144:145], v[142:143]
	v_fma_f64 v[133:134], -v[133:134], v[146:147], v[144:145]
	v_div_fmas_f64 v[133:134], v[133:134], v[142:143], v[146:147]
	v_div_fixup_f64 v[0:1], v[133:134], v[0:1], 1.0
.LBB124_376:
	s_or_b32 exec_lo, exec_lo, s0
	s_mov_b32 s0, exec_lo
	v_cmpx_ne_u32_e64 v141, v132
	s_xor_b32 s0, exec_lo, s0
	s_cbranch_execz .LBB124_382
; %bb.377:
	s_mov_b32 s1, exec_lo
	v_cmpx_eq_u32_e32 22, v141
	s_cbranch_execz .LBB124_381
; %bb.378:
	v_cmp_ne_u32_e32 vcc_lo, 22, v132
	s_xor_b32 s2, s6, -1
	s_and_b32 s3, s2, vcc_lo
	s_and_saveexec_b32 s2, s3
	s_cbranch_execz .LBB124_380
; %bb.379:
	v_ashrrev_i32_e32 v133, 31, v132
	v_lshlrev_b64 v[133:134], 2, v[132:133]
	v_add_co_u32 v133, vcc_lo, v4, v133
	v_add_co_ci_u32_e64 v134, null, v5, v134, vcc_lo
	s_clause 0x1
	global_load_dword v140, v[133:134], off
	global_load_dword v141, v[4:5], off offset:88
	s_waitcnt vmcnt(1)
	global_store_dword v[4:5], v140, off offset:88
	s_waitcnt vmcnt(0)
	global_store_dword v[133:134], v141, off
.LBB124_380:
	s_or_b32 exec_lo, exec_lo, s2
	v_mov_b32_e32 v140, v132
	v_mov_b32_e32 v141, v132
.LBB124_381:
	s_or_b32 exec_lo, exec_lo, s1
.LBB124_382:
	s_andn2_saveexec_b32 s0, s0
	s_cbranch_execz .LBB124_384
; %bb.383:
	v_mov_b32_e32 v141, 22
	ds_write2_b64 v138, v[82:83], v[80:81] offset0:23 offset1:24
	ds_write2_b64 v138, v[78:79], v[76:77] offset0:25 offset1:26
	;; [unrolled: 1-line block ×20, first 2 shown]
.LBB124_384:
	s_or_b32 exec_lo, exec_lo, s0
	s_mov_b32 s0, exec_lo
	s_waitcnt lgkmcnt(0)
	s_waitcnt_vscnt null, 0x0
	s_barrier
	buffer_gl0_inv
	v_cmpx_lt_i32_e32 22, v141
	s_cbranch_execz .LBB124_386
; %bb.385:
	v_mul_f64 v[86:87], v[0:1], v[86:87]
	ds_read2_b64 v[142:145], v138 offset0:23 offset1:24
	ds_read2_b64 v[146:149], v138 offset0:25 offset1:26
	;; [unrolled: 1-line block ×11, first 2 shown]
	s_waitcnt lgkmcnt(10)
	v_fma_f64 v[82:83], -v[86:87], v[142:143], v[82:83]
	v_fma_f64 v[80:81], -v[86:87], v[144:145], v[80:81]
	s_waitcnt lgkmcnt(9)
	v_fma_f64 v[78:79], -v[86:87], v[146:147], v[78:79]
	v_fma_f64 v[76:77], -v[86:87], v[148:149], v[76:77]
	;; [unrolled: 3-line block ×5, first 2 shown]
	s_waitcnt lgkmcnt(5)
	v_fma_f64 v[62:63], -v[86:87], v[162:163], v[62:63]
	ds_read2_b64 v[142:145], v138 offset0:45 offset1:46
	ds_read2_b64 v[146:149], v138 offset0:47 offset1:48
	v_fma_f64 v[60:61], -v[86:87], v[164:165], v[60:61]
	s_waitcnt lgkmcnt(6)
	v_fma_f64 v[58:59], -v[86:87], v[166:167], v[58:59]
	ds_read2_b64 v[150:153], v138 offset0:49 offset1:50
	ds_read2_b64 v[154:157], v138 offset0:51 offset1:52
	v_fma_f64 v[56:57], -v[86:87], v[168:169], v[56:57]
	;; [unrolled: 5-line block ×4, first 2 shown]
	ds_read2_b64 v[174:177], v138 offset0:61 offset1:62
	s_waitcnt lgkmcnt(10)
	v_fma_f64 v[44:45], -v[86:87], v[178:179], v[44:45]
	v_fma_f64 v[46:47], -v[86:87], v[180:181], v[46:47]
	s_waitcnt lgkmcnt(9)
	v_fma_f64 v[42:43], -v[86:87], v[182:183], v[42:43]
	v_fma_f64 v[40:41], -v[86:87], v[184:185], v[40:41]
	;; [unrolled: 3-line block ×11, first 2 shown]
.LBB124_386:
	s_or_b32 exec_lo, exec_lo, s0
	v_lshl_add_u32 v0, v141, 3, v138
	s_barrier
	buffer_gl0_inv
	v_mov_b32_e32 v132, 23
	ds_write_b64 v0, v[82:83]
	s_waitcnt lgkmcnt(0)
	s_barrier
	buffer_gl0_inv
	ds_read_b64 v[0:1], v138 offset:184
	s_cmp_lt_i32 s7, 25
	s_cbranch_scc1 .LBB124_389
; %bb.387:
	v_add3_u32 v133, v139, 0, 0xc0
	v_mov_b32_e32 v132, 23
	s_mov_b32 s0, 24
.LBB124_388:                            ; =>This Inner Loop Header: Depth=1
	ds_read_b64 v[142:143], v133
	v_add_nc_u32_e32 v133, 8, v133
	s_waitcnt lgkmcnt(0)
	v_cmp_lt_f64_e64 vcc_lo, |v[0:1]|, |v[142:143]|
	v_cndmask_b32_e32 v1, v1, v143, vcc_lo
	v_cndmask_b32_e32 v0, v0, v142, vcc_lo
	v_cndmask_b32_e64 v132, v132, s0, vcc_lo
	s_add_i32 s0, s0, 1
	s_cmp_lg_u32 s7, s0
	s_cbranch_scc1 .LBB124_388
.LBB124_389:
	s_mov_b32 s0, exec_lo
	s_waitcnt lgkmcnt(0)
	v_cmpx_eq_f64_e32 0, v[0:1]
	s_xor_b32 s0, exec_lo, s0
; %bb.390:
	v_cmp_ne_u32_e32 vcc_lo, 0, v135
	v_cndmask_b32_e32 v135, 24, v135, vcc_lo
; %bb.391:
	s_andn2_saveexec_b32 s0, s0
	s_cbranch_execz .LBB124_393
; %bb.392:
	v_div_scale_f64 v[133:134], null, v[0:1], v[0:1], 1.0
	v_rcp_f64_e32 v[142:143], v[133:134]
	v_fma_f64 v[144:145], -v[133:134], v[142:143], 1.0
	v_fma_f64 v[142:143], v[142:143], v[144:145], v[142:143]
	v_fma_f64 v[144:145], -v[133:134], v[142:143], 1.0
	v_fma_f64 v[142:143], v[142:143], v[144:145], v[142:143]
	v_div_scale_f64 v[144:145], vcc_lo, 1.0, v[0:1], 1.0
	v_mul_f64 v[146:147], v[144:145], v[142:143]
	v_fma_f64 v[133:134], -v[133:134], v[146:147], v[144:145]
	v_div_fmas_f64 v[133:134], v[133:134], v[142:143], v[146:147]
	v_div_fixup_f64 v[0:1], v[133:134], v[0:1], 1.0
.LBB124_393:
	s_or_b32 exec_lo, exec_lo, s0
	s_mov_b32 s0, exec_lo
	v_cmpx_ne_u32_e64 v141, v132
	s_xor_b32 s0, exec_lo, s0
	s_cbranch_execz .LBB124_399
; %bb.394:
	s_mov_b32 s1, exec_lo
	v_cmpx_eq_u32_e32 23, v141
	s_cbranch_execz .LBB124_398
; %bb.395:
	v_cmp_ne_u32_e32 vcc_lo, 23, v132
	s_xor_b32 s2, s6, -1
	s_and_b32 s3, s2, vcc_lo
	s_and_saveexec_b32 s2, s3
	s_cbranch_execz .LBB124_397
; %bb.396:
	v_ashrrev_i32_e32 v133, 31, v132
	v_lshlrev_b64 v[133:134], 2, v[132:133]
	v_add_co_u32 v133, vcc_lo, v4, v133
	v_add_co_ci_u32_e64 v134, null, v5, v134, vcc_lo
	s_clause 0x1
	global_load_dword v140, v[133:134], off
	global_load_dword v141, v[4:5], off offset:92
	s_waitcnt vmcnt(1)
	global_store_dword v[4:5], v140, off offset:92
	s_waitcnt vmcnt(0)
	global_store_dword v[133:134], v141, off
.LBB124_397:
	s_or_b32 exec_lo, exec_lo, s2
	v_mov_b32_e32 v140, v132
	v_mov_b32_e32 v141, v132
.LBB124_398:
	s_or_b32 exec_lo, exec_lo, s1
.LBB124_399:
	s_andn2_saveexec_b32 s0, s0
	s_cbranch_execz .LBB124_401
; %bb.400:
	v_mov_b32_e32 v132, v80
	v_mov_b32_e32 v133, v81
	v_mov_b32_e32 v141, v78
	v_mov_b32_e32 v142, v79
	v_mov_b32_e32 v143, v76
	v_mov_b32_e32 v144, v77
	v_mov_b32_e32 v145, v74
	v_mov_b32_e32 v146, v75
	v_mov_b32_e32 v147, v72
	v_mov_b32_e32 v148, v73
	v_mov_b32_e32 v149, v68
	v_mov_b32_e32 v150, v69
	v_mov_b32_e32 v151, v70
	v_mov_b32_e32 v152, v71
	v_mov_b32_e32 v153, v64
	v_mov_b32_e32 v154, v65
	v_mov_b32_e32 v155, v66
	v_mov_b32_e32 v156, v67
	v_mov_b32_e32 v157, v62
	v_mov_b32_e32 v158, v63
	ds_write2_b64 v138, v[132:133], v[141:142] offset0:24 offset1:25
	ds_write2_b64 v138, v[143:144], v[145:146] offset0:26 offset1:27
	ds_write2_b64 v138, v[147:148], v[149:150] offset0:28 offset1:29
	ds_write2_b64 v138, v[151:152], v[153:154] offset0:30 offset1:31
	ds_write2_b64 v138, v[155:156], v[157:158] offset0:32 offset1:33
	v_mov_b32_e32 v132, v60
	v_mov_b32_e32 v133, v61
	v_mov_b32_e32 v141, v58
	v_mov_b32_e32 v142, v59
	v_mov_b32_e32 v143, v56
	v_mov_b32_e32 v144, v57
	v_mov_b32_e32 v145, v54
	v_mov_b32_e32 v146, v55
	v_mov_b32_e32 v147, v52
	v_mov_b32_e32 v148, v53
	v_mov_b32_e32 v149, v48
	v_mov_b32_e32 v150, v49
	v_mov_b32_e32 v151, v50
	v_mov_b32_e32 v152, v51
	v_mov_b32_e32 v153, v44
	v_mov_b32_e32 v154, v45
	v_mov_b32_e32 v155, v46
	v_mov_b32_e32 v156, v47
	v_mov_b32_e32 v157, v42
	v_mov_b32_e32 v158, v43
	ds_write2_b64 v138, v[132:133], v[141:142] offset0:34 offset1:35
	ds_write2_b64 v138, v[143:144], v[145:146] offset0:36 offset1:37
	ds_write2_b64 v138, v[147:148], v[149:150] offset0:38 offset1:39
	ds_write2_b64 v138, v[151:152], v[153:154] offset0:40 offset1:41
	ds_write2_b64 v138, v[155:156], v[157:158] offset0:42 offset1:43
	;; [unrolled: 25-line block ×3, first 2 shown]
	v_mov_b32_e32 v132, v20
	v_mov_b32_e32 v133, v21
	v_mov_b32_e32 v141, v18
	v_mov_b32_e32 v142, v19
	v_mov_b32_e32 v143, v16
	v_mov_b32_e32 v144, v17
	v_mov_b32_e32 v145, v14
	v_mov_b32_e32 v146, v15
	ds_write2_b64 v138, v[132:133], v[141:142] offset0:54 offset1:55
	v_mov_b32_e32 v141, 23
	v_mov_b32_e32 v147, v12
	;; [unrolled: 1-line block ×9, first 2 shown]
	ds_write2_b64 v138, v[143:144], v[145:146] offset0:56 offset1:57
	ds_write2_b64 v138, v[147:148], v[149:150] offset0:58 offset1:59
	;; [unrolled: 1-line block ×3, first 2 shown]
	ds_write_b64 v138, v[130:131] offset:496
.LBB124_401:
	s_or_b32 exec_lo, exec_lo, s0
	s_mov_b32 s0, exec_lo
	s_waitcnt lgkmcnt(0)
	s_waitcnt_vscnt null, 0x0
	s_barrier
	buffer_gl0_inv
	v_cmpx_lt_i32_e32 23, v141
	s_cbranch_execz .LBB124_403
; %bb.402:
	v_mul_f64 v[82:83], v[0:1], v[82:83]
	ds_read2_b64 v[142:145], v138 offset0:24 offset1:25
	ds_read2_b64 v[146:149], v138 offset0:26 offset1:27
	;; [unrolled: 1-line block ×11, first 2 shown]
	ds_read_b64 v[0:1], v138 offset:496
	s_waitcnt lgkmcnt(11)
	v_fma_f64 v[80:81], -v[82:83], v[142:143], v[80:81]
	v_fma_f64 v[78:79], -v[82:83], v[144:145], v[78:79]
	s_waitcnt lgkmcnt(10)
	v_fma_f64 v[76:77], -v[82:83], v[146:147], v[76:77]
	v_fma_f64 v[74:75], -v[82:83], v[148:149], v[74:75]
	;; [unrolled: 3-line block ×5, first 2 shown]
	s_waitcnt lgkmcnt(6)
	v_fma_f64 v[60:61], -v[82:83], v[162:163], v[60:61]
	ds_read2_b64 v[142:145], v138 offset0:46 offset1:47
	ds_read2_b64 v[146:149], v138 offset0:48 offset1:49
	v_fma_f64 v[58:59], -v[82:83], v[164:165], v[58:59]
	s_waitcnt lgkmcnt(7)
	v_fma_f64 v[56:57], -v[82:83], v[166:167], v[56:57]
	ds_read2_b64 v[150:153], v138 offset0:50 offset1:51
	ds_read2_b64 v[154:157], v138 offset0:52 offset1:53
	v_fma_f64 v[54:55], -v[82:83], v[168:169], v[54:55]
	s_waitcnt lgkmcnt(8)
	v_fma_f64 v[52:53], -v[82:83], v[170:171], v[52:53]
	ds_read2_b64 v[158:161], v138 offset0:54 offset1:55
	ds_read2_b64 v[162:165], v138 offset0:56 offset1:57
	v_fma_f64 v[48:49], -v[82:83], v[172:173], v[48:49]
	ds_read2_b64 v[166:169], v138 offset0:58 offset1:59
	ds_read2_b64 v[170:173], v138 offset0:60 offset1:61
	s_waitcnt lgkmcnt(11)
	v_fma_f64 v[50:51], -v[82:83], v[174:175], v[50:51]
	v_fma_f64 v[44:45], -v[82:83], v[176:177], v[44:45]
	s_waitcnt lgkmcnt(10)
	v_fma_f64 v[46:47], -v[82:83], v[178:179], v[46:47]
	v_fma_f64 v[42:43], -v[82:83], v[180:181], v[42:43]
	;; [unrolled: 3-line block ×3, first 2 shown]
	s_waitcnt lgkmcnt(8)
	v_fma_f64 v[130:131], -v[82:83], v[0:1], v[130:131]
	s_waitcnt lgkmcnt(7)
	v_fma_f64 v[36:37], -v[82:83], v[142:143], v[36:37]
	v_fma_f64 v[34:35], -v[82:83], v[144:145], v[34:35]
	s_waitcnt lgkmcnt(6)
	v_fma_f64 v[32:33], -v[82:83], v[146:147], v[32:33]
	;; [unrolled: 3-line block ×8, first 2 shown]
	v_fma_f64 v[6:7], -v[82:83], v[172:173], v[6:7]
.LBB124_403:
	s_or_b32 exec_lo, exec_lo, s0
	v_lshl_add_u32 v0, v141, 3, v138
	s_barrier
	buffer_gl0_inv
	v_mov_b32_e32 v132, 24
	ds_write_b64 v0, v[80:81]
	s_waitcnt lgkmcnt(0)
	s_barrier
	buffer_gl0_inv
	ds_read_b64 v[0:1], v138 offset:192
	s_cmp_lt_i32 s7, 26
	s_cbranch_scc1 .LBB124_406
; %bb.404:
	v_add3_u32 v133, v139, 0, 0xc8
	v_mov_b32_e32 v132, 24
	s_mov_b32 s0, 25
.LBB124_405:                            ; =>This Inner Loop Header: Depth=1
	ds_read_b64 v[142:143], v133
	v_add_nc_u32_e32 v133, 8, v133
	s_waitcnt lgkmcnt(0)
	v_cmp_lt_f64_e64 vcc_lo, |v[0:1]|, |v[142:143]|
	v_cndmask_b32_e32 v1, v1, v143, vcc_lo
	v_cndmask_b32_e32 v0, v0, v142, vcc_lo
	v_cndmask_b32_e64 v132, v132, s0, vcc_lo
	s_add_i32 s0, s0, 1
	s_cmp_lg_u32 s7, s0
	s_cbranch_scc1 .LBB124_405
.LBB124_406:
	s_mov_b32 s0, exec_lo
	s_waitcnt lgkmcnt(0)
	v_cmpx_eq_f64_e32 0, v[0:1]
	s_xor_b32 s0, exec_lo, s0
; %bb.407:
	v_cmp_ne_u32_e32 vcc_lo, 0, v135
	v_cndmask_b32_e32 v135, 25, v135, vcc_lo
; %bb.408:
	s_andn2_saveexec_b32 s0, s0
	s_cbranch_execz .LBB124_410
; %bb.409:
	v_div_scale_f64 v[133:134], null, v[0:1], v[0:1], 1.0
	v_rcp_f64_e32 v[142:143], v[133:134]
	v_fma_f64 v[144:145], -v[133:134], v[142:143], 1.0
	v_fma_f64 v[142:143], v[142:143], v[144:145], v[142:143]
	v_fma_f64 v[144:145], -v[133:134], v[142:143], 1.0
	v_fma_f64 v[142:143], v[142:143], v[144:145], v[142:143]
	v_div_scale_f64 v[144:145], vcc_lo, 1.0, v[0:1], 1.0
	v_mul_f64 v[146:147], v[144:145], v[142:143]
	v_fma_f64 v[133:134], -v[133:134], v[146:147], v[144:145]
	v_div_fmas_f64 v[133:134], v[133:134], v[142:143], v[146:147]
	v_div_fixup_f64 v[0:1], v[133:134], v[0:1], 1.0
.LBB124_410:
	s_or_b32 exec_lo, exec_lo, s0
	s_mov_b32 s0, exec_lo
	v_cmpx_ne_u32_e64 v141, v132
	s_xor_b32 s0, exec_lo, s0
	s_cbranch_execz .LBB124_416
; %bb.411:
	s_mov_b32 s1, exec_lo
	v_cmpx_eq_u32_e32 24, v141
	s_cbranch_execz .LBB124_415
; %bb.412:
	v_cmp_ne_u32_e32 vcc_lo, 24, v132
	s_xor_b32 s2, s6, -1
	s_and_b32 s3, s2, vcc_lo
	s_and_saveexec_b32 s2, s3
	s_cbranch_execz .LBB124_414
; %bb.413:
	v_ashrrev_i32_e32 v133, 31, v132
	v_lshlrev_b64 v[133:134], 2, v[132:133]
	v_add_co_u32 v133, vcc_lo, v4, v133
	v_add_co_ci_u32_e64 v134, null, v5, v134, vcc_lo
	s_clause 0x1
	global_load_dword v140, v[133:134], off
	global_load_dword v141, v[4:5], off offset:96
	s_waitcnt vmcnt(1)
	global_store_dword v[4:5], v140, off offset:96
	s_waitcnt vmcnt(0)
	global_store_dword v[133:134], v141, off
.LBB124_414:
	s_or_b32 exec_lo, exec_lo, s2
	v_mov_b32_e32 v140, v132
	v_mov_b32_e32 v141, v132
.LBB124_415:
	s_or_b32 exec_lo, exec_lo, s1
.LBB124_416:
	s_andn2_saveexec_b32 s0, s0
	s_cbranch_execz .LBB124_418
; %bb.417:
	v_mov_b32_e32 v141, 24
	ds_write2_b64 v138, v[78:79], v[76:77] offset0:25 offset1:26
	ds_write2_b64 v138, v[74:75], v[72:73] offset0:27 offset1:28
	ds_write2_b64 v138, v[68:69], v[70:71] offset0:29 offset1:30
	ds_write2_b64 v138, v[64:65], v[66:67] offset0:31 offset1:32
	ds_write2_b64 v138, v[62:63], v[60:61] offset0:33 offset1:34
	ds_write2_b64 v138, v[58:59], v[56:57] offset0:35 offset1:36
	ds_write2_b64 v138, v[54:55], v[52:53] offset0:37 offset1:38
	ds_write2_b64 v138, v[48:49], v[50:51] offset0:39 offset1:40
	ds_write2_b64 v138, v[44:45], v[46:47] offset0:41 offset1:42
	ds_write2_b64 v138, v[42:43], v[40:41] offset0:43 offset1:44
	ds_write2_b64 v138, v[38:39], v[36:37] offset0:45 offset1:46
	ds_write2_b64 v138, v[34:35], v[32:33] offset0:47 offset1:48
	ds_write2_b64 v138, v[28:29], v[30:31] offset0:49 offset1:50
	ds_write2_b64 v138, v[24:25], v[26:27] offset0:51 offset1:52
	ds_write2_b64 v138, v[22:23], v[20:21] offset0:53 offset1:54
	ds_write2_b64 v138, v[18:19], v[16:17] offset0:55 offset1:56
	ds_write2_b64 v138, v[14:15], v[12:13] offset0:57 offset1:58
	ds_write2_b64 v138, v[8:9], v[10:11] offset0:59 offset1:60
	ds_write2_b64 v138, v[6:7], v[130:131] offset0:61 offset1:62
.LBB124_418:
	s_or_b32 exec_lo, exec_lo, s0
	s_mov_b32 s0, exec_lo
	s_waitcnt lgkmcnt(0)
	s_waitcnt_vscnt null, 0x0
	s_barrier
	buffer_gl0_inv
	v_cmpx_lt_i32_e32 24, v141
	s_cbranch_execz .LBB124_420
; %bb.419:
	v_mul_f64 v[80:81], v[0:1], v[80:81]
	ds_read2_b64 v[142:145], v138 offset0:25 offset1:26
	ds_read2_b64 v[146:149], v138 offset0:27 offset1:28
	;; [unrolled: 1-line block ×12, first 2 shown]
	s_waitcnt lgkmcnt(11)
	v_fma_f64 v[78:79], -v[80:81], v[142:143], v[78:79]
	v_fma_f64 v[76:77], -v[80:81], v[144:145], v[76:77]
	s_waitcnt lgkmcnt(10)
	v_fma_f64 v[74:75], -v[80:81], v[146:147], v[74:75]
	v_fma_f64 v[72:73], -v[80:81], v[148:149], v[72:73]
	;; [unrolled: 3-line block ×5, first 2 shown]
	s_waitcnt lgkmcnt(6)
	v_fma_f64 v[58:59], -v[80:81], v[162:163], v[58:59]
	ds_read2_b64 v[142:145], v138 offset0:49 offset1:50
	ds_read2_b64 v[146:149], v138 offset0:51 offset1:52
	v_fma_f64 v[56:57], -v[80:81], v[164:165], v[56:57]
	s_waitcnt lgkmcnt(7)
	v_fma_f64 v[54:55], -v[80:81], v[166:167], v[54:55]
	ds_read2_b64 v[150:153], v138 offset0:53 offset1:54
	ds_read2_b64 v[154:157], v138 offset0:55 offset1:56
	v_fma_f64 v[52:53], -v[80:81], v[168:169], v[52:53]
	ds_read2_b64 v[158:161], v138 offset0:57 offset1:58
	ds_read2_b64 v[162:165], v138 offset0:59 offset1:60
	;; [unrolled: 1-line block ×3, first 2 shown]
	s_waitcnt lgkmcnt(11)
	v_fma_f64 v[48:49], -v[80:81], v[170:171], v[48:49]
	v_fma_f64 v[50:51], -v[80:81], v[172:173], v[50:51]
	s_waitcnt lgkmcnt(10)
	v_fma_f64 v[44:45], -v[80:81], v[174:175], v[44:45]
	v_fma_f64 v[46:47], -v[80:81], v[176:177], v[46:47]
	;; [unrolled: 3-line block ×12, first 2 shown]
.LBB124_420:
	s_or_b32 exec_lo, exec_lo, s0
	v_lshl_add_u32 v0, v141, 3, v138
	s_barrier
	buffer_gl0_inv
	v_mov_b32_e32 v132, 25
	ds_write_b64 v0, v[78:79]
	s_waitcnt lgkmcnt(0)
	s_barrier
	buffer_gl0_inv
	ds_read_b64 v[0:1], v138 offset:200
	s_cmp_lt_i32 s7, 27
	s_cbranch_scc1 .LBB124_423
; %bb.421:
	v_add3_u32 v133, v139, 0, 0xd0
	v_mov_b32_e32 v132, 25
	s_mov_b32 s0, 26
.LBB124_422:                            ; =>This Inner Loop Header: Depth=1
	ds_read_b64 v[142:143], v133
	v_add_nc_u32_e32 v133, 8, v133
	s_waitcnt lgkmcnt(0)
	v_cmp_lt_f64_e64 vcc_lo, |v[0:1]|, |v[142:143]|
	v_cndmask_b32_e32 v1, v1, v143, vcc_lo
	v_cndmask_b32_e32 v0, v0, v142, vcc_lo
	v_cndmask_b32_e64 v132, v132, s0, vcc_lo
	s_add_i32 s0, s0, 1
	s_cmp_lg_u32 s7, s0
	s_cbranch_scc1 .LBB124_422
.LBB124_423:
	s_mov_b32 s0, exec_lo
	s_waitcnt lgkmcnt(0)
	v_cmpx_eq_f64_e32 0, v[0:1]
	s_xor_b32 s0, exec_lo, s0
; %bb.424:
	v_cmp_ne_u32_e32 vcc_lo, 0, v135
	v_cndmask_b32_e32 v135, 26, v135, vcc_lo
; %bb.425:
	s_andn2_saveexec_b32 s0, s0
	s_cbranch_execz .LBB124_427
; %bb.426:
	v_div_scale_f64 v[133:134], null, v[0:1], v[0:1], 1.0
	v_rcp_f64_e32 v[142:143], v[133:134]
	v_fma_f64 v[144:145], -v[133:134], v[142:143], 1.0
	v_fma_f64 v[142:143], v[142:143], v[144:145], v[142:143]
	v_fma_f64 v[144:145], -v[133:134], v[142:143], 1.0
	v_fma_f64 v[142:143], v[142:143], v[144:145], v[142:143]
	v_div_scale_f64 v[144:145], vcc_lo, 1.0, v[0:1], 1.0
	v_mul_f64 v[146:147], v[144:145], v[142:143]
	v_fma_f64 v[133:134], -v[133:134], v[146:147], v[144:145]
	v_div_fmas_f64 v[133:134], v[133:134], v[142:143], v[146:147]
	v_div_fixup_f64 v[0:1], v[133:134], v[0:1], 1.0
.LBB124_427:
	s_or_b32 exec_lo, exec_lo, s0
	s_mov_b32 s0, exec_lo
	v_cmpx_ne_u32_e64 v141, v132
	s_xor_b32 s0, exec_lo, s0
	s_cbranch_execz .LBB124_433
; %bb.428:
	s_mov_b32 s1, exec_lo
	v_cmpx_eq_u32_e32 25, v141
	s_cbranch_execz .LBB124_432
; %bb.429:
	v_cmp_ne_u32_e32 vcc_lo, 25, v132
	s_xor_b32 s2, s6, -1
	s_and_b32 s3, s2, vcc_lo
	s_and_saveexec_b32 s2, s3
	s_cbranch_execz .LBB124_431
; %bb.430:
	v_ashrrev_i32_e32 v133, 31, v132
	v_lshlrev_b64 v[133:134], 2, v[132:133]
	v_add_co_u32 v133, vcc_lo, v4, v133
	v_add_co_ci_u32_e64 v134, null, v5, v134, vcc_lo
	s_clause 0x1
	global_load_dword v140, v[133:134], off
	global_load_dword v141, v[4:5], off offset:100
	s_waitcnt vmcnt(1)
	global_store_dword v[4:5], v140, off offset:100
	s_waitcnt vmcnt(0)
	global_store_dword v[133:134], v141, off
.LBB124_431:
	s_or_b32 exec_lo, exec_lo, s2
	v_mov_b32_e32 v140, v132
	v_mov_b32_e32 v141, v132
.LBB124_432:
	s_or_b32 exec_lo, exec_lo, s1
.LBB124_433:
	s_andn2_saveexec_b32 s0, s0
	s_cbranch_execz .LBB124_435
; %bb.434:
	v_mov_b32_e32 v132, v76
	v_mov_b32_e32 v133, v77
	;; [unrolled: 1-line block ×16, first 2 shown]
	ds_write2_b64 v138, v[132:133], v[141:142] offset0:26 offset1:27
	ds_write2_b64 v138, v[143:144], v[145:146] offset0:28 offset1:29
	;; [unrolled: 1-line block ×4, first 2 shown]
	v_mov_b32_e32 v132, v60
	v_mov_b32_e32 v133, v61
	;; [unrolled: 1-line block ×20, first 2 shown]
	ds_write2_b64 v138, v[132:133], v[141:142] offset0:34 offset1:35
	ds_write2_b64 v138, v[143:144], v[145:146] offset0:36 offset1:37
	;; [unrolled: 1-line block ×5, first 2 shown]
	v_mov_b32_e32 v132, v40
	v_mov_b32_e32 v133, v41
	;; [unrolled: 1-line block ×20, first 2 shown]
	ds_write2_b64 v138, v[132:133], v[141:142] offset0:44 offset1:45
	ds_write2_b64 v138, v[143:144], v[145:146] offset0:46 offset1:47
	ds_write2_b64 v138, v[147:148], v[149:150] offset0:48 offset1:49
	ds_write2_b64 v138, v[151:152], v[153:154] offset0:50 offset1:51
	ds_write2_b64 v138, v[155:156], v[157:158] offset0:52 offset1:53
	v_mov_b32_e32 v132, v20
	v_mov_b32_e32 v133, v21
	;; [unrolled: 1-line block ×8, first 2 shown]
	ds_write2_b64 v138, v[132:133], v[141:142] offset0:54 offset1:55
	v_mov_b32_e32 v141, 25
	v_mov_b32_e32 v147, v12
	;; [unrolled: 1-line block ×9, first 2 shown]
	ds_write2_b64 v138, v[143:144], v[145:146] offset0:56 offset1:57
	ds_write2_b64 v138, v[147:148], v[149:150] offset0:58 offset1:59
	;; [unrolled: 1-line block ×3, first 2 shown]
	ds_write_b64 v138, v[130:131] offset:496
.LBB124_435:
	s_or_b32 exec_lo, exec_lo, s0
	s_mov_b32 s0, exec_lo
	s_waitcnt lgkmcnt(0)
	s_waitcnt_vscnt null, 0x0
	s_barrier
	buffer_gl0_inv
	v_cmpx_lt_i32_e32 25, v141
	s_cbranch_execz .LBB124_437
; %bb.436:
	v_mul_f64 v[78:79], v[0:1], v[78:79]
	ds_read2_b64 v[142:145], v138 offset0:26 offset1:27
	ds_read2_b64 v[146:149], v138 offset0:28 offset1:29
	;; [unrolled: 1-line block ×12, first 2 shown]
	ds_read_b64 v[0:1], v138 offset:496
	s_waitcnt lgkmcnt(12)
	v_fma_f64 v[76:77], -v[78:79], v[142:143], v[76:77]
	v_fma_f64 v[74:75], -v[78:79], v[144:145], v[74:75]
	s_waitcnt lgkmcnt(11)
	v_fma_f64 v[72:73], -v[78:79], v[146:147], v[72:73]
	v_fma_f64 v[68:69], -v[78:79], v[148:149], v[68:69]
	;; [unrolled: 3-line block ×5, first 2 shown]
	s_waitcnt lgkmcnt(7)
	v_fma_f64 v[56:57], -v[78:79], v[162:163], v[56:57]
	ds_read2_b64 v[142:145], v138 offset0:50 offset1:51
	ds_read2_b64 v[146:149], v138 offset0:52 offset1:53
	v_fma_f64 v[54:55], -v[78:79], v[164:165], v[54:55]
	ds_read2_b64 v[150:153], v138 offset0:54 offset1:55
	ds_read2_b64 v[154:157], v138 offset0:56 offset1:57
	;; [unrolled: 1-line block ×4, first 2 shown]
	s_waitcnt lgkmcnt(12)
	v_fma_f64 v[52:53], -v[78:79], v[166:167], v[52:53]
	v_fma_f64 v[48:49], -v[78:79], v[168:169], v[48:49]
	s_waitcnt lgkmcnt(11)
	v_fma_f64 v[50:51], -v[78:79], v[170:171], v[50:51]
	v_fma_f64 v[44:45], -v[78:79], v[172:173], v[44:45]
	;; [unrolled: 3-line block ×6, first 2 shown]
	s_waitcnt lgkmcnt(6)
	v_fma_f64 v[130:131], -v[78:79], v[0:1], v[130:131]
	s_waitcnt lgkmcnt(5)
	v_fma_f64 v[30:31], -v[78:79], v[142:143], v[30:31]
	v_fma_f64 v[24:25], -v[78:79], v[144:145], v[24:25]
	s_waitcnt lgkmcnt(4)
	v_fma_f64 v[26:27], -v[78:79], v[146:147], v[26:27]
	;; [unrolled: 3-line block ×6, first 2 shown]
	v_fma_f64 v[6:7], -v[78:79], v[164:165], v[6:7]
.LBB124_437:
	s_or_b32 exec_lo, exec_lo, s0
	v_lshl_add_u32 v0, v141, 3, v138
	s_barrier
	buffer_gl0_inv
	v_mov_b32_e32 v132, 26
	ds_write_b64 v0, v[76:77]
	s_waitcnt lgkmcnt(0)
	s_barrier
	buffer_gl0_inv
	ds_read_b64 v[0:1], v138 offset:208
	s_cmp_lt_i32 s7, 28
	s_cbranch_scc1 .LBB124_440
; %bb.438:
	v_add3_u32 v133, v139, 0, 0xd8
	v_mov_b32_e32 v132, 26
	s_mov_b32 s0, 27
.LBB124_439:                            ; =>This Inner Loop Header: Depth=1
	ds_read_b64 v[142:143], v133
	v_add_nc_u32_e32 v133, 8, v133
	s_waitcnt lgkmcnt(0)
	v_cmp_lt_f64_e64 vcc_lo, |v[0:1]|, |v[142:143]|
	v_cndmask_b32_e32 v1, v1, v143, vcc_lo
	v_cndmask_b32_e32 v0, v0, v142, vcc_lo
	v_cndmask_b32_e64 v132, v132, s0, vcc_lo
	s_add_i32 s0, s0, 1
	s_cmp_lg_u32 s7, s0
	s_cbranch_scc1 .LBB124_439
.LBB124_440:
	s_mov_b32 s0, exec_lo
	s_waitcnt lgkmcnt(0)
	v_cmpx_eq_f64_e32 0, v[0:1]
	s_xor_b32 s0, exec_lo, s0
; %bb.441:
	v_cmp_ne_u32_e32 vcc_lo, 0, v135
	v_cndmask_b32_e32 v135, 27, v135, vcc_lo
; %bb.442:
	s_andn2_saveexec_b32 s0, s0
	s_cbranch_execz .LBB124_444
; %bb.443:
	v_div_scale_f64 v[133:134], null, v[0:1], v[0:1], 1.0
	v_rcp_f64_e32 v[142:143], v[133:134]
	v_fma_f64 v[144:145], -v[133:134], v[142:143], 1.0
	v_fma_f64 v[142:143], v[142:143], v[144:145], v[142:143]
	v_fma_f64 v[144:145], -v[133:134], v[142:143], 1.0
	v_fma_f64 v[142:143], v[142:143], v[144:145], v[142:143]
	v_div_scale_f64 v[144:145], vcc_lo, 1.0, v[0:1], 1.0
	v_mul_f64 v[146:147], v[144:145], v[142:143]
	v_fma_f64 v[133:134], -v[133:134], v[146:147], v[144:145]
	v_div_fmas_f64 v[133:134], v[133:134], v[142:143], v[146:147]
	v_div_fixup_f64 v[0:1], v[133:134], v[0:1], 1.0
.LBB124_444:
	s_or_b32 exec_lo, exec_lo, s0
	s_mov_b32 s0, exec_lo
	v_cmpx_ne_u32_e64 v141, v132
	s_xor_b32 s0, exec_lo, s0
	s_cbranch_execz .LBB124_450
; %bb.445:
	s_mov_b32 s1, exec_lo
	v_cmpx_eq_u32_e32 26, v141
	s_cbranch_execz .LBB124_449
; %bb.446:
	v_cmp_ne_u32_e32 vcc_lo, 26, v132
	s_xor_b32 s2, s6, -1
	s_and_b32 s3, s2, vcc_lo
	s_and_saveexec_b32 s2, s3
	s_cbranch_execz .LBB124_448
; %bb.447:
	v_ashrrev_i32_e32 v133, 31, v132
	v_lshlrev_b64 v[133:134], 2, v[132:133]
	v_add_co_u32 v133, vcc_lo, v4, v133
	v_add_co_ci_u32_e64 v134, null, v5, v134, vcc_lo
	s_clause 0x1
	global_load_dword v140, v[133:134], off
	global_load_dword v141, v[4:5], off offset:104
	s_waitcnt vmcnt(1)
	global_store_dword v[4:5], v140, off offset:104
	s_waitcnt vmcnt(0)
	global_store_dword v[133:134], v141, off
.LBB124_448:
	s_or_b32 exec_lo, exec_lo, s2
	v_mov_b32_e32 v140, v132
	v_mov_b32_e32 v141, v132
.LBB124_449:
	s_or_b32 exec_lo, exec_lo, s1
.LBB124_450:
	s_andn2_saveexec_b32 s0, s0
	s_cbranch_execz .LBB124_452
; %bb.451:
	v_mov_b32_e32 v141, 26
	ds_write2_b64 v138, v[74:75], v[72:73] offset0:27 offset1:28
	ds_write2_b64 v138, v[68:69], v[70:71] offset0:29 offset1:30
	;; [unrolled: 1-line block ×18, first 2 shown]
.LBB124_452:
	s_or_b32 exec_lo, exec_lo, s0
	s_mov_b32 s0, exec_lo
	s_waitcnt lgkmcnt(0)
	s_waitcnt_vscnt null, 0x0
	s_barrier
	buffer_gl0_inv
	v_cmpx_lt_i32_e32 26, v141
	s_cbranch_execz .LBB124_454
; %bb.453:
	v_mul_f64 v[76:77], v[0:1], v[76:77]
	ds_read2_b64 v[142:145], v138 offset0:27 offset1:28
	ds_read2_b64 v[146:149], v138 offset0:29 offset1:30
	;; [unrolled: 1-line block ×12, first 2 shown]
	s_waitcnt lgkmcnt(11)
	v_fma_f64 v[74:75], -v[76:77], v[142:143], v[74:75]
	v_fma_f64 v[72:73], -v[76:77], v[144:145], v[72:73]
	s_waitcnt lgkmcnt(10)
	v_fma_f64 v[68:69], -v[76:77], v[146:147], v[68:69]
	v_fma_f64 v[70:71], -v[76:77], v[148:149], v[70:71]
	;; [unrolled: 3-line block ×5, first 2 shown]
	ds_read2_b64 v[142:145], v138 offset0:51 offset1:52
	ds_read2_b64 v[146:149], v138 offset0:53 offset1:54
	s_waitcnt lgkmcnt(8)
	v_fma_f64 v[54:55], -v[76:77], v[162:163], v[54:55]
	v_fma_f64 v[52:53], -v[76:77], v[164:165], v[52:53]
	ds_read2_b64 v[150:153], v138 offset0:55 offset1:56
	ds_read2_b64 v[154:157], v138 offset0:57 offset1:58
	;; [unrolled: 1-line block ×4, first 2 shown]
	s_waitcnt lgkmcnt(11)
	v_fma_f64 v[48:49], -v[76:77], v[166:167], v[48:49]
	v_fma_f64 v[50:51], -v[76:77], v[168:169], v[50:51]
	s_waitcnt lgkmcnt(10)
	v_fma_f64 v[44:45], -v[76:77], v[170:171], v[44:45]
	v_fma_f64 v[46:47], -v[76:77], v[172:173], v[46:47]
	;; [unrolled: 3-line block ×12, first 2 shown]
.LBB124_454:
	s_or_b32 exec_lo, exec_lo, s0
	v_lshl_add_u32 v0, v141, 3, v138
	s_barrier
	buffer_gl0_inv
	v_mov_b32_e32 v132, 27
	ds_write_b64 v0, v[74:75]
	s_waitcnt lgkmcnt(0)
	s_barrier
	buffer_gl0_inv
	ds_read_b64 v[0:1], v138 offset:216
	s_cmp_lt_i32 s7, 29
	s_cbranch_scc1 .LBB124_457
; %bb.455:
	v_add3_u32 v133, v139, 0, 0xe0
	v_mov_b32_e32 v132, 27
	s_mov_b32 s0, 28
.LBB124_456:                            ; =>This Inner Loop Header: Depth=1
	ds_read_b64 v[142:143], v133
	v_add_nc_u32_e32 v133, 8, v133
	s_waitcnt lgkmcnt(0)
	v_cmp_lt_f64_e64 vcc_lo, |v[0:1]|, |v[142:143]|
	v_cndmask_b32_e32 v1, v1, v143, vcc_lo
	v_cndmask_b32_e32 v0, v0, v142, vcc_lo
	v_cndmask_b32_e64 v132, v132, s0, vcc_lo
	s_add_i32 s0, s0, 1
	s_cmp_lg_u32 s7, s0
	s_cbranch_scc1 .LBB124_456
.LBB124_457:
	s_mov_b32 s0, exec_lo
	s_waitcnt lgkmcnt(0)
	v_cmpx_eq_f64_e32 0, v[0:1]
	s_xor_b32 s0, exec_lo, s0
; %bb.458:
	v_cmp_ne_u32_e32 vcc_lo, 0, v135
	v_cndmask_b32_e32 v135, 28, v135, vcc_lo
; %bb.459:
	s_andn2_saveexec_b32 s0, s0
	s_cbranch_execz .LBB124_461
; %bb.460:
	v_div_scale_f64 v[133:134], null, v[0:1], v[0:1], 1.0
	v_rcp_f64_e32 v[142:143], v[133:134]
	v_fma_f64 v[144:145], -v[133:134], v[142:143], 1.0
	v_fma_f64 v[142:143], v[142:143], v[144:145], v[142:143]
	v_fma_f64 v[144:145], -v[133:134], v[142:143], 1.0
	v_fma_f64 v[142:143], v[142:143], v[144:145], v[142:143]
	v_div_scale_f64 v[144:145], vcc_lo, 1.0, v[0:1], 1.0
	v_mul_f64 v[146:147], v[144:145], v[142:143]
	v_fma_f64 v[133:134], -v[133:134], v[146:147], v[144:145]
	v_div_fmas_f64 v[133:134], v[133:134], v[142:143], v[146:147]
	v_div_fixup_f64 v[0:1], v[133:134], v[0:1], 1.0
.LBB124_461:
	s_or_b32 exec_lo, exec_lo, s0
	s_mov_b32 s0, exec_lo
	v_cmpx_ne_u32_e64 v141, v132
	s_xor_b32 s0, exec_lo, s0
	s_cbranch_execz .LBB124_467
; %bb.462:
	s_mov_b32 s1, exec_lo
	v_cmpx_eq_u32_e32 27, v141
	s_cbranch_execz .LBB124_466
; %bb.463:
	v_cmp_ne_u32_e32 vcc_lo, 27, v132
	s_xor_b32 s2, s6, -1
	s_and_b32 s3, s2, vcc_lo
	s_and_saveexec_b32 s2, s3
	s_cbranch_execz .LBB124_465
; %bb.464:
	v_ashrrev_i32_e32 v133, 31, v132
	v_lshlrev_b64 v[133:134], 2, v[132:133]
	v_add_co_u32 v133, vcc_lo, v4, v133
	v_add_co_ci_u32_e64 v134, null, v5, v134, vcc_lo
	s_clause 0x1
	global_load_dword v140, v[133:134], off
	global_load_dword v141, v[4:5], off offset:108
	s_waitcnt vmcnt(1)
	global_store_dword v[4:5], v140, off offset:108
	s_waitcnt vmcnt(0)
	global_store_dword v[133:134], v141, off
.LBB124_465:
	s_or_b32 exec_lo, exec_lo, s2
	v_mov_b32_e32 v140, v132
	v_mov_b32_e32 v141, v132
.LBB124_466:
	s_or_b32 exec_lo, exec_lo, s1
.LBB124_467:
	s_andn2_saveexec_b32 s0, s0
	s_cbranch_execz .LBB124_469
; %bb.468:
	v_mov_b32_e32 v132, v72
	v_mov_b32_e32 v133, v73
	;; [unrolled: 1-line block ×12, first 2 shown]
	ds_write2_b64 v138, v[132:133], v[141:142] offset0:28 offset1:29
	ds_write2_b64 v138, v[143:144], v[145:146] offset0:30 offset1:31
	;; [unrolled: 1-line block ×3, first 2 shown]
	v_mov_b32_e32 v132, v60
	v_mov_b32_e32 v133, v61
	v_mov_b32_e32 v141, v58
	v_mov_b32_e32 v142, v59
	v_mov_b32_e32 v143, v56
	v_mov_b32_e32 v144, v57
	v_mov_b32_e32 v145, v54
	v_mov_b32_e32 v146, v55
	v_mov_b32_e32 v147, v52
	v_mov_b32_e32 v148, v53
	v_mov_b32_e32 v149, v48
	v_mov_b32_e32 v150, v49
	v_mov_b32_e32 v151, v50
	v_mov_b32_e32 v152, v51
	v_mov_b32_e32 v153, v44
	v_mov_b32_e32 v154, v45
	v_mov_b32_e32 v155, v46
	v_mov_b32_e32 v156, v47
	v_mov_b32_e32 v157, v42
	v_mov_b32_e32 v158, v43
	ds_write2_b64 v138, v[132:133], v[141:142] offset0:34 offset1:35
	ds_write2_b64 v138, v[143:144], v[145:146] offset0:36 offset1:37
	ds_write2_b64 v138, v[147:148], v[149:150] offset0:38 offset1:39
	ds_write2_b64 v138, v[151:152], v[153:154] offset0:40 offset1:41
	ds_write2_b64 v138, v[155:156], v[157:158] offset0:42 offset1:43
	v_mov_b32_e32 v132, v40
	v_mov_b32_e32 v133, v41
	;; [unrolled: 1-line block ×20, first 2 shown]
	ds_write2_b64 v138, v[132:133], v[141:142] offset0:44 offset1:45
	ds_write2_b64 v138, v[143:144], v[145:146] offset0:46 offset1:47
	;; [unrolled: 1-line block ×5, first 2 shown]
	v_mov_b32_e32 v132, v20
	v_mov_b32_e32 v133, v21
	;; [unrolled: 1-line block ×8, first 2 shown]
	ds_write2_b64 v138, v[132:133], v[141:142] offset0:54 offset1:55
	v_mov_b32_e32 v141, 27
	v_mov_b32_e32 v147, v12
	;; [unrolled: 1-line block ×9, first 2 shown]
	ds_write2_b64 v138, v[143:144], v[145:146] offset0:56 offset1:57
	ds_write2_b64 v138, v[147:148], v[149:150] offset0:58 offset1:59
	;; [unrolled: 1-line block ×3, first 2 shown]
	ds_write_b64 v138, v[130:131] offset:496
.LBB124_469:
	s_or_b32 exec_lo, exec_lo, s0
	s_mov_b32 s0, exec_lo
	s_waitcnt lgkmcnt(0)
	s_waitcnt_vscnt null, 0x0
	s_barrier
	buffer_gl0_inv
	v_cmpx_lt_i32_e32 27, v141
	s_cbranch_execz .LBB124_471
; %bb.470:
	v_mul_f64 v[74:75], v[0:1], v[74:75]
	ds_read2_b64 v[142:145], v138 offset0:28 offset1:29
	ds_read2_b64 v[146:149], v138 offset0:30 offset1:31
	;; [unrolled: 1-line block ×12, first 2 shown]
	ds_read_b64 v[0:1], v138 offset:496
	s_waitcnt lgkmcnt(12)
	v_fma_f64 v[72:73], -v[74:75], v[142:143], v[72:73]
	v_fma_f64 v[68:69], -v[74:75], v[144:145], v[68:69]
	s_waitcnt lgkmcnt(11)
	v_fma_f64 v[70:71], -v[74:75], v[146:147], v[70:71]
	v_fma_f64 v[64:65], -v[74:75], v[148:149], v[64:65]
	;; [unrolled: 3-line block ×5, first 2 shown]
	ds_read2_b64 v[142:145], v138 offset0:52 offset1:53
	ds_read2_b64 v[146:149], v138 offset0:54 offset1:55
	;; [unrolled: 1-line block ×5, first 2 shown]
	s_waitcnt lgkmcnt(12)
	v_fma_f64 v[52:53], -v[74:75], v[162:163], v[52:53]
	v_fma_f64 v[48:49], -v[74:75], v[164:165], v[48:49]
	s_waitcnt lgkmcnt(11)
	v_fma_f64 v[50:51], -v[74:75], v[166:167], v[50:51]
	v_fma_f64 v[44:45], -v[74:75], v[168:169], v[44:45]
	;; [unrolled: 3-line block ×7, first 2 shown]
	s_waitcnt lgkmcnt(5)
	v_fma_f64 v[130:131], -v[74:75], v[0:1], v[130:131]
	s_waitcnt lgkmcnt(4)
	v_fma_f64 v[26:27], -v[74:75], v[142:143], v[26:27]
	v_fma_f64 v[22:23], -v[74:75], v[144:145], v[22:23]
	s_waitcnt lgkmcnt(3)
	v_fma_f64 v[20:21], -v[74:75], v[146:147], v[20:21]
	;; [unrolled: 3-line block ×5, first 2 shown]
	v_fma_f64 v[6:7], -v[74:75], v[160:161], v[6:7]
.LBB124_471:
	s_or_b32 exec_lo, exec_lo, s0
	v_lshl_add_u32 v0, v141, 3, v138
	s_barrier
	buffer_gl0_inv
	v_mov_b32_e32 v132, 28
	ds_write_b64 v0, v[72:73]
	s_waitcnt lgkmcnt(0)
	s_barrier
	buffer_gl0_inv
	ds_read_b64 v[0:1], v138 offset:224
	s_cmp_lt_i32 s7, 30
	s_cbranch_scc1 .LBB124_474
; %bb.472:
	v_add3_u32 v133, v139, 0, 0xe8
	v_mov_b32_e32 v132, 28
	s_mov_b32 s0, 29
.LBB124_473:                            ; =>This Inner Loop Header: Depth=1
	ds_read_b64 v[142:143], v133
	v_add_nc_u32_e32 v133, 8, v133
	s_waitcnt lgkmcnt(0)
	v_cmp_lt_f64_e64 vcc_lo, |v[0:1]|, |v[142:143]|
	v_cndmask_b32_e32 v1, v1, v143, vcc_lo
	v_cndmask_b32_e32 v0, v0, v142, vcc_lo
	v_cndmask_b32_e64 v132, v132, s0, vcc_lo
	s_add_i32 s0, s0, 1
	s_cmp_lg_u32 s7, s0
	s_cbranch_scc1 .LBB124_473
.LBB124_474:
	s_mov_b32 s0, exec_lo
	s_waitcnt lgkmcnt(0)
	v_cmpx_eq_f64_e32 0, v[0:1]
	s_xor_b32 s0, exec_lo, s0
; %bb.475:
	v_cmp_ne_u32_e32 vcc_lo, 0, v135
	v_cndmask_b32_e32 v135, 29, v135, vcc_lo
; %bb.476:
	s_andn2_saveexec_b32 s0, s0
	s_cbranch_execz .LBB124_478
; %bb.477:
	v_div_scale_f64 v[133:134], null, v[0:1], v[0:1], 1.0
	v_rcp_f64_e32 v[142:143], v[133:134]
	v_fma_f64 v[144:145], -v[133:134], v[142:143], 1.0
	v_fma_f64 v[142:143], v[142:143], v[144:145], v[142:143]
	v_fma_f64 v[144:145], -v[133:134], v[142:143], 1.0
	v_fma_f64 v[142:143], v[142:143], v[144:145], v[142:143]
	v_div_scale_f64 v[144:145], vcc_lo, 1.0, v[0:1], 1.0
	v_mul_f64 v[146:147], v[144:145], v[142:143]
	v_fma_f64 v[133:134], -v[133:134], v[146:147], v[144:145]
	v_div_fmas_f64 v[133:134], v[133:134], v[142:143], v[146:147]
	v_div_fixup_f64 v[0:1], v[133:134], v[0:1], 1.0
.LBB124_478:
	s_or_b32 exec_lo, exec_lo, s0
	s_mov_b32 s0, exec_lo
	v_cmpx_ne_u32_e64 v141, v132
	s_xor_b32 s0, exec_lo, s0
	s_cbranch_execz .LBB124_484
; %bb.479:
	s_mov_b32 s1, exec_lo
	v_cmpx_eq_u32_e32 28, v141
	s_cbranch_execz .LBB124_483
; %bb.480:
	v_cmp_ne_u32_e32 vcc_lo, 28, v132
	s_xor_b32 s2, s6, -1
	s_and_b32 s3, s2, vcc_lo
	s_and_saveexec_b32 s2, s3
	s_cbranch_execz .LBB124_482
; %bb.481:
	v_ashrrev_i32_e32 v133, 31, v132
	v_lshlrev_b64 v[133:134], 2, v[132:133]
	v_add_co_u32 v133, vcc_lo, v4, v133
	v_add_co_ci_u32_e64 v134, null, v5, v134, vcc_lo
	s_clause 0x1
	global_load_dword v140, v[133:134], off
	global_load_dword v141, v[4:5], off offset:112
	s_waitcnt vmcnt(1)
	global_store_dword v[4:5], v140, off offset:112
	s_waitcnt vmcnt(0)
	global_store_dword v[133:134], v141, off
.LBB124_482:
	s_or_b32 exec_lo, exec_lo, s2
	v_mov_b32_e32 v140, v132
	v_mov_b32_e32 v141, v132
.LBB124_483:
	s_or_b32 exec_lo, exec_lo, s1
.LBB124_484:
	s_andn2_saveexec_b32 s0, s0
	s_cbranch_execz .LBB124_486
; %bb.485:
	v_mov_b32_e32 v141, 28
	ds_write2_b64 v138, v[68:69], v[70:71] offset0:29 offset1:30
	ds_write2_b64 v138, v[64:65], v[66:67] offset0:31 offset1:32
	;; [unrolled: 1-line block ×17, first 2 shown]
.LBB124_486:
	s_or_b32 exec_lo, exec_lo, s0
	s_mov_b32 s0, exec_lo
	s_waitcnt lgkmcnt(0)
	s_waitcnt_vscnt null, 0x0
	s_barrier
	buffer_gl0_inv
	v_cmpx_lt_i32_e32 28, v141
	s_cbranch_execz .LBB124_488
; %bb.487:
	v_mul_f64 v[72:73], v[0:1], v[72:73]
	ds_read2_b64 v[142:145], v138 offset0:29 offset1:30
	ds_read2_b64 v[146:149], v138 offset0:31 offset1:32
	ds_read2_b64 v[150:153], v138 offset0:33 offset1:34
	ds_read2_b64 v[154:157], v138 offset0:35 offset1:36
	ds_read2_b64 v[158:161], v138 offset0:37 offset1:38
	ds_read2_b64 v[162:165], v138 offset0:39 offset1:40
	ds_read2_b64 v[166:169], v138 offset0:41 offset1:42
	ds_read2_b64 v[170:173], v138 offset0:43 offset1:44
	ds_read2_b64 v[174:177], v138 offset0:45 offset1:46
	ds_read2_b64 v[178:181], v138 offset0:47 offset1:48
	ds_read2_b64 v[182:185], v138 offset0:49 offset1:50
	ds_read2_b64 v[186:189], v138 offset0:51 offset1:52
	ds_read2_b64 v[190:193], v138 offset0:53 offset1:54
	s_waitcnt lgkmcnt(12)
	v_fma_f64 v[68:69], -v[72:73], v[142:143], v[68:69]
	v_fma_f64 v[70:71], -v[72:73], v[144:145], v[70:71]
	s_waitcnt lgkmcnt(11)
	v_fma_f64 v[64:65], -v[72:73], v[146:147], v[64:65]
	v_fma_f64 v[66:67], -v[72:73], v[148:149], v[66:67]
	s_waitcnt lgkmcnt(10)
	v_fma_f64 v[62:63], -v[72:73], v[150:151], v[62:63]
	v_fma_f64 v[60:61], -v[72:73], v[152:153], v[60:61]
	s_waitcnt lgkmcnt(9)
	v_fma_f64 v[58:59], -v[72:73], v[154:155], v[58:59]
	v_fma_f64 v[56:57], -v[72:73], v[156:157], v[56:57]
	ds_read2_b64 v[142:145], v138 offset0:55 offset1:56
	ds_read2_b64 v[146:149], v138 offset0:57 offset1:58
	;; [unrolled: 1-line block ×4, first 2 shown]
	s_waitcnt lgkmcnt(12)
	v_fma_f64 v[54:55], -v[72:73], v[158:159], v[54:55]
	v_fma_f64 v[52:53], -v[72:73], v[160:161], v[52:53]
	s_waitcnt lgkmcnt(11)
	v_fma_f64 v[48:49], -v[72:73], v[162:163], v[48:49]
	v_fma_f64 v[50:51], -v[72:73], v[164:165], v[50:51]
	s_waitcnt lgkmcnt(10)
	v_fma_f64 v[44:45], -v[72:73], v[166:167], v[44:45]
	v_fma_f64 v[46:47], -v[72:73], v[168:169], v[46:47]
	s_waitcnt lgkmcnt(9)
	v_fma_f64 v[42:43], -v[72:73], v[170:171], v[42:43]
	v_fma_f64 v[40:41], -v[72:73], v[172:173], v[40:41]
	s_waitcnt lgkmcnt(8)
	v_fma_f64 v[38:39], -v[72:73], v[174:175], v[38:39]
	v_fma_f64 v[36:37], -v[72:73], v[176:177], v[36:37]
	s_waitcnt lgkmcnt(7)
	v_fma_f64 v[34:35], -v[72:73], v[178:179], v[34:35]
	v_fma_f64 v[32:33], -v[72:73], v[180:181], v[32:33]
	s_waitcnt lgkmcnt(6)
	v_fma_f64 v[28:29], -v[72:73], v[182:183], v[28:29]
	v_fma_f64 v[30:31], -v[72:73], v[184:185], v[30:31]
	s_waitcnt lgkmcnt(5)
	v_fma_f64 v[24:25], -v[72:73], v[186:187], v[24:25]
	v_fma_f64 v[26:27], -v[72:73], v[188:189], v[26:27]
	s_waitcnt lgkmcnt(4)
	v_fma_f64 v[22:23], -v[72:73], v[190:191], v[22:23]
	v_fma_f64 v[20:21], -v[72:73], v[192:193], v[20:21]
	s_waitcnt lgkmcnt(3)
	v_fma_f64 v[18:19], -v[72:73], v[142:143], v[18:19]
	v_fma_f64 v[16:17], -v[72:73], v[144:145], v[16:17]
	s_waitcnt lgkmcnt(2)
	v_fma_f64 v[14:15], -v[72:73], v[146:147], v[14:15]
	v_fma_f64 v[12:13], -v[72:73], v[148:149], v[12:13]
	s_waitcnt lgkmcnt(1)
	v_fma_f64 v[8:9], -v[72:73], v[150:151], v[8:9]
	v_fma_f64 v[10:11], -v[72:73], v[152:153], v[10:11]
	s_waitcnt lgkmcnt(0)
	v_fma_f64 v[6:7], -v[72:73], v[154:155], v[6:7]
	v_fma_f64 v[130:131], -v[72:73], v[156:157], v[130:131]
.LBB124_488:
	s_or_b32 exec_lo, exec_lo, s0
	v_lshl_add_u32 v0, v141, 3, v138
	s_barrier
	buffer_gl0_inv
	v_mov_b32_e32 v132, 29
	ds_write_b64 v0, v[68:69]
	s_waitcnt lgkmcnt(0)
	s_barrier
	buffer_gl0_inv
	ds_read_b64 v[0:1], v138 offset:232
	s_cmp_lt_i32 s7, 31
	s_cbranch_scc1 .LBB124_491
; %bb.489:
	v_add3_u32 v133, v139, 0, 0xf0
	v_mov_b32_e32 v132, 29
	s_mov_b32 s0, 30
.LBB124_490:                            ; =>This Inner Loop Header: Depth=1
	ds_read_b64 v[142:143], v133
	v_add_nc_u32_e32 v133, 8, v133
	s_waitcnt lgkmcnt(0)
	v_cmp_lt_f64_e64 vcc_lo, |v[0:1]|, |v[142:143]|
	v_cndmask_b32_e32 v1, v1, v143, vcc_lo
	v_cndmask_b32_e32 v0, v0, v142, vcc_lo
	v_cndmask_b32_e64 v132, v132, s0, vcc_lo
	s_add_i32 s0, s0, 1
	s_cmp_lg_u32 s7, s0
	s_cbranch_scc1 .LBB124_490
.LBB124_491:
	s_mov_b32 s0, exec_lo
	s_waitcnt lgkmcnt(0)
	v_cmpx_eq_f64_e32 0, v[0:1]
	s_xor_b32 s0, exec_lo, s0
; %bb.492:
	v_cmp_ne_u32_e32 vcc_lo, 0, v135
	v_cndmask_b32_e32 v135, 30, v135, vcc_lo
; %bb.493:
	s_andn2_saveexec_b32 s0, s0
	s_cbranch_execz .LBB124_495
; %bb.494:
	v_div_scale_f64 v[133:134], null, v[0:1], v[0:1], 1.0
	v_rcp_f64_e32 v[142:143], v[133:134]
	v_fma_f64 v[144:145], -v[133:134], v[142:143], 1.0
	v_fma_f64 v[142:143], v[142:143], v[144:145], v[142:143]
	v_fma_f64 v[144:145], -v[133:134], v[142:143], 1.0
	v_fma_f64 v[142:143], v[142:143], v[144:145], v[142:143]
	v_div_scale_f64 v[144:145], vcc_lo, 1.0, v[0:1], 1.0
	v_mul_f64 v[146:147], v[144:145], v[142:143]
	v_fma_f64 v[133:134], -v[133:134], v[146:147], v[144:145]
	v_div_fmas_f64 v[133:134], v[133:134], v[142:143], v[146:147]
	v_div_fixup_f64 v[0:1], v[133:134], v[0:1], 1.0
.LBB124_495:
	s_or_b32 exec_lo, exec_lo, s0
	s_mov_b32 s0, exec_lo
	v_cmpx_ne_u32_e64 v141, v132
	s_xor_b32 s0, exec_lo, s0
	s_cbranch_execz .LBB124_501
; %bb.496:
	s_mov_b32 s1, exec_lo
	v_cmpx_eq_u32_e32 29, v141
	s_cbranch_execz .LBB124_500
; %bb.497:
	v_cmp_ne_u32_e32 vcc_lo, 29, v132
	s_xor_b32 s2, s6, -1
	s_and_b32 s3, s2, vcc_lo
	s_and_saveexec_b32 s2, s3
	s_cbranch_execz .LBB124_499
; %bb.498:
	v_ashrrev_i32_e32 v133, 31, v132
	v_lshlrev_b64 v[133:134], 2, v[132:133]
	v_add_co_u32 v133, vcc_lo, v4, v133
	v_add_co_ci_u32_e64 v134, null, v5, v134, vcc_lo
	s_clause 0x1
	global_load_dword v140, v[133:134], off
	global_load_dword v141, v[4:5], off offset:116
	s_waitcnt vmcnt(1)
	global_store_dword v[4:5], v140, off offset:116
	s_waitcnt vmcnt(0)
	global_store_dword v[133:134], v141, off
.LBB124_499:
	s_or_b32 exec_lo, exec_lo, s2
	v_mov_b32_e32 v140, v132
	v_mov_b32_e32 v141, v132
.LBB124_500:
	s_or_b32 exec_lo, exec_lo, s1
.LBB124_501:
	s_andn2_saveexec_b32 s0, s0
	s_cbranch_execz .LBB124_503
; %bb.502:
	v_mov_b32_e32 v132, v70
	v_mov_b32_e32 v133, v71
	;; [unrolled: 1-line block ×8, first 2 shown]
	ds_write2_b64 v138, v[132:133], v[141:142] offset0:30 offset1:31
	ds_write2_b64 v138, v[143:144], v[145:146] offset0:32 offset1:33
	v_mov_b32_e32 v132, v60
	v_mov_b32_e32 v133, v61
	;; [unrolled: 1-line block ×20, first 2 shown]
	ds_write2_b64 v138, v[132:133], v[141:142] offset0:34 offset1:35
	ds_write2_b64 v138, v[143:144], v[145:146] offset0:36 offset1:37
	;; [unrolled: 1-line block ×5, first 2 shown]
	v_mov_b32_e32 v132, v40
	v_mov_b32_e32 v133, v41
	;; [unrolled: 1-line block ×20, first 2 shown]
	ds_write2_b64 v138, v[132:133], v[141:142] offset0:44 offset1:45
	ds_write2_b64 v138, v[143:144], v[145:146] offset0:46 offset1:47
	;; [unrolled: 1-line block ×5, first 2 shown]
	v_mov_b32_e32 v132, v20
	v_mov_b32_e32 v133, v21
	;; [unrolled: 1-line block ×8, first 2 shown]
	ds_write2_b64 v138, v[132:133], v[141:142] offset0:54 offset1:55
	v_mov_b32_e32 v141, 29
	v_mov_b32_e32 v147, v12
	v_mov_b32_e32 v148, v13
	v_mov_b32_e32 v149, v8
	v_mov_b32_e32 v150, v9
	v_mov_b32_e32 v151, v10
	v_mov_b32_e32 v152, v11
	v_mov_b32_e32 v153, v6
	v_mov_b32_e32 v154, v7
	ds_write2_b64 v138, v[143:144], v[145:146] offset0:56 offset1:57
	ds_write2_b64 v138, v[147:148], v[149:150] offset0:58 offset1:59
	ds_write2_b64 v138, v[151:152], v[153:154] offset0:60 offset1:61
	ds_write_b64 v138, v[130:131] offset:496
.LBB124_503:
	s_or_b32 exec_lo, exec_lo, s0
	s_mov_b32 s0, exec_lo
	s_waitcnt lgkmcnt(0)
	s_waitcnt_vscnt null, 0x0
	s_barrier
	buffer_gl0_inv
	v_cmpx_lt_i32_e32 29, v141
	s_cbranch_execz .LBB124_505
; %bb.504:
	v_mul_f64 v[68:69], v[0:1], v[68:69]
	ds_read2_b64 v[142:145], v138 offset0:30 offset1:31
	ds_read2_b64 v[146:149], v138 offset0:32 offset1:33
	ds_read2_b64 v[150:153], v138 offset0:34 offset1:35
	ds_read2_b64 v[154:157], v138 offset0:36 offset1:37
	ds_read2_b64 v[158:161], v138 offset0:38 offset1:39
	ds_read2_b64 v[162:165], v138 offset0:40 offset1:41
	ds_read2_b64 v[166:169], v138 offset0:42 offset1:43
	ds_read2_b64 v[170:173], v138 offset0:44 offset1:45
	ds_read2_b64 v[174:177], v138 offset0:46 offset1:47
	ds_read2_b64 v[178:181], v138 offset0:48 offset1:49
	ds_read2_b64 v[182:185], v138 offset0:50 offset1:51
	ds_read2_b64 v[186:189], v138 offset0:52 offset1:53
	ds_read2_b64 v[190:193], v138 offset0:54 offset1:55
	ds_read_b64 v[0:1], v138 offset:496
	s_waitcnt lgkmcnt(13)
	v_fma_f64 v[70:71], -v[68:69], v[142:143], v[70:71]
	v_fma_f64 v[64:65], -v[68:69], v[144:145], v[64:65]
	s_waitcnt lgkmcnt(12)
	v_fma_f64 v[66:67], -v[68:69], v[146:147], v[66:67]
	v_fma_f64 v[62:63], -v[68:69], v[148:149], v[62:63]
	;; [unrolled: 3-line block ×3, first 2 shown]
	ds_read2_b64 v[142:145], v138 offset0:56 offset1:57
	ds_read2_b64 v[146:149], v138 offset0:58 offset1:59
	;; [unrolled: 1-line block ×3, first 2 shown]
	s_waitcnt lgkmcnt(13)
	v_fma_f64 v[56:57], -v[68:69], v[154:155], v[56:57]
	v_fma_f64 v[54:55], -v[68:69], v[156:157], v[54:55]
	s_waitcnt lgkmcnt(12)
	v_fma_f64 v[52:53], -v[68:69], v[158:159], v[52:53]
	v_fma_f64 v[48:49], -v[68:69], v[160:161], v[48:49]
	;; [unrolled: 3-line block ×13, first 2 shown]
	v_fma_f64 v[130:131], -v[68:69], v[0:1], v[130:131]
.LBB124_505:
	s_or_b32 exec_lo, exec_lo, s0
	v_lshl_add_u32 v0, v141, 3, v138
	s_barrier
	buffer_gl0_inv
	v_mov_b32_e32 v132, 30
	ds_write_b64 v0, v[70:71]
	s_waitcnt lgkmcnt(0)
	s_barrier
	buffer_gl0_inv
	ds_read_b64 v[0:1], v138 offset:240
	s_cmp_lt_i32 s7, 32
	s_cbranch_scc1 .LBB124_508
; %bb.506:
	v_add3_u32 v133, v139, 0, 0xf8
	v_mov_b32_e32 v132, 30
	s_mov_b32 s0, 31
.LBB124_507:                            ; =>This Inner Loop Header: Depth=1
	ds_read_b64 v[142:143], v133
	v_add_nc_u32_e32 v133, 8, v133
	s_waitcnt lgkmcnt(0)
	v_cmp_lt_f64_e64 vcc_lo, |v[0:1]|, |v[142:143]|
	v_cndmask_b32_e32 v1, v1, v143, vcc_lo
	v_cndmask_b32_e32 v0, v0, v142, vcc_lo
	v_cndmask_b32_e64 v132, v132, s0, vcc_lo
	s_add_i32 s0, s0, 1
	s_cmp_lg_u32 s7, s0
	s_cbranch_scc1 .LBB124_507
.LBB124_508:
	s_mov_b32 s0, exec_lo
	s_waitcnt lgkmcnt(0)
	v_cmpx_eq_f64_e32 0, v[0:1]
	s_xor_b32 s0, exec_lo, s0
; %bb.509:
	v_cmp_ne_u32_e32 vcc_lo, 0, v135
	v_cndmask_b32_e32 v135, 31, v135, vcc_lo
; %bb.510:
	s_andn2_saveexec_b32 s0, s0
	s_cbranch_execz .LBB124_512
; %bb.511:
	v_div_scale_f64 v[133:134], null, v[0:1], v[0:1], 1.0
	v_rcp_f64_e32 v[142:143], v[133:134]
	v_fma_f64 v[144:145], -v[133:134], v[142:143], 1.0
	v_fma_f64 v[142:143], v[142:143], v[144:145], v[142:143]
	v_fma_f64 v[144:145], -v[133:134], v[142:143], 1.0
	v_fma_f64 v[142:143], v[142:143], v[144:145], v[142:143]
	v_div_scale_f64 v[144:145], vcc_lo, 1.0, v[0:1], 1.0
	v_mul_f64 v[146:147], v[144:145], v[142:143]
	v_fma_f64 v[133:134], -v[133:134], v[146:147], v[144:145]
	v_div_fmas_f64 v[133:134], v[133:134], v[142:143], v[146:147]
	v_div_fixup_f64 v[0:1], v[133:134], v[0:1], 1.0
.LBB124_512:
	s_or_b32 exec_lo, exec_lo, s0
	s_mov_b32 s0, exec_lo
	v_cmpx_ne_u32_e64 v141, v132
	s_xor_b32 s0, exec_lo, s0
	s_cbranch_execz .LBB124_518
; %bb.513:
	s_mov_b32 s1, exec_lo
	v_cmpx_eq_u32_e32 30, v141
	s_cbranch_execz .LBB124_517
; %bb.514:
	v_cmp_ne_u32_e32 vcc_lo, 30, v132
	s_xor_b32 s2, s6, -1
	s_and_b32 s3, s2, vcc_lo
	s_and_saveexec_b32 s2, s3
	s_cbranch_execz .LBB124_516
; %bb.515:
	v_ashrrev_i32_e32 v133, 31, v132
	v_lshlrev_b64 v[133:134], 2, v[132:133]
	v_add_co_u32 v133, vcc_lo, v4, v133
	v_add_co_ci_u32_e64 v134, null, v5, v134, vcc_lo
	s_clause 0x1
	global_load_dword v140, v[133:134], off
	global_load_dword v141, v[4:5], off offset:120
	s_waitcnt vmcnt(1)
	global_store_dword v[4:5], v140, off offset:120
	s_waitcnt vmcnt(0)
	global_store_dword v[133:134], v141, off
.LBB124_516:
	s_or_b32 exec_lo, exec_lo, s2
	v_mov_b32_e32 v140, v132
	v_mov_b32_e32 v141, v132
.LBB124_517:
	s_or_b32 exec_lo, exec_lo, s1
.LBB124_518:
	s_andn2_saveexec_b32 s0, s0
	s_cbranch_execz .LBB124_520
; %bb.519:
	v_mov_b32_e32 v141, 30
	ds_write2_b64 v138, v[64:65], v[66:67] offset0:31 offset1:32
	ds_write2_b64 v138, v[62:63], v[60:61] offset0:33 offset1:34
	;; [unrolled: 1-line block ×16, first 2 shown]
.LBB124_520:
	s_or_b32 exec_lo, exec_lo, s0
	s_mov_b32 s0, exec_lo
	s_waitcnt lgkmcnt(0)
	s_waitcnt_vscnt null, 0x0
	s_barrier
	buffer_gl0_inv
	v_cmpx_lt_i32_e32 30, v141
	s_cbranch_execz .LBB124_522
; %bb.521:
	v_mul_f64 v[70:71], v[0:1], v[70:71]
	ds_read2_b64 v[142:145], v138 offset0:31 offset1:32
	ds_read2_b64 v[146:149], v138 offset0:33 offset1:34
	;; [unrolled: 1-line block ×13, first 2 shown]
	s_waitcnt lgkmcnt(12)
	v_fma_f64 v[64:65], -v[70:71], v[142:143], v[64:65]
	v_fma_f64 v[66:67], -v[70:71], v[144:145], v[66:67]
	s_waitcnt lgkmcnt(11)
	v_fma_f64 v[62:63], -v[70:71], v[146:147], v[62:63]
	v_fma_f64 v[60:61], -v[70:71], v[148:149], v[60:61]
	;; [unrolled: 3-line block ×3, first 2 shown]
	ds_read2_b64 v[142:145], v138 offset0:57 offset1:58
	ds_read2_b64 v[146:149], v138 offset0:59 offset1:60
	;; [unrolled: 1-line block ×3, first 2 shown]
	s_waitcnt lgkmcnt(12)
	v_fma_f64 v[54:55], -v[70:71], v[154:155], v[54:55]
	v_fma_f64 v[52:53], -v[70:71], v[156:157], v[52:53]
	s_waitcnt lgkmcnt(11)
	v_fma_f64 v[48:49], -v[70:71], v[158:159], v[48:49]
	v_fma_f64 v[50:51], -v[70:71], v[160:161], v[50:51]
	;; [unrolled: 3-line block ×13, first 2 shown]
.LBB124_522:
	s_or_b32 exec_lo, exec_lo, s0
	v_lshl_add_u32 v0, v141, 3, v138
	s_barrier
	buffer_gl0_inv
	v_mov_b32_e32 v132, 31
	ds_write_b64 v0, v[64:65]
	s_waitcnt lgkmcnt(0)
	s_barrier
	buffer_gl0_inv
	ds_read_b64 v[0:1], v138 offset:248
	s_cmp_lt_i32 s7, 33
	s_cbranch_scc1 .LBB124_525
; %bb.523:
	v_add3_u32 v133, v139, 0, 0x100
	v_mov_b32_e32 v132, 31
	s_mov_b32 s0, 32
.LBB124_524:                            ; =>This Inner Loop Header: Depth=1
	ds_read_b64 v[142:143], v133
	v_add_nc_u32_e32 v133, 8, v133
	s_waitcnt lgkmcnt(0)
	v_cmp_lt_f64_e64 vcc_lo, |v[0:1]|, |v[142:143]|
	v_cndmask_b32_e32 v1, v1, v143, vcc_lo
	v_cndmask_b32_e32 v0, v0, v142, vcc_lo
	v_cndmask_b32_e64 v132, v132, s0, vcc_lo
	s_add_i32 s0, s0, 1
	s_cmp_lg_u32 s7, s0
	s_cbranch_scc1 .LBB124_524
.LBB124_525:
	s_mov_b32 s0, exec_lo
	s_waitcnt lgkmcnt(0)
	v_cmpx_eq_f64_e32 0, v[0:1]
	s_xor_b32 s0, exec_lo, s0
; %bb.526:
	v_cmp_ne_u32_e32 vcc_lo, 0, v135
	v_cndmask_b32_e32 v135, 32, v135, vcc_lo
; %bb.527:
	s_andn2_saveexec_b32 s0, s0
	s_cbranch_execz .LBB124_529
; %bb.528:
	v_div_scale_f64 v[133:134], null, v[0:1], v[0:1], 1.0
	v_rcp_f64_e32 v[142:143], v[133:134]
	v_fma_f64 v[144:145], -v[133:134], v[142:143], 1.0
	v_fma_f64 v[142:143], v[142:143], v[144:145], v[142:143]
	v_fma_f64 v[144:145], -v[133:134], v[142:143], 1.0
	v_fma_f64 v[142:143], v[142:143], v[144:145], v[142:143]
	v_div_scale_f64 v[144:145], vcc_lo, 1.0, v[0:1], 1.0
	v_mul_f64 v[146:147], v[144:145], v[142:143]
	v_fma_f64 v[133:134], -v[133:134], v[146:147], v[144:145]
	v_div_fmas_f64 v[133:134], v[133:134], v[142:143], v[146:147]
	v_div_fixup_f64 v[0:1], v[133:134], v[0:1], 1.0
.LBB124_529:
	s_or_b32 exec_lo, exec_lo, s0
	s_mov_b32 s0, exec_lo
	v_cmpx_ne_u32_e64 v141, v132
	s_xor_b32 s0, exec_lo, s0
	s_cbranch_execz .LBB124_535
; %bb.530:
	s_mov_b32 s1, exec_lo
	v_cmpx_eq_u32_e32 31, v141
	s_cbranch_execz .LBB124_534
; %bb.531:
	v_cmp_ne_u32_e32 vcc_lo, 31, v132
	s_xor_b32 s2, s6, -1
	s_and_b32 s3, s2, vcc_lo
	s_and_saveexec_b32 s2, s3
	s_cbranch_execz .LBB124_533
; %bb.532:
	v_ashrrev_i32_e32 v133, 31, v132
	v_lshlrev_b64 v[133:134], 2, v[132:133]
	v_add_co_u32 v133, vcc_lo, v4, v133
	v_add_co_ci_u32_e64 v134, null, v5, v134, vcc_lo
	s_clause 0x1
	global_load_dword v140, v[133:134], off
	global_load_dword v141, v[4:5], off offset:124
	s_waitcnt vmcnt(1)
	global_store_dword v[4:5], v140, off offset:124
	s_waitcnt vmcnt(0)
	global_store_dword v[133:134], v141, off
.LBB124_533:
	s_or_b32 exec_lo, exec_lo, s2
	v_mov_b32_e32 v140, v132
	v_mov_b32_e32 v141, v132
.LBB124_534:
	s_or_b32 exec_lo, exec_lo, s1
.LBB124_535:
	s_andn2_saveexec_b32 s0, s0
	s_cbranch_execz .LBB124_537
; %bb.536:
	v_mov_b32_e32 v132, v66
	v_mov_b32_e32 v133, v67
	;; [unrolled: 1-line block ×8, first 2 shown]
	ds_write2_b64 v138, v[132:133], v[141:142] offset0:32 offset1:33
	v_mov_b32_e32 v132, v58
	v_mov_b32_e32 v133, v59
	;; [unrolled: 1-line block ×16, first 2 shown]
	ds_write2_b64 v138, v[143:144], v[132:133] offset0:34 offset1:35
	ds_write2_b64 v138, v[141:142], v[145:146] offset0:36 offset1:37
	;; [unrolled: 1-line block ×5, first 2 shown]
	v_mov_b32_e32 v132, v40
	v_mov_b32_e32 v133, v41
	;; [unrolled: 1-line block ×20, first 2 shown]
	ds_write2_b64 v138, v[132:133], v[141:142] offset0:44 offset1:45
	ds_write2_b64 v138, v[143:144], v[145:146] offset0:46 offset1:47
	;; [unrolled: 1-line block ×5, first 2 shown]
	v_mov_b32_e32 v132, v20
	v_mov_b32_e32 v133, v21
	;; [unrolled: 1-line block ×8, first 2 shown]
	ds_write2_b64 v138, v[132:133], v[141:142] offset0:54 offset1:55
	v_mov_b32_e32 v141, 31
	v_mov_b32_e32 v147, v12
	;; [unrolled: 1-line block ×9, first 2 shown]
	ds_write2_b64 v138, v[143:144], v[145:146] offset0:56 offset1:57
	ds_write2_b64 v138, v[147:148], v[149:150] offset0:58 offset1:59
	;; [unrolled: 1-line block ×3, first 2 shown]
	ds_write_b64 v138, v[130:131] offset:496
.LBB124_537:
	s_or_b32 exec_lo, exec_lo, s0
	s_mov_b32 s0, exec_lo
	s_waitcnt lgkmcnt(0)
	s_waitcnt_vscnt null, 0x0
	s_barrier
	buffer_gl0_inv
	v_cmpx_lt_i32_e32 31, v141
	s_cbranch_execz .LBB124_539
; %bb.538:
	v_mul_f64 v[64:65], v[0:1], v[64:65]
	ds_read2_b64 v[142:145], v138 offset0:32 offset1:33
	ds_read2_b64 v[146:149], v138 offset0:34 offset1:35
	;; [unrolled: 1-line block ×13, first 2 shown]
	ds_read_b64 v[0:1], v138 offset:496
	s_waitcnt lgkmcnt(13)
	v_fma_f64 v[66:67], -v[64:65], v[142:143], v[66:67]
	v_fma_f64 v[62:63], -v[64:65], v[144:145], v[62:63]
	s_waitcnt lgkmcnt(12)
	v_fma_f64 v[60:61], -v[64:65], v[146:147], v[60:61]
	v_fma_f64 v[58:59], -v[64:65], v[148:149], v[58:59]
	ds_read2_b64 v[142:145], v138 offset0:58 offset1:59
	ds_read2_b64 v[146:149], v138 offset0:60 offset1:61
	s_waitcnt lgkmcnt(13)
	v_fma_f64 v[56:57], -v[64:65], v[150:151], v[56:57]
	v_fma_f64 v[54:55], -v[64:65], v[152:153], v[54:55]
	s_waitcnt lgkmcnt(12)
	v_fma_f64 v[52:53], -v[64:65], v[154:155], v[52:53]
	v_fma_f64 v[48:49], -v[64:65], v[156:157], v[48:49]
	;; [unrolled: 3-line block ×13, first 2 shown]
	v_fma_f64 v[130:131], -v[64:65], v[0:1], v[130:131]
.LBB124_539:
	s_or_b32 exec_lo, exec_lo, s0
	v_lshl_add_u32 v0, v141, 3, v138
	s_barrier
	buffer_gl0_inv
	v_mov_b32_e32 v132, 32
	ds_write_b64 v0, v[66:67]
	s_waitcnt lgkmcnt(0)
	s_barrier
	buffer_gl0_inv
	ds_read_b64 v[0:1], v138 offset:256
	s_cmp_lt_i32 s7, 34
	s_cbranch_scc1 .LBB124_542
; %bb.540:
	v_add3_u32 v133, v139, 0, 0x108
	v_mov_b32_e32 v132, 32
	s_mov_b32 s0, 33
.LBB124_541:                            ; =>This Inner Loop Header: Depth=1
	ds_read_b64 v[142:143], v133
	v_add_nc_u32_e32 v133, 8, v133
	s_waitcnt lgkmcnt(0)
	v_cmp_lt_f64_e64 vcc_lo, |v[0:1]|, |v[142:143]|
	v_cndmask_b32_e32 v1, v1, v143, vcc_lo
	v_cndmask_b32_e32 v0, v0, v142, vcc_lo
	v_cndmask_b32_e64 v132, v132, s0, vcc_lo
	s_add_i32 s0, s0, 1
	s_cmp_lg_u32 s7, s0
	s_cbranch_scc1 .LBB124_541
.LBB124_542:
	s_mov_b32 s0, exec_lo
	s_waitcnt lgkmcnt(0)
	v_cmpx_eq_f64_e32 0, v[0:1]
	s_xor_b32 s0, exec_lo, s0
; %bb.543:
	v_cmp_ne_u32_e32 vcc_lo, 0, v135
	v_cndmask_b32_e32 v135, 33, v135, vcc_lo
; %bb.544:
	s_andn2_saveexec_b32 s0, s0
	s_cbranch_execz .LBB124_546
; %bb.545:
	v_div_scale_f64 v[133:134], null, v[0:1], v[0:1], 1.0
	v_rcp_f64_e32 v[142:143], v[133:134]
	v_fma_f64 v[144:145], -v[133:134], v[142:143], 1.0
	v_fma_f64 v[142:143], v[142:143], v[144:145], v[142:143]
	v_fma_f64 v[144:145], -v[133:134], v[142:143], 1.0
	v_fma_f64 v[142:143], v[142:143], v[144:145], v[142:143]
	v_div_scale_f64 v[144:145], vcc_lo, 1.0, v[0:1], 1.0
	v_mul_f64 v[146:147], v[144:145], v[142:143]
	v_fma_f64 v[133:134], -v[133:134], v[146:147], v[144:145]
	v_div_fmas_f64 v[133:134], v[133:134], v[142:143], v[146:147]
	v_div_fixup_f64 v[0:1], v[133:134], v[0:1], 1.0
.LBB124_546:
	s_or_b32 exec_lo, exec_lo, s0
	s_mov_b32 s0, exec_lo
	v_cmpx_ne_u32_e64 v141, v132
	s_xor_b32 s0, exec_lo, s0
	s_cbranch_execz .LBB124_552
; %bb.547:
	s_mov_b32 s1, exec_lo
	v_cmpx_eq_u32_e32 32, v141
	s_cbranch_execz .LBB124_551
; %bb.548:
	v_cmp_ne_u32_e32 vcc_lo, 32, v132
	s_xor_b32 s2, s6, -1
	s_and_b32 s3, s2, vcc_lo
	s_and_saveexec_b32 s2, s3
	s_cbranch_execz .LBB124_550
; %bb.549:
	v_ashrrev_i32_e32 v133, 31, v132
	v_lshlrev_b64 v[133:134], 2, v[132:133]
	v_add_co_u32 v133, vcc_lo, v4, v133
	v_add_co_ci_u32_e64 v134, null, v5, v134, vcc_lo
	s_clause 0x1
	global_load_dword v140, v[133:134], off
	global_load_dword v141, v[4:5], off offset:128
	s_waitcnt vmcnt(1)
	global_store_dword v[4:5], v140, off offset:128
	s_waitcnt vmcnt(0)
	global_store_dword v[133:134], v141, off
.LBB124_550:
	s_or_b32 exec_lo, exec_lo, s2
	v_mov_b32_e32 v140, v132
	v_mov_b32_e32 v141, v132
.LBB124_551:
	s_or_b32 exec_lo, exec_lo, s1
.LBB124_552:
	s_andn2_saveexec_b32 s0, s0
	s_cbranch_execz .LBB124_554
; %bb.553:
	v_mov_b32_e32 v141, 32
	ds_write2_b64 v138, v[62:63], v[60:61] offset0:33 offset1:34
	ds_write2_b64 v138, v[58:59], v[56:57] offset0:35 offset1:36
	;; [unrolled: 1-line block ×15, first 2 shown]
.LBB124_554:
	s_or_b32 exec_lo, exec_lo, s0
	s_mov_b32 s0, exec_lo
	s_waitcnt lgkmcnt(0)
	s_waitcnt_vscnt null, 0x0
	s_barrier
	buffer_gl0_inv
	v_cmpx_lt_i32_e32 32, v141
	s_cbranch_execz .LBB124_556
; %bb.555:
	v_mul_f64 v[66:67], v[0:1], v[66:67]
	ds_read2_b64 v[142:145], v138 offset0:33 offset1:34
	ds_read2_b64 v[146:149], v138 offset0:35 offset1:36
	;; [unrolled: 1-line block ×14, first 2 shown]
	s_waitcnt lgkmcnt(13)
	v_fma_f64 v[62:63], -v[66:67], v[142:143], v[62:63]
	v_fma_f64 v[60:61], -v[66:67], v[144:145], v[60:61]
	ds_read2_b64 v[142:145], v138 offset0:61 offset1:62
	s_waitcnt lgkmcnt(13)
	v_fma_f64 v[58:59], -v[66:67], v[146:147], v[58:59]
	v_fma_f64 v[56:57], -v[66:67], v[148:149], v[56:57]
	s_waitcnt lgkmcnt(12)
	v_fma_f64 v[54:55], -v[66:67], v[150:151], v[54:55]
	v_fma_f64 v[52:53], -v[66:67], v[152:153], v[52:53]
	;; [unrolled: 3-line block ×14, first 2 shown]
.LBB124_556:
	s_or_b32 exec_lo, exec_lo, s0
	v_lshl_add_u32 v0, v141, 3, v138
	s_barrier
	buffer_gl0_inv
	v_mov_b32_e32 v132, 33
	ds_write_b64 v0, v[62:63]
	s_waitcnt lgkmcnt(0)
	s_barrier
	buffer_gl0_inv
	ds_read_b64 v[0:1], v138 offset:264
	s_cmp_lt_i32 s7, 35
	s_cbranch_scc1 .LBB124_559
; %bb.557:
	v_add3_u32 v133, v139, 0, 0x110
	v_mov_b32_e32 v132, 33
	s_mov_b32 s0, 34
.LBB124_558:                            ; =>This Inner Loop Header: Depth=1
	ds_read_b64 v[142:143], v133
	v_add_nc_u32_e32 v133, 8, v133
	s_waitcnt lgkmcnt(0)
	v_cmp_lt_f64_e64 vcc_lo, |v[0:1]|, |v[142:143]|
	v_cndmask_b32_e32 v1, v1, v143, vcc_lo
	v_cndmask_b32_e32 v0, v0, v142, vcc_lo
	v_cndmask_b32_e64 v132, v132, s0, vcc_lo
	s_add_i32 s0, s0, 1
	s_cmp_lg_u32 s7, s0
	s_cbranch_scc1 .LBB124_558
.LBB124_559:
	s_mov_b32 s0, exec_lo
	s_waitcnt lgkmcnt(0)
	v_cmpx_eq_f64_e32 0, v[0:1]
	s_xor_b32 s0, exec_lo, s0
; %bb.560:
	v_cmp_ne_u32_e32 vcc_lo, 0, v135
	v_cndmask_b32_e32 v135, 34, v135, vcc_lo
; %bb.561:
	s_andn2_saveexec_b32 s0, s0
	s_cbranch_execz .LBB124_563
; %bb.562:
	v_div_scale_f64 v[133:134], null, v[0:1], v[0:1], 1.0
	v_rcp_f64_e32 v[142:143], v[133:134]
	v_fma_f64 v[144:145], -v[133:134], v[142:143], 1.0
	v_fma_f64 v[142:143], v[142:143], v[144:145], v[142:143]
	v_fma_f64 v[144:145], -v[133:134], v[142:143], 1.0
	v_fma_f64 v[142:143], v[142:143], v[144:145], v[142:143]
	v_div_scale_f64 v[144:145], vcc_lo, 1.0, v[0:1], 1.0
	v_mul_f64 v[146:147], v[144:145], v[142:143]
	v_fma_f64 v[133:134], -v[133:134], v[146:147], v[144:145]
	v_div_fmas_f64 v[133:134], v[133:134], v[142:143], v[146:147]
	v_div_fixup_f64 v[0:1], v[133:134], v[0:1], 1.0
.LBB124_563:
	s_or_b32 exec_lo, exec_lo, s0
	s_mov_b32 s0, exec_lo
	v_cmpx_ne_u32_e64 v141, v132
	s_xor_b32 s0, exec_lo, s0
	s_cbranch_execz .LBB124_569
; %bb.564:
	s_mov_b32 s1, exec_lo
	v_cmpx_eq_u32_e32 33, v141
	s_cbranch_execz .LBB124_568
; %bb.565:
	v_cmp_ne_u32_e32 vcc_lo, 33, v132
	s_xor_b32 s2, s6, -1
	s_and_b32 s3, s2, vcc_lo
	s_and_saveexec_b32 s2, s3
	s_cbranch_execz .LBB124_567
; %bb.566:
	v_ashrrev_i32_e32 v133, 31, v132
	v_lshlrev_b64 v[133:134], 2, v[132:133]
	v_add_co_u32 v133, vcc_lo, v4, v133
	v_add_co_ci_u32_e64 v134, null, v5, v134, vcc_lo
	s_clause 0x1
	global_load_dword v140, v[133:134], off
	global_load_dword v141, v[4:5], off offset:132
	s_waitcnt vmcnt(1)
	global_store_dword v[4:5], v140, off offset:132
	s_waitcnt vmcnt(0)
	global_store_dword v[133:134], v141, off
.LBB124_567:
	s_or_b32 exec_lo, exec_lo, s2
	v_mov_b32_e32 v140, v132
	v_mov_b32_e32 v141, v132
.LBB124_568:
	s_or_b32 exec_lo, exec_lo, s1
.LBB124_569:
	s_andn2_saveexec_b32 s0, s0
	s_cbranch_execz .LBB124_571
; %bb.570:
	v_mov_b32_e32 v132, v60
	v_mov_b32_e32 v133, v61
	;; [unrolled: 1-line block ×20, first 2 shown]
	ds_write2_b64 v138, v[132:133], v[141:142] offset0:34 offset1:35
	ds_write2_b64 v138, v[143:144], v[145:146] offset0:36 offset1:37
	ds_write2_b64 v138, v[147:148], v[149:150] offset0:38 offset1:39
	ds_write2_b64 v138, v[151:152], v[153:154] offset0:40 offset1:41
	ds_write2_b64 v138, v[155:156], v[157:158] offset0:42 offset1:43
	v_mov_b32_e32 v132, v40
	v_mov_b32_e32 v133, v41
	;; [unrolled: 1-line block ×20, first 2 shown]
	ds_write2_b64 v138, v[132:133], v[141:142] offset0:44 offset1:45
	ds_write2_b64 v138, v[143:144], v[145:146] offset0:46 offset1:47
	;; [unrolled: 1-line block ×5, first 2 shown]
	v_mov_b32_e32 v132, v20
	v_mov_b32_e32 v133, v21
	;; [unrolled: 1-line block ×8, first 2 shown]
	ds_write2_b64 v138, v[132:133], v[141:142] offset0:54 offset1:55
	v_mov_b32_e32 v141, 33
	v_mov_b32_e32 v147, v12
	;; [unrolled: 1-line block ×9, first 2 shown]
	ds_write2_b64 v138, v[143:144], v[145:146] offset0:56 offset1:57
	ds_write2_b64 v138, v[147:148], v[149:150] offset0:58 offset1:59
	;; [unrolled: 1-line block ×3, first 2 shown]
	ds_write_b64 v138, v[130:131] offset:496
.LBB124_571:
	s_or_b32 exec_lo, exec_lo, s0
	s_mov_b32 s0, exec_lo
	s_waitcnt lgkmcnt(0)
	s_waitcnt_vscnt null, 0x0
	s_barrier
	buffer_gl0_inv
	v_cmpx_lt_i32_e32 33, v141
	s_cbranch_execz .LBB124_573
; %bb.572:
	v_mul_f64 v[62:63], v[0:1], v[62:63]
	ds_read2_b64 v[142:145], v138 offset0:34 offset1:35
	ds_read2_b64 v[146:149], v138 offset0:36 offset1:37
	;; [unrolled: 1-line block ×14, first 2 shown]
	ds_read_b64 v[0:1], v138 offset:496
	s_waitcnt lgkmcnt(14)
	v_fma_f64 v[60:61], -v[62:63], v[142:143], v[60:61]
	v_fma_f64 v[58:59], -v[62:63], v[144:145], v[58:59]
	s_waitcnt lgkmcnt(13)
	v_fma_f64 v[56:57], -v[62:63], v[146:147], v[56:57]
	v_fma_f64 v[54:55], -v[62:63], v[148:149], v[54:55]
	;; [unrolled: 3-line block ×14, first 2 shown]
	s_waitcnt lgkmcnt(0)
	v_fma_f64 v[130:131], -v[62:63], v[0:1], v[130:131]
.LBB124_573:
	s_or_b32 exec_lo, exec_lo, s0
	v_lshl_add_u32 v0, v141, 3, v138
	s_barrier
	buffer_gl0_inv
	v_mov_b32_e32 v132, 34
	ds_write_b64 v0, v[60:61]
	s_waitcnt lgkmcnt(0)
	s_barrier
	buffer_gl0_inv
	ds_read_b64 v[0:1], v138 offset:272
	s_cmp_lt_i32 s7, 36
	s_cbranch_scc1 .LBB124_576
; %bb.574:
	v_add3_u32 v133, v139, 0, 0x118
	v_mov_b32_e32 v132, 34
	s_mov_b32 s0, 35
.LBB124_575:                            ; =>This Inner Loop Header: Depth=1
	ds_read_b64 v[142:143], v133
	v_add_nc_u32_e32 v133, 8, v133
	s_waitcnt lgkmcnt(0)
	v_cmp_lt_f64_e64 vcc_lo, |v[0:1]|, |v[142:143]|
	v_cndmask_b32_e32 v1, v1, v143, vcc_lo
	v_cndmask_b32_e32 v0, v0, v142, vcc_lo
	v_cndmask_b32_e64 v132, v132, s0, vcc_lo
	s_add_i32 s0, s0, 1
	s_cmp_lg_u32 s7, s0
	s_cbranch_scc1 .LBB124_575
.LBB124_576:
	s_mov_b32 s0, exec_lo
	s_waitcnt lgkmcnt(0)
	v_cmpx_eq_f64_e32 0, v[0:1]
	s_xor_b32 s0, exec_lo, s0
; %bb.577:
	v_cmp_ne_u32_e32 vcc_lo, 0, v135
	v_cndmask_b32_e32 v135, 35, v135, vcc_lo
; %bb.578:
	s_andn2_saveexec_b32 s0, s0
	s_cbranch_execz .LBB124_580
; %bb.579:
	v_div_scale_f64 v[133:134], null, v[0:1], v[0:1], 1.0
	v_rcp_f64_e32 v[142:143], v[133:134]
	v_fma_f64 v[144:145], -v[133:134], v[142:143], 1.0
	v_fma_f64 v[142:143], v[142:143], v[144:145], v[142:143]
	v_fma_f64 v[144:145], -v[133:134], v[142:143], 1.0
	v_fma_f64 v[142:143], v[142:143], v[144:145], v[142:143]
	v_div_scale_f64 v[144:145], vcc_lo, 1.0, v[0:1], 1.0
	v_mul_f64 v[146:147], v[144:145], v[142:143]
	v_fma_f64 v[133:134], -v[133:134], v[146:147], v[144:145]
	v_div_fmas_f64 v[133:134], v[133:134], v[142:143], v[146:147]
	v_div_fixup_f64 v[0:1], v[133:134], v[0:1], 1.0
.LBB124_580:
	s_or_b32 exec_lo, exec_lo, s0
	s_mov_b32 s0, exec_lo
	v_cmpx_ne_u32_e64 v141, v132
	s_xor_b32 s0, exec_lo, s0
	s_cbranch_execz .LBB124_586
; %bb.581:
	s_mov_b32 s1, exec_lo
	v_cmpx_eq_u32_e32 34, v141
	s_cbranch_execz .LBB124_585
; %bb.582:
	v_cmp_ne_u32_e32 vcc_lo, 34, v132
	s_xor_b32 s2, s6, -1
	s_and_b32 s3, s2, vcc_lo
	s_and_saveexec_b32 s2, s3
	s_cbranch_execz .LBB124_584
; %bb.583:
	v_ashrrev_i32_e32 v133, 31, v132
	v_lshlrev_b64 v[133:134], 2, v[132:133]
	v_add_co_u32 v133, vcc_lo, v4, v133
	v_add_co_ci_u32_e64 v134, null, v5, v134, vcc_lo
	s_clause 0x1
	global_load_dword v140, v[133:134], off
	global_load_dword v141, v[4:5], off offset:136
	s_waitcnt vmcnt(1)
	global_store_dword v[4:5], v140, off offset:136
	s_waitcnt vmcnt(0)
	global_store_dword v[133:134], v141, off
.LBB124_584:
	s_or_b32 exec_lo, exec_lo, s2
	v_mov_b32_e32 v140, v132
	v_mov_b32_e32 v141, v132
.LBB124_585:
	s_or_b32 exec_lo, exec_lo, s1
.LBB124_586:
	s_andn2_saveexec_b32 s0, s0
	s_cbranch_execz .LBB124_588
; %bb.587:
	v_mov_b32_e32 v141, 34
	ds_write2_b64 v138, v[58:59], v[56:57] offset0:35 offset1:36
	ds_write2_b64 v138, v[54:55], v[52:53] offset0:37 offset1:38
	;; [unrolled: 1-line block ×14, first 2 shown]
.LBB124_588:
	s_or_b32 exec_lo, exec_lo, s0
	s_mov_b32 s0, exec_lo
	s_waitcnt lgkmcnt(0)
	s_waitcnt_vscnt null, 0x0
	s_barrier
	buffer_gl0_inv
	v_cmpx_lt_i32_e32 34, v141
	s_cbranch_execz .LBB124_590
; %bb.589:
	v_mul_f64 v[60:61], v[0:1], v[60:61]
	ds_read2_b64 v[142:145], v138 offset0:35 offset1:36
	ds_read2_b64 v[146:149], v138 offset0:37 offset1:38
	;; [unrolled: 1-line block ×14, first 2 shown]
	s_waitcnt lgkmcnt(13)
	v_fma_f64 v[58:59], -v[60:61], v[142:143], v[58:59]
	v_fma_f64 v[56:57], -v[60:61], v[144:145], v[56:57]
	s_waitcnt lgkmcnt(12)
	v_fma_f64 v[54:55], -v[60:61], v[146:147], v[54:55]
	v_fma_f64 v[52:53], -v[60:61], v[148:149], v[52:53]
	;; [unrolled: 3-line block ×14, first 2 shown]
.LBB124_590:
	s_or_b32 exec_lo, exec_lo, s0
	v_lshl_add_u32 v0, v141, 3, v138
	s_barrier
	buffer_gl0_inv
	v_mov_b32_e32 v132, 35
	ds_write_b64 v0, v[58:59]
	s_waitcnt lgkmcnt(0)
	s_barrier
	buffer_gl0_inv
	ds_read_b64 v[0:1], v138 offset:280
	s_cmp_lt_i32 s7, 37
	s_cbranch_scc1 .LBB124_593
; %bb.591:
	v_add3_u32 v133, v139, 0, 0x120
	v_mov_b32_e32 v132, 35
	s_mov_b32 s0, 36
.LBB124_592:                            ; =>This Inner Loop Header: Depth=1
	ds_read_b64 v[142:143], v133
	v_add_nc_u32_e32 v133, 8, v133
	s_waitcnt lgkmcnt(0)
	v_cmp_lt_f64_e64 vcc_lo, |v[0:1]|, |v[142:143]|
	v_cndmask_b32_e32 v1, v1, v143, vcc_lo
	v_cndmask_b32_e32 v0, v0, v142, vcc_lo
	v_cndmask_b32_e64 v132, v132, s0, vcc_lo
	s_add_i32 s0, s0, 1
	s_cmp_lg_u32 s7, s0
	s_cbranch_scc1 .LBB124_592
.LBB124_593:
	s_mov_b32 s0, exec_lo
	s_waitcnt lgkmcnt(0)
	v_cmpx_eq_f64_e32 0, v[0:1]
	s_xor_b32 s0, exec_lo, s0
; %bb.594:
	v_cmp_ne_u32_e32 vcc_lo, 0, v135
	v_cndmask_b32_e32 v135, 36, v135, vcc_lo
; %bb.595:
	s_andn2_saveexec_b32 s0, s0
	s_cbranch_execz .LBB124_597
; %bb.596:
	v_div_scale_f64 v[133:134], null, v[0:1], v[0:1], 1.0
	v_rcp_f64_e32 v[142:143], v[133:134]
	v_fma_f64 v[144:145], -v[133:134], v[142:143], 1.0
	v_fma_f64 v[142:143], v[142:143], v[144:145], v[142:143]
	v_fma_f64 v[144:145], -v[133:134], v[142:143], 1.0
	v_fma_f64 v[142:143], v[142:143], v[144:145], v[142:143]
	v_div_scale_f64 v[144:145], vcc_lo, 1.0, v[0:1], 1.0
	v_mul_f64 v[146:147], v[144:145], v[142:143]
	v_fma_f64 v[133:134], -v[133:134], v[146:147], v[144:145]
	v_div_fmas_f64 v[133:134], v[133:134], v[142:143], v[146:147]
	v_div_fixup_f64 v[0:1], v[133:134], v[0:1], 1.0
.LBB124_597:
	s_or_b32 exec_lo, exec_lo, s0
	s_mov_b32 s0, exec_lo
	v_cmpx_ne_u32_e64 v141, v132
	s_xor_b32 s0, exec_lo, s0
	s_cbranch_execz .LBB124_603
; %bb.598:
	s_mov_b32 s1, exec_lo
	v_cmpx_eq_u32_e32 35, v141
	s_cbranch_execz .LBB124_602
; %bb.599:
	v_cmp_ne_u32_e32 vcc_lo, 35, v132
	s_xor_b32 s2, s6, -1
	s_and_b32 s3, s2, vcc_lo
	s_and_saveexec_b32 s2, s3
	s_cbranch_execz .LBB124_601
; %bb.600:
	v_ashrrev_i32_e32 v133, 31, v132
	v_lshlrev_b64 v[133:134], 2, v[132:133]
	v_add_co_u32 v133, vcc_lo, v4, v133
	v_add_co_ci_u32_e64 v134, null, v5, v134, vcc_lo
	s_clause 0x1
	global_load_dword v140, v[133:134], off
	global_load_dword v141, v[4:5], off offset:140
	s_waitcnt vmcnt(1)
	global_store_dword v[4:5], v140, off offset:140
	s_waitcnt vmcnt(0)
	global_store_dword v[133:134], v141, off
.LBB124_601:
	s_or_b32 exec_lo, exec_lo, s2
	v_mov_b32_e32 v140, v132
	v_mov_b32_e32 v141, v132
.LBB124_602:
	s_or_b32 exec_lo, exec_lo, s1
.LBB124_603:
	s_andn2_saveexec_b32 s0, s0
	s_cbranch_execz .LBB124_605
; %bb.604:
	v_mov_b32_e32 v132, v56
	v_mov_b32_e32 v133, v57
	;; [unrolled: 1-line block ×16, first 2 shown]
	ds_write2_b64 v138, v[132:133], v[141:142] offset0:36 offset1:37
	ds_write2_b64 v138, v[143:144], v[145:146] offset0:38 offset1:39
	;; [unrolled: 1-line block ×4, first 2 shown]
	v_mov_b32_e32 v132, v40
	v_mov_b32_e32 v133, v41
	;; [unrolled: 1-line block ×20, first 2 shown]
	ds_write2_b64 v138, v[132:133], v[141:142] offset0:44 offset1:45
	ds_write2_b64 v138, v[143:144], v[145:146] offset0:46 offset1:47
	;; [unrolled: 1-line block ×5, first 2 shown]
	v_mov_b32_e32 v132, v20
	v_mov_b32_e32 v133, v21
	;; [unrolled: 1-line block ×8, first 2 shown]
	ds_write2_b64 v138, v[132:133], v[141:142] offset0:54 offset1:55
	v_mov_b32_e32 v141, 35
	v_mov_b32_e32 v147, v12
	;; [unrolled: 1-line block ×9, first 2 shown]
	ds_write2_b64 v138, v[143:144], v[145:146] offset0:56 offset1:57
	ds_write2_b64 v138, v[147:148], v[149:150] offset0:58 offset1:59
	;; [unrolled: 1-line block ×3, first 2 shown]
	ds_write_b64 v138, v[130:131] offset:496
.LBB124_605:
	s_or_b32 exec_lo, exec_lo, s0
	s_mov_b32 s0, exec_lo
	s_waitcnt lgkmcnt(0)
	s_waitcnt_vscnt null, 0x0
	s_barrier
	buffer_gl0_inv
	v_cmpx_lt_i32_e32 35, v141
	s_cbranch_execz .LBB124_607
; %bb.606:
	v_mul_f64 v[58:59], v[0:1], v[58:59]
	ds_read2_b64 v[142:145], v138 offset0:36 offset1:37
	ds_read2_b64 v[146:149], v138 offset0:38 offset1:39
	ds_read2_b64 v[150:153], v138 offset0:40 offset1:41
	ds_read2_b64 v[154:157], v138 offset0:42 offset1:43
	ds_read2_b64 v[158:161], v138 offset0:44 offset1:45
	ds_read2_b64 v[162:165], v138 offset0:46 offset1:47
	ds_read2_b64 v[166:169], v138 offset0:48 offset1:49
	ds_read2_b64 v[170:173], v138 offset0:50 offset1:51
	ds_read2_b64 v[174:177], v138 offset0:52 offset1:53
	ds_read2_b64 v[178:181], v138 offset0:54 offset1:55
	ds_read2_b64 v[182:185], v138 offset0:56 offset1:57
	ds_read2_b64 v[186:189], v138 offset0:58 offset1:59
	ds_read2_b64 v[190:193], v138 offset0:60 offset1:61
	ds_read_b64 v[0:1], v138 offset:496
	s_waitcnt lgkmcnt(13)
	v_fma_f64 v[56:57], -v[58:59], v[142:143], v[56:57]
	v_fma_f64 v[54:55], -v[58:59], v[144:145], v[54:55]
	s_waitcnt lgkmcnt(12)
	v_fma_f64 v[52:53], -v[58:59], v[146:147], v[52:53]
	v_fma_f64 v[48:49], -v[58:59], v[148:149], v[48:49]
	;; [unrolled: 3-line block ×13, first 2 shown]
	s_waitcnt lgkmcnt(0)
	v_fma_f64 v[130:131], -v[58:59], v[0:1], v[130:131]
.LBB124_607:
	s_or_b32 exec_lo, exec_lo, s0
	v_lshl_add_u32 v0, v141, 3, v138
	s_barrier
	buffer_gl0_inv
	v_mov_b32_e32 v132, 36
	ds_write_b64 v0, v[56:57]
	s_waitcnt lgkmcnt(0)
	s_barrier
	buffer_gl0_inv
	ds_read_b64 v[0:1], v138 offset:288
	s_cmp_lt_i32 s7, 38
	s_cbranch_scc1 .LBB124_610
; %bb.608:
	v_add3_u32 v133, v139, 0, 0x128
	v_mov_b32_e32 v132, 36
	s_mov_b32 s0, 37
.LBB124_609:                            ; =>This Inner Loop Header: Depth=1
	ds_read_b64 v[142:143], v133
	v_add_nc_u32_e32 v133, 8, v133
	s_waitcnt lgkmcnt(0)
	v_cmp_lt_f64_e64 vcc_lo, |v[0:1]|, |v[142:143]|
	v_cndmask_b32_e32 v1, v1, v143, vcc_lo
	v_cndmask_b32_e32 v0, v0, v142, vcc_lo
	v_cndmask_b32_e64 v132, v132, s0, vcc_lo
	s_add_i32 s0, s0, 1
	s_cmp_lg_u32 s7, s0
	s_cbranch_scc1 .LBB124_609
.LBB124_610:
	s_mov_b32 s0, exec_lo
	s_waitcnt lgkmcnt(0)
	v_cmpx_eq_f64_e32 0, v[0:1]
	s_xor_b32 s0, exec_lo, s0
; %bb.611:
	v_cmp_ne_u32_e32 vcc_lo, 0, v135
	v_cndmask_b32_e32 v135, 37, v135, vcc_lo
; %bb.612:
	s_andn2_saveexec_b32 s0, s0
	s_cbranch_execz .LBB124_614
; %bb.613:
	v_div_scale_f64 v[133:134], null, v[0:1], v[0:1], 1.0
	v_rcp_f64_e32 v[142:143], v[133:134]
	v_fma_f64 v[144:145], -v[133:134], v[142:143], 1.0
	v_fma_f64 v[142:143], v[142:143], v[144:145], v[142:143]
	v_fma_f64 v[144:145], -v[133:134], v[142:143], 1.0
	v_fma_f64 v[142:143], v[142:143], v[144:145], v[142:143]
	v_div_scale_f64 v[144:145], vcc_lo, 1.0, v[0:1], 1.0
	v_mul_f64 v[146:147], v[144:145], v[142:143]
	v_fma_f64 v[133:134], -v[133:134], v[146:147], v[144:145]
	v_div_fmas_f64 v[133:134], v[133:134], v[142:143], v[146:147]
	v_div_fixup_f64 v[0:1], v[133:134], v[0:1], 1.0
.LBB124_614:
	s_or_b32 exec_lo, exec_lo, s0
	s_mov_b32 s0, exec_lo
	v_cmpx_ne_u32_e64 v141, v132
	s_xor_b32 s0, exec_lo, s0
	s_cbranch_execz .LBB124_620
; %bb.615:
	s_mov_b32 s1, exec_lo
	v_cmpx_eq_u32_e32 36, v141
	s_cbranch_execz .LBB124_619
; %bb.616:
	v_cmp_ne_u32_e32 vcc_lo, 36, v132
	s_xor_b32 s2, s6, -1
	s_and_b32 s3, s2, vcc_lo
	s_and_saveexec_b32 s2, s3
	s_cbranch_execz .LBB124_618
; %bb.617:
	v_ashrrev_i32_e32 v133, 31, v132
	v_lshlrev_b64 v[133:134], 2, v[132:133]
	v_add_co_u32 v133, vcc_lo, v4, v133
	v_add_co_ci_u32_e64 v134, null, v5, v134, vcc_lo
	s_clause 0x1
	global_load_dword v140, v[133:134], off
	global_load_dword v141, v[4:5], off offset:144
	s_waitcnt vmcnt(1)
	global_store_dword v[4:5], v140, off offset:144
	s_waitcnt vmcnt(0)
	global_store_dword v[133:134], v141, off
.LBB124_618:
	s_or_b32 exec_lo, exec_lo, s2
	v_mov_b32_e32 v140, v132
	v_mov_b32_e32 v141, v132
.LBB124_619:
	s_or_b32 exec_lo, exec_lo, s1
.LBB124_620:
	s_andn2_saveexec_b32 s0, s0
	s_cbranch_execz .LBB124_622
; %bb.621:
	v_mov_b32_e32 v141, 36
	ds_write2_b64 v138, v[54:55], v[52:53] offset0:37 offset1:38
	ds_write2_b64 v138, v[48:49], v[50:51] offset0:39 offset1:40
	;; [unrolled: 1-line block ×13, first 2 shown]
.LBB124_622:
	s_or_b32 exec_lo, exec_lo, s0
	s_mov_b32 s0, exec_lo
	s_waitcnt lgkmcnt(0)
	s_waitcnt_vscnt null, 0x0
	s_barrier
	buffer_gl0_inv
	v_cmpx_lt_i32_e32 36, v141
	s_cbranch_execz .LBB124_624
; %bb.623:
	v_mul_f64 v[56:57], v[0:1], v[56:57]
	ds_read2_b64 v[142:145], v138 offset0:37 offset1:38
	ds_read2_b64 v[146:149], v138 offset0:39 offset1:40
	;; [unrolled: 1-line block ×13, first 2 shown]
	s_waitcnt lgkmcnt(12)
	v_fma_f64 v[54:55], -v[56:57], v[142:143], v[54:55]
	v_fma_f64 v[52:53], -v[56:57], v[144:145], v[52:53]
	s_waitcnt lgkmcnt(11)
	v_fma_f64 v[48:49], -v[56:57], v[146:147], v[48:49]
	v_fma_f64 v[50:51], -v[56:57], v[148:149], v[50:51]
	;; [unrolled: 3-line block ×13, first 2 shown]
.LBB124_624:
	s_or_b32 exec_lo, exec_lo, s0
	v_lshl_add_u32 v0, v141, 3, v138
	s_barrier
	buffer_gl0_inv
	v_mov_b32_e32 v132, 37
	ds_write_b64 v0, v[54:55]
	s_waitcnt lgkmcnt(0)
	s_barrier
	buffer_gl0_inv
	ds_read_b64 v[0:1], v138 offset:296
	s_cmp_lt_i32 s7, 39
	s_cbranch_scc1 .LBB124_627
; %bb.625:
	v_add3_u32 v133, v139, 0, 0x130
	v_mov_b32_e32 v132, 37
	s_mov_b32 s0, 38
.LBB124_626:                            ; =>This Inner Loop Header: Depth=1
	ds_read_b64 v[142:143], v133
	v_add_nc_u32_e32 v133, 8, v133
	s_waitcnt lgkmcnt(0)
	v_cmp_lt_f64_e64 vcc_lo, |v[0:1]|, |v[142:143]|
	v_cndmask_b32_e32 v1, v1, v143, vcc_lo
	v_cndmask_b32_e32 v0, v0, v142, vcc_lo
	v_cndmask_b32_e64 v132, v132, s0, vcc_lo
	s_add_i32 s0, s0, 1
	s_cmp_lg_u32 s7, s0
	s_cbranch_scc1 .LBB124_626
.LBB124_627:
	s_mov_b32 s0, exec_lo
	s_waitcnt lgkmcnt(0)
	v_cmpx_eq_f64_e32 0, v[0:1]
	s_xor_b32 s0, exec_lo, s0
; %bb.628:
	v_cmp_ne_u32_e32 vcc_lo, 0, v135
	v_cndmask_b32_e32 v135, 38, v135, vcc_lo
; %bb.629:
	s_andn2_saveexec_b32 s0, s0
	s_cbranch_execz .LBB124_631
; %bb.630:
	v_div_scale_f64 v[133:134], null, v[0:1], v[0:1], 1.0
	v_rcp_f64_e32 v[142:143], v[133:134]
	v_fma_f64 v[144:145], -v[133:134], v[142:143], 1.0
	v_fma_f64 v[142:143], v[142:143], v[144:145], v[142:143]
	v_fma_f64 v[144:145], -v[133:134], v[142:143], 1.0
	v_fma_f64 v[142:143], v[142:143], v[144:145], v[142:143]
	v_div_scale_f64 v[144:145], vcc_lo, 1.0, v[0:1], 1.0
	v_mul_f64 v[146:147], v[144:145], v[142:143]
	v_fma_f64 v[133:134], -v[133:134], v[146:147], v[144:145]
	v_div_fmas_f64 v[133:134], v[133:134], v[142:143], v[146:147]
	v_div_fixup_f64 v[0:1], v[133:134], v[0:1], 1.0
.LBB124_631:
	s_or_b32 exec_lo, exec_lo, s0
	s_mov_b32 s0, exec_lo
	v_cmpx_ne_u32_e64 v141, v132
	s_xor_b32 s0, exec_lo, s0
	s_cbranch_execz .LBB124_637
; %bb.632:
	s_mov_b32 s1, exec_lo
	v_cmpx_eq_u32_e32 37, v141
	s_cbranch_execz .LBB124_636
; %bb.633:
	v_cmp_ne_u32_e32 vcc_lo, 37, v132
	s_xor_b32 s2, s6, -1
	s_and_b32 s3, s2, vcc_lo
	s_and_saveexec_b32 s2, s3
	s_cbranch_execz .LBB124_635
; %bb.634:
	v_ashrrev_i32_e32 v133, 31, v132
	v_lshlrev_b64 v[133:134], 2, v[132:133]
	v_add_co_u32 v133, vcc_lo, v4, v133
	v_add_co_ci_u32_e64 v134, null, v5, v134, vcc_lo
	s_clause 0x1
	global_load_dword v140, v[133:134], off
	global_load_dword v141, v[4:5], off offset:148
	s_waitcnt vmcnt(1)
	global_store_dword v[4:5], v140, off offset:148
	s_waitcnt vmcnt(0)
	global_store_dword v[133:134], v141, off
.LBB124_635:
	s_or_b32 exec_lo, exec_lo, s2
	v_mov_b32_e32 v140, v132
	v_mov_b32_e32 v141, v132
.LBB124_636:
	s_or_b32 exec_lo, exec_lo, s1
.LBB124_637:
	s_andn2_saveexec_b32 s0, s0
	s_cbranch_execz .LBB124_639
; %bb.638:
	v_mov_b32_e32 v132, v52
	v_mov_b32_e32 v133, v53
	;; [unrolled: 1-line block ×12, first 2 shown]
	ds_write2_b64 v138, v[132:133], v[141:142] offset0:38 offset1:39
	ds_write2_b64 v138, v[143:144], v[145:146] offset0:40 offset1:41
	;; [unrolled: 1-line block ×3, first 2 shown]
	v_mov_b32_e32 v132, v40
	v_mov_b32_e32 v133, v41
	v_mov_b32_e32 v141, v38
	v_mov_b32_e32 v142, v39
	v_mov_b32_e32 v143, v36
	v_mov_b32_e32 v144, v37
	v_mov_b32_e32 v145, v34
	v_mov_b32_e32 v146, v35
	v_mov_b32_e32 v147, v32
	v_mov_b32_e32 v148, v33
	v_mov_b32_e32 v149, v28
	v_mov_b32_e32 v150, v29
	v_mov_b32_e32 v151, v30
	v_mov_b32_e32 v152, v31
	v_mov_b32_e32 v153, v24
	v_mov_b32_e32 v154, v25
	v_mov_b32_e32 v155, v26
	v_mov_b32_e32 v156, v27
	v_mov_b32_e32 v157, v22
	v_mov_b32_e32 v158, v23
	ds_write2_b64 v138, v[132:133], v[141:142] offset0:44 offset1:45
	ds_write2_b64 v138, v[143:144], v[145:146] offset0:46 offset1:47
	;; [unrolled: 1-line block ×5, first 2 shown]
	v_mov_b32_e32 v132, v20
	v_mov_b32_e32 v133, v21
	;; [unrolled: 1-line block ×8, first 2 shown]
	ds_write2_b64 v138, v[132:133], v[141:142] offset0:54 offset1:55
	v_mov_b32_e32 v141, 37
	v_mov_b32_e32 v147, v12
	;; [unrolled: 1-line block ×9, first 2 shown]
	ds_write2_b64 v138, v[143:144], v[145:146] offset0:56 offset1:57
	ds_write2_b64 v138, v[147:148], v[149:150] offset0:58 offset1:59
	;; [unrolled: 1-line block ×3, first 2 shown]
	ds_write_b64 v138, v[130:131] offset:496
.LBB124_639:
	s_or_b32 exec_lo, exec_lo, s0
	s_mov_b32 s0, exec_lo
	s_waitcnt lgkmcnt(0)
	s_waitcnt_vscnt null, 0x0
	s_barrier
	buffer_gl0_inv
	v_cmpx_lt_i32_e32 37, v141
	s_cbranch_execz .LBB124_641
; %bb.640:
	v_mul_f64 v[54:55], v[0:1], v[54:55]
	ds_read2_b64 v[142:145], v138 offset0:38 offset1:39
	ds_read2_b64 v[146:149], v138 offset0:40 offset1:41
	;; [unrolled: 1-line block ×12, first 2 shown]
	ds_read_b64 v[0:1], v138 offset:496
	s_waitcnt lgkmcnt(12)
	v_fma_f64 v[52:53], -v[54:55], v[142:143], v[52:53]
	v_fma_f64 v[48:49], -v[54:55], v[144:145], v[48:49]
	s_waitcnt lgkmcnt(11)
	v_fma_f64 v[50:51], -v[54:55], v[146:147], v[50:51]
	v_fma_f64 v[44:45], -v[54:55], v[148:149], v[44:45]
	;; [unrolled: 3-line block ×12, first 2 shown]
	s_waitcnt lgkmcnt(0)
	v_fma_f64 v[130:131], -v[54:55], v[0:1], v[130:131]
.LBB124_641:
	s_or_b32 exec_lo, exec_lo, s0
	v_lshl_add_u32 v0, v141, 3, v138
	s_barrier
	buffer_gl0_inv
	v_mov_b32_e32 v132, 38
	ds_write_b64 v0, v[52:53]
	s_waitcnt lgkmcnt(0)
	s_barrier
	buffer_gl0_inv
	ds_read_b64 v[0:1], v138 offset:304
	s_cmp_lt_i32 s7, 40
	s_cbranch_scc1 .LBB124_644
; %bb.642:
	v_add3_u32 v133, v139, 0, 0x138
	v_mov_b32_e32 v132, 38
	s_mov_b32 s0, 39
.LBB124_643:                            ; =>This Inner Loop Header: Depth=1
	ds_read_b64 v[142:143], v133
	v_add_nc_u32_e32 v133, 8, v133
	s_waitcnt lgkmcnt(0)
	v_cmp_lt_f64_e64 vcc_lo, |v[0:1]|, |v[142:143]|
	v_cndmask_b32_e32 v1, v1, v143, vcc_lo
	v_cndmask_b32_e32 v0, v0, v142, vcc_lo
	v_cndmask_b32_e64 v132, v132, s0, vcc_lo
	s_add_i32 s0, s0, 1
	s_cmp_lg_u32 s7, s0
	s_cbranch_scc1 .LBB124_643
.LBB124_644:
	s_mov_b32 s0, exec_lo
	s_waitcnt lgkmcnt(0)
	v_cmpx_eq_f64_e32 0, v[0:1]
	s_xor_b32 s0, exec_lo, s0
; %bb.645:
	v_cmp_ne_u32_e32 vcc_lo, 0, v135
	v_cndmask_b32_e32 v135, 39, v135, vcc_lo
; %bb.646:
	s_andn2_saveexec_b32 s0, s0
	s_cbranch_execz .LBB124_648
; %bb.647:
	v_div_scale_f64 v[133:134], null, v[0:1], v[0:1], 1.0
	v_rcp_f64_e32 v[142:143], v[133:134]
	v_fma_f64 v[144:145], -v[133:134], v[142:143], 1.0
	v_fma_f64 v[142:143], v[142:143], v[144:145], v[142:143]
	v_fma_f64 v[144:145], -v[133:134], v[142:143], 1.0
	v_fma_f64 v[142:143], v[142:143], v[144:145], v[142:143]
	v_div_scale_f64 v[144:145], vcc_lo, 1.0, v[0:1], 1.0
	v_mul_f64 v[146:147], v[144:145], v[142:143]
	v_fma_f64 v[133:134], -v[133:134], v[146:147], v[144:145]
	v_div_fmas_f64 v[133:134], v[133:134], v[142:143], v[146:147]
	v_div_fixup_f64 v[0:1], v[133:134], v[0:1], 1.0
.LBB124_648:
	s_or_b32 exec_lo, exec_lo, s0
	s_mov_b32 s0, exec_lo
	v_cmpx_ne_u32_e64 v141, v132
	s_xor_b32 s0, exec_lo, s0
	s_cbranch_execz .LBB124_654
; %bb.649:
	s_mov_b32 s1, exec_lo
	v_cmpx_eq_u32_e32 38, v141
	s_cbranch_execz .LBB124_653
; %bb.650:
	v_cmp_ne_u32_e32 vcc_lo, 38, v132
	s_xor_b32 s2, s6, -1
	s_and_b32 s3, s2, vcc_lo
	s_and_saveexec_b32 s2, s3
	s_cbranch_execz .LBB124_652
; %bb.651:
	v_ashrrev_i32_e32 v133, 31, v132
	v_lshlrev_b64 v[133:134], 2, v[132:133]
	v_add_co_u32 v133, vcc_lo, v4, v133
	v_add_co_ci_u32_e64 v134, null, v5, v134, vcc_lo
	s_clause 0x1
	global_load_dword v140, v[133:134], off
	global_load_dword v141, v[4:5], off offset:152
	s_waitcnt vmcnt(1)
	global_store_dword v[4:5], v140, off offset:152
	s_waitcnt vmcnt(0)
	global_store_dword v[133:134], v141, off
.LBB124_652:
	s_or_b32 exec_lo, exec_lo, s2
	v_mov_b32_e32 v140, v132
	v_mov_b32_e32 v141, v132
.LBB124_653:
	s_or_b32 exec_lo, exec_lo, s1
.LBB124_654:
	s_andn2_saveexec_b32 s0, s0
	s_cbranch_execz .LBB124_656
; %bb.655:
	v_mov_b32_e32 v141, 38
	ds_write2_b64 v138, v[48:49], v[50:51] offset0:39 offset1:40
	ds_write2_b64 v138, v[44:45], v[46:47] offset0:41 offset1:42
	;; [unrolled: 1-line block ×12, first 2 shown]
.LBB124_656:
	s_or_b32 exec_lo, exec_lo, s0
	s_mov_b32 s0, exec_lo
	s_waitcnt lgkmcnt(0)
	s_waitcnt_vscnt null, 0x0
	s_barrier
	buffer_gl0_inv
	v_cmpx_lt_i32_e32 38, v141
	s_cbranch_execz .LBB124_658
; %bb.657:
	v_mul_f64 v[52:53], v[0:1], v[52:53]
	ds_read2_b64 v[142:145], v138 offset0:39 offset1:40
	ds_read2_b64 v[146:149], v138 offset0:41 offset1:42
	;; [unrolled: 1-line block ×12, first 2 shown]
	s_waitcnt lgkmcnt(11)
	v_fma_f64 v[48:49], -v[52:53], v[142:143], v[48:49]
	v_fma_f64 v[50:51], -v[52:53], v[144:145], v[50:51]
	s_waitcnt lgkmcnt(10)
	v_fma_f64 v[44:45], -v[52:53], v[146:147], v[44:45]
	v_fma_f64 v[46:47], -v[52:53], v[148:149], v[46:47]
	;; [unrolled: 3-line block ×12, first 2 shown]
.LBB124_658:
	s_or_b32 exec_lo, exec_lo, s0
	v_lshl_add_u32 v0, v141, 3, v138
	s_barrier
	buffer_gl0_inv
	v_mov_b32_e32 v132, 39
	ds_write_b64 v0, v[48:49]
	s_waitcnt lgkmcnt(0)
	s_barrier
	buffer_gl0_inv
	ds_read_b64 v[0:1], v138 offset:312
	s_cmp_lt_i32 s7, 41
	s_cbranch_scc1 .LBB124_661
; %bb.659:
	v_add3_u32 v133, v139, 0, 0x140
	v_mov_b32_e32 v132, 39
	s_mov_b32 s0, 40
.LBB124_660:                            ; =>This Inner Loop Header: Depth=1
	ds_read_b64 v[142:143], v133
	v_add_nc_u32_e32 v133, 8, v133
	s_waitcnt lgkmcnt(0)
	v_cmp_lt_f64_e64 vcc_lo, |v[0:1]|, |v[142:143]|
	v_cndmask_b32_e32 v1, v1, v143, vcc_lo
	v_cndmask_b32_e32 v0, v0, v142, vcc_lo
	v_cndmask_b32_e64 v132, v132, s0, vcc_lo
	s_add_i32 s0, s0, 1
	s_cmp_lg_u32 s7, s0
	s_cbranch_scc1 .LBB124_660
.LBB124_661:
	s_mov_b32 s0, exec_lo
	s_waitcnt lgkmcnt(0)
	v_cmpx_eq_f64_e32 0, v[0:1]
	s_xor_b32 s0, exec_lo, s0
; %bb.662:
	v_cmp_ne_u32_e32 vcc_lo, 0, v135
	v_cndmask_b32_e32 v135, 40, v135, vcc_lo
; %bb.663:
	s_andn2_saveexec_b32 s0, s0
	s_cbranch_execz .LBB124_665
; %bb.664:
	v_div_scale_f64 v[133:134], null, v[0:1], v[0:1], 1.0
	v_rcp_f64_e32 v[142:143], v[133:134]
	v_fma_f64 v[144:145], -v[133:134], v[142:143], 1.0
	v_fma_f64 v[142:143], v[142:143], v[144:145], v[142:143]
	v_fma_f64 v[144:145], -v[133:134], v[142:143], 1.0
	v_fma_f64 v[142:143], v[142:143], v[144:145], v[142:143]
	v_div_scale_f64 v[144:145], vcc_lo, 1.0, v[0:1], 1.0
	v_mul_f64 v[146:147], v[144:145], v[142:143]
	v_fma_f64 v[133:134], -v[133:134], v[146:147], v[144:145]
	v_div_fmas_f64 v[133:134], v[133:134], v[142:143], v[146:147]
	v_div_fixup_f64 v[0:1], v[133:134], v[0:1], 1.0
.LBB124_665:
	s_or_b32 exec_lo, exec_lo, s0
	s_mov_b32 s0, exec_lo
	v_cmpx_ne_u32_e64 v141, v132
	s_xor_b32 s0, exec_lo, s0
	s_cbranch_execz .LBB124_671
; %bb.666:
	s_mov_b32 s1, exec_lo
	v_cmpx_eq_u32_e32 39, v141
	s_cbranch_execz .LBB124_670
; %bb.667:
	v_cmp_ne_u32_e32 vcc_lo, 39, v132
	s_xor_b32 s2, s6, -1
	s_and_b32 s3, s2, vcc_lo
	s_and_saveexec_b32 s2, s3
	s_cbranch_execz .LBB124_669
; %bb.668:
	v_ashrrev_i32_e32 v133, 31, v132
	v_lshlrev_b64 v[133:134], 2, v[132:133]
	v_add_co_u32 v133, vcc_lo, v4, v133
	v_add_co_ci_u32_e64 v134, null, v5, v134, vcc_lo
	s_clause 0x1
	global_load_dword v140, v[133:134], off
	global_load_dword v141, v[4:5], off offset:156
	s_waitcnt vmcnt(1)
	global_store_dword v[4:5], v140, off offset:156
	s_waitcnt vmcnt(0)
	global_store_dword v[133:134], v141, off
.LBB124_669:
	s_or_b32 exec_lo, exec_lo, s2
	v_mov_b32_e32 v140, v132
	v_mov_b32_e32 v141, v132
.LBB124_670:
	s_or_b32 exec_lo, exec_lo, s1
.LBB124_671:
	s_andn2_saveexec_b32 s0, s0
	s_cbranch_execz .LBB124_673
; %bb.672:
	v_mov_b32_e32 v132, v50
	v_mov_b32_e32 v133, v51
	;; [unrolled: 1-line block ×8, first 2 shown]
	ds_write2_b64 v138, v[132:133], v[141:142] offset0:40 offset1:41
	ds_write2_b64 v138, v[143:144], v[145:146] offset0:42 offset1:43
	v_mov_b32_e32 v132, v40
	v_mov_b32_e32 v133, v41
	;; [unrolled: 1-line block ×20, first 2 shown]
	ds_write2_b64 v138, v[132:133], v[141:142] offset0:44 offset1:45
	ds_write2_b64 v138, v[143:144], v[145:146] offset0:46 offset1:47
	;; [unrolled: 1-line block ×5, first 2 shown]
	v_mov_b32_e32 v132, v20
	v_mov_b32_e32 v133, v21
	;; [unrolled: 1-line block ×8, first 2 shown]
	ds_write2_b64 v138, v[132:133], v[141:142] offset0:54 offset1:55
	v_mov_b32_e32 v141, 39
	v_mov_b32_e32 v147, v12
	;; [unrolled: 1-line block ×9, first 2 shown]
	ds_write2_b64 v138, v[143:144], v[145:146] offset0:56 offset1:57
	ds_write2_b64 v138, v[147:148], v[149:150] offset0:58 offset1:59
	;; [unrolled: 1-line block ×3, first 2 shown]
	ds_write_b64 v138, v[130:131] offset:496
.LBB124_673:
	s_or_b32 exec_lo, exec_lo, s0
	s_mov_b32 s0, exec_lo
	s_waitcnt lgkmcnt(0)
	s_waitcnt_vscnt null, 0x0
	s_barrier
	buffer_gl0_inv
	v_cmpx_lt_i32_e32 39, v141
	s_cbranch_execz .LBB124_675
; %bb.674:
	v_mul_f64 v[48:49], v[0:1], v[48:49]
	ds_read2_b64 v[142:145], v138 offset0:40 offset1:41
	ds_read2_b64 v[146:149], v138 offset0:42 offset1:43
	;; [unrolled: 1-line block ×11, first 2 shown]
	ds_read_b64 v[0:1], v138 offset:496
	s_waitcnt lgkmcnt(11)
	v_fma_f64 v[50:51], -v[48:49], v[142:143], v[50:51]
	v_fma_f64 v[44:45], -v[48:49], v[144:145], v[44:45]
	s_waitcnt lgkmcnt(10)
	v_fma_f64 v[46:47], -v[48:49], v[146:147], v[46:47]
	v_fma_f64 v[42:43], -v[48:49], v[148:149], v[42:43]
	;; [unrolled: 3-line block ×11, first 2 shown]
	s_waitcnt lgkmcnt(0)
	v_fma_f64 v[130:131], -v[48:49], v[0:1], v[130:131]
.LBB124_675:
	s_or_b32 exec_lo, exec_lo, s0
	v_lshl_add_u32 v0, v141, 3, v138
	s_barrier
	buffer_gl0_inv
	v_mov_b32_e32 v132, 40
	ds_write_b64 v0, v[50:51]
	s_waitcnt lgkmcnt(0)
	s_barrier
	buffer_gl0_inv
	ds_read_b64 v[0:1], v138 offset:320
	s_cmp_lt_i32 s7, 42
	s_cbranch_scc1 .LBB124_678
; %bb.676:
	v_add3_u32 v133, v139, 0, 0x148
	v_mov_b32_e32 v132, 40
	s_mov_b32 s0, 41
.LBB124_677:                            ; =>This Inner Loop Header: Depth=1
	ds_read_b64 v[142:143], v133
	v_add_nc_u32_e32 v133, 8, v133
	s_waitcnt lgkmcnt(0)
	v_cmp_lt_f64_e64 vcc_lo, |v[0:1]|, |v[142:143]|
	v_cndmask_b32_e32 v1, v1, v143, vcc_lo
	v_cndmask_b32_e32 v0, v0, v142, vcc_lo
	v_cndmask_b32_e64 v132, v132, s0, vcc_lo
	s_add_i32 s0, s0, 1
	s_cmp_lg_u32 s7, s0
	s_cbranch_scc1 .LBB124_677
.LBB124_678:
	s_mov_b32 s0, exec_lo
	s_waitcnt lgkmcnt(0)
	v_cmpx_eq_f64_e32 0, v[0:1]
	s_xor_b32 s0, exec_lo, s0
; %bb.679:
	v_cmp_ne_u32_e32 vcc_lo, 0, v135
	v_cndmask_b32_e32 v135, 41, v135, vcc_lo
; %bb.680:
	s_andn2_saveexec_b32 s0, s0
	s_cbranch_execz .LBB124_682
; %bb.681:
	v_div_scale_f64 v[133:134], null, v[0:1], v[0:1], 1.0
	v_rcp_f64_e32 v[142:143], v[133:134]
	v_fma_f64 v[144:145], -v[133:134], v[142:143], 1.0
	v_fma_f64 v[142:143], v[142:143], v[144:145], v[142:143]
	v_fma_f64 v[144:145], -v[133:134], v[142:143], 1.0
	v_fma_f64 v[142:143], v[142:143], v[144:145], v[142:143]
	v_div_scale_f64 v[144:145], vcc_lo, 1.0, v[0:1], 1.0
	v_mul_f64 v[146:147], v[144:145], v[142:143]
	v_fma_f64 v[133:134], -v[133:134], v[146:147], v[144:145]
	v_div_fmas_f64 v[133:134], v[133:134], v[142:143], v[146:147]
	v_div_fixup_f64 v[0:1], v[133:134], v[0:1], 1.0
.LBB124_682:
	s_or_b32 exec_lo, exec_lo, s0
	s_mov_b32 s0, exec_lo
	v_cmpx_ne_u32_e64 v141, v132
	s_xor_b32 s0, exec_lo, s0
	s_cbranch_execz .LBB124_688
; %bb.683:
	s_mov_b32 s1, exec_lo
	v_cmpx_eq_u32_e32 40, v141
	s_cbranch_execz .LBB124_687
; %bb.684:
	v_cmp_ne_u32_e32 vcc_lo, 40, v132
	s_xor_b32 s2, s6, -1
	s_and_b32 s3, s2, vcc_lo
	s_and_saveexec_b32 s2, s3
	s_cbranch_execz .LBB124_686
; %bb.685:
	v_ashrrev_i32_e32 v133, 31, v132
	v_lshlrev_b64 v[133:134], 2, v[132:133]
	v_add_co_u32 v133, vcc_lo, v4, v133
	v_add_co_ci_u32_e64 v134, null, v5, v134, vcc_lo
	s_clause 0x1
	global_load_dword v140, v[133:134], off
	global_load_dword v141, v[4:5], off offset:160
	s_waitcnt vmcnt(1)
	global_store_dword v[4:5], v140, off offset:160
	s_waitcnt vmcnt(0)
	global_store_dword v[133:134], v141, off
.LBB124_686:
	s_or_b32 exec_lo, exec_lo, s2
	v_mov_b32_e32 v140, v132
	v_mov_b32_e32 v141, v132
.LBB124_687:
	s_or_b32 exec_lo, exec_lo, s1
.LBB124_688:
	s_andn2_saveexec_b32 s0, s0
	s_cbranch_execz .LBB124_690
; %bb.689:
	v_mov_b32_e32 v141, 40
	ds_write2_b64 v138, v[44:45], v[46:47] offset0:41 offset1:42
	ds_write2_b64 v138, v[42:43], v[40:41] offset0:43 offset1:44
	;; [unrolled: 1-line block ×11, first 2 shown]
.LBB124_690:
	s_or_b32 exec_lo, exec_lo, s0
	s_mov_b32 s0, exec_lo
	s_waitcnt lgkmcnt(0)
	s_waitcnt_vscnt null, 0x0
	s_barrier
	buffer_gl0_inv
	v_cmpx_lt_i32_e32 40, v141
	s_cbranch_execz .LBB124_692
; %bb.691:
	v_mul_f64 v[50:51], v[0:1], v[50:51]
	ds_read2_b64 v[142:145], v138 offset0:41 offset1:42
	ds_read2_b64 v[146:149], v138 offset0:43 offset1:44
	;; [unrolled: 1-line block ×11, first 2 shown]
	s_waitcnt lgkmcnt(10)
	v_fma_f64 v[44:45], -v[50:51], v[142:143], v[44:45]
	v_fma_f64 v[46:47], -v[50:51], v[144:145], v[46:47]
	s_waitcnt lgkmcnt(9)
	v_fma_f64 v[42:43], -v[50:51], v[146:147], v[42:43]
	v_fma_f64 v[40:41], -v[50:51], v[148:149], v[40:41]
	;; [unrolled: 3-line block ×11, first 2 shown]
.LBB124_692:
	s_or_b32 exec_lo, exec_lo, s0
	v_lshl_add_u32 v0, v141, 3, v138
	s_barrier
	buffer_gl0_inv
	v_mov_b32_e32 v132, 41
	ds_write_b64 v0, v[44:45]
	s_waitcnt lgkmcnt(0)
	s_barrier
	buffer_gl0_inv
	ds_read_b64 v[0:1], v138 offset:328
	s_cmp_lt_i32 s7, 43
	s_cbranch_scc1 .LBB124_695
; %bb.693:
	v_add3_u32 v133, v139, 0, 0x150
	v_mov_b32_e32 v132, 41
	s_mov_b32 s0, 42
.LBB124_694:                            ; =>This Inner Loop Header: Depth=1
	ds_read_b64 v[142:143], v133
	v_add_nc_u32_e32 v133, 8, v133
	s_waitcnt lgkmcnt(0)
	v_cmp_lt_f64_e64 vcc_lo, |v[0:1]|, |v[142:143]|
	v_cndmask_b32_e32 v1, v1, v143, vcc_lo
	v_cndmask_b32_e32 v0, v0, v142, vcc_lo
	v_cndmask_b32_e64 v132, v132, s0, vcc_lo
	s_add_i32 s0, s0, 1
	s_cmp_lg_u32 s7, s0
	s_cbranch_scc1 .LBB124_694
.LBB124_695:
	s_mov_b32 s0, exec_lo
	s_waitcnt lgkmcnt(0)
	v_cmpx_eq_f64_e32 0, v[0:1]
	s_xor_b32 s0, exec_lo, s0
; %bb.696:
	v_cmp_ne_u32_e32 vcc_lo, 0, v135
	v_cndmask_b32_e32 v135, 42, v135, vcc_lo
; %bb.697:
	s_andn2_saveexec_b32 s0, s0
	s_cbranch_execz .LBB124_699
; %bb.698:
	v_div_scale_f64 v[133:134], null, v[0:1], v[0:1], 1.0
	v_rcp_f64_e32 v[142:143], v[133:134]
	v_fma_f64 v[144:145], -v[133:134], v[142:143], 1.0
	v_fma_f64 v[142:143], v[142:143], v[144:145], v[142:143]
	v_fma_f64 v[144:145], -v[133:134], v[142:143], 1.0
	v_fma_f64 v[142:143], v[142:143], v[144:145], v[142:143]
	v_div_scale_f64 v[144:145], vcc_lo, 1.0, v[0:1], 1.0
	v_mul_f64 v[146:147], v[144:145], v[142:143]
	v_fma_f64 v[133:134], -v[133:134], v[146:147], v[144:145]
	v_div_fmas_f64 v[133:134], v[133:134], v[142:143], v[146:147]
	v_div_fixup_f64 v[0:1], v[133:134], v[0:1], 1.0
.LBB124_699:
	s_or_b32 exec_lo, exec_lo, s0
	s_mov_b32 s0, exec_lo
	v_cmpx_ne_u32_e64 v141, v132
	s_xor_b32 s0, exec_lo, s0
	s_cbranch_execz .LBB124_705
; %bb.700:
	s_mov_b32 s1, exec_lo
	v_cmpx_eq_u32_e32 41, v141
	s_cbranch_execz .LBB124_704
; %bb.701:
	v_cmp_ne_u32_e32 vcc_lo, 41, v132
	s_xor_b32 s2, s6, -1
	s_and_b32 s3, s2, vcc_lo
	s_and_saveexec_b32 s2, s3
	s_cbranch_execz .LBB124_703
; %bb.702:
	v_ashrrev_i32_e32 v133, 31, v132
	v_lshlrev_b64 v[133:134], 2, v[132:133]
	v_add_co_u32 v133, vcc_lo, v4, v133
	v_add_co_ci_u32_e64 v134, null, v5, v134, vcc_lo
	s_clause 0x1
	global_load_dword v140, v[133:134], off
	global_load_dword v141, v[4:5], off offset:164
	s_waitcnt vmcnt(1)
	global_store_dword v[4:5], v140, off offset:164
	s_waitcnt vmcnt(0)
	global_store_dword v[133:134], v141, off
.LBB124_703:
	s_or_b32 exec_lo, exec_lo, s2
	v_mov_b32_e32 v140, v132
	v_mov_b32_e32 v141, v132
.LBB124_704:
	s_or_b32 exec_lo, exec_lo, s1
.LBB124_705:
	s_andn2_saveexec_b32 s0, s0
	s_cbranch_execz .LBB124_707
; %bb.706:
	v_mov_b32_e32 v132, v46
	v_mov_b32_e32 v133, v47
	;; [unrolled: 1-line block ×8, first 2 shown]
	ds_write2_b64 v138, v[132:133], v[141:142] offset0:42 offset1:43
	v_mov_b32_e32 v132, v38
	v_mov_b32_e32 v133, v39
	;; [unrolled: 1-line block ×16, first 2 shown]
	ds_write2_b64 v138, v[143:144], v[132:133] offset0:44 offset1:45
	ds_write2_b64 v138, v[141:142], v[145:146] offset0:46 offset1:47
	;; [unrolled: 1-line block ×5, first 2 shown]
	v_mov_b32_e32 v132, v20
	v_mov_b32_e32 v133, v21
	;; [unrolled: 1-line block ×8, first 2 shown]
	ds_write2_b64 v138, v[132:133], v[141:142] offset0:54 offset1:55
	v_mov_b32_e32 v141, 41
	v_mov_b32_e32 v147, v12
	;; [unrolled: 1-line block ×9, first 2 shown]
	ds_write2_b64 v138, v[143:144], v[145:146] offset0:56 offset1:57
	ds_write2_b64 v138, v[147:148], v[149:150] offset0:58 offset1:59
	;; [unrolled: 1-line block ×3, first 2 shown]
	ds_write_b64 v138, v[130:131] offset:496
.LBB124_707:
	s_or_b32 exec_lo, exec_lo, s0
	s_mov_b32 s0, exec_lo
	s_waitcnt lgkmcnt(0)
	s_waitcnt_vscnt null, 0x0
	s_barrier
	buffer_gl0_inv
	v_cmpx_lt_i32_e32 41, v141
	s_cbranch_execz .LBB124_709
; %bb.708:
	v_mul_f64 v[44:45], v[0:1], v[44:45]
	ds_read2_b64 v[142:145], v138 offset0:42 offset1:43
	ds_read2_b64 v[146:149], v138 offset0:44 offset1:45
	;; [unrolled: 1-line block ×10, first 2 shown]
	ds_read_b64 v[0:1], v138 offset:496
	s_waitcnt lgkmcnt(10)
	v_fma_f64 v[46:47], -v[44:45], v[142:143], v[46:47]
	v_fma_f64 v[42:43], -v[44:45], v[144:145], v[42:43]
	s_waitcnt lgkmcnt(9)
	v_fma_f64 v[40:41], -v[44:45], v[146:147], v[40:41]
	v_fma_f64 v[38:39], -v[44:45], v[148:149], v[38:39]
	;; [unrolled: 3-line block ×10, first 2 shown]
	s_waitcnt lgkmcnt(0)
	v_fma_f64 v[130:131], -v[44:45], v[0:1], v[130:131]
.LBB124_709:
	s_or_b32 exec_lo, exec_lo, s0
	v_lshl_add_u32 v0, v141, 3, v138
	s_barrier
	buffer_gl0_inv
	v_mov_b32_e32 v132, 42
	ds_write_b64 v0, v[46:47]
	s_waitcnt lgkmcnt(0)
	s_barrier
	buffer_gl0_inv
	ds_read_b64 v[0:1], v138 offset:336
	s_cmp_lt_i32 s7, 44
	s_cbranch_scc1 .LBB124_712
; %bb.710:
	v_add3_u32 v133, v139, 0, 0x158
	v_mov_b32_e32 v132, 42
	s_mov_b32 s0, 43
.LBB124_711:                            ; =>This Inner Loop Header: Depth=1
	ds_read_b64 v[142:143], v133
	v_add_nc_u32_e32 v133, 8, v133
	s_waitcnt lgkmcnt(0)
	v_cmp_lt_f64_e64 vcc_lo, |v[0:1]|, |v[142:143]|
	v_cndmask_b32_e32 v1, v1, v143, vcc_lo
	v_cndmask_b32_e32 v0, v0, v142, vcc_lo
	v_cndmask_b32_e64 v132, v132, s0, vcc_lo
	s_add_i32 s0, s0, 1
	s_cmp_lg_u32 s7, s0
	s_cbranch_scc1 .LBB124_711
.LBB124_712:
	s_mov_b32 s0, exec_lo
	s_waitcnt lgkmcnt(0)
	v_cmpx_eq_f64_e32 0, v[0:1]
	s_xor_b32 s0, exec_lo, s0
; %bb.713:
	v_cmp_ne_u32_e32 vcc_lo, 0, v135
	v_cndmask_b32_e32 v135, 43, v135, vcc_lo
; %bb.714:
	s_andn2_saveexec_b32 s0, s0
	s_cbranch_execz .LBB124_716
; %bb.715:
	v_div_scale_f64 v[133:134], null, v[0:1], v[0:1], 1.0
	v_rcp_f64_e32 v[142:143], v[133:134]
	v_fma_f64 v[144:145], -v[133:134], v[142:143], 1.0
	v_fma_f64 v[142:143], v[142:143], v[144:145], v[142:143]
	v_fma_f64 v[144:145], -v[133:134], v[142:143], 1.0
	v_fma_f64 v[142:143], v[142:143], v[144:145], v[142:143]
	v_div_scale_f64 v[144:145], vcc_lo, 1.0, v[0:1], 1.0
	v_mul_f64 v[146:147], v[144:145], v[142:143]
	v_fma_f64 v[133:134], -v[133:134], v[146:147], v[144:145]
	v_div_fmas_f64 v[133:134], v[133:134], v[142:143], v[146:147]
	v_div_fixup_f64 v[0:1], v[133:134], v[0:1], 1.0
.LBB124_716:
	s_or_b32 exec_lo, exec_lo, s0
	s_mov_b32 s0, exec_lo
	v_cmpx_ne_u32_e64 v141, v132
	s_xor_b32 s0, exec_lo, s0
	s_cbranch_execz .LBB124_722
; %bb.717:
	s_mov_b32 s1, exec_lo
	v_cmpx_eq_u32_e32 42, v141
	s_cbranch_execz .LBB124_721
; %bb.718:
	v_cmp_ne_u32_e32 vcc_lo, 42, v132
	s_xor_b32 s2, s6, -1
	s_and_b32 s3, s2, vcc_lo
	s_and_saveexec_b32 s2, s3
	s_cbranch_execz .LBB124_720
; %bb.719:
	v_ashrrev_i32_e32 v133, 31, v132
	v_lshlrev_b64 v[133:134], 2, v[132:133]
	v_add_co_u32 v133, vcc_lo, v4, v133
	v_add_co_ci_u32_e64 v134, null, v5, v134, vcc_lo
	s_clause 0x1
	global_load_dword v140, v[133:134], off
	global_load_dword v141, v[4:5], off offset:168
	s_waitcnt vmcnt(1)
	global_store_dword v[4:5], v140, off offset:168
	s_waitcnt vmcnt(0)
	global_store_dword v[133:134], v141, off
.LBB124_720:
	s_or_b32 exec_lo, exec_lo, s2
	v_mov_b32_e32 v140, v132
	v_mov_b32_e32 v141, v132
.LBB124_721:
	s_or_b32 exec_lo, exec_lo, s1
.LBB124_722:
	s_andn2_saveexec_b32 s0, s0
	s_cbranch_execz .LBB124_724
; %bb.723:
	v_mov_b32_e32 v141, 42
	ds_write2_b64 v138, v[42:43], v[40:41] offset0:43 offset1:44
	ds_write2_b64 v138, v[38:39], v[36:37] offset0:45 offset1:46
	;; [unrolled: 1-line block ×10, first 2 shown]
.LBB124_724:
	s_or_b32 exec_lo, exec_lo, s0
	s_mov_b32 s0, exec_lo
	s_waitcnt lgkmcnt(0)
	s_waitcnt_vscnt null, 0x0
	s_barrier
	buffer_gl0_inv
	v_cmpx_lt_i32_e32 42, v141
	s_cbranch_execz .LBB124_726
; %bb.725:
	v_mul_f64 v[46:47], v[0:1], v[46:47]
	ds_read2_b64 v[142:145], v138 offset0:43 offset1:44
	ds_read2_b64 v[146:149], v138 offset0:45 offset1:46
	;; [unrolled: 1-line block ×10, first 2 shown]
	s_waitcnt lgkmcnt(9)
	v_fma_f64 v[42:43], -v[46:47], v[142:143], v[42:43]
	v_fma_f64 v[40:41], -v[46:47], v[144:145], v[40:41]
	s_waitcnt lgkmcnt(8)
	v_fma_f64 v[38:39], -v[46:47], v[146:147], v[38:39]
	v_fma_f64 v[36:37], -v[46:47], v[148:149], v[36:37]
	s_waitcnt lgkmcnt(7)
	v_fma_f64 v[34:35], -v[46:47], v[150:151], v[34:35]
	v_fma_f64 v[32:33], -v[46:47], v[152:153], v[32:33]
	s_waitcnt lgkmcnt(6)
	v_fma_f64 v[28:29], -v[46:47], v[154:155], v[28:29]
	v_fma_f64 v[30:31], -v[46:47], v[156:157], v[30:31]
	s_waitcnt lgkmcnt(5)
	v_fma_f64 v[24:25], -v[46:47], v[158:159], v[24:25]
	v_fma_f64 v[26:27], -v[46:47], v[160:161], v[26:27]
	s_waitcnt lgkmcnt(4)
	v_fma_f64 v[22:23], -v[46:47], v[162:163], v[22:23]
	v_fma_f64 v[20:21], -v[46:47], v[164:165], v[20:21]
	s_waitcnt lgkmcnt(3)
	v_fma_f64 v[18:19], -v[46:47], v[166:167], v[18:19]
	v_fma_f64 v[16:17], -v[46:47], v[168:169], v[16:17]
	s_waitcnt lgkmcnt(2)
	v_fma_f64 v[14:15], -v[46:47], v[170:171], v[14:15]
	v_fma_f64 v[12:13], -v[46:47], v[172:173], v[12:13]
	s_waitcnt lgkmcnt(1)
	v_fma_f64 v[8:9], -v[46:47], v[174:175], v[8:9]
	v_fma_f64 v[10:11], -v[46:47], v[176:177], v[10:11]
	s_waitcnt lgkmcnt(0)
	v_fma_f64 v[6:7], -v[46:47], v[178:179], v[6:7]
	v_fma_f64 v[130:131], -v[46:47], v[180:181], v[130:131]
.LBB124_726:
	s_or_b32 exec_lo, exec_lo, s0
	v_lshl_add_u32 v0, v141, 3, v138
	s_barrier
	buffer_gl0_inv
	v_mov_b32_e32 v132, 43
	ds_write_b64 v0, v[42:43]
	s_waitcnt lgkmcnt(0)
	s_barrier
	buffer_gl0_inv
	ds_read_b64 v[0:1], v138 offset:344
	s_cmp_lt_i32 s7, 45
	s_cbranch_scc1 .LBB124_729
; %bb.727:
	v_add3_u32 v133, v139, 0, 0x160
	v_mov_b32_e32 v132, 43
	s_mov_b32 s0, 44
.LBB124_728:                            ; =>This Inner Loop Header: Depth=1
	ds_read_b64 v[142:143], v133
	v_add_nc_u32_e32 v133, 8, v133
	s_waitcnt lgkmcnt(0)
	v_cmp_lt_f64_e64 vcc_lo, |v[0:1]|, |v[142:143]|
	v_cndmask_b32_e32 v1, v1, v143, vcc_lo
	v_cndmask_b32_e32 v0, v0, v142, vcc_lo
	v_cndmask_b32_e64 v132, v132, s0, vcc_lo
	s_add_i32 s0, s0, 1
	s_cmp_lg_u32 s7, s0
	s_cbranch_scc1 .LBB124_728
.LBB124_729:
	s_mov_b32 s0, exec_lo
	s_waitcnt lgkmcnt(0)
	v_cmpx_eq_f64_e32 0, v[0:1]
	s_xor_b32 s0, exec_lo, s0
; %bb.730:
	v_cmp_ne_u32_e32 vcc_lo, 0, v135
	v_cndmask_b32_e32 v135, 44, v135, vcc_lo
; %bb.731:
	s_andn2_saveexec_b32 s0, s0
	s_cbranch_execz .LBB124_733
; %bb.732:
	v_div_scale_f64 v[133:134], null, v[0:1], v[0:1], 1.0
	v_rcp_f64_e32 v[142:143], v[133:134]
	v_fma_f64 v[144:145], -v[133:134], v[142:143], 1.0
	v_fma_f64 v[142:143], v[142:143], v[144:145], v[142:143]
	v_fma_f64 v[144:145], -v[133:134], v[142:143], 1.0
	v_fma_f64 v[142:143], v[142:143], v[144:145], v[142:143]
	v_div_scale_f64 v[144:145], vcc_lo, 1.0, v[0:1], 1.0
	v_mul_f64 v[146:147], v[144:145], v[142:143]
	v_fma_f64 v[133:134], -v[133:134], v[146:147], v[144:145]
	v_div_fmas_f64 v[133:134], v[133:134], v[142:143], v[146:147]
	v_div_fixup_f64 v[0:1], v[133:134], v[0:1], 1.0
.LBB124_733:
	s_or_b32 exec_lo, exec_lo, s0
	s_mov_b32 s0, exec_lo
	v_cmpx_ne_u32_e64 v141, v132
	s_xor_b32 s0, exec_lo, s0
	s_cbranch_execz .LBB124_739
; %bb.734:
	s_mov_b32 s1, exec_lo
	v_cmpx_eq_u32_e32 43, v141
	s_cbranch_execz .LBB124_738
; %bb.735:
	v_cmp_ne_u32_e32 vcc_lo, 43, v132
	s_xor_b32 s2, s6, -1
	s_and_b32 s3, s2, vcc_lo
	s_and_saveexec_b32 s2, s3
	s_cbranch_execz .LBB124_737
; %bb.736:
	v_ashrrev_i32_e32 v133, 31, v132
	v_lshlrev_b64 v[133:134], 2, v[132:133]
	v_add_co_u32 v133, vcc_lo, v4, v133
	v_add_co_ci_u32_e64 v134, null, v5, v134, vcc_lo
	s_clause 0x1
	global_load_dword v140, v[133:134], off
	global_load_dword v141, v[4:5], off offset:172
	s_waitcnt vmcnt(1)
	global_store_dword v[4:5], v140, off offset:172
	s_waitcnt vmcnt(0)
	global_store_dword v[133:134], v141, off
.LBB124_737:
	s_or_b32 exec_lo, exec_lo, s2
	v_mov_b32_e32 v140, v132
	v_mov_b32_e32 v141, v132
.LBB124_738:
	s_or_b32 exec_lo, exec_lo, s1
.LBB124_739:
	s_andn2_saveexec_b32 s0, s0
	s_cbranch_execz .LBB124_741
; %bb.740:
	v_mov_b32_e32 v132, v40
	v_mov_b32_e32 v133, v41
	;; [unrolled: 1-line block ×20, first 2 shown]
	ds_write2_b64 v138, v[132:133], v[141:142] offset0:44 offset1:45
	ds_write2_b64 v138, v[143:144], v[145:146] offset0:46 offset1:47
	;; [unrolled: 1-line block ×5, first 2 shown]
	v_mov_b32_e32 v132, v20
	v_mov_b32_e32 v133, v21
	;; [unrolled: 1-line block ×8, first 2 shown]
	ds_write2_b64 v138, v[132:133], v[141:142] offset0:54 offset1:55
	v_mov_b32_e32 v141, 43
	v_mov_b32_e32 v147, v12
	;; [unrolled: 1-line block ×9, first 2 shown]
	ds_write2_b64 v138, v[143:144], v[145:146] offset0:56 offset1:57
	ds_write2_b64 v138, v[147:148], v[149:150] offset0:58 offset1:59
	;; [unrolled: 1-line block ×3, first 2 shown]
	ds_write_b64 v138, v[130:131] offset:496
.LBB124_741:
	s_or_b32 exec_lo, exec_lo, s0
	s_mov_b32 s0, exec_lo
	s_waitcnt lgkmcnt(0)
	s_waitcnt_vscnt null, 0x0
	s_barrier
	buffer_gl0_inv
	v_cmpx_lt_i32_e32 43, v141
	s_cbranch_execz .LBB124_743
; %bb.742:
	v_mul_f64 v[42:43], v[0:1], v[42:43]
	ds_read2_b64 v[142:145], v138 offset0:44 offset1:45
	ds_read2_b64 v[146:149], v138 offset0:46 offset1:47
	;; [unrolled: 1-line block ×9, first 2 shown]
	ds_read_b64 v[0:1], v138 offset:496
	s_waitcnt lgkmcnt(9)
	v_fma_f64 v[40:41], -v[42:43], v[142:143], v[40:41]
	v_fma_f64 v[38:39], -v[42:43], v[144:145], v[38:39]
	s_waitcnt lgkmcnt(8)
	v_fma_f64 v[36:37], -v[42:43], v[146:147], v[36:37]
	v_fma_f64 v[34:35], -v[42:43], v[148:149], v[34:35]
	s_waitcnt lgkmcnt(7)
	v_fma_f64 v[32:33], -v[42:43], v[150:151], v[32:33]
	v_fma_f64 v[28:29], -v[42:43], v[152:153], v[28:29]
	s_waitcnt lgkmcnt(6)
	v_fma_f64 v[30:31], -v[42:43], v[154:155], v[30:31]
	v_fma_f64 v[24:25], -v[42:43], v[156:157], v[24:25]
	s_waitcnt lgkmcnt(5)
	v_fma_f64 v[26:27], -v[42:43], v[158:159], v[26:27]
	v_fma_f64 v[22:23], -v[42:43], v[160:161], v[22:23]
	s_waitcnt lgkmcnt(4)
	v_fma_f64 v[20:21], -v[42:43], v[162:163], v[20:21]
	v_fma_f64 v[18:19], -v[42:43], v[164:165], v[18:19]
	s_waitcnt lgkmcnt(3)
	v_fma_f64 v[16:17], -v[42:43], v[166:167], v[16:17]
	v_fma_f64 v[14:15], -v[42:43], v[168:169], v[14:15]
	s_waitcnt lgkmcnt(2)
	v_fma_f64 v[12:13], -v[42:43], v[170:171], v[12:13]
	v_fma_f64 v[8:9], -v[42:43], v[172:173], v[8:9]
	s_waitcnt lgkmcnt(1)
	v_fma_f64 v[10:11], -v[42:43], v[174:175], v[10:11]
	v_fma_f64 v[6:7], -v[42:43], v[176:177], v[6:7]
	s_waitcnt lgkmcnt(0)
	v_fma_f64 v[130:131], -v[42:43], v[0:1], v[130:131]
.LBB124_743:
	s_or_b32 exec_lo, exec_lo, s0
	v_lshl_add_u32 v0, v141, 3, v138
	s_barrier
	buffer_gl0_inv
	v_mov_b32_e32 v132, 44
	ds_write_b64 v0, v[40:41]
	s_waitcnt lgkmcnt(0)
	s_barrier
	buffer_gl0_inv
	ds_read_b64 v[0:1], v138 offset:352
	s_cmp_lt_i32 s7, 46
	s_cbranch_scc1 .LBB124_746
; %bb.744:
	v_add3_u32 v133, v139, 0, 0x168
	v_mov_b32_e32 v132, 44
	s_mov_b32 s0, 45
.LBB124_745:                            ; =>This Inner Loop Header: Depth=1
	ds_read_b64 v[142:143], v133
	v_add_nc_u32_e32 v133, 8, v133
	s_waitcnt lgkmcnt(0)
	v_cmp_lt_f64_e64 vcc_lo, |v[0:1]|, |v[142:143]|
	v_cndmask_b32_e32 v1, v1, v143, vcc_lo
	v_cndmask_b32_e32 v0, v0, v142, vcc_lo
	v_cndmask_b32_e64 v132, v132, s0, vcc_lo
	s_add_i32 s0, s0, 1
	s_cmp_lg_u32 s7, s0
	s_cbranch_scc1 .LBB124_745
.LBB124_746:
	s_mov_b32 s0, exec_lo
	s_waitcnt lgkmcnt(0)
	v_cmpx_eq_f64_e32 0, v[0:1]
	s_xor_b32 s0, exec_lo, s0
; %bb.747:
	v_cmp_ne_u32_e32 vcc_lo, 0, v135
	v_cndmask_b32_e32 v135, 45, v135, vcc_lo
; %bb.748:
	s_andn2_saveexec_b32 s0, s0
	s_cbranch_execz .LBB124_750
; %bb.749:
	v_div_scale_f64 v[133:134], null, v[0:1], v[0:1], 1.0
	v_rcp_f64_e32 v[142:143], v[133:134]
	v_fma_f64 v[144:145], -v[133:134], v[142:143], 1.0
	v_fma_f64 v[142:143], v[142:143], v[144:145], v[142:143]
	v_fma_f64 v[144:145], -v[133:134], v[142:143], 1.0
	v_fma_f64 v[142:143], v[142:143], v[144:145], v[142:143]
	v_div_scale_f64 v[144:145], vcc_lo, 1.0, v[0:1], 1.0
	v_mul_f64 v[146:147], v[144:145], v[142:143]
	v_fma_f64 v[133:134], -v[133:134], v[146:147], v[144:145]
	v_div_fmas_f64 v[133:134], v[133:134], v[142:143], v[146:147]
	v_div_fixup_f64 v[0:1], v[133:134], v[0:1], 1.0
.LBB124_750:
	s_or_b32 exec_lo, exec_lo, s0
	s_mov_b32 s0, exec_lo
	v_cmpx_ne_u32_e64 v141, v132
	s_xor_b32 s0, exec_lo, s0
	s_cbranch_execz .LBB124_756
; %bb.751:
	s_mov_b32 s1, exec_lo
	v_cmpx_eq_u32_e32 44, v141
	s_cbranch_execz .LBB124_755
; %bb.752:
	v_cmp_ne_u32_e32 vcc_lo, 44, v132
	s_xor_b32 s2, s6, -1
	s_and_b32 s3, s2, vcc_lo
	s_and_saveexec_b32 s2, s3
	s_cbranch_execz .LBB124_754
; %bb.753:
	v_ashrrev_i32_e32 v133, 31, v132
	v_lshlrev_b64 v[133:134], 2, v[132:133]
	v_add_co_u32 v133, vcc_lo, v4, v133
	v_add_co_ci_u32_e64 v134, null, v5, v134, vcc_lo
	s_clause 0x1
	global_load_dword v140, v[133:134], off
	global_load_dword v141, v[4:5], off offset:176
	s_waitcnt vmcnt(1)
	global_store_dword v[4:5], v140, off offset:176
	s_waitcnt vmcnt(0)
	global_store_dword v[133:134], v141, off
.LBB124_754:
	s_or_b32 exec_lo, exec_lo, s2
	v_mov_b32_e32 v140, v132
	v_mov_b32_e32 v141, v132
.LBB124_755:
	s_or_b32 exec_lo, exec_lo, s1
.LBB124_756:
	s_andn2_saveexec_b32 s0, s0
	s_cbranch_execz .LBB124_758
; %bb.757:
	v_mov_b32_e32 v141, 44
	ds_write2_b64 v138, v[38:39], v[36:37] offset0:45 offset1:46
	ds_write2_b64 v138, v[34:35], v[32:33] offset0:47 offset1:48
	;; [unrolled: 1-line block ×9, first 2 shown]
.LBB124_758:
	s_or_b32 exec_lo, exec_lo, s0
	s_mov_b32 s0, exec_lo
	s_waitcnt lgkmcnt(0)
	s_waitcnt_vscnt null, 0x0
	s_barrier
	buffer_gl0_inv
	v_cmpx_lt_i32_e32 44, v141
	s_cbranch_execz .LBB124_760
; %bb.759:
	v_mul_f64 v[40:41], v[0:1], v[40:41]
	ds_read2_b64 v[142:145], v138 offset0:45 offset1:46
	ds_read2_b64 v[146:149], v138 offset0:47 offset1:48
	;; [unrolled: 1-line block ×9, first 2 shown]
	s_waitcnt lgkmcnt(8)
	v_fma_f64 v[38:39], -v[40:41], v[142:143], v[38:39]
	v_fma_f64 v[36:37], -v[40:41], v[144:145], v[36:37]
	s_waitcnt lgkmcnt(7)
	v_fma_f64 v[34:35], -v[40:41], v[146:147], v[34:35]
	v_fma_f64 v[32:33], -v[40:41], v[148:149], v[32:33]
	;; [unrolled: 3-line block ×9, first 2 shown]
.LBB124_760:
	s_or_b32 exec_lo, exec_lo, s0
	v_lshl_add_u32 v0, v141, 3, v138
	s_barrier
	buffer_gl0_inv
	v_mov_b32_e32 v132, 45
	ds_write_b64 v0, v[38:39]
	s_waitcnt lgkmcnt(0)
	s_barrier
	buffer_gl0_inv
	ds_read_b64 v[0:1], v138 offset:360
	s_cmp_lt_i32 s7, 47
	s_cbranch_scc1 .LBB124_763
; %bb.761:
	v_add3_u32 v133, v139, 0, 0x170
	v_mov_b32_e32 v132, 45
	s_mov_b32 s0, 46
.LBB124_762:                            ; =>This Inner Loop Header: Depth=1
	ds_read_b64 v[142:143], v133
	v_add_nc_u32_e32 v133, 8, v133
	s_waitcnt lgkmcnt(0)
	v_cmp_lt_f64_e64 vcc_lo, |v[0:1]|, |v[142:143]|
	v_cndmask_b32_e32 v1, v1, v143, vcc_lo
	v_cndmask_b32_e32 v0, v0, v142, vcc_lo
	v_cndmask_b32_e64 v132, v132, s0, vcc_lo
	s_add_i32 s0, s0, 1
	s_cmp_lg_u32 s7, s0
	s_cbranch_scc1 .LBB124_762
.LBB124_763:
	s_mov_b32 s0, exec_lo
	s_waitcnt lgkmcnt(0)
	v_cmpx_eq_f64_e32 0, v[0:1]
	s_xor_b32 s0, exec_lo, s0
; %bb.764:
	v_cmp_ne_u32_e32 vcc_lo, 0, v135
	v_cndmask_b32_e32 v135, 46, v135, vcc_lo
; %bb.765:
	s_andn2_saveexec_b32 s0, s0
	s_cbranch_execz .LBB124_767
; %bb.766:
	v_div_scale_f64 v[133:134], null, v[0:1], v[0:1], 1.0
	v_rcp_f64_e32 v[142:143], v[133:134]
	v_fma_f64 v[144:145], -v[133:134], v[142:143], 1.0
	v_fma_f64 v[142:143], v[142:143], v[144:145], v[142:143]
	v_fma_f64 v[144:145], -v[133:134], v[142:143], 1.0
	v_fma_f64 v[142:143], v[142:143], v[144:145], v[142:143]
	v_div_scale_f64 v[144:145], vcc_lo, 1.0, v[0:1], 1.0
	v_mul_f64 v[146:147], v[144:145], v[142:143]
	v_fma_f64 v[133:134], -v[133:134], v[146:147], v[144:145]
	v_div_fmas_f64 v[133:134], v[133:134], v[142:143], v[146:147]
	v_div_fixup_f64 v[0:1], v[133:134], v[0:1], 1.0
.LBB124_767:
	s_or_b32 exec_lo, exec_lo, s0
	s_mov_b32 s0, exec_lo
	v_cmpx_ne_u32_e64 v141, v132
	s_xor_b32 s0, exec_lo, s0
	s_cbranch_execz .LBB124_773
; %bb.768:
	s_mov_b32 s1, exec_lo
	v_cmpx_eq_u32_e32 45, v141
	s_cbranch_execz .LBB124_772
; %bb.769:
	v_cmp_ne_u32_e32 vcc_lo, 45, v132
	s_xor_b32 s2, s6, -1
	s_and_b32 s3, s2, vcc_lo
	s_and_saveexec_b32 s2, s3
	s_cbranch_execz .LBB124_771
; %bb.770:
	v_ashrrev_i32_e32 v133, 31, v132
	v_lshlrev_b64 v[133:134], 2, v[132:133]
	v_add_co_u32 v133, vcc_lo, v4, v133
	v_add_co_ci_u32_e64 v134, null, v5, v134, vcc_lo
	s_clause 0x1
	global_load_dword v140, v[133:134], off
	global_load_dword v141, v[4:5], off offset:180
	s_waitcnt vmcnt(1)
	global_store_dword v[4:5], v140, off offset:180
	s_waitcnt vmcnt(0)
	global_store_dword v[133:134], v141, off
.LBB124_771:
	s_or_b32 exec_lo, exec_lo, s2
	v_mov_b32_e32 v140, v132
	v_mov_b32_e32 v141, v132
.LBB124_772:
	s_or_b32 exec_lo, exec_lo, s1
.LBB124_773:
	s_andn2_saveexec_b32 s0, s0
	s_cbranch_execz .LBB124_775
; %bb.774:
	v_mov_b32_e32 v132, v36
	v_mov_b32_e32 v133, v37
	;; [unrolled: 1-line block ×16, first 2 shown]
	ds_write2_b64 v138, v[132:133], v[141:142] offset0:46 offset1:47
	ds_write2_b64 v138, v[143:144], v[145:146] offset0:48 offset1:49
	;; [unrolled: 1-line block ×4, first 2 shown]
	v_mov_b32_e32 v132, v20
	v_mov_b32_e32 v133, v21
	;; [unrolled: 1-line block ×8, first 2 shown]
	ds_write2_b64 v138, v[132:133], v[141:142] offset0:54 offset1:55
	v_mov_b32_e32 v141, 45
	v_mov_b32_e32 v147, v12
	;; [unrolled: 1-line block ×9, first 2 shown]
	ds_write2_b64 v138, v[143:144], v[145:146] offset0:56 offset1:57
	ds_write2_b64 v138, v[147:148], v[149:150] offset0:58 offset1:59
	;; [unrolled: 1-line block ×3, first 2 shown]
	ds_write_b64 v138, v[130:131] offset:496
.LBB124_775:
	s_or_b32 exec_lo, exec_lo, s0
	s_mov_b32 s0, exec_lo
	s_waitcnt lgkmcnt(0)
	s_waitcnt_vscnt null, 0x0
	s_barrier
	buffer_gl0_inv
	v_cmpx_lt_i32_e32 45, v141
	s_cbranch_execz .LBB124_777
; %bb.776:
	v_mul_f64 v[38:39], v[0:1], v[38:39]
	ds_read2_b64 v[142:145], v138 offset0:46 offset1:47
	ds_read2_b64 v[146:149], v138 offset0:48 offset1:49
	;; [unrolled: 1-line block ×8, first 2 shown]
	ds_read_b64 v[0:1], v138 offset:496
	s_waitcnt lgkmcnt(8)
	v_fma_f64 v[36:37], -v[38:39], v[142:143], v[36:37]
	v_fma_f64 v[34:35], -v[38:39], v[144:145], v[34:35]
	s_waitcnt lgkmcnt(7)
	v_fma_f64 v[32:33], -v[38:39], v[146:147], v[32:33]
	v_fma_f64 v[28:29], -v[38:39], v[148:149], v[28:29]
	;; [unrolled: 3-line block ×8, first 2 shown]
	s_waitcnt lgkmcnt(0)
	v_fma_f64 v[130:131], -v[38:39], v[0:1], v[130:131]
.LBB124_777:
	s_or_b32 exec_lo, exec_lo, s0
	v_lshl_add_u32 v0, v141, 3, v138
	s_barrier
	buffer_gl0_inv
	v_mov_b32_e32 v132, 46
	ds_write_b64 v0, v[36:37]
	s_waitcnt lgkmcnt(0)
	s_barrier
	buffer_gl0_inv
	ds_read_b64 v[0:1], v138 offset:368
	s_cmp_lt_i32 s7, 48
	s_cbranch_scc1 .LBB124_780
; %bb.778:
	v_add3_u32 v133, v139, 0, 0x178
	v_mov_b32_e32 v132, 46
	s_mov_b32 s0, 47
.LBB124_779:                            ; =>This Inner Loop Header: Depth=1
	ds_read_b64 v[142:143], v133
	v_add_nc_u32_e32 v133, 8, v133
	s_waitcnt lgkmcnt(0)
	v_cmp_lt_f64_e64 vcc_lo, |v[0:1]|, |v[142:143]|
	v_cndmask_b32_e32 v1, v1, v143, vcc_lo
	v_cndmask_b32_e32 v0, v0, v142, vcc_lo
	v_cndmask_b32_e64 v132, v132, s0, vcc_lo
	s_add_i32 s0, s0, 1
	s_cmp_lg_u32 s7, s0
	s_cbranch_scc1 .LBB124_779
.LBB124_780:
	s_mov_b32 s0, exec_lo
	s_waitcnt lgkmcnt(0)
	v_cmpx_eq_f64_e32 0, v[0:1]
	s_xor_b32 s0, exec_lo, s0
; %bb.781:
	v_cmp_ne_u32_e32 vcc_lo, 0, v135
	v_cndmask_b32_e32 v135, 47, v135, vcc_lo
; %bb.782:
	s_andn2_saveexec_b32 s0, s0
	s_cbranch_execz .LBB124_784
; %bb.783:
	v_div_scale_f64 v[133:134], null, v[0:1], v[0:1], 1.0
	v_rcp_f64_e32 v[142:143], v[133:134]
	v_fma_f64 v[144:145], -v[133:134], v[142:143], 1.0
	v_fma_f64 v[142:143], v[142:143], v[144:145], v[142:143]
	v_fma_f64 v[144:145], -v[133:134], v[142:143], 1.0
	v_fma_f64 v[142:143], v[142:143], v[144:145], v[142:143]
	v_div_scale_f64 v[144:145], vcc_lo, 1.0, v[0:1], 1.0
	v_mul_f64 v[146:147], v[144:145], v[142:143]
	v_fma_f64 v[133:134], -v[133:134], v[146:147], v[144:145]
	v_div_fmas_f64 v[133:134], v[133:134], v[142:143], v[146:147]
	v_div_fixup_f64 v[0:1], v[133:134], v[0:1], 1.0
.LBB124_784:
	s_or_b32 exec_lo, exec_lo, s0
	s_mov_b32 s0, exec_lo
	v_cmpx_ne_u32_e64 v141, v132
	s_xor_b32 s0, exec_lo, s0
	s_cbranch_execz .LBB124_790
; %bb.785:
	s_mov_b32 s1, exec_lo
	v_cmpx_eq_u32_e32 46, v141
	s_cbranch_execz .LBB124_789
; %bb.786:
	v_cmp_ne_u32_e32 vcc_lo, 46, v132
	s_xor_b32 s2, s6, -1
	s_and_b32 s3, s2, vcc_lo
	s_and_saveexec_b32 s2, s3
	s_cbranch_execz .LBB124_788
; %bb.787:
	v_ashrrev_i32_e32 v133, 31, v132
	v_lshlrev_b64 v[133:134], 2, v[132:133]
	v_add_co_u32 v133, vcc_lo, v4, v133
	v_add_co_ci_u32_e64 v134, null, v5, v134, vcc_lo
	s_clause 0x1
	global_load_dword v140, v[133:134], off
	global_load_dword v141, v[4:5], off offset:184
	s_waitcnt vmcnt(1)
	global_store_dword v[4:5], v140, off offset:184
	s_waitcnt vmcnt(0)
	global_store_dword v[133:134], v141, off
.LBB124_788:
	s_or_b32 exec_lo, exec_lo, s2
	v_mov_b32_e32 v140, v132
	v_mov_b32_e32 v141, v132
.LBB124_789:
	s_or_b32 exec_lo, exec_lo, s1
.LBB124_790:
	s_andn2_saveexec_b32 s0, s0
	s_cbranch_execz .LBB124_792
; %bb.791:
	v_mov_b32_e32 v141, 46
	ds_write2_b64 v138, v[34:35], v[32:33] offset0:47 offset1:48
	ds_write2_b64 v138, v[28:29], v[30:31] offset0:49 offset1:50
	;; [unrolled: 1-line block ×8, first 2 shown]
.LBB124_792:
	s_or_b32 exec_lo, exec_lo, s0
	s_mov_b32 s0, exec_lo
	s_waitcnt lgkmcnt(0)
	s_waitcnt_vscnt null, 0x0
	s_barrier
	buffer_gl0_inv
	v_cmpx_lt_i32_e32 46, v141
	s_cbranch_execz .LBB124_794
; %bb.793:
	v_mul_f64 v[36:37], v[0:1], v[36:37]
	ds_read2_b64 v[142:145], v138 offset0:47 offset1:48
	ds_read2_b64 v[146:149], v138 offset0:49 offset1:50
	;; [unrolled: 1-line block ×8, first 2 shown]
	s_waitcnt lgkmcnt(7)
	v_fma_f64 v[34:35], -v[36:37], v[142:143], v[34:35]
	v_fma_f64 v[32:33], -v[36:37], v[144:145], v[32:33]
	s_waitcnt lgkmcnt(6)
	v_fma_f64 v[28:29], -v[36:37], v[146:147], v[28:29]
	v_fma_f64 v[30:31], -v[36:37], v[148:149], v[30:31]
	;; [unrolled: 3-line block ×8, first 2 shown]
.LBB124_794:
	s_or_b32 exec_lo, exec_lo, s0
	v_lshl_add_u32 v0, v141, 3, v138
	s_barrier
	buffer_gl0_inv
	v_mov_b32_e32 v132, 47
	ds_write_b64 v0, v[34:35]
	s_waitcnt lgkmcnt(0)
	s_barrier
	buffer_gl0_inv
	ds_read_b64 v[0:1], v138 offset:376
	s_cmp_lt_i32 s7, 49
	s_cbranch_scc1 .LBB124_797
; %bb.795:
	v_add3_u32 v133, v139, 0, 0x180
	v_mov_b32_e32 v132, 47
	s_mov_b32 s0, 48
.LBB124_796:                            ; =>This Inner Loop Header: Depth=1
	ds_read_b64 v[142:143], v133
	v_add_nc_u32_e32 v133, 8, v133
	s_waitcnt lgkmcnt(0)
	v_cmp_lt_f64_e64 vcc_lo, |v[0:1]|, |v[142:143]|
	v_cndmask_b32_e32 v1, v1, v143, vcc_lo
	v_cndmask_b32_e32 v0, v0, v142, vcc_lo
	v_cndmask_b32_e64 v132, v132, s0, vcc_lo
	s_add_i32 s0, s0, 1
	s_cmp_lg_u32 s7, s0
	s_cbranch_scc1 .LBB124_796
.LBB124_797:
	s_mov_b32 s0, exec_lo
	s_waitcnt lgkmcnt(0)
	v_cmpx_eq_f64_e32 0, v[0:1]
	s_xor_b32 s0, exec_lo, s0
; %bb.798:
	v_cmp_ne_u32_e32 vcc_lo, 0, v135
	v_cndmask_b32_e32 v135, 48, v135, vcc_lo
; %bb.799:
	s_andn2_saveexec_b32 s0, s0
	s_cbranch_execz .LBB124_801
; %bb.800:
	v_div_scale_f64 v[133:134], null, v[0:1], v[0:1], 1.0
	v_rcp_f64_e32 v[142:143], v[133:134]
	v_fma_f64 v[144:145], -v[133:134], v[142:143], 1.0
	v_fma_f64 v[142:143], v[142:143], v[144:145], v[142:143]
	v_fma_f64 v[144:145], -v[133:134], v[142:143], 1.0
	v_fma_f64 v[142:143], v[142:143], v[144:145], v[142:143]
	v_div_scale_f64 v[144:145], vcc_lo, 1.0, v[0:1], 1.0
	v_mul_f64 v[146:147], v[144:145], v[142:143]
	v_fma_f64 v[133:134], -v[133:134], v[146:147], v[144:145]
	v_div_fmas_f64 v[133:134], v[133:134], v[142:143], v[146:147]
	v_div_fixup_f64 v[0:1], v[133:134], v[0:1], 1.0
.LBB124_801:
	s_or_b32 exec_lo, exec_lo, s0
	s_mov_b32 s0, exec_lo
	v_cmpx_ne_u32_e64 v141, v132
	s_xor_b32 s0, exec_lo, s0
	s_cbranch_execz .LBB124_807
; %bb.802:
	s_mov_b32 s1, exec_lo
	v_cmpx_eq_u32_e32 47, v141
	s_cbranch_execz .LBB124_806
; %bb.803:
	v_cmp_ne_u32_e32 vcc_lo, 47, v132
	s_xor_b32 s2, s6, -1
	s_and_b32 s3, s2, vcc_lo
	s_and_saveexec_b32 s2, s3
	s_cbranch_execz .LBB124_805
; %bb.804:
	v_ashrrev_i32_e32 v133, 31, v132
	v_lshlrev_b64 v[133:134], 2, v[132:133]
	v_add_co_u32 v133, vcc_lo, v4, v133
	v_add_co_ci_u32_e64 v134, null, v5, v134, vcc_lo
	s_clause 0x1
	global_load_dword v140, v[133:134], off
	global_load_dword v141, v[4:5], off offset:188
	s_waitcnt vmcnt(1)
	global_store_dword v[4:5], v140, off offset:188
	s_waitcnt vmcnt(0)
	global_store_dword v[133:134], v141, off
.LBB124_805:
	s_or_b32 exec_lo, exec_lo, s2
	v_mov_b32_e32 v140, v132
	v_mov_b32_e32 v141, v132
.LBB124_806:
	s_or_b32 exec_lo, exec_lo, s1
.LBB124_807:
	s_andn2_saveexec_b32 s0, s0
	s_cbranch_execz .LBB124_809
; %bb.808:
	v_mov_b32_e32 v132, v32
	v_mov_b32_e32 v133, v33
	;; [unrolled: 1-line block ×12, first 2 shown]
	ds_write2_b64 v138, v[132:133], v[141:142] offset0:48 offset1:49
	ds_write2_b64 v138, v[143:144], v[145:146] offset0:50 offset1:51
	ds_write2_b64 v138, v[147:148], v[149:150] offset0:52 offset1:53
	v_mov_b32_e32 v132, v20
	v_mov_b32_e32 v133, v21
	;; [unrolled: 1-line block ×8, first 2 shown]
	ds_write2_b64 v138, v[132:133], v[141:142] offset0:54 offset1:55
	v_mov_b32_e32 v141, 47
	v_mov_b32_e32 v147, v12
	;; [unrolled: 1-line block ×9, first 2 shown]
	ds_write2_b64 v138, v[143:144], v[145:146] offset0:56 offset1:57
	ds_write2_b64 v138, v[147:148], v[149:150] offset0:58 offset1:59
	;; [unrolled: 1-line block ×3, first 2 shown]
	ds_write_b64 v138, v[130:131] offset:496
.LBB124_809:
	s_or_b32 exec_lo, exec_lo, s0
	s_mov_b32 s0, exec_lo
	s_waitcnt lgkmcnt(0)
	s_waitcnt_vscnt null, 0x0
	s_barrier
	buffer_gl0_inv
	v_cmpx_lt_i32_e32 47, v141
	s_cbranch_execz .LBB124_811
; %bb.810:
	v_mul_f64 v[34:35], v[0:1], v[34:35]
	ds_read2_b64 v[142:145], v138 offset0:48 offset1:49
	ds_read2_b64 v[146:149], v138 offset0:50 offset1:51
	;; [unrolled: 1-line block ×7, first 2 shown]
	ds_read_b64 v[0:1], v138 offset:496
	s_waitcnt lgkmcnt(7)
	v_fma_f64 v[32:33], -v[34:35], v[142:143], v[32:33]
	v_fma_f64 v[28:29], -v[34:35], v[144:145], v[28:29]
	s_waitcnt lgkmcnt(6)
	v_fma_f64 v[30:31], -v[34:35], v[146:147], v[30:31]
	v_fma_f64 v[24:25], -v[34:35], v[148:149], v[24:25]
	;; [unrolled: 3-line block ×7, first 2 shown]
	s_waitcnt lgkmcnt(0)
	v_fma_f64 v[130:131], -v[34:35], v[0:1], v[130:131]
.LBB124_811:
	s_or_b32 exec_lo, exec_lo, s0
	v_lshl_add_u32 v0, v141, 3, v138
	s_barrier
	buffer_gl0_inv
	v_mov_b32_e32 v132, 48
	ds_write_b64 v0, v[32:33]
	s_waitcnt lgkmcnt(0)
	s_barrier
	buffer_gl0_inv
	ds_read_b64 v[0:1], v138 offset:384
	s_cmp_lt_i32 s7, 50
	s_cbranch_scc1 .LBB124_814
; %bb.812:
	v_add3_u32 v133, v139, 0, 0x188
	v_mov_b32_e32 v132, 48
	s_mov_b32 s0, 49
.LBB124_813:                            ; =>This Inner Loop Header: Depth=1
	ds_read_b64 v[142:143], v133
	v_add_nc_u32_e32 v133, 8, v133
	s_waitcnt lgkmcnt(0)
	v_cmp_lt_f64_e64 vcc_lo, |v[0:1]|, |v[142:143]|
	v_cndmask_b32_e32 v1, v1, v143, vcc_lo
	v_cndmask_b32_e32 v0, v0, v142, vcc_lo
	v_cndmask_b32_e64 v132, v132, s0, vcc_lo
	s_add_i32 s0, s0, 1
	s_cmp_lg_u32 s7, s0
	s_cbranch_scc1 .LBB124_813
.LBB124_814:
	s_mov_b32 s0, exec_lo
	s_waitcnt lgkmcnt(0)
	v_cmpx_eq_f64_e32 0, v[0:1]
	s_xor_b32 s0, exec_lo, s0
; %bb.815:
	v_cmp_ne_u32_e32 vcc_lo, 0, v135
	v_cndmask_b32_e32 v135, 49, v135, vcc_lo
; %bb.816:
	s_andn2_saveexec_b32 s0, s0
	s_cbranch_execz .LBB124_818
; %bb.817:
	v_div_scale_f64 v[133:134], null, v[0:1], v[0:1], 1.0
	v_rcp_f64_e32 v[142:143], v[133:134]
	v_fma_f64 v[144:145], -v[133:134], v[142:143], 1.0
	v_fma_f64 v[142:143], v[142:143], v[144:145], v[142:143]
	v_fma_f64 v[144:145], -v[133:134], v[142:143], 1.0
	v_fma_f64 v[142:143], v[142:143], v[144:145], v[142:143]
	v_div_scale_f64 v[144:145], vcc_lo, 1.0, v[0:1], 1.0
	v_mul_f64 v[146:147], v[144:145], v[142:143]
	v_fma_f64 v[133:134], -v[133:134], v[146:147], v[144:145]
	v_div_fmas_f64 v[133:134], v[133:134], v[142:143], v[146:147]
	v_div_fixup_f64 v[0:1], v[133:134], v[0:1], 1.0
.LBB124_818:
	s_or_b32 exec_lo, exec_lo, s0
	s_mov_b32 s0, exec_lo
	v_cmpx_ne_u32_e64 v141, v132
	s_xor_b32 s0, exec_lo, s0
	s_cbranch_execz .LBB124_824
; %bb.819:
	s_mov_b32 s1, exec_lo
	v_cmpx_eq_u32_e32 48, v141
	s_cbranch_execz .LBB124_823
; %bb.820:
	v_cmp_ne_u32_e32 vcc_lo, 48, v132
	s_xor_b32 s2, s6, -1
	s_and_b32 s3, s2, vcc_lo
	s_and_saveexec_b32 s2, s3
	s_cbranch_execz .LBB124_822
; %bb.821:
	v_ashrrev_i32_e32 v133, 31, v132
	v_lshlrev_b64 v[133:134], 2, v[132:133]
	v_add_co_u32 v133, vcc_lo, v4, v133
	v_add_co_ci_u32_e64 v134, null, v5, v134, vcc_lo
	s_clause 0x1
	global_load_dword v140, v[133:134], off
	global_load_dword v141, v[4:5], off offset:192
	s_waitcnt vmcnt(1)
	global_store_dword v[4:5], v140, off offset:192
	s_waitcnt vmcnt(0)
	global_store_dword v[133:134], v141, off
.LBB124_822:
	s_or_b32 exec_lo, exec_lo, s2
	v_mov_b32_e32 v140, v132
	v_mov_b32_e32 v141, v132
.LBB124_823:
	s_or_b32 exec_lo, exec_lo, s1
.LBB124_824:
	s_andn2_saveexec_b32 s0, s0
	s_cbranch_execz .LBB124_826
; %bb.825:
	v_mov_b32_e32 v141, 48
	ds_write2_b64 v138, v[28:29], v[30:31] offset0:49 offset1:50
	ds_write2_b64 v138, v[24:25], v[26:27] offset0:51 offset1:52
	;; [unrolled: 1-line block ×7, first 2 shown]
.LBB124_826:
	s_or_b32 exec_lo, exec_lo, s0
	s_mov_b32 s0, exec_lo
	s_waitcnt lgkmcnt(0)
	s_waitcnt_vscnt null, 0x0
	s_barrier
	buffer_gl0_inv
	v_cmpx_lt_i32_e32 48, v141
	s_cbranch_execz .LBB124_828
; %bb.827:
	v_mul_f64 v[32:33], v[0:1], v[32:33]
	ds_read2_b64 v[142:145], v138 offset0:49 offset1:50
	ds_read2_b64 v[146:149], v138 offset0:51 offset1:52
	;; [unrolled: 1-line block ×7, first 2 shown]
	s_waitcnt lgkmcnt(6)
	v_fma_f64 v[28:29], -v[32:33], v[142:143], v[28:29]
	v_fma_f64 v[30:31], -v[32:33], v[144:145], v[30:31]
	s_waitcnt lgkmcnt(5)
	v_fma_f64 v[24:25], -v[32:33], v[146:147], v[24:25]
	v_fma_f64 v[26:27], -v[32:33], v[148:149], v[26:27]
	;; [unrolled: 3-line block ×7, first 2 shown]
.LBB124_828:
	s_or_b32 exec_lo, exec_lo, s0
	v_lshl_add_u32 v0, v141, 3, v138
	s_barrier
	buffer_gl0_inv
	v_mov_b32_e32 v132, 49
	ds_write_b64 v0, v[28:29]
	s_waitcnt lgkmcnt(0)
	s_barrier
	buffer_gl0_inv
	ds_read_b64 v[0:1], v138 offset:392
	s_cmp_lt_i32 s7, 51
	s_cbranch_scc1 .LBB124_831
; %bb.829:
	v_add3_u32 v133, v139, 0, 0x190
	v_mov_b32_e32 v132, 49
	s_mov_b32 s0, 50
.LBB124_830:                            ; =>This Inner Loop Header: Depth=1
	ds_read_b64 v[142:143], v133
	v_add_nc_u32_e32 v133, 8, v133
	s_waitcnt lgkmcnt(0)
	v_cmp_lt_f64_e64 vcc_lo, |v[0:1]|, |v[142:143]|
	v_cndmask_b32_e32 v1, v1, v143, vcc_lo
	v_cndmask_b32_e32 v0, v0, v142, vcc_lo
	v_cndmask_b32_e64 v132, v132, s0, vcc_lo
	s_add_i32 s0, s0, 1
	s_cmp_lg_u32 s7, s0
	s_cbranch_scc1 .LBB124_830
.LBB124_831:
	s_mov_b32 s0, exec_lo
	s_waitcnt lgkmcnt(0)
	v_cmpx_eq_f64_e32 0, v[0:1]
	s_xor_b32 s0, exec_lo, s0
; %bb.832:
	v_cmp_ne_u32_e32 vcc_lo, 0, v135
	v_cndmask_b32_e32 v135, 50, v135, vcc_lo
; %bb.833:
	s_andn2_saveexec_b32 s0, s0
	s_cbranch_execz .LBB124_835
; %bb.834:
	v_div_scale_f64 v[133:134], null, v[0:1], v[0:1], 1.0
	v_rcp_f64_e32 v[142:143], v[133:134]
	v_fma_f64 v[144:145], -v[133:134], v[142:143], 1.0
	v_fma_f64 v[142:143], v[142:143], v[144:145], v[142:143]
	v_fma_f64 v[144:145], -v[133:134], v[142:143], 1.0
	v_fma_f64 v[142:143], v[142:143], v[144:145], v[142:143]
	v_div_scale_f64 v[144:145], vcc_lo, 1.0, v[0:1], 1.0
	v_mul_f64 v[146:147], v[144:145], v[142:143]
	v_fma_f64 v[133:134], -v[133:134], v[146:147], v[144:145]
	v_div_fmas_f64 v[133:134], v[133:134], v[142:143], v[146:147]
	v_div_fixup_f64 v[0:1], v[133:134], v[0:1], 1.0
.LBB124_835:
	s_or_b32 exec_lo, exec_lo, s0
	s_mov_b32 s0, exec_lo
	v_cmpx_ne_u32_e64 v141, v132
	s_xor_b32 s0, exec_lo, s0
	s_cbranch_execz .LBB124_841
; %bb.836:
	s_mov_b32 s1, exec_lo
	v_cmpx_eq_u32_e32 49, v141
	s_cbranch_execz .LBB124_840
; %bb.837:
	v_cmp_ne_u32_e32 vcc_lo, 49, v132
	s_xor_b32 s2, s6, -1
	s_and_b32 s3, s2, vcc_lo
	s_and_saveexec_b32 s2, s3
	s_cbranch_execz .LBB124_839
; %bb.838:
	v_ashrrev_i32_e32 v133, 31, v132
	v_lshlrev_b64 v[133:134], 2, v[132:133]
	v_add_co_u32 v133, vcc_lo, v4, v133
	v_add_co_ci_u32_e64 v134, null, v5, v134, vcc_lo
	s_clause 0x1
	global_load_dword v140, v[133:134], off
	global_load_dword v141, v[4:5], off offset:196
	s_waitcnt vmcnt(1)
	global_store_dword v[4:5], v140, off offset:196
	s_waitcnt vmcnt(0)
	global_store_dword v[133:134], v141, off
.LBB124_839:
	s_or_b32 exec_lo, exec_lo, s2
	v_mov_b32_e32 v140, v132
	v_mov_b32_e32 v141, v132
.LBB124_840:
	s_or_b32 exec_lo, exec_lo, s1
.LBB124_841:
	s_andn2_saveexec_b32 s0, s0
	s_cbranch_execz .LBB124_843
; %bb.842:
	v_mov_b32_e32 v132, v30
	v_mov_b32_e32 v133, v31
	;; [unrolled: 1-line block ×8, first 2 shown]
	ds_write2_b64 v138, v[132:133], v[141:142] offset0:50 offset1:51
	ds_write2_b64 v138, v[143:144], v[145:146] offset0:52 offset1:53
	v_mov_b32_e32 v132, v20
	v_mov_b32_e32 v133, v21
	;; [unrolled: 1-line block ×8, first 2 shown]
	ds_write2_b64 v138, v[132:133], v[141:142] offset0:54 offset1:55
	v_mov_b32_e32 v141, 49
	v_mov_b32_e32 v147, v12
	;; [unrolled: 1-line block ×9, first 2 shown]
	ds_write2_b64 v138, v[143:144], v[145:146] offset0:56 offset1:57
	ds_write2_b64 v138, v[147:148], v[149:150] offset0:58 offset1:59
	ds_write2_b64 v138, v[151:152], v[153:154] offset0:60 offset1:61
	ds_write_b64 v138, v[130:131] offset:496
.LBB124_843:
	s_or_b32 exec_lo, exec_lo, s0
	s_mov_b32 s0, exec_lo
	s_waitcnt lgkmcnt(0)
	s_waitcnt_vscnt null, 0x0
	s_barrier
	buffer_gl0_inv
	v_cmpx_lt_i32_e32 49, v141
	s_cbranch_execz .LBB124_845
; %bb.844:
	v_mul_f64 v[28:29], v[0:1], v[28:29]
	ds_read2_b64 v[142:145], v138 offset0:50 offset1:51
	ds_read2_b64 v[146:149], v138 offset0:52 offset1:53
	;; [unrolled: 1-line block ×6, first 2 shown]
	ds_read_b64 v[0:1], v138 offset:496
	s_waitcnt lgkmcnt(6)
	v_fma_f64 v[30:31], -v[28:29], v[142:143], v[30:31]
	v_fma_f64 v[24:25], -v[28:29], v[144:145], v[24:25]
	s_waitcnt lgkmcnt(5)
	v_fma_f64 v[26:27], -v[28:29], v[146:147], v[26:27]
	v_fma_f64 v[22:23], -v[28:29], v[148:149], v[22:23]
	;; [unrolled: 3-line block ×6, first 2 shown]
	s_waitcnt lgkmcnt(0)
	v_fma_f64 v[130:131], -v[28:29], v[0:1], v[130:131]
.LBB124_845:
	s_or_b32 exec_lo, exec_lo, s0
	v_lshl_add_u32 v0, v141, 3, v138
	s_barrier
	buffer_gl0_inv
	v_mov_b32_e32 v132, 50
	ds_write_b64 v0, v[30:31]
	s_waitcnt lgkmcnt(0)
	s_barrier
	buffer_gl0_inv
	ds_read_b64 v[0:1], v138 offset:400
	s_cmp_lt_i32 s7, 52
	s_cbranch_scc1 .LBB124_848
; %bb.846:
	v_add3_u32 v133, v139, 0, 0x198
	v_mov_b32_e32 v132, 50
	s_mov_b32 s0, 51
.LBB124_847:                            ; =>This Inner Loop Header: Depth=1
	ds_read_b64 v[142:143], v133
	v_add_nc_u32_e32 v133, 8, v133
	s_waitcnt lgkmcnt(0)
	v_cmp_lt_f64_e64 vcc_lo, |v[0:1]|, |v[142:143]|
	v_cndmask_b32_e32 v1, v1, v143, vcc_lo
	v_cndmask_b32_e32 v0, v0, v142, vcc_lo
	v_cndmask_b32_e64 v132, v132, s0, vcc_lo
	s_add_i32 s0, s0, 1
	s_cmp_lg_u32 s7, s0
	s_cbranch_scc1 .LBB124_847
.LBB124_848:
	s_mov_b32 s0, exec_lo
	s_waitcnt lgkmcnt(0)
	v_cmpx_eq_f64_e32 0, v[0:1]
	s_xor_b32 s0, exec_lo, s0
; %bb.849:
	v_cmp_ne_u32_e32 vcc_lo, 0, v135
	v_cndmask_b32_e32 v135, 51, v135, vcc_lo
; %bb.850:
	s_andn2_saveexec_b32 s0, s0
	s_cbranch_execz .LBB124_852
; %bb.851:
	v_div_scale_f64 v[133:134], null, v[0:1], v[0:1], 1.0
	v_rcp_f64_e32 v[142:143], v[133:134]
	v_fma_f64 v[144:145], -v[133:134], v[142:143], 1.0
	v_fma_f64 v[142:143], v[142:143], v[144:145], v[142:143]
	v_fma_f64 v[144:145], -v[133:134], v[142:143], 1.0
	v_fma_f64 v[142:143], v[142:143], v[144:145], v[142:143]
	v_div_scale_f64 v[144:145], vcc_lo, 1.0, v[0:1], 1.0
	v_mul_f64 v[146:147], v[144:145], v[142:143]
	v_fma_f64 v[133:134], -v[133:134], v[146:147], v[144:145]
	v_div_fmas_f64 v[133:134], v[133:134], v[142:143], v[146:147]
	v_div_fixup_f64 v[0:1], v[133:134], v[0:1], 1.0
.LBB124_852:
	s_or_b32 exec_lo, exec_lo, s0
	s_mov_b32 s0, exec_lo
	v_cmpx_ne_u32_e64 v141, v132
	s_xor_b32 s0, exec_lo, s0
	s_cbranch_execz .LBB124_858
; %bb.853:
	s_mov_b32 s1, exec_lo
	v_cmpx_eq_u32_e32 50, v141
	s_cbranch_execz .LBB124_857
; %bb.854:
	v_cmp_ne_u32_e32 vcc_lo, 50, v132
	s_xor_b32 s2, s6, -1
	s_and_b32 s3, s2, vcc_lo
	s_and_saveexec_b32 s2, s3
	s_cbranch_execz .LBB124_856
; %bb.855:
	v_ashrrev_i32_e32 v133, 31, v132
	v_lshlrev_b64 v[133:134], 2, v[132:133]
	v_add_co_u32 v133, vcc_lo, v4, v133
	v_add_co_ci_u32_e64 v134, null, v5, v134, vcc_lo
	s_clause 0x1
	global_load_dword v140, v[133:134], off
	global_load_dword v141, v[4:5], off offset:200
	s_waitcnt vmcnt(1)
	global_store_dword v[4:5], v140, off offset:200
	s_waitcnt vmcnt(0)
	global_store_dword v[133:134], v141, off
.LBB124_856:
	s_or_b32 exec_lo, exec_lo, s2
	v_mov_b32_e32 v140, v132
	v_mov_b32_e32 v141, v132
.LBB124_857:
	s_or_b32 exec_lo, exec_lo, s1
.LBB124_858:
	s_andn2_saveexec_b32 s0, s0
	s_cbranch_execz .LBB124_860
; %bb.859:
	v_mov_b32_e32 v141, 50
	ds_write2_b64 v138, v[24:25], v[26:27] offset0:51 offset1:52
	ds_write2_b64 v138, v[22:23], v[20:21] offset0:53 offset1:54
	;; [unrolled: 1-line block ×6, first 2 shown]
.LBB124_860:
	s_or_b32 exec_lo, exec_lo, s0
	s_mov_b32 s0, exec_lo
	s_waitcnt lgkmcnt(0)
	s_waitcnt_vscnt null, 0x0
	s_barrier
	buffer_gl0_inv
	v_cmpx_lt_i32_e32 50, v141
	s_cbranch_execz .LBB124_862
; %bb.861:
	v_mul_f64 v[30:31], v[0:1], v[30:31]
	ds_read2_b64 v[142:145], v138 offset0:51 offset1:52
	ds_read2_b64 v[146:149], v138 offset0:53 offset1:54
	;; [unrolled: 1-line block ×6, first 2 shown]
	s_waitcnt lgkmcnt(5)
	v_fma_f64 v[24:25], -v[30:31], v[142:143], v[24:25]
	v_fma_f64 v[26:27], -v[30:31], v[144:145], v[26:27]
	s_waitcnt lgkmcnt(4)
	v_fma_f64 v[22:23], -v[30:31], v[146:147], v[22:23]
	v_fma_f64 v[20:21], -v[30:31], v[148:149], v[20:21]
	;; [unrolled: 3-line block ×6, first 2 shown]
.LBB124_862:
	s_or_b32 exec_lo, exec_lo, s0
	v_lshl_add_u32 v0, v141, 3, v138
	s_barrier
	buffer_gl0_inv
	v_mov_b32_e32 v132, 51
	ds_write_b64 v0, v[24:25]
	s_waitcnt lgkmcnt(0)
	s_barrier
	buffer_gl0_inv
	ds_read_b64 v[0:1], v138 offset:408
	s_cmp_lt_i32 s7, 53
	s_cbranch_scc1 .LBB124_865
; %bb.863:
	v_add3_u32 v133, v139, 0, 0x1a0
	v_mov_b32_e32 v132, 51
	s_mov_b32 s0, 52
.LBB124_864:                            ; =>This Inner Loop Header: Depth=1
	ds_read_b64 v[142:143], v133
	v_add_nc_u32_e32 v133, 8, v133
	s_waitcnt lgkmcnt(0)
	v_cmp_lt_f64_e64 vcc_lo, |v[0:1]|, |v[142:143]|
	v_cndmask_b32_e32 v1, v1, v143, vcc_lo
	v_cndmask_b32_e32 v0, v0, v142, vcc_lo
	v_cndmask_b32_e64 v132, v132, s0, vcc_lo
	s_add_i32 s0, s0, 1
	s_cmp_lg_u32 s7, s0
	s_cbranch_scc1 .LBB124_864
.LBB124_865:
	s_mov_b32 s0, exec_lo
	s_waitcnt lgkmcnt(0)
	v_cmpx_eq_f64_e32 0, v[0:1]
	s_xor_b32 s0, exec_lo, s0
; %bb.866:
	v_cmp_ne_u32_e32 vcc_lo, 0, v135
	v_cndmask_b32_e32 v135, 52, v135, vcc_lo
; %bb.867:
	s_andn2_saveexec_b32 s0, s0
	s_cbranch_execz .LBB124_869
; %bb.868:
	v_div_scale_f64 v[133:134], null, v[0:1], v[0:1], 1.0
	v_rcp_f64_e32 v[142:143], v[133:134]
	v_fma_f64 v[144:145], -v[133:134], v[142:143], 1.0
	v_fma_f64 v[142:143], v[142:143], v[144:145], v[142:143]
	v_fma_f64 v[144:145], -v[133:134], v[142:143], 1.0
	v_fma_f64 v[142:143], v[142:143], v[144:145], v[142:143]
	v_div_scale_f64 v[144:145], vcc_lo, 1.0, v[0:1], 1.0
	v_mul_f64 v[146:147], v[144:145], v[142:143]
	v_fma_f64 v[133:134], -v[133:134], v[146:147], v[144:145]
	v_div_fmas_f64 v[133:134], v[133:134], v[142:143], v[146:147]
	v_div_fixup_f64 v[0:1], v[133:134], v[0:1], 1.0
.LBB124_869:
	s_or_b32 exec_lo, exec_lo, s0
	s_mov_b32 s0, exec_lo
	v_cmpx_ne_u32_e64 v141, v132
	s_xor_b32 s0, exec_lo, s0
	s_cbranch_execz .LBB124_875
; %bb.870:
	s_mov_b32 s1, exec_lo
	v_cmpx_eq_u32_e32 51, v141
	s_cbranch_execz .LBB124_874
; %bb.871:
	v_cmp_ne_u32_e32 vcc_lo, 51, v132
	s_xor_b32 s2, s6, -1
	s_and_b32 s3, s2, vcc_lo
	s_and_saveexec_b32 s2, s3
	s_cbranch_execz .LBB124_873
; %bb.872:
	v_ashrrev_i32_e32 v133, 31, v132
	v_lshlrev_b64 v[133:134], 2, v[132:133]
	v_add_co_u32 v133, vcc_lo, v4, v133
	v_add_co_ci_u32_e64 v134, null, v5, v134, vcc_lo
	s_clause 0x1
	global_load_dword v140, v[133:134], off
	global_load_dword v141, v[4:5], off offset:204
	s_waitcnt vmcnt(1)
	global_store_dword v[4:5], v140, off offset:204
	s_waitcnt vmcnt(0)
	global_store_dword v[133:134], v141, off
.LBB124_873:
	s_or_b32 exec_lo, exec_lo, s2
	v_mov_b32_e32 v140, v132
	v_mov_b32_e32 v141, v132
.LBB124_874:
	s_or_b32 exec_lo, exec_lo, s1
.LBB124_875:
	s_andn2_saveexec_b32 s0, s0
	s_cbranch_execz .LBB124_877
; %bb.876:
	v_mov_b32_e32 v132, v26
	v_mov_b32_e32 v133, v27
	;; [unrolled: 1-line block ×8, first 2 shown]
	ds_write2_b64 v138, v[132:133], v[141:142] offset0:52 offset1:53
	v_mov_b32_e32 v132, v18
	v_mov_b32_e32 v133, v19
	;; [unrolled: 1-line block ×13, first 2 shown]
	ds_write2_b64 v138, v[143:144], v[132:133] offset0:54 offset1:55
	ds_write2_b64 v138, v[145:146], v[147:148] offset0:56 offset1:57
	;; [unrolled: 1-line block ×4, first 2 shown]
	ds_write_b64 v138, v[130:131] offset:496
.LBB124_877:
	s_or_b32 exec_lo, exec_lo, s0
	s_mov_b32 s0, exec_lo
	s_waitcnt lgkmcnt(0)
	s_waitcnt_vscnt null, 0x0
	s_barrier
	buffer_gl0_inv
	v_cmpx_lt_i32_e32 51, v141
	s_cbranch_execz .LBB124_879
; %bb.878:
	v_mul_f64 v[24:25], v[0:1], v[24:25]
	ds_read2_b64 v[142:145], v138 offset0:52 offset1:53
	ds_read2_b64 v[146:149], v138 offset0:54 offset1:55
	;; [unrolled: 1-line block ×5, first 2 shown]
	ds_read_b64 v[0:1], v138 offset:496
	s_waitcnt lgkmcnt(5)
	v_fma_f64 v[26:27], -v[24:25], v[142:143], v[26:27]
	v_fma_f64 v[22:23], -v[24:25], v[144:145], v[22:23]
	s_waitcnt lgkmcnt(4)
	v_fma_f64 v[20:21], -v[24:25], v[146:147], v[20:21]
	v_fma_f64 v[18:19], -v[24:25], v[148:149], v[18:19]
	;; [unrolled: 3-line block ×5, first 2 shown]
	s_waitcnt lgkmcnt(0)
	v_fma_f64 v[130:131], -v[24:25], v[0:1], v[130:131]
.LBB124_879:
	s_or_b32 exec_lo, exec_lo, s0
	v_lshl_add_u32 v0, v141, 3, v138
	s_barrier
	buffer_gl0_inv
	v_mov_b32_e32 v132, 52
	ds_write_b64 v0, v[26:27]
	s_waitcnt lgkmcnt(0)
	s_barrier
	buffer_gl0_inv
	ds_read_b64 v[0:1], v138 offset:416
	s_cmp_lt_i32 s7, 54
	s_cbranch_scc1 .LBB124_882
; %bb.880:
	v_add3_u32 v133, v139, 0, 0x1a8
	v_mov_b32_e32 v132, 52
	s_mov_b32 s0, 53
.LBB124_881:                            ; =>This Inner Loop Header: Depth=1
	ds_read_b64 v[142:143], v133
	v_add_nc_u32_e32 v133, 8, v133
	s_waitcnt lgkmcnt(0)
	v_cmp_lt_f64_e64 vcc_lo, |v[0:1]|, |v[142:143]|
	v_cndmask_b32_e32 v1, v1, v143, vcc_lo
	v_cndmask_b32_e32 v0, v0, v142, vcc_lo
	v_cndmask_b32_e64 v132, v132, s0, vcc_lo
	s_add_i32 s0, s0, 1
	s_cmp_lg_u32 s7, s0
	s_cbranch_scc1 .LBB124_881
.LBB124_882:
	s_mov_b32 s0, exec_lo
	s_waitcnt lgkmcnt(0)
	v_cmpx_eq_f64_e32 0, v[0:1]
	s_xor_b32 s0, exec_lo, s0
; %bb.883:
	v_cmp_ne_u32_e32 vcc_lo, 0, v135
	v_cndmask_b32_e32 v135, 53, v135, vcc_lo
; %bb.884:
	s_andn2_saveexec_b32 s0, s0
	s_cbranch_execz .LBB124_886
; %bb.885:
	v_div_scale_f64 v[133:134], null, v[0:1], v[0:1], 1.0
	v_rcp_f64_e32 v[142:143], v[133:134]
	v_fma_f64 v[144:145], -v[133:134], v[142:143], 1.0
	v_fma_f64 v[142:143], v[142:143], v[144:145], v[142:143]
	v_fma_f64 v[144:145], -v[133:134], v[142:143], 1.0
	v_fma_f64 v[142:143], v[142:143], v[144:145], v[142:143]
	v_div_scale_f64 v[144:145], vcc_lo, 1.0, v[0:1], 1.0
	v_mul_f64 v[146:147], v[144:145], v[142:143]
	v_fma_f64 v[133:134], -v[133:134], v[146:147], v[144:145]
	v_div_fmas_f64 v[133:134], v[133:134], v[142:143], v[146:147]
	v_div_fixup_f64 v[0:1], v[133:134], v[0:1], 1.0
.LBB124_886:
	s_or_b32 exec_lo, exec_lo, s0
	s_mov_b32 s0, exec_lo
	v_cmpx_ne_u32_e64 v141, v132
	s_xor_b32 s0, exec_lo, s0
	s_cbranch_execz .LBB124_892
; %bb.887:
	s_mov_b32 s1, exec_lo
	v_cmpx_eq_u32_e32 52, v141
	s_cbranch_execz .LBB124_891
; %bb.888:
	v_cmp_ne_u32_e32 vcc_lo, 52, v132
	s_xor_b32 s2, s6, -1
	s_and_b32 s3, s2, vcc_lo
	s_and_saveexec_b32 s2, s3
	s_cbranch_execz .LBB124_890
; %bb.889:
	v_ashrrev_i32_e32 v133, 31, v132
	v_lshlrev_b64 v[133:134], 2, v[132:133]
	v_add_co_u32 v133, vcc_lo, v4, v133
	v_add_co_ci_u32_e64 v134, null, v5, v134, vcc_lo
	s_clause 0x1
	global_load_dword v140, v[133:134], off
	global_load_dword v141, v[4:5], off offset:208
	s_waitcnt vmcnt(1)
	global_store_dword v[4:5], v140, off offset:208
	s_waitcnt vmcnt(0)
	global_store_dword v[133:134], v141, off
.LBB124_890:
	s_or_b32 exec_lo, exec_lo, s2
	v_mov_b32_e32 v140, v132
	v_mov_b32_e32 v141, v132
.LBB124_891:
	s_or_b32 exec_lo, exec_lo, s1
.LBB124_892:
	s_andn2_saveexec_b32 s0, s0
	s_cbranch_execz .LBB124_894
; %bb.893:
	v_mov_b32_e32 v141, 52
	ds_write2_b64 v138, v[22:23], v[20:21] offset0:53 offset1:54
	ds_write2_b64 v138, v[18:19], v[16:17] offset0:55 offset1:56
	;; [unrolled: 1-line block ×5, first 2 shown]
.LBB124_894:
	s_or_b32 exec_lo, exec_lo, s0
	s_mov_b32 s0, exec_lo
	s_waitcnt lgkmcnt(0)
	s_waitcnt_vscnt null, 0x0
	s_barrier
	buffer_gl0_inv
	v_cmpx_lt_i32_e32 52, v141
	s_cbranch_execz .LBB124_896
; %bb.895:
	v_mul_f64 v[26:27], v[0:1], v[26:27]
	ds_read2_b64 v[142:145], v138 offset0:53 offset1:54
	ds_read2_b64 v[146:149], v138 offset0:55 offset1:56
	;; [unrolled: 1-line block ×5, first 2 shown]
	s_waitcnt lgkmcnt(4)
	v_fma_f64 v[22:23], -v[26:27], v[142:143], v[22:23]
	v_fma_f64 v[20:21], -v[26:27], v[144:145], v[20:21]
	s_waitcnt lgkmcnt(3)
	v_fma_f64 v[18:19], -v[26:27], v[146:147], v[18:19]
	v_fma_f64 v[16:17], -v[26:27], v[148:149], v[16:17]
	;; [unrolled: 3-line block ×5, first 2 shown]
.LBB124_896:
	s_or_b32 exec_lo, exec_lo, s0
	v_lshl_add_u32 v0, v141, 3, v138
	s_barrier
	buffer_gl0_inv
	v_mov_b32_e32 v132, 53
	ds_write_b64 v0, v[22:23]
	s_waitcnt lgkmcnt(0)
	s_barrier
	buffer_gl0_inv
	ds_read_b64 v[0:1], v138 offset:424
	s_cmp_lt_i32 s7, 55
	s_cbranch_scc1 .LBB124_899
; %bb.897:
	v_add3_u32 v133, v139, 0, 0x1b0
	v_mov_b32_e32 v132, 53
	s_mov_b32 s0, 54
.LBB124_898:                            ; =>This Inner Loop Header: Depth=1
	ds_read_b64 v[142:143], v133
	v_add_nc_u32_e32 v133, 8, v133
	s_waitcnt lgkmcnt(0)
	v_cmp_lt_f64_e64 vcc_lo, |v[0:1]|, |v[142:143]|
	v_cndmask_b32_e32 v1, v1, v143, vcc_lo
	v_cndmask_b32_e32 v0, v0, v142, vcc_lo
	v_cndmask_b32_e64 v132, v132, s0, vcc_lo
	s_add_i32 s0, s0, 1
	s_cmp_lg_u32 s7, s0
	s_cbranch_scc1 .LBB124_898
.LBB124_899:
	s_mov_b32 s0, exec_lo
	s_waitcnt lgkmcnt(0)
	v_cmpx_eq_f64_e32 0, v[0:1]
	s_xor_b32 s0, exec_lo, s0
; %bb.900:
	v_cmp_ne_u32_e32 vcc_lo, 0, v135
	v_cndmask_b32_e32 v135, 54, v135, vcc_lo
; %bb.901:
	s_andn2_saveexec_b32 s0, s0
	s_cbranch_execz .LBB124_903
; %bb.902:
	v_div_scale_f64 v[133:134], null, v[0:1], v[0:1], 1.0
	v_rcp_f64_e32 v[142:143], v[133:134]
	v_fma_f64 v[144:145], -v[133:134], v[142:143], 1.0
	v_fma_f64 v[142:143], v[142:143], v[144:145], v[142:143]
	v_fma_f64 v[144:145], -v[133:134], v[142:143], 1.0
	v_fma_f64 v[142:143], v[142:143], v[144:145], v[142:143]
	v_div_scale_f64 v[144:145], vcc_lo, 1.0, v[0:1], 1.0
	v_mul_f64 v[146:147], v[144:145], v[142:143]
	v_fma_f64 v[133:134], -v[133:134], v[146:147], v[144:145]
	v_div_fmas_f64 v[133:134], v[133:134], v[142:143], v[146:147]
	v_div_fixup_f64 v[0:1], v[133:134], v[0:1], 1.0
.LBB124_903:
	s_or_b32 exec_lo, exec_lo, s0
	s_mov_b32 s0, exec_lo
	v_cmpx_ne_u32_e64 v141, v132
	s_xor_b32 s0, exec_lo, s0
	s_cbranch_execz .LBB124_909
; %bb.904:
	s_mov_b32 s1, exec_lo
	v_cmpx_eq_u32_e32 53, v141
	s_cbranch_execz .LBB124_908
; %bb.905:
	v_cmp_ne_u32_e32 vcc_lo, 53, v132
	s_xor_b32 s2, s6, -1
	s_and_b32 s3, s2, vcc_lo
	s_and_saveexec_b32 s2, s3
	s_cbranch_execz .LBB124_907
; %bb.906:
	v_ashrrev_i32_e32 v133, 31, v132
	v_lshlrev_b64 v[133:134], 2, v[132:133]
	v_add_co_u32 v133, vcc_lo, v4, v133
	v_add_co_ci_u32_e64 v134, null, v5, v134, vcc_lo
	s_clause 0x1
	global_load_dword v140, v[133:134], off
	global_load_dword v141, v[4:5], off offset:212
	s_waitcnt vmcnt(1)
	global_store_dword v[4:5], v140, off offset:212
	s_waitcnt vmcnt(0)
	global_store_dword v[133:134], v141, off
.LBB124_907:
	s_or_b32 exec_lo, exec_lo, s2
	v_mov_b32_e32 v140, v132
	v_mov_b32_e32 v141, v132
.LBB124_908:
	s_or_b32 exec_lo, exec_lo, s1
.LBB124_909:
	s_andn2_saveexec_b32 s0, s0
	s_cbranch_execz .LBB124_911
; %bb.910:
	v_mov_b32_e32 v132, v20
	v_mov_b32_e32 v133, v21
	;; [unrolled: 1-line block ×8, first 2 shown]
	ds_write2_b64 v138, v[132:133], v[141:142] offset0:54 offset1:55
	v_mov_b32_e32 v141, 53
	v_mov_b32_e32 v147, v12
	;; [unrolled: 1-line block ×9, first 2 shown]
	ds_write2_b64 v138, v[143:144], v[145:146] offset0:56 offset1:57
	ds_write2_b64 v138, v[147:148], v[149:150] offset0:58 offset1:59
	;; [unrolled: 1-line block ×3, first 2 shown]
	ds_write_b64 v138, v[130:131] offset:496
.LBB124_911:
	s_or_b32 exec_lo, exec_lo, s0
	s_mov_b32 s0, exec_lo
	s_waitcnt lgkmcnt(0)
	s_waitcnt_vscnt null, 0x0
	s_barrier
	buffer_gl0_inv
	v_cmpx_lt_i32_e32 53, v141
	s_cbranch_execz .LBB124_913
; %bb.912:
	v_mul_f64 v[22:23], v[0:1], v[22:23]
	ds_read2_b64 v[142:145], v138 offset0:54 offset1:55
	ds_read2_b64 v[146:149], v138 offset0:56 offset1:57
	;; [unrolled: 1-line block ×4, first 2 shown]
	ds_read_b64 v[0:1], v138 offset:496
	s_waitcnt lgkmcnt(4)
	v_fma_f64 v[20:21], -v[22:23], v[142:143], v[20:21]
	v_fma_f64 v[18:19], -v[22:23], v[144:145], v[18:19]
	s_waitcnt lgkmcnt(3)
	v_fma_f64 v[16:17], -v[22:23], v[146:147], v[16:17]
	v_fma_f64 v[14:15], -v[22:23], v[148:149], v[14:15]
	;; [unrolled: 3-line block ×4, first 2 shown]
	s_waitcnt lgkmcnt(0)
	v_fma_f64 v[130:131], -v[22:23], v[0:1], v[130:131]
.LBB124_913:
	s_or_b32 exec_lo, exec_lo, s0
	v_lshl_add_u32 v0, v141, 3, v138
	s_barrier
	buffer_gl0_inv
	v_mov_b32_e32 v132, 54
	ds_write_b64 v0, v[20:21]
	s_waitcnt lgkmcnt(0)
	s_barrier
	buffer_gl0_inv
	ds_read_b64 v[0:1], v138 offset:432
	s_cmp_lt_i32 s7, 56
	s_cbranch_scc1 .LBB124_916
; %bb.914:
	v_add3_u32 v133, v139, 0, 0x1b8
	v_mov_b32_e32 v132, 54
	s_mov_b32 s0, 55
.LBB124_915:                            ; =>This Inner Loop Header: Depth=1
	ds_read_b64 v[142:143], v133
	v_add_nc_u32_e32 v133, 8, v133
	s_waitcnt lgkmcnt(0)
	v_cmp_lt_f64_e64 vcc_lo, |v[0:1]|, |v[142:143]|
	v_cndmask_b32_e32 v1, v1, v143, vcc_lo
	v_cndmask_b32_e32 v0, v0, v142, vcc_lo
	v_cndmask_b32_e64 v132, v132, s0, vcc_lo
	s_add_i32 s0, s0, 1
	s_cmp_lg_u32 s7, s0
	s_cbranch_scc1 .LBB124_915
.LBB124_916:
	s_mov_b32 s0, exec_lo
	s_waitcnt lgkmcnt(0)
	v_cmpx_eq_f64_e32 0, v[0:1]
	s_xor_b32 s0, exec_lo, s0
; %bb.917:
	v_cmp_ne_u32_e32 vcc_lo, 0, v135
	v_cndmask_b32_e32 v135, 55, v135, vcc_lo
; %bb.918:
	s_andn2_saveexec_b32 s0, s0
	s_cbranch_execz .LBB124_920
; %bb.919:
	v_div_scale_f64 v[133:134], null, v[0:1], v[0:1], 1.0
	v_rcp_f64_e32 v[142:143], v[133:134]
	v_fma_f64 v[144:145], -v[133:134], v[142:143], 1.0
	v_fma_f64 v[142:143], v[142:143], v[144:145], v[142:143]
	v_fma_f64 v[144:145], -v[133:134], v[142:143], 1.0
	v_fma_f64 v[142:143], v[142:143], v[144:145], v[142:143]
	v_div_scale_f64 v[144:145], vcc_lo, 1.0, v[0:1], 1.0
	v_mul_f64 v[146:147], v[144:145], v[142:143]
	v_fma_f64 v[133:134], -v[133:134], v[146:147], v[144:145]
	v_div_fmas_f64 v[133:134], v[133:134], v[142:143], v[146:147]
	v_div_fixup_f64 v[0:1], v[133:134], v[0:1], 1.0
.LBB124_920:
	s_or_b32 exec_lo, exec_lo, s0
	s_mov_b32 s0, exec_lo
	v_cmpx_ne_u32_e64 v141, v132
	s_xor_b32 s0, exec_lo, s0
	s_cbranch_execz .LBB124_926
; %bb.921:
	s_mov_b32 s1, exec_lo
	v_cmpx_eq_u32_e32 54, v141
	s_cbranch_execz .LBB124_925
; %bb.922:
	v_cmp_ne_u32_e32 vcc_lo, 54, v132
	s_xor_b32 s2, s6, -1
	s_and_b32 s3, s2, vcc_lo
	s_and_saveexec_b32 s2, s3
	s_cbranch_execz .LBB124_924
; %bb.923:
	v_ashrrev_i32_e32 v133, 31, v132
	v_lshlrev_b64 v[133:134], 2, v[132:133]
	v_add_co_u32 v133, vcc_lo, v4, v133
	v_add_co_ci_u32_e64 v134, null, v5, v134, vcc_lo
	s_clause 0x1
	global_load_dword v140, v[133:134], off
	global_load_dword v141, v[4:5], off offset:216
	s_waitcnt vmcnt(1)
	global_store_dword v[4:5], v140, off offset:216
	s_waitcnt vmcnt(0)
	global_store_dword v[133:134], v141, off
.LBB124_924:
	s_or_b32 exec_lo, exec_lo, s2
	v_mov_b32_e32 v140, v132
	v_mov_b32_e32 v141, v132
.LBB124_925:
	s_or_b32 exec_lo, exec_lo, s1
.LBB124_926:
	s_andn2_saveexec_b32 s0, s0
	s_cbranch_execz .LBB124_928
; %bb.927:
	v_mov_b32_e32 v141, 54
	ds_write2_b64 v138, v[18:19], v[16:17] offset0:55 offset1:56
	ds_write2_b64 v138, v[14:15], v[12:13] offset0:57 offset1:58
	;; [unrolled: 1-line block ×4, first 2 shown]
.LBB124_928:
	s_or_b32 exec_lo, exec_lo, s0
	s_mov_b32 s0, exec_lo
	s_waitcnt lgkmcnt(0)
	s_waitcnt_vscnt null, 0x0
	s_barrier
	buffer_gl0_inv
	v_cmpx_lt_i32_e32 54, v141
	s_cbranch_execz .LBB124_930
; %bb.929:
	v_mul_f64 v[20:21], v[0:1], v[20:21]
	ds_read2_b64 v[142:145], v138 offset0:55 offset1:56
	ds_read2_b64 v[146:149], v138 offset0:57 offset1:58
	;; [unrolled: 1-line block ×4, first 2 shown]
	s_waitcnt lgkmcnt(3)
	v_fma_f64 v[18:19], -v[20:21], v[142:143], v[18:19]
	v_fma_f64 v[16:17], -v[20:21], v[144:145], v[16:17]
	s_waitcnt lgkmcnt(2)
	v_fma_f64 v[14:15], -v[20:21], v[146:147], v[14:15]
	v_fma_f64 v[12:13], -v[20:21], v[148:149], v[12:13]
	s_waitcnt lgkmcnt(1)
	v_fma_f64 v[8:9], -v[20:21], v[150:151], v[8:9]
	v_fma_f64 v[10:11], -v[20:21], v[152:153], v[10:11]
	s_waitcnt lgkmcnt(0)
	v_fma_f64 v[6:7], -v[20:21], v[154:155], v[6:7]
	v_fma_f64 v[130:131], -v[20:21], v[156:157], v[130:131]
.LBB124_930:
	s_or_b32 exec_lo, exec_lo, s0
	v_lshl_add_u32 v0, v141, 3, v138
	s_barrier
	buffer_gl0_inv
	v_mov_b32_e32 v132, 55
	ds_write_b64 v0, v[18:19]
	s_waitcnt lgkmcnt(0)
	s_barrier
	buffer_gl0_inv
	ds_read_b64 v[0:1], v138 offset:440
	s_cmp_lt_i32 s7, 57
	s_cbranch_scc1 .LBB124_933
; %bb.931:
	v_add3_u32 v133, v139, 0, 0x1c0
	v_mov_b32_e32 v132, 55
	s_mov_b32 s0, 56
.LBB124_932:                            ; =>This Inner Loop Header: Depth=1
	ds_read_b64 v[142:143], v133
	v_add_nc_u32_e32 v133, 8, v133
	s_waitcnt lgkmcnt(0)
	v_cmp_lt_f64_e64 vcc_lo, |v[0:1]|, |v[142:143]|
	v_cndmask_b32_e32 v1, v1, v143, vcc_lo
	v_cndmask_b32_e32 v0, v0, v142, vcc_lo
	v_cndmask_b32_e64 v132, v132, s0, vcc_lo
	s_add_i32 s0, s0, 1
	s_cmp_lg_u32 s7, s0
	s_cbranch_scc1 .LBB124_932
.LBB124_933:
	s_mov_b32 s0, exec_lo
	s_waitcnt lgkmcnt(0)
	v_cmpx_eq_f64_e32 0, v[0:1]
	s_xor_b32 s0, exec_lo, s0
; %bb.934:
	v_cmp_ne_u32_e32 vcc_lo, 0, v135
	v_cndmask_b32_e32 v135, 56, v135, vcc_lo
; %bb.935:
	s_andn2_saveexec_b32 s0, s0
	s_cbranch_execz .LBB124_937
; %bb.936:
	v_div_scale_f64 v[133:134], null, v[0:1], v[0:1], 1.0
	v_rcp_f64_e32 v[142:143], v[133:134]
	v_fma_f64 v[144:145], -v[133:134], v[142:143], 1.0
	v_fma_f64 v[142:143], v[142:143], v[144:145], v[142:143]
	v_fma_f64 v[144:145], -v[133:134], v[142:143], 1.0
	v_fma_f64 v[142:143], v[142:143], v[144:145], v[142:143]
	v_div_scale_f64 v[144:145], vcc_lo, 1.0, v[0:1], 1.0
	v_mul_f64 v[146:147], v[144:145], v[142:143]
	v_fma_f64 v[133:134], -v[133:134], v[146:147], v[144:145]
	v_div_fmas_f64 v[133:134], v[133:134], v[142:143], v[146:147]
	v_div_fixup_f64 v[0:1], v[133:134], v[0:1], 1.0
.LBB124_937:
	s_or_b32 exec_lo, exec_lo, s0
	s_mov_b32 s0, exec_lo
	v_cmpx_ne_u32_e64 v141, v132
	s_xor_b32 s0, exec_lo, s0
	s_cbranch_execz .LBB124_943
; %bb.938:
	s_mov_b32 s1, exec_lo
	v_cmpx_eq_u32_e32 55, v141
	s_cbranch_execz .LBB124_942
; %bb.939:
	v_cmp_ne_u32_e32 vcc_lo, 55, v132
	s_xor_b32 s2, s6, -1
	s_and_b32 s3, s2, vcc_lo
	s_and_saveexec_b32 s2, s3
	s_cbranch_execz .LBB124_941
; %bb.940:
	v_ashrrev_i32_e32 v133, 31, v132
	v_lshlrev_b64 v[133:134], 2, v[132:133]
	v_add_co_u32 v133, vcc_lo, v4, v133
	v_add_co_ci_u32_e64 v134, null, v5, v134, vcc_lo
	s_clause 0x1
	global_load_dword v140, v[133:134], off
	global_load_dword v141, v[4:5], off offset:220
	s_waitcnt vmcnt(1)
	global_store_dword v[4:5], v140, off offset:220
	s_waitcnt vmcnt(0)
	global_store_dword v[133:134], v141, off
.LBB124_941:
	s_or_b32 exec_lo, exec_lo, s2
	v_mov_b32_e32 v140, v132
	v_mov_b32_e32 v141, v132
.LBB124_942:
	s_or_b32 exec_lo, exec_lo, s1
.LBB124_943:
	s_andn2_saveexec_b32 s0, s0
	s_cbranch_execz .LBB124_945
; %bb.944:
	v_mov_b32_e32 v132, v16
	v_mov_b32_e32 v133, v17
	;; [unrolled: 1-line block ×13, first 2 shown]
	ds_write2_b64 v138, v[132:133], v[142:143] offset0:56 offset1:57
	ds_write2_b64 v138, v[144:145], v[146:147] offset0:58 offset1:59
	;; [unrolled: 1-line block ×3, first 2 shown]
	ds_write_b64 v138, v[130:131] offset:496
.LBB124_945:
	s_or_b32 exec_lo, exec_lo, s0
	s_mov_b32 s0, exec_lo
	s_waitcnt lgkmcnt(0)
	s_waitcnt_vscnt null, 0x0
	s_barrier
	buffer_gl0_inv
	v_cmpx_lt_i32_e32 55, v141
	s_cbranch_execz .LBB124_947
; %bb.946:
	v_mul_f64 v[18:19], v[0:1], v[18:19]
	ds_read2_b64 v[142:145], v138 offset0:56 offset1:57
	ds_read2_b64 v[146:149], v138 offset0:58 offset1:59
	;; [unrolled: 1-line block ×3, first 2 shown]
	ds_read_b64 v[0:1], v138 offset:496
	s_waitcnt lgkmcnt(3)
	v_fma_f64 v[16:17], -v[18:19], v[142:143], v[16:17]
	v_fma_f64 v[14:15], -v[18:19], v[144:145], v[14:15]
	s_waitcnt lgkmcnt(2)
	v_fma_f64 v[12:13], -v[18:19], v[146:147], v[12:13]
	v_fma_f64 v[8:9], -v[18:19], v[148:149], v[8:9]
	;; [unrolled: 3-line block ×3, first 2 shown]
	s_waitcnt lgkmcnt(0)
	v_fma_f64 v[130:131], -v[18:19], v[0:1], v[130:131]
.LBB124_947:
	s_or_b32 exec_lo, exec_lo, s0
	v_lshl_add_u32 v0, v141, 3, v138
	s_barrier
	buffer_gl0_inv
	v_mov_b32_e32 v132, 56
	ds_write_b64 v0, v[16:17]
	s_waitcnt lgkmcnt(0)
	s_barrier
	buffer_gl0_inv
	ds_read_b64 v[0:1], v138 offset:448
	s_cmp_lt_i32 s7, 58
	s_cbranch_scc1 .LBB124_950
; %bb.948:
	v_add3_u32 v133, v139, 0, 0x1c8
	v_mov_b32_e32 v132, 56
	s_mov_b32 s0, 57
.LBB124_949:                            ; =>This Inner Loop Header: Depth=1
	ds_read_b64 v[142:143], v133
	v_add_nc_u32_e32 v133, 8, v133
	s_waitcnt lgkmcnt(0)
	v_cmp_lt_f64_e64 vcc_lo, |v[0:1]|, |v[142:143]|
	v_cndmask_b32_e32 v1, v1, v143, vcc_lo
	v_cndmask_b32_e32 v0, v0, v142, vcc_lo
	v_cndmask_b32_e64 v132, v132, s0, vcc_lo
	s_add_i32 s0, s0, 1
	s_cmp_lg_u32 s7, s0
	s_cbranch_scc1 .LBB124_949
.LBB124_950:
	s_mov_b32 s0, exec_lo
	s_waitcnt lgkmcnt(0)
	v_cmpx_eq_f64_e32 0, v[0:1]
	s_xor_b32 s0, exec_lo, s0
; %bb.951:
	v_cmp_ne_u32_e32 vcc_lo, 0, v135
	v_cndmask_b32_e32 v135, 57, v135, vcc_lo
; %bb.952:
	s_andn2_saveexec_b32 s0, s0
	s_cbranch_execz .LBB124_954
; %bb.953:
	v_div_scale_f64 v[133:134], null, v[0:1], v[0:1], 1.0
	v_rcp_f64_e32 v[142:143], v[133:134]
	v_fma_f64 v[144:145], -v[133:134], v[142:143], 1.0
	v_fma_f64 v[142:143], v[142:143], v[144:145], v[142:143]
	v_fma_f64 v[144:145], -v[133:134], v[142:143], 1.0
	v_fma_f64 v[142:143], v[142:143], v[144:145], v[142:143]
	v_div_scale_f64 v[144:145], vcc_lo, 1.0, v[0:1], 1.0
	v_mul_f64 v[146:147], v[144:145], v[142:143]
	v_fma_f64 v[133:134], -v[133:134], v[146:147], v[144:145]
	v_div_fmas_f64 v[133:134], v[133:134], v[142:143], v[146:147]
	v_div_fixup_f64 v[0:1], v[133:134], v[0:1], 1.0
.LBB124_954:
	s_or_b32 exec_lo, exec_lo, s0
	s_mov_b32 s0, exec_lo
	v_cmpx_ne_u32_e64 v141, v132
	s_xor_b32 s0, exec_lo, s0
	s_cbranch_execz .LBB124_960
; %bb.955:
	s_mov_b32 s1, exec_lo
	v_cmpx_eq_u32_e32 56, v141
	s_cbranch_execz .LBB124_959
; %bb.956:
	v_cmp_ne_u32_e32 vcc_lo, 56, v132
	s_xor_b32 s2, s6, -1
	s_and_b32 s3, s2, vcc_lo
	s_and_saveexec_b32 s2, s3
	s_cbranch_execz .LBB124_958
; %bb.957:
	v_ashrrev_i32_e32 v133, 31, v132
	v_lshlrev_b64 v[133:134], 2, v[132:133]
	v_add_co_u32 v133, vcc_lo, v4, v133
	v_add_co_ci_u32_e64 v134, null, v5, v134, vcc_lo
	s_clause 0x1
	global_load_dword v140, v[133:134], off
	global_load_dword v141, v[4:5], off offset:224
	s_waitcnt vmcnt(1)
	global_store_dword v[4:5], v140, off offset:224
	s_waitcnt vmcnt(0)
	global_store_dword v[133:134], v141, off
.LBB124_958:
	s_or_b32 exec_lo, exec_lo, s2
	v_mov_b32_e32 v140, v132
	v_mov_b32_e32 v141, v132
.LBB124_959:
	s_or_b32 exec_lo, exec_lo, s1
.LBB124_960:
	s_andn2_saveexec_b32 s0, s0
	s_cbranch_execz .LBB124_962
; %bb.961:
	v_mov_b32_e32 v141, 56
	ds_write2_b64 v138, v[14:15], v[12:13] offset0:57 offset1:58
	ds_write2_b64 v138, v[8:9], v[10:11] offset0:59 offset1:60
	ds_write2_b64 v138, v[6:7], v[130:131] offset0:61 offset1:62
.LBB124_962:
	s_or_b32 exec_lo, exec_lo, s0
	s_mov_b32 s0, exec_lo
	s_waitcnt lgkmcnt(0)
	s_waitcnt_vscnt null, 0x0
	s_barrier
	buffer_gl0_inv
	v_cmpx_lt_i32_e32 56, v141
	s_cbranch_execz .LBB124_964
; %bb.963:
	v_mul_f64 v[16:17], v[0:1], v[16:17]
	ds_read2_b64 v[142:145], v138 offset0:57 offset1:58
	ds_read2_b64 v[146:149], v138 offset0:59 offset1:60
	ds_read2_b64 v[150:153], v138 offset0:61 offset1:62
	s_waitcnt lgkmcnt(2)
	v_fma_f64 v[14:15], -v[16:17], v[142:143], v[14:15]
	v_fma_f64 v[12:13], -v[16:17], v[144:145], v[12:13]
	s_waitcnt lgkmcnt(1)
	v_fma_f64 v[8:9], -v[16:17], v[146:147], v[8:9]
	v_fma_f64 v[10:11], -v[16:17], v[148:149], v[10:11]
	;; [unrolled: 3-line block ×3, first 2 shown]
.LBB124_964:
	s_or_b32 exec_lo, exec_lo, s0
	v_lshl_add_u32 v0, v141, 3, v138
	s_barrier
	buffer_gl0_inv
	v_mov_b32_e32 v132, 57
	ds_write_b64 v0, v[14:15]
	s_waitcnt lgkmcnt(0)
	s_barrier
	buffer_gl0_inv
	ds_read_b64 v[0:1], v138 offset:456
	s_cmp_lt_i32 s7, 59
	s_cbranch_scc1 .LBB124_967
; %bb.965:
	v_add3_u32 v133, v139, 0, 0x1d0
	v_mov_b32_e32 v132, 57
	s_mov_b32 s0, 58
.LBB124_966:                            ; =>This Inner Loop Header: Depth=1
	ds_read_b64 v[142:143], v133
	v_add_nc_u32_e32 v133, 8, v133
	s_waitcnt lgkmcnt(0)
	v_cmp_lt_f64_e64 vcc_lo, |v[0:1]|, |v[142:143]|
	v_cndmask_b32_e32 v1, v1, v143, vcc_lo
	v_cndmask_b32_e32 v0, v0, v142, vcc_lo
	v_cndmask_b32_e64 v132, v132, s0, vcc_lo
	s_add_i32 s0, s0, 1
	s_cmp_lg_u32 s7, s0
	s_cbranch_scc1 .LBB124_966
.LBB124_967:
	s_mov_b32 s0, exec_lo
	s_waitcnt lgkmcnt(0)
	v_cmpx_eq_f64_e32 0, v[0:1]
	s_xor_b32 s0, exec_lo, s0
; %bb.968:
	v_cmp_ne_u32_e32 vcc_lo, 0, v135
	v_cndmask_b32_e32 v135, 58, v135, vcc_lo
; %bb.969:
	s_andn2_saveexec_b32 s0, s0
	s_cbranch_execz .LBB124_971
; %bb.970:
	v_div_scale_f64 v[133:134], null, v[0:1], v[0:1], 1.0
	v_rcp_f64_e32 v[142:143], v[133:134]
	v_fma_f64 v[144:145], -v[133:134], v[142:143], 1.0
	v_fma_f64 v[142:143], v[142:143], v[144:145], v[142:143]
	v_fma_f64 v[144:145], -v[133:134], v[142:143], 1.0
	v_fma_f64 v[142:143], v[142:143], v[144:145], v[142:143]
	v_div_scale_f64 v[144:145], vcc_lo, 1.0, v[0:1], 1.0
	v_mul_f64 v[146:147], v[144:145], v[142:143]
	v_fma_f64 v[133:134], -v[133:134], v[146:147], v[144:145]
	v_div_fmas_f64 v[133:134], v[133:134], v[142:143], v[146:147]
	v_div_fixup_f64 v[0:1], v[133:134], v[0:1], 1.0
.LBB124_971:
	s_or_b32 exec_lo, exec_lo, s0
	s_mov_b32 s0, exec_lo
	v_cmpx_ne_u32_e64 v141, v132
	s_xor_b32 s0, exec_lo, s0
	s_cbranch_execz .LBB124_977
; %bb.972:
	s_mov_b32 s1, exec_lo
	v_cmpx_eq_u32_e32 57, v141
	s_cbranch_execz .LBB124_976
; %bb.973:
	v_cmp_ne_u32_e32 vcc_lo, 57, v132
	s_xor_b32 s2, s6, -1
	s_and_b32 s3, s2, vcc_lo
	s_and_saveexec_b32 s2, s3
	s_cbranch_execz .LBB124_975
; %bb.974:
	v_ashrrev_i32_e32 v133, 31, v132
	v_lshlrev_b64 v[133:134], 2, v[132:133]
	v_add_co_u32 v133, vcc_lo, v4, v133
	v_add_co_ci_u32_e64 v134, null, v5, v134, vcc_lo
	s_clause 0x1
	global_load_dword v140, v[133:134], off
	global_load_dword v141, v[4:5], off offset:228
	s_waitcnt vmcnt(1)
	global_store_dword v[4:5], v140, off offset:228
	s_waitcnt vmcnt(0)
	global_store_dword v[133:134], v141, off
.LBB124_975:
	s_or_b32 exec_lo, exec_lo, s2
	v_mov_b32_e32 v140, v132
	v_mov_b32_e32 v141, v132
.LBB124_976:
	s_or_b32 exec_lo, exec_lo, s1
.LBB124_977:
	s_andn2_saveexec_b32 s0, s0
	s_cbranch_execz .LBB124_979
; %bb.978:
	v_mov_b32_e32 v132, v12
	v_mov_b32_e32 v133, v13
	;; [unrolled: 1-line block ×9, first 2 shown]
	ds_write2_b64 v138, v[132:133], v[142:143] offset0:58 offset1:59
	ds_write2_b64 v138, v[144:145], v[146:147] offset0:60 offset1:61
	ds_write_b64 v138, v[130:131] offset:496
.LBB124_979:
	s_or_b32 exec_lo, exec_lo, s0
	s_mov_b32 s0, exec_lo
	s_waitcnt lgkmcnt(0)
	s_waitcnt_vscnt null, 0x0
	s_barrier
	buffer_gl0_inv
	v_cmpx_lt_i32_e32 57, v141
	s_cbranch_execz .LBB124_981
; %bb.980:
	v_mul_f64 v[14:15], v[0:1], v[14:15]
	ds_read2_b64 v[142:145], v138 offset0:58 offset1:59
	ds_read2_b64 v[146:149], v138 offset0:60 offset1:61
	ds_read_b64 v[0:1], v138 offset:496
	s_waitcnt lgkmcnt(2)
	v_fma_f64 v[12:13], -v[14:15], v[142:143], v[12:13]
	v_fma_f64 v[8:9], -v[14:15], v[144:145], v[8:9]
	s_waitcnt lgkmcnt(1)
	v_fma_f64 v[10:11], -v[14:15], v[146:147], v[10:11]
	v_fma_f64 v[6:7], -v[14:15], v[148:149], v[6:7]
	s_waitcnt lgkmcnt(0)
	v_fma_f64 v[130:131], -v[14:15], v[0:1], v[130:131]
.LBB124_981:
	s_or_b32 exec_lo, exec_lo, s0
	v_lshl_add_u32 v0, v141, 3, v138
	s_barrier
	buffer_gl0_inv
	v_mov_b32_e32 v132, 58
	ds_write_b64 v0, v[12:13]
	s_waitcnt lgkmcnt(0)
	s_barrier
	buffer_gl0_inv
	ds_read_b64 v[0:1], v138 offset:464
	s_cmp_lt_i32 s7, 60
	s_cbranch_scc1 .LBB124_984
; %bb.982:
	v_add3_u32 v133, v139, 0, 0x1d8
	v_mov_b32_e32 v132, 58
	s_mov_b32 s0, 59
.LBB124_983:                            ; =>This Inner Loop Header: Depth=1
	ds_read_b64 v[142:143], v133
	v_add_nc_u32_e32 v133, 8, v133
	s_waitcnt lgkmcnt(0)
	v_cmp_lt_f64_e64 vcc_lo, |v[0:1]|, |v[142:143]|
	v_cndmask_b32_e32 v1, v1, v143, vcc_lo
	v_cndmask_b32_e32 v0, v0, v142, vcc_lo
	v_cndmask_b32_e64 v132, v132, s0, vcc_lo
	s_add_i32 s0, s0, 1
	s_cmp_lg_u32 s7, s0
	s_cbranch_scc1 .LBB124_983
.LBB124_984:
	s_mov_b32 s0, exec_lo
	s_waitcnt lgkmcnt(0)
	v_cmpx_eq_f64_e32 0, v[0:1]
	s_xor_b32 s0, exec_lo, s0
; %bb.985:
	v_cmp_ne_u32_e32 vcc_lo, 0, v135
	v_cndmask_b32_e32 v135, 59, v135, vcc_lo
; %bb.986:
	s_andn2_saveexec_b32 s0, s0
	s_cbranch_execz .LBB124_988
; %bb.987:
	v_div_scale_f64 v[133:134], null, v[0:1], v[0:1], 1.0
	v_rcp_f64_e32 v[142:143], v[133:134]
	v_fma_f64 v[144:145], -v[133:134], v[142:143], 1.0
	v_fma_f64 v[142:143], v[142:143], v[144:145], v[142:143]
	v_fma_f64 v[144:145], -v[133:134], v[142:143], 1.0
	v_fma_f64 v[142:143], v[142:143], v[144:145], v[142:143]
	v_div_scale_f64 v[144:145], vcc_lo, 1.0, v[0:1], 1.0
	v_mul_f64 v[146:147], v[144:145], v[142:143]
	v_fma_f64 v[133:134], -v[133:134], v[146:147], v[144:145]
	v_div_fmas_f64 v[133:134], v[133:134], v[142:143], v[146:147]
	v_div_fixup_f64 v[0:1], v[133:134], v[0:1], 1.0
.LBB124_988:
	s_or_b32 exec_lo, exec_lo, s0
	s_mov_b32 s0, exec_lo
	v_cmpx_ne_u32_e64 v141, v132
	s_xor_b32 s0, exec_lo, s0
	s_cbranch_execz .LBB124_994
; %bb.989:
	s_mov_b32 s1, exec_lo
	v_cmpx_eq_u32_e32 58, v141
	s_cbranch_execz .LBB124_993
; %bb.990:
	v_cmp_ne_u32_e32 vcc_lo, 58, v132
	s_xor_b32 s2, s6, -1
	s_and_b32 s3, s2, vcc_lo
	s_and_saveexec_b32 s2, s3
	s_cbranch_execz .LBB124_992
; %bb.991:
	v_ashrrev_i32_e32 v133, 31, v132
	v_lshlrev_b64 v[133:134], 2, v[132:133]
	v_add_co_u32 v133, vcc_lo, v4, v133
	v_add_co_ci_u32_e64 v134, null, v5, v134, vcc_lo
	s_clause 0x1
	global_load_dword v140, v[133:134], off
	global_load_dword v141, v[4:5], off offset:232
	s_waitcnt vmcnt(1)
	global_store_dword v[4:5], v140, off offset:232
	s_waitcnt vmcnt(0)
	global_store_dword v[133:134], v141, off
.LBB124_992:
	s_or_b32 exec_lo, exec_lo, s2
	v_mov_b32_e32 v140, v132
	v_mov_b32_e32 v141, v132
.LBB124_993:
	s_or_b32 exec_lo, exec_lo, s1
.LBB124_994:
	s_andn2_saveexec_b32 s0, s0
	s_cbranch_execz .LBB124_996
; %bb.995:
	v_mov_b32_e32 v141, 58
	ds_write2_b64 v138, v[8:9], v[10:11] offset0:59 offset1:60
	ds_write2_b64 v138, v[6:7], v[130:131] offset0:61 offset1:62
.LBB124_996:
	s_or_b32 exec_lo, exec_lo, s0
	s_mov_b32 s0, exec_lo
	s_waitcnt lgkmcnt(0)
	s_waitcnt_vscnt null, 0x0
	s_barrier
	buffer_gl0_inv
	v_cmpx_lt_i32_e32 58, v141
	s_cbranch_execz .LBB124_998
; %bb.997:
	v_mul_f64 v[12:13], v[0:1], v[12:13]
	ds_read2_b64 v[142:145], v138 offset0:59 offset1:60
	ds_read2_b64 v[146:149], v138 offset0:61 offset1:62
	s_waitcnt lgkmcnt(1)
	v_fma_f64 v[8:9], -v[12:13], v[142:143], v[8:9]
	v_fma_f64 v[10:11], -v[12:13], v[144:145], v[10:11]
	s_waitcnt lgkmcnt(0)
	v_fma_f64 v[6:7], -v[12:13], v[146:147], v[6:7]
	v_fma_f64 v[130:131], -v[12:13], v[148:149], v[130:131]
.LBB124_998:
	s_or_b32 exec_lo, exec_lo, s0
	v_lshl_add_u32 v0, v141, 3, v138
	s_barrier
	buffer_gl0_inv
	v_mov_b32_e32 v132, 59
	ds_write_b64 v0, v[8:9]
	s_waitcnt lgkmcnt(0)
	s_barrier
	buffer_gl0_inv
	ds_read_b64 v[0:1], v138 offset:472
	s_cmp_lt_i32 s7, 61
	s_cbranch_scc1 .LBB124_1001
; %bb.999:
	v_add3_u32 v133, v139, 0, 0x1e0
	v_mov_b32_e32 v132, 59
	s_mov_b32 s0, 60
.LBB124_1000:                           ; =>This Inner Loop Header: Depth=1
	ds_read_b64 v[142:143], v133
	v_add_nc_u32_e32 v133, 8, v133
	s_waitcnt lgkmcnt(0)
	v_cmp_lt_f64_e64 vcc_lo, |v[0:1]|, |v[142:143]|
	v_cndmask_b32_e32 v1, v1, v143, vcc_lo
	v_cndmask_b32_e32 v0, v0, v142, vcc_lo
	v_cndmask_b32_e64 v132, v132, s0, vcc_lo
	s_add_i32 s0, s0, 1
	s_cmp_lg_u32 s7, s0
	s_cbranch_scc1 .LBB124_1000
.LBB124_1001:
	s_mov_b32 s0, exec_lo
	s_waitcnt lgkmcnt(0)
	v_cmpx_eq_f64_e32 0, v[0:1]
	s_xor_b32 s0, exec_lo, s0
; %bb.1002:
	v_cmp_ne_u32_e32 vcc_lo, 0, v135
	v_cndmask_b32_e32 v135, 60, v135, vcc_lo
; %bb.1003:
	s_andn2_saveexec_b32 s0, s0
	s_cbranch_execz .LBB124_1005
; %bb.1004:
	v_div_scale_f64 v[133:134], null, v[0:1], v[0:1], 1.0
	v_rcp_f64_e32 v[142:143], v[133:134]
	v_fma_f64 v[144:145], -v[133:134], v[142:143], 1.0
	v_fma_f64 v[142:143], v[142:143], v[144:145], v[142:143]
	v_fma_f64 v[144:145], -v[133:134], v[142:143], 1.0
	v_fma_f64 v[142:143], v[142:143], v[144:145], v[142:143]
	v_div_scale_f64 v[144:145], vcc_lo, 1.0, v[0:1], 1.0
	v_mul_f64 v[146:147], v[144:145], v[142:143]
	v_fma_f64 v[133:134], -v[133:134], v[146:147], v[144:145]
	v_div_fmas_f64 v[133:134], v[133:134], v[142:143], v[146:147]
	v_div_fixup_f64 v[0:1], v[133:134], v[0:1], 1.0
.LBB124_1005:
	s_or_b32 exec_lo, exec_lo, s0
	s_mov_b32 s0, exec_lo
	v_cmpx_ne_u32_e64 v141, v132
	s_xor_b32 s0, exec_lo, s0
	s_cbranch_execz .LBB124_1011
; %bb.1006:
	s_mov_b32 s1, exec_lo
	v_cmpx_eq_u32_e32 59, v141
	s_cbranch_execz .LBB124_1010
; %bb.1007:
	v_cmp_ne_u32_e32 vcc_lo, 59, v132
	s_xor_b32 s2, s6, -1
	s_and_b32 s3, s2, vcc_lo
	s_and_saveexec_b32 s2, s3
	s_cbranch_execz .LBB124_1009
; %bb.1008:
	v_ashrrev_i32_e32 v133, 31, v132
	v_lshlrev_b64 v[133:134], 2, v[132:133]
	v_add_co_u32 v133, vcc_lo, v4, v133
	v_add_co_ci_u32_e64 v134, null, v5, v134, vcc_lo
	s_clause 0x1
	global_load_dword v140, v[133:134], off
	global_load_dword v141, v[4:5], off offset:236
	s_waitcnt vmcnt(1)
	global_store_dword v[4:5], v140, off offset:236
	s_waitcnt vmcnt(0)
	global_store_dword v[133:134], v141, off
.LBB124_1009:
	s_or_b32 exec_lo, exec_lo, s2
	v_mov_b32_e32 v140, v132
	v_mov_b32_e32 v141, v132
.LBB124_1010:
	s_or_b32 exec_lo, exec_lo, s1
.LBB124_1011:
	s_andn2_saveexec_b32 s0, s0
	s_cbranch_execz .LBB124_1013
; %bb.1012:
	v_mov_b32_e32 v132, v10
	v_mov_b32_e32 v133, v11
	;; [unrolled: 1-line block ×5, first 2 shown]
	ds_write2_b64 v138, v[132:133], v[142:143] offset0:60 offset1:61
	ds_write_b64 v138, v[130:131] offset:496
.LBB124_1013:
	s_or_b32 exec_lo, exec_lo, s0
	s_mov_b32 s0, exec_lo
	s_waitcnt lgkmcnt(0)
	s_waitcnt_vscnt null, 0x0
	s_barrier
	buffer_gl0_inv
	v_cmpx_lt_i32_e32 59, v141
	s_cbranch_execz .LBB124_1015
; %bb.1014:
	v_mul_f64 v[8:9], v[0:1], v[8:9]
	ds_read2_b64 v[142:145], v138 offset0:60 offset1:61
	ds_read_b64 v[0:1], v138 offset:496
	s_waitcnt lgkmcnt(1)
	v_fma_f64 v[10:11], -v[8:9], v[142:143], v[10:11]
	v_fma_f64 v[6:7], -v[8:9], v[144:145], v[6:7]
	s_waitcnt lgkmcnt(0)
	v_fma_f64 v[130:131], -v[8:9], v[0:1], v[130:131]
.LBB124_1015:
	s_or_b32 exec_lo, exec_lo, s0
	v_lshl_add_u32 v0, v141, 3, v138
	s_barrier
	buffer_gl0_inv
	v_mov_b32_e32 v132, 60
	ds_write_b64 v0, v[10:11]
	s_waitcnt lgkmcnt(0)
	s_barrier
	buffer_gl0_inv
	ds_read_b64 v[0:1], v138 offset:480
	s_cmp_lt_i32 s7, 62
	s_cbranch_scc1 .LBB124_1018
; %bb.1016:
	v_add3_u32 v133, v139, 0, 0x1e8
	v_mov_b32_e32 v132, 60
	s_mov_b32 s0, 61
.LBB124_1017:                           ; =>This Inner Loop Header: Depth=1
	ds_read_b64 v[142:143], v133
	v_add_nc_u32_e32 v133, 8, v133
	s_waitcnt lgkmcnt(0)
	v_cmp_lt_f64_e64 vcc_lo, |v[0:1]|, |v[142:143]|
	v_cndmask_b32_e32 v1, v1, v143, vcc_lo
	v_cndmask_b32_e32 v0, v0, v142, vcc_lo
	v_cndmask_b32_e64 v132, v132, s0, vcc_lo
	s_add_i32 s0, s0, 1
	s_cmp_lg_u32 s7, s0
	s_cbranch_scc1 .LBB124_1017
.LBB124_1018:
	s_mov_b32 s0, exec_lo
	s_waitcnt lgkmcnt(0)
	v_cmpx_eq_f64_e32 0, v[0:1]
	s_xor_b32 s0, exec_lo, s0
; %bb.1019:
	v_cmp_ne_u32_e32 vcc_lo, 0, v135
	v_cndmask_b32_e32 v135, 61, v135, vcc_lo
; %bb.1020:
	s_andn2_saveexec_b32 s0, s0
	s_cbranch_execz .LBB124_1022
; %bb.1021:
	v_div_scale_f64 v[133:134], null, v[0:1], v[0:1], 1.0
	v_rcp_f64_e32 v[142:143], v[133:134]
	v_fma_f64 v[144:145], -v[133:134], v[142:143], 1.0
	v_fma_f64 v[142:143], v[142:143], v[144:145], v[142:143]
	v_fma_f64 v[144:145], -v[133:134], v[142:143], 1.0
	v_fma_f64 v[142:143], v[142:143], v[144:145], v[142:143]
	v_div_scale_f64 v[144:145], vcc_lo, 1.0, v[0:1], 1.0
	v_mul_f64 v[146:147], v[144:145], v[142:143]
	v_fma_f64 v[133:134], -v[133:134], v[146:147], v[144:145]
	v_div_fmas_f64 v[133:134], v[133:134], v[142:143], v[146:147]
	v_div_fixup_f64 v[0:1], v[133:134], v[0:1], 1.0
.LBB124_1022:
	s_or_b32 exec_lo, exec_lo, s0
	s_mov_b32 s0, exec_lo
	v_cmpx_ne_u32_e64 v141, v132
	s_xor_b32 s0, exec_lo, s0
	s_cbranch_execz .LBB124_1028
; %bb.1023:
	s_mov_b32 s1, exec_lo
	v_cmpx_eq_u32_e32 60, v141
	s_cbranch_execz .LBB124_1027
; %bb.1024:
	v_cmp_ne_u32_e32 vcc_lo, 60, v132
	s_xor_b32 s2, s6, -1
	s_and_b32 s3, s2, vcc_lo
	s_and_saveexec_b32 s2, s3
	s_cbranch_execz .LBB124_1026
; %bb.1025:
	v_ashrrev_i32_e32 v133, 31, v132
	v_lshlrev_b64 v[133:134], 2, v[132:133]
	v_add_co_u32 v133, vcc_lo, v4, v133
	v_add_co_ci_u32_e64 v134, null, v5, v134, vcc_lo
	s_clause 0x1
	global_load_dword v140, v[133:134], off
	global_load_dword v141, v[4:5], off offset:240
	s_waitcnt vmcnt(1)
	global_store_dword v[4:5], v140, off offset:240
	s_waitcnt vmcnt(0)
	global_store_dword v[133:134], v141, off
.LBB124_1026:
	s_or_b32 exec_lo, exec_lo, s2
	v_mov_b32_e32 v140, v132
	v_mov_b32_e32 v141, v132
.LBB124_1027:
	s_or_b32 exec_lo, exec_lo, s1
.LBB124_1028:
	s_andn2_saveexec_b32 s0, s0
; %bb.1029:
	v_mov_b32_e32 v141, 60
	ds_write2_b64 v138, v[6:7], v[130:131] offset0:61 offset1:62
; %bb.1030:
	s_or_b32 exec_lo, exec_lo, s0
	s_mov_b32 s0, exec_lo
	s_waitcnt lgkmcnt(0)
	s_waitcnt_vscnt null, 0x0
	s_barrier
	buffer_gl0_inv
	v_cmpx_lt_i32_e32 60, v141
	s_cbranch_execz .LBB124_1032
; %bb.1031:
	v_mul_f64 v[10:11], v[0:1], v[10:11]
	ds_read2_b64 v[142:145], v138 offset0:61 offset1:62
	s_waitcnt lgkmcnt(0)
	v_fma_f64 v[6:7], -v[10:11], v[142:143], v[6:7]
	v_fma_f64 v[130:131], -v[10:11], v[144:145], v[130:131]
.LBB124_1032:
	s_or_b32 exec_lo, exec_lo, s0
	v_lshl_add_u32 v0, v141, 3, v138
	s_barrier
	buffer_gl0_inv
	v_mov_b32_e32 v132, 61
	ds_write_b64 v0, v[6:7]
	s_waitcnt lgkmcnt(0)
	s_barrier
	buffer_gl0_inv
	ds_read_b64 v[0:1], v138 offset:488
	s_cmp_lt_i32 s7, 63
	s_cbranch_scc1 .LBB124_1035
; %bb.1033:
	v_add3_u32 v133, v139, 0, 0x1f0
	v_mov_b32_e32 v132, 61
	s_mov_b32 s0, 62
.LBB124_1034:                           ; =>This Inner Loop Header: Depth=1
	ds_read_b64 v[142:143], v133
	v_add_nc_u32_e32 v133, 8, v133
	s_waitcnt lgkmcnt(0)
	v_cmp_lt_f64_e64 vcc_lo, |v[0:1]|, |v[142:143]|
	v_cndmask_b32_e32 v1, v1, v143, vcc_lo
	v_cndmask_b32_e32 v0, v0, v142, vcc_lo
	v_cndmask_b32_e64 v132, v132, s0, vcc_lo
	s_add_i32 s0, s0, 1
	s_cmp_lg_u32 s7, s0
	s_cbranch_scc1 .LBB124_1034
.LBB124_1035:
	s_mov_b32 s0, exec_lo
	s_waitcnt lgkmcnt(0)
	v_cmpx_eq_f64_e32 0, v[0:1]
	s_xor_b32 s0, exec_lo, s0
; %bb.1036:
	v_cmp_ne_u32_e32 vcc_lo, 0, v135
	v_cndmask_b32_e32 v135, 62, v135, vcc_lo
; %bb.1037:
	s_andn2_saveexec_b32 s0, s0
	s_cbranch_execz .LBB124_1039
; %bb.1038:
	v_div_scale_f64 v[133:134], null, v[0:1], v[0:1], 1.0
	v_rcp_f64_e32 v[142:143], v[133:134]
	v_fma_f64 v[144:145], -v[133:134], v[142:143], 1.0
	v_fma_f64 v[142:143], v[142:143], v[144:145], v[142:143]
	v_fma_f64 v[144:145], -v[133:134], v[142:143], 1.0
	v_fma_f64 v[142:143], v[142:143], v[144:145], v[142:143]
	v_div_scale_f64 v[144:145], vcc_lo, 1.0, v[0:1], 1.0
	v_mul_f64 v[146:147], v[144:145], v[142:143]
	v_fma_f64 v[133:134], -v[133:134], v[146:147], v[144:145]
	v_div_fmas_f64 v[133:134], v[133:134], v[142:143], v[146:147]
	v_div_fixup_f64 v[0:1], v[133:134], v[0:1], 1.0
.LBB124_1039:
	s_or_b32 exec_lo, exec_lo, s0
	s_mov_b32 s0, exec_lo
	v_cmpx_ne_u32_e64 v141, v132
	s_xor_b32 s0, exec_lo, s0
	s_cbranch_execz .LBB124_1045
; %bb.1040:
	s_mov_b32 s1, exec_lo
	v_cmpx_eq_u32_e32 61, v141
	s_cbranch_execz .LBB124_1044
; %bb.1041:
	v_cmp_ne_u32_e32 vcc_lo, 61, v132
	s_xor_b32 s2, s6, -1
	s_and_b32 s3, s2, vcc_lo
	s_and_saveexec_b32 s2, s3
	s_cbranch_execz .LBB124_1043
; %bb.1042:
	v_ashrrev_i32_e32 v133, 31, v132
	v_lshlrev_b64 v[133:134], 2, v[132:133]
	v_add_co_u32 v133, vcc_lo, v4, v133
	v_add_co_ci_u32_e64 v134, null, v5, v134, vcc_lo
	s_clause 0x1
	global_load_dword v140, v[133:134], off
	global_load_dword v141, v[4:5], off offset:244
	s_waitcnt vmcnt(1)
	global_store_dword v[4:5], v140, off offset:244
	s_waitcnt vmcnt(0)
	global_store_dword v[133:134], v141, off
.LBB124_1043:
	s_or_b32 exec_lo, exec_lo, s2
	v_mov_b32_e32 v140, v132
	v_mov_b32_e32 v141, v132
.LBB124_1044:
	s_or_b32 exec_lo, exec_lo, s1
.LBB124_1045:
	s_andn2_saveexec_b32 s0, s0
; %bb.1046:
	v_mov_b32_e32 v141, 61
	ds_write_b64 v138, v[130:131] offset:496
; %bb.1047:
	s_or_b32 exec_lo, exec_lo, s0
	s_mov_b32 s0, exec_lo
	s_waitcnt lgkmcnt(0)
	s_waitcnt_vscnt null, 0x0
	s_barrier
	buffer_gl0_inv
	v_cmpx_lt_i32_e32 61, v141
	s_cbranch_execz .LBB124_1049
; %bb.1048:
	v_mul_f64 v[6:7], v[0:1], v[6:7]
	ds_read_b64 v[0:1], v138 offset:496
	s_waitcnt lgkmcnt(0)
	v_fma_f64 v[130:131], -v[6:7], v[0:1], v[130:131]
.LBB124_1049:
	s_or_b32 exec_lo, exec_lo, s0
	v_lshl_add_u32 v0, v141, 3, v138
	s_barrier
	buffer_gl0_inv
	v_mov_b32_e32 v132, 62
	ds_write_b64 v0, v[130:131]
	s_waitcnt lgkmcnt(0)
	s_barrier
	buffer_gl0_inv
	ds_read_b64 v[0:1], v138 offset:496
	s_cmp_lt_i32 s7, 64
	s_cbranch_scc1 .LBB124_1052
; %bb.1050:
	v_add3_u32 v133, v139, 0, 0x1f8
	v_mov_b32_e32 v132, 62
	s_mov_b32 s0, 63
.LBB124_1051:                           ; =>This Inner Loop Header: Depth=1
	ds_read_b64 v[138:139], v133
	v_add_nc_u32_e32 v133, 8, v133
	s_waitcnt lgkmcnt(0)
	v_cmp_lt_f64_e64 vcc_lo, |v[0:1]|, |v[138:139]|
	v_cndmask_b32_e32 v1, v1, v139, vcc_lo
	v_cndmask_b32_e32 v0, v0, v138, vcc_lo
	v_cndmask_b32_e64 v132, v132, s0, vcc_lo
	s_add_i32 s0, s0, 1
	s_cmp_lg_u32 s7, s0
	s_cbranch_scc1 .LBB124_1051
.LBB124_1052:
	s_mov_b32 s0, exec_lo
	s_waitcnt lgkmcnt(0)
	v_cmpx_eq_f64_e32 0, v[0:1]
	s_xor_b32 s0, exec_lo, s0
; %bb.1053:
	v_cmp_ne_u32_e32 vcc_lo, 0, v135
	v_cndmask_b32_e32 v135, 63, v135, vcc_lo
; %bb.1054:
	s_andn2_saveexec_b32 s0, s0
	s_cbranch_execz .LBB124_1056
; %bb.1055:
	v_div_scale_f64 v[133:134], null, v[0:1], v[0:1], 1.0
	v_rcp_f64_e32 v[138:139], v[133:134]
	v_fma_f64 v[142:143], -v[133:134], v[138:139], 1.0
	v_fma_f64 v[138:139], v[138:139], v[142:143], v[138:139]
	v_fma_f64 v[142:143], -v[133:134], v[138:139], 1.0
	v_fma_f64 v[138:139], v[138:139], v[142:143], v[138:139]
	v_div_scale_f64 v[142:143], vcc_lo, 1.0, v[0:1], 1.0
	v_mul_f64 v[144:145], v[142:143], v[138:139]
	v_fma_f64 v[133:134], -v[133:134], v[144:145], v[142:143]
	v_div_fmas_f64 v[133:134], v[133:134], v[138:139], v[144:145]
	v_div_fixup_f64 v[0:1], v[133:134], v[0:1], 1.0
.LBB124_1056:
	s_or_b32 exec_lo, exec_lo, s0
	v_mov_b32_e32 v133, 62
	s_mov_b32 s0, exec_lo
	v_cmpx_ne_u32_e64 v141, v132
	s_cbranch_execz .LBB124_1062
; %bb.1057:
	s_mov_b32 s1, exec_lo
	v_cmpx_eq_u32_e32 62, v141
	s_cbranch_execz .LBB124_1061
; %bb.1058:
	v_cmp_ne_u32_e32 vcc_lo, 62, v132
	s_xor_b32 s2, s6, -1
	s_and_b32 s3, s2, vcc_lo
	s_and_saveexec_b32 s2, s3
	s_cbranch_execz .LBB124_1060
; %bb.1059:
	v_ashrrev_i32_e32 v133, 31, v132
	v_lshlrev_b64 v[133:134], 2, v[132:133]
	v_add_co_u32 v133, vcc_lo, v4, v133
	v_add_co_ci_u32_e64 v134, null, v5, v134, vcc_lo
	s_clause 0x1
	global_load_dword v138, v[133:134], off
	global_load_dword v139, v[4:5], off offset:248
	s_waitcnt vmcnt(1)
	global_store_dword v[4:5], v138, off offset:248
	s_waitcnt vmcnt(0)
	global_store_dword v[133:134], v139, off
.LBB124_1060:
	s_or_b32 exec_lo, exec_lo, s2
	v_mov_b32_e32 v140, v132
	v_mov_b32_e32 v141, v132
.LBB124_1061:
	s_or_b32 exec_lo, exec_lo, s1
	v_mov_b32_e32 v133, v141
.LBB124_1062:
	s_or_b32 exec_lo, exec_lo, s0
	s_load_dwordx8 s[0:7], s[4:5], 0x28
	v_ashrrev_i32_e32 v134, 31, v133
	s_mov_b32 s9, exec_lo
	s_waitcnt lgkmcnt(0)
	s_waitcnt_vscnt null, 0x0
	s_barrier
	buffer_gl0_inv
	s_barrier
	buffer_gl0_inv
	v_cmpx_gt_i32_e32 63, v133
	s_cbranch_execz .LBB124_1064
; %bb.1063:
	v_mul_lo_u32 v132, s5, v2
	v_mul_lo_u32 v138, s4, v3
	v_mad_u64_u32 v[4:5], null, s4, v2, 0
	s_lshl_b64 s[2:3], s[2:3], 2
	v_add3_u32 v5, v5, v138, v132
	v_lshlrev_b64 v[4:5], 2, v[4:5]
	v_add_co_u32 v132, vcc_lo, s0, v4
	v_add_co_ci_u32_e64 v138, null, s1, v5, vcc_lo
	v_lshlrev_b64 v[4:5], 2, v[133:134]
	v_add_co_u32 v132, vcc_lo, v132, s2
	v_add_co_ci_u32_e64 v138, null, s3, v138, vcc_lo
	v_add_co_u32 v4, vcc_lo, v132, v4
	v_add_co_ci_u32_e64 v5, null, v138, v5, vcc_lo
	v_add3_u32 v132, v140, s13, 1
	global_store_dword v[4:5], v132, off
.LBB124_1064:
	s_or_b32 exec_lo, exec_lo, s9
	s_mov_b32 s1, exec_lo
	v_cmpx_eq_u32_e32 0, v133
	s_cbranch_execz .LBB124_1067
; %bb.1065:
	v_lshlrev_b64 v[2:3], 2, v[2:3]
	v_cmp_ne_u32_e64 s0, 0, v135
	v_add_co_u32 v2, vcc_lo, s6, v2
	v_add_co_ci_u32_e64 v3, null, s7, v3, vcc_lo
	global_load_dword v4, v[2:3], off
	s_waitcnt vmcnt(0)
	v_cmp_eq_u32_e32 vcc_lo, 0, v4
	s_and_b32 s0, vcc_lo, s0
	s_and_b32 exec_lo, exec_lo, s0
	s_cbranch_execz .LBB124_1067
; %bb.1066:
	v_add_nc_u32_e32 v4, s13, v135
	global_store_dword v[2:3], v4, off
.LBB124_1067:
	s_or_b32 exec_lo, exec_lo, s1
	v_mul_f64 v[0:1], v[0:1], v[130:131]
	v_add3_u32 v2, s8, s8, v133
	v_lshlrev_b64 v[4:5], 3, v[133:134]
	v_add_nc_u32_e32 v132, s8, v2
	v_ashrrev_i32_e32 v3, 31, v2
	v_add_co_u32 v4, vcc_lo, v136, v4
	v_add_co_ci_u32_e64 v5, null, v137, v5, vcc_lo
	v_add_nc_u32_e32 v134, s8, v132
	v_lshlrev_b64 v[2:3], 3, v[2:3]
	v_cmp_lt_i32_e32 vcc_lo, 62, v133
	flat_store_dwordx2 v[4:5], v[128:129]
	v_ashrrev_i32_e32 v133, 31, v132
	v_add_nc_u32_e32 v128, s8, v134
	v_add_co_u32 v4, s0, v4, s10
	v_add_co_ci_u32_e64 v5, null, s11, v5, s0
	v_cndmask_b32_e32 v1, v131, v1, vcc_lo
	v_cndmask_b32_e32 v0, v130, v0, vcc_lo
	v_add_co_u32 v2, vcc_lo, v136, v2
	v_ashrrev_i32_e32 v135, 31, v134
	v_add_co_ci_u32_e64 v3, null, v137, v3, vcc_lo
	v_ashrrev_i32_e32 v129, 31, v128
	v_lshlrev_b64 v[130:131], 3, v[132:133]
	flat_store_dwordx2 v[4:5], v[124:125]
	flat_store_dwordx2 v[2:3], v[126:127]
	v_lshlrev_b64 v[2:3], 3, v[134:135]
	v_add_nc_u32_e32 v126, s8, v128
	v_lshlrev_b64 v[124:125], 3, v[128:129]
	v_add_co_u32 v4, vcc_lo, v136, v130
	v_add_co_ci_u32_e64 v5, null, v137, v131, vcc_lo
	v_add_co_u32 v2, vcc_lo, v136, v2
	v_add_co_ci_u32_e64 v3, null, v137, v3, vcc_lo
	v_add_co_u32 v124, vcc_lo, v136, v124
	v_add_nc_u32_e32 v128, s8, v126
	v_add_co_ci_u32_e64 v125, null, v137, v125, vcc_lo
	v_ashrrev_i32_e32 v127, 31, v126
	flat_store_dwordx2 v[4:5], v[122:123]
	flat_store_dwordx2 v[2:3], v[120:121]
	flat_store_dwordx2 v[124:125], v[118:119]
	v_add_nc_u32_e32 v118, s8, v128
	v_ashrrev_i32_e32 v129, 31, v128
	v_lshlrev_b64 v[4:5], 3, v[126:127]
	v_add_nc_u32_e32 v120, s8, v118
	v_lshlrev_b64 v[2:3], 3, v[128:129]
	v_ashrrev_i32_e32 v119, 31, v118
	v_add_co_u32 v4, vcc_lo, v136, v4
	v_add_nc_u32_e32 v122, s8, v120
	v_add_co_ci_u32_e64 v5, null, v137, v5, vcc_lo
	v_add_co_u32 v2, vcc_lo, v136, v2
	v_ashrrev_i32_e32 v121, 31, v120
	v_add_co_ci_u32_e64 v3, null, v137, v3, vcc_lo
	v_ashrrev_i32_e32 v123, 31, v122
	v_lshlrev_b64 v[118:119], 3, v[118:119]
	flat_store_dwordx2 v[4:5], v[116:117]
	flat_store_dwordx2 v[2:3], v[114:115]
	v_lshlrev_b64 v[2:3], 3, v[120:121]
	v_add_nc_u32_e32 v116, s8, v122
	v_lshlrev_b64 v[114:115], 3, v[122:123]
	v_add_co_u32 v4, vcc_lo, v136, v118
	v_add_co_ci_u32_e64 v5, null, v137, v119, vcc_lo
	v_add_co_u32 v2, vcc_lo, v136, v2
	v_add_co_ci_u32_e64 v3, null, v137, v3, vcc_lo
	v_add_co_u32 v114, vcc_lo, v136, v114
	v_add_nc_u32_e32 v118, s8, v116
	v_add_co_ci_u32_e64 v115, null, v137, v115, vcc_lo
	v_ashrrev_i32_e32 v117, 31, v116
	flat_store_dwordx2 v[4:5], v[112:113]
	flat_store_dwordx2 v[2:3], v[108:109]
	flat_store_dwordx2 v[114:115], v[110:111]
	v_add_nc_u32_e32 v108, s8, v118
	v_ashrrev_i32_e32 v119, 31, v118
	v_lshlrev_b64 v[4:5], 3, v[116:117]
	v_add_nc_u32_e32 v110, s8, v108
	v_lshlrev_b64 v[2:3], 3, v[118:119]
	v_ashrrev_i32_e32 v109, 31, v108
	v_add_co_u32 v4, vcc_lo, v136, v4
	v_add_nc_u32_e32 v112, s8, v110
	v_add_co_ci_u32_e64 v5, null, v137, v5, vcc_lo
	v_add_co_u32 v2, vcc_lo, v136, v2
	v_ashrrev_i32_e32 v111, 31, v110
	v_add_co_ci_u32_e64 v3, null, v137, v3, vcc_lo
	v_ashrrev_i32_e32 v113, 31, v112
	v_lshlrev_b64 v[108:109], 3, v[108:109]
	flat_store_dwordx2 v[4:5], v[104:105]
	flat_store_dwordx2 v[2:3], v[106:107]
	v_lshlrev_b64 v[2:3], 3, v[110:111]
	v_add_nc_u32_e32 v106, s8, v112
	v_lshlrev_b64 v[104:105], 3, v[112:113]
	v_add_co_u32 v4, vcc_lo, v136, v108
	v_add_co_ci_u32_e64 v5, null, v137, v109, vcc_lo
	v_add_co_u32 v2, vcc_lo, v136, v2
	v_add_co_ci_u32_e64 v3, null, v137, v3, vcc_lo
	v_add_co_u32 v104, vcc_lo, v136, v104
	v_add_nc_u32_e32 v108, s8, v106
	v_add_co_ci_u32_e64 v105, null, v137, v105, vcc_lo
	v_ashrrev_i32_e32 v107, 31, v106
	flat_store_dwordx2 v[4:5], v[102:103]
	flat_store_dwordx2 v[2:3], v[100:101]
	flat_store_dwordx2 v[104:105], v[98:99]
	v_add_nc_u32_e32 v98, s8, v108
	v_ashrrev_i32_e32 v109, 31, v108
	v_lshlrev_b64 v[4:5], 3, v[106:107]
	v_add_nc_u32_e32 v100, s8, v98
	v_lshlrev_b64 v[2:3], 3, v[108:109]
	v_ashrrev_i32_e32 v99, 31, v98
	v_add_co_u32 v4, vcc_lo, v136, v4
	v_add_nc_u32_e32 v102, s8, v100
	v_add_co_ci_u32_e64 v5, null, v137, v5, vcc_lo
	v_add_co_u32 v2, vcc_lo, v136, v2
	v_ashrrev_i32_e32 v101, 31, v100
	v_add_co_ci_u32_e64 v3, null, v137, v3, vcc_lo
	v_ashrrev_i32_e32 v103, 31, v102
	v_lshlrev_b64 v[98:99], 3, v[98:99]
	flat_store_dwordx2 v[4:5], v[96:97]
	flat_store_dwordx2 v[2:3], v[94:95]
	v_lshlrev_b64 v[2:3], 3, v[100:101]
	v_add_nc_u32_e32 v96, s8, v102
	v_lshlrev_b64 v[94:95], 3, v[102:103]
	v_add_co_u32 v4, vcc_lo, v136, v98
	v_add_co_ci_u32_e64 v5, null, v137, v99, vcc_lo
	v_add_co_u32 v2, vcc_lo, v136, v2
	v_add_co_ci_u32_e64 v3, null, v137, v3, vcc_lo
	v_add_co_u32 v94, vcc_lo, v136, v94
	v_add_nc_u32_e32 v98, s8, v96
	v_add_co_ci_u32_e64 v95, null, v137, v95, vcc_lo
	v_ashrrev_i32_e32 v97, 31, v96
	flat_store_dwordx2 v[4:5], v[92:93]
	flat_store_dwordx2 v[2:3], v[88:89]
	flat_store_dwordx2 v[94:95], v[90:91]
	v_add_nc_u32_e32 v88, s8, v98
	v_ashrrev_i32_e32 v99, 31, v98
	v_lshlrev_b64 v[4:5], 3, v[96:97]
	v_add_nc_u32_e32 v90, s8, v88
	v_lshlrev_b64 v[2:3], 3, v[98:99]
	v_ashrrev_i32_e32 v89, 31, v88
	v_add_co_u32 v4, vcc_lo, v136, v4
	v_add_nc_u32_e32 v92, s8, v90
	v_add_co_ci_u32_e64 v5, null, v137, v5, vcc_lo
	v_add_co_u32 v2, vcc_lo, v136, v2
	v_ashrrev_i32_e32 v91, 31, v90
	v_add_co_ci_u32_e64 v3, null, v137, v3, vcc_lo
	v_ashrrev_i32_e32 v93, 31, v92
	v_lshlrev_b64 v[88:89], 3, v[88:89]
	flat_store_dwordx2 v[4:5], v[84:85]
	flat_store_dwordx2 v[2:3], v[86:87]
	v_lshlrev_b64 v[2:3], 3, v[90:91]
	v_add_nc_u32_e32 v86, s8, v92
	v_lshlrev_b64 v[84:85], 3, v[92:93]
	v_add_co_u32 v4, vcc_lo, v136, v88
	v_add_co_ci_u32_e64 v5, null, v137, v89, vcc_lo
	v_add_co_u32 v2, vcc_lo, v136, v2
	v_add_co_ci_u32_e64 v3, null, v137, v3, vcc_lo
	v_add_co_u32 v84, vcc_lo, v136, v84
	v_add_nc_u32_e32 v88, s8, v86
	v_add_co_ci_u32_e64 v85, null, v137, v85, vcc_lo
	v_ashrrev_i32_e32 v87, 31, v86
	flat_store_dwordx2 v[4:5], v[82:83]
	flat_store_dwordx2 v[2:3], v[80:81]
	flat_store_dwordx2 v[84:85], v[78:79]
	v_add_nc_u32_e32 v78, s8, v88
	v_ashrrev_i32_e32 v89, 31, v88
	v_lshlrev_b64 v[4:5], 3, v[86:87]
	v_add_nc_u32_e32 v80, s8, v78
	v_lshlrev_b64 v[2:3], 3, v[88:89]
	v_ashrrev_i32_e32 v79, 31, v78
	v_add_co_u32 v4, vcc_lo, v136, v4
	v_add_nc_u32_e32 v82, s8, v80
	v_add_co_ci_u32_e64 v5, null, v137, v5, vcc_lo
	v_add_co_u32 v2, vcc_lo, v136, v2
	v_ashrrev_i32_e32 v81, 31, v80
	v_add_co_ci_u32_e64 v3, null, v137, v3, vcc_lo
	v_ashrrev_i32_e32 v83, 31, v82
	v_lshlrev_b64 v[78:79], 3, v[78:79]
	flat_store_dwordx2 v[4:5], v[76:77]
	flat_store_dwordx2 v[2:3], v[74:75]
	v_lshlrev_b64 v[2:3], 3, v[80:81]
	v_add_nc_u32_e32 v76, s8, v82
	v_lshlrev_b64 v[74:75], 3, v[82:83]
	v_add_co_u32 v4, vcc_lo, v136, v78
	v_add_co_ci_u32_e64 v5, null, v137, v79, vcc_lo
	v_add_co_u32 v2, vcc_lo, v136, v2
	v_add_co_ci_u32_e64 v3, null, v137, v3, vcc_lo
	v_add_co_u32 v74, vcc_lo, v136, v74
	v_add_nc_u32_e32 v78, s8, v76
	v_add_co_ci_u32_e64 v75, null, v137, v75, vcc_lo
	v_ashrrev_i32_e32 v77, 31, v76
	flat_store_dwordx2 v[4:5], v[72:73]
	flat_store_dwordx2 v[2:3], v[68:69]
	flat_store_dwordx2 v[74:75], v[70:71]
	v_add_nc_u32_e32 v68, s8, v78
	v_ashrrev_i32_e32 v79, 31, v78
	v_lshlrev_b64 v[4:5], 3, v[76:77]
	v_add_nc_u32_e32 v70, s8, v68
	v_lshlrev_b64 v[2:3], 3, v[78:79]
	v_ashrrev_i32_e32 v69, 31, v68
	v_add_co_u32 v4, vcc_lo, v136, v4
	v_add_nc_u32_e32 v72, s8, v70
	v_add_co_ci_u32_e64 v5, null, v137, v5, vcc_lo
	v_add_co_u32 v2, vcc_lo, v136, v2
	v_ashrrev_i32_e32 v71, 31, v70
	v_add_co_ci_u32_e64 v3, null, v137, v3, vcc_lo
	v_ashrrev_i32_e32 v73, 31, v72
	v_lshlrev_b64 v[68:69], 3, v[68:69]
	flat_store_dwordx2 v[4:5], v[64:65]
	flat_store_dwordx2 v[2:3], v[66:67]
	v_lshlrev_b64 v[2:3], 3, v[70:71]
	v_add_nc_u32_e32 v66, s8, v72
	v_lshlrev_b64 v[64:65], 3, v[72:73]
	v_add_co_u32 v4, vcc_lo, v136, v68
	v_add_co_ci_u32_e64 v5, null, v137, v69, vcc_lo
	v_add_co_u32 v2, vcc_lo, v136, v2
	v_add_co_ci_u32_e64 v3, null, v137, v3, vcc_lo
	v_add_co_u32 v64, vcc_lo, v136, v64
	v_add_nc_u32_e32 v68, s8, v66
	v_add_co_ci_u32_e64 v65, null, v137, v65, vcc_lo
	v_ashrrev_i32_e32 v67, 31, v66
	flat_store_dwordx2 v[4:5], v[62:63]
	flat_store_dwordx2 v[2:3], v[60:61]
	flat_store_dwordx2 v[64:65], v[58:59]
	v_add_nc_u32_e32 v58, s8, v68
	v_ashrrev_i32_e32 v69, 31, v68
	v_lshlrev_b64 v[4:5], 3, v[66:67]
	v_add_nc_u32_e32 v60, s8, v58
	v_lshlrev_b64 v[2:3], 3, v[68:69]
	v_ashrrev_i32_e32 v59, 31, v58
	v_add_co_u32 v4, vcc_lo, v136, v4
	v_add_nc_u32_e32 v62, s8, v60
	v_add_co_ci_u32_e64 v5, null, v137, v5, vcc_lo
	v_add_co_u32 v2, vcc_lo, v136, v2
	v_ashrrev_i32_e32 v61, 31, v60
	v_add_co_ci_u32_e64 v3, null, v137, v3, vcc_lo
	v_ashrrev_i32_e32 v63, 31, v62
	v_lshlrev_b64 v[58:59], 3, v[58:59]
	flat_store_dwordx2 v[4:5], v[56:57]
	flat_store_dwordx2 v[2:3], v[54:55]
	v_lshlrev_b64 v[2:3], 3, v[60:61]
	v_add_nc_u32_e32 v56, s8, v62
	v_lshlrev_b64 v[54:55], 3, v[62:63]
	v_add_co_u32 v4, vcc_lo, v136, v58
	v_add_co_ci_u32_e64 v5, null, v137, v59, vcc_lo
	v_add_co_u32 v2, vcc_lo, v136, v2
	v_add_co_ci_u32_e64 v3, null, v137, v3, vcc_lo
	v_add_co_u32 v54, vcc_lo, v136, v54
	v_add_nc_u32_e32 v58, s8, v56
	v_add_co_ci_u32_e64 v55, null, v137, v55, vcc_lo
	v_ashrrev_i32_e32 v57, 31, v56
	flat_store_dwordx2 v[4:5], v[52:53]
	flat_store_dwordx2 v[2:3], v[48:49]
	flat_store_dwordx2 v[54:55], v[50:51]
	v_add_nc_u32_e32 v48, s8, v58
	v_ashrrev_i32_e32 v59, 31, v58
	v_lshlrev_b64 v[4:5], 3, v[56:57]
	v_add_nc_u32_e32 v50, s8, v48
	v_lshlrev_b64 v[2:3], 3, v[58:59]
	v_ashrrev_i32_e32 v49, 31, v48
	v_add_co_u32 v4, vcc_lo, v136, v4
	v_add_nc_u32_e32 v52, s8, v50
	v_add_co_ci_u32_e64 v5, null, v137, v5, vcc_lo
	v_add_co_u32 v2, vcc_lo, v136, v2
	v_ashrrev_i32_e32 v51, 31, v50
	v_add_co_ci_u32_e64 v3, null, v137, v3, vcc_lo
	v_ashrrev_i32_e32 v53, 31, v52
	v_lshlrev_b64 v[48:49], 3, v[48:49]
	flat_store_dwordx2 v[4:5], v[44:45]
	flat_store_dwordx2 v[2:3], v[46:47]
	v_lshlrev_b64 v[2:3], 3, v[50:51]
	v_add_nc_u32_e32 v46, s8, v52
	v_lshlrev_b64 v[44:45], 3, v[52:53]
	v_add_co_u32 v4, vcc_lo, v136, v48
	v_add_co_ci_u32_e64 v5, null, v137, v49, vcc_lo
	v_add_co_u32 v2, vcc_lo, v136, v2
	v_add_co_ci_u32_e64 v3, null, v137, v3, vcc_lo
	v_add_co_u32 v44, vcc_lo, v136, v44
	v_add_nc_u32_e32 v48, s8, v46
	v_add_co_ci_u32_e64 v45, null, v137, v45, vcc_lo
	v_ashrrev_i32_e32 v47, 31, v46
	flat_store_dwordx2 v[4:5], v[42:43]
	flat_store_dwordx2 v[2:3], v[40:41]
	flat_store_dwordx2 v[44:45], v[38:39]
	v_add_nc_u32_e32 v38, s8, v48
	v_ashrrev_i32_e32 v49, 31, v48
	v_lshlrev_b64 v[4:5], 3, v[46:47]
	v_add_nc_u32_e32 v40, s8, v38
	v_lshlrev_b64 v[2:3], 3, v[48:49]
	v_ashrrev_i32_e32 v39, 31, v38
	v_add_co_u32 v4, vcc_lo, v136, v4
	v_add_nc_u32_e32 v42, s8, v40
	v_add_co_ci_u32_e64 v5, null, v137, v5, vcc_lo
	v_add_co_u32 v2, vcc_lo, v136, v2
	v_ashrrev_i32_e32 v41, 31, v40
	v_add_co_ci_u32_e64 v3, null, v137, v3, vcc_lo
	v_ashrrev_i32_e32 v43, 31, v42
	v_lshlrev_b64 v[38:39], 3, v[38:39]
	flat_store_dwordx2 v[4:5], v[36:37]
	flat_store_dwordx2 v[2:3], v[34:35]
	v_lshlrev_b64 v[2:3], 3, v[40:41]
	v_add_nc_u32_e32 v36, s8, v42
	v_lshlrev_b64 v[34:35], 3, v[42:43]
	v_add_co_u32 v4, vcc_lo, v136, v38
	v_add_co_ci_u32_e64 v5, null, v137, v39, vcc_lo
	v_add_co_u32 v2, vcc_lo, v136, v2
	v_add_co_ci_u32_e64 v3, null, v137, v3, vcc_lo
	v_add_co_u32 v34, vcc_lo, v136, v34
	v_add_nc_u32_e32 v38, s8, v36
	v_add_co_ci_u32_e64 v35, null, v137, v35, vcc_lo
	v_ashrrev_i32_e32 v37, 31, v36
	flat_store_dwordx2 v[4:5], v[32:33]
	flat_store_dwordx2 v[2:3], v[28:29]
	flat_store_dwordx2 v[34:35], v[30:31]
	v_add_nc_u32_e32 v28, s8, v38
	v_ashrrev_i32_e32 v39, 31, v38
	v_lshlrev_b64 v[4:5], 3, v[36:37]
	v_add_nc_u32_e32 v30, s8, v28
	v_lshlrev_b64 v[2:3], 3, v[38:39]
	v_ashrrev_i32_e32 v29, 31, v28
	v_add_co_u32 v4, vcc_lo, v136, v4
	v_add_nc_u32_e32 v32, s8, v30
	v_add_co_ci_u32_e64 v5, null, v137, v5, vcc_lo
	v_add_co_u32 v2, vcc_lo, v136, v2
	v_ashrrev_i32_e32 v31, 31, v30
	v_add_co_ci_u32_e64 v3, null, v137, v3, vcc_lo
	v_ashrrev_i32_e32 v33, 31, v32
	v_lshlrev_b64 v[28:29], 3, v[28:29]
	flat_store_dwordx2 v[4:5], v[24:25]
	flat_store_dwordx2 v[2:3], v[26:27]
	v_lshlrev_b64 v[2:3], 3, v[30:31]
	v_add_nc_u32_e32 v26, s8, v32
	v_lshlrev_b64 v[24:25], 3, v[32:33]
	v_add_co_u32 v4, vcc_lo, v136, v28
	v_add_co_ci_u32_e64 v5, null, v137, v29, vcc_lo
	v_add_co_u32 v2, vcc_lo, v136, v2
	v_add_nc_u32_e32 v28, s8, v26
	v_add_co_ci_u32_e64 v3, null, v137, v3, vcc_lo
	v_add_co_u32 v24, vcc_lo, v136, v24
	v_ashrrev_i32_e32 v27, 31, v26
	v_add_co_ci_u32_e64 v25, null, v137, v25, vcc_lo
	v_ashrrev_i32_e32 v29, 31, v28
	flat_store_dwordx2 v[4:5], v[22:23]
	v_lshlrev_b64 v[4:5], 3, v[26:27]
	flat_store_dwordx2 v[2:3], v[20:21]
	flat_store_dwordx2 v[24:25], v[18:19]
	v_add_nc_u32_e32 v18, s8, v28
	v_lshlrev_b64 v[2:3], 3, v[28:29]
	v_add_co_u32 v4, vcc_lo, v136, v4
	v_add_nc_u32_e32 v20, s8, v18
	v_add_co_ci_u32_e64 v5, null, v137, v5, vcc_lo
	v_add_co_u32 v2, vcc_lo, v136, v2
	v_add_co_ci_u32_e64 v3, null, v137, v3, vcc_lo
	v_add_nc_u32_e32 v22, s8, v20
	v_ashrrev_i32_e32 v19, 31, v18
	flat_store_dwordx2 v[4:5], v[16:17]
	flat_store_dwordx2 v[2:3], v[14:15]
	v_ashrrev_i32_e32 v21, 31, v20
	v_add_nc_u32_e32 v14, s8, v22
	v_lshlrev_b64 v[4:5], 3, v[18:19]
	v_ashrrev_i32_e32 v23, 31, v22
	v_lshlrev_b64 v[2:3], 3, v[20:21]
	v_add_nc_u32_e32 v18, s8, v14
	v_ashrrev_i32_e32 v15, 31, v14
	v_lshlrev_b64 v[16:17], 3, v[22:23]
	v_add_co_u32 v4, vcc_lo, v136, v4
	v_ashrrev_i32_e32 v19, 31, v18
	v_lshlrev_b64 v[14:15], 3, v[14:15]
	v_add_co_ci_u32_e64 v5, null, v137, v5, vcc_lo
	v_add_co_u32 v2, vcc_lo, v136, v2
	v_lshlrev_b64 v[18:19], 3, v[18:19]
	v_add_co_ci_u32_e64 v3, null, v137, v3, vcc_lo
	v_add_co_u32 v16, vcc_lo, v136, v16
	v_add_co_ci_u32_e64 v17, null, v137, v17, vcc_lo
	v_add_co_u32 v14, vcc_lo, v136, v14
	;; [unrolled: 2-line block ×3, first 2 shown]
	v_add_co_ci_u32_e64 v19, null, v137, v19, vcc_lo
	flat_store_dwordx2 v[4:5], v[12:13]
	flat_store_dwordx2 v[2:3], v[8:9]
	flat_store_dwordx2 v[16:17], v[10:11]
	flat_store_dwordx2 v[14:15], v[6:7]
	flat_store_dwordx2 v[18:19], v[0:1]
.LBB124_1068:
	s_endpgm
	.section	.rodata,"a",@progbits
	.p2align	6, 0x0
	.amdhsa_kernel _ZN9rocsolver6v33100L18getf2_small_kernelILi63EdiiPKPdEEvT1_T3_lS5_lPS5_llPT2_S5_S5_S7_l
		.amdhsa_group_segment_fixed_size 0
		.amdhsa_private_segment_fixed_size 0
		.amdhsa_kernarg_size 352
		.amdhsa_user_sgpr_count 6
		.amdhsa_user_sgpr_private_segment_buffer 1
		.amdhsa_user_sgpr_dispatch_ptr 0
		.amdhsa_user_sgpr_queue_ptr 0
		.amdhsa_user_sgpr_kernarg_segment_ptr 1
		.amdhsa_user_sgpr_dispatch_id 0
		.amdhsa_user_sgpr_flat_scratch_init 0
		.amdhsa_user_sgpr_private_segment_size 0
		.amdhsa_wavefront_size32 1
		.amdhsa_uses_dynamic_stack 0
		.amdhsa_system_sgpr_private_segment_wavefront_offset 0
		.amdhsa_system_sgpr_workgroup_id_x 1
		.amdhsa_system_sgpr_workgroup_id_y 1
		.amdhsa_system_sgpr_workgroup_id_z 0
		.amdhsa_system_sgpr_workgroup_info 0
		.amdhsa_system_vgpr_workitem_id 1
		.amdhsa_next_free_vgpr 198
		.amdhsa_next_free_sgpr 14
		.amdhsa_reserve_vcc 1
		.amdhsa_reserve_flat_scratch 1
		.amdhsa_float_round_mode_32 0
		.amdhsa_float_round_mode_16_64 0
		.amdhsa_float_denorm_mode_32 3
		.amdhsa_float_denorm_mode_16_64 3
		.amdhsa_dx10_clamp 1
		.amdhsa_ieee_mode 1
		.amdhsa_fp16_overflow 0
		.amdhsa_workgroup_processor_mode 1
		.amdhsa_memory_ordered 1
		.amdhsa_forward_progress 1
		.amdhsa_shared_vgpr_count 0
		.amdhsa_exception_fp_ieee_invalid_op 0
		.amdhsa_exception_fp_denorm_src 0
		.amdhsa_exception_fp_ieee_div_zero 0
		.amdhsa_exception_fp_ieee_overflow 0
		.amdhsa_exception_fp_ieee_underflow 0
		.amdhsa_exception_fp_ieee_inexact 0
		.amdhsa_exception_int_div_zero 0
	.end_amdhsa_kernel
	.section	.text._ZN9rocsolver6v33100L18getf2_small_kernelILi63EdiiPKPdEEvT1_T3_lS5_lPS5_llPT2_S5_S5_S7_l,"axG",@progbits,_ZN9rocsolver6v33100L18getf2_small_kernelILi63EdiiPKPdEEvT1_T3_lS5_lPS5_llPT2_S5_S5_S7_l,comdat
.Lfunc_end124:
	.size	_ZN9rocsolver6v33100L18getf2_small_kernelILi63EdiiPKPdEEvT1_T3_lS5_lPS5_llPT2_S5_S5_S7_l, .Lfunc_end124-_ZN9rocsolver6v33100L18getf2_small_kernelILi63EdiiPKPdEEvT1_T3_lS5_lPS5_llPT2_S5_S5_S7_l
                                        ; -- End function
	.set _ZN9rocsolver6v33100L18getf2_small_kernelILi63EdiiPKPdEEvT1_T3_lS5_lPS5_llPT2_S5_S5_S7_l.num_vgpr, 198
	.set _ZN9rocsolver6v33100L18getf2_small_kernelILi63EdiiPKPdEEvT1_T3_lS5_lPS5_llPT2_S5_S5_S7_l.num_agpr, 0
	.set _ZN9rocsolver6v33100L18getf2_small_kernelILi63EdiiPKPdEEvT1_T3_lS5_lPS5_llPT2_S5_S5_S7_l.numbered_sgpr, 14
	.set _ZN9rocsolver6v33100L18getf2_small_kernelILi63EdiiPKPdEEvT1_T3_lS5_lPS5_llPT2_S5_S5_S7_l.num_named_barrier, 0
	.set _ZN9rocsolver6v33100L18getf2_small_kernelILi63EdiiPKPdEEvT1_T3_lS5_lPS5_llPT2_S5_S5_S7_l.private_seg_size, 0
	.set _ZN9rocsolver6v33100L18getf2_small_kernelILi63EdiiPKPdEEvT1_T3_lS5_lPS5_llPT2_S5_S5_S7_l.uses_vcc, 1
	.set _ZN9rocsolver6v33100L18getf2_small_kernelILi63EdiiPKPdEEvT1_T3_lS5_lPS5_llPT2_S5_S5_S7_l.uses_flat_scratch, 1
	.set _ZN9rocsolver6v33100L18getf2_small_kernelILi63EdiiPKPdEEvT1_T3_lS5_lPS5_llPT2_S5_S5_S7_l.has_dyn_sized_stack, 0
	.set _ZN9rocsolver6v33100L18getf2_small_kernelILi63EdiiPKPdEEvT1_T3_lS5_lPS5_llPT2_S5_S5_S7_l.has_recursion, 0
	.set _ZN9rocsolver6v33100L18getf2_small_kernelILi63EdiiPKPdEEvT1_T3_lS5_lPS5_llPT2_S5_S5_S7_l.has_indirect_call, 0
	.section	.AMDGPU.csdata,"",@progbits
; Kernel info:
; codeLenInByte = 76904
; TotalNumSgprs: 16
; NumVgprs: 198
; ScratchSize: 0
; MemoryBound: 0
; FloatMode: 240
; IeeeMode: 1
; LDSByteSize: 0 bytes/workgroup (compile time only)
; SGPRBlocks: 0
; VGPRBlocks: 24
; NumSGPRsForWavesPerEU: 16
; NumVGPRsForWavesPerEU: 198
; Occupancy: 4
; WaveLimiterHint : 1
; COMPUTE_PGM_RSRC2:SCRATCH_EN: 0
; COMPUTE_PGM_RSRC2:USER_SGPR: 6
; COMPUTE_PGM_RSRC2:TRAP_HANDLER: 0
; COMPUTE_PGM_RSRC2:TGID_X_EN: 1
; COMPUTE_PGM_RSRC2:TGID_Y_EN: 1
; COMPUTE_PGM_RSRC2:TGID_Z_EN: 0
; COMPUTE_PGM_RSRC2:TIDIG_COMP_CNT: 1
	.section	.text._ZN9rocsolver6v33100L23getf2_npvt_small_kernelILi63EdiiPKPdEEvT1_T3_lS5_lPT2_S5_S5_,"axG",@progbits,_ZN9rocsolver6v33100L23getf2_npvt_small_kernelILi63EdiiPKPdEEvT1_T3_lS5_lPT2_S5_S5_,comdat
	.globl	_ZN9rocsolver6v33100L23getf2_npvt_small_kernelILi63EdiiPKPdEEvT1_T3_lS5_lPT2_S5_S5_ ; -- Begin function _ZN9rocsolver6v33100L23getf2_npvt_small_kernelILi63EdiiPKPdEEvT1_T3_lS5_lPT2_S5_S5_
	.p2align	8
	.type	_ZN9rocsolver6v33100L23getf2_npvt_small_kernelILi63EdiiPKPdEEvT1_T3_lS5_lPT2_S5_S5_,@function
_ZN9rocsolver6v33100L23getf2_npvt_small_kernelILi63EdiiPKPdEEvT1_T3_lS5_lPT2_S5_S5_: ; @_ZN9rocsolver6v33100L23getf2_npvt_small_kernelILi63EdiiPKPdEEvT1_T3_lS5_lPT2_S5_S5_
; %bb.0:
	s_mov_b64 s[14:15], s[2:3]
	s_mov_b64 s[12:13], s[0:1]
	s_add_u32 s12, s12, s8
	s_clause 0x1
	s_load_dword s0, s[4:5], 0x44
	s_load_dwordx2 s[8:9], s[4:5], 0x30
	s_addc_u32 s13, s13, 0
	s_waitcnt lgkmcnt(0)
	s_lshr_b32 s10, s0, 16
	s_mov_b32 s0, exec_lo
	v_mad_u64_u32 v[2:3], null, s7, s10, v[1:2]
	v_cmpx_gt_i32_e64 s8, v2
	s_cbranch_execz .LBB125_318
; %bb.1:
	s_clause 0x1
	s_load_dwordx4 s[0:3], s[4:5], 0x8
	s_load_dword s6, s[4:5], 0x18
	v_ashrrev_i32_e32 v3, 31, v2
	s_mulk_i32 s10, 0x1f8
	v_lshlrev_b64 v[4:5], 3, v[2:3]
	s_waitcnt lgkmcnt(0)
	v_add_co_u32 v4, vcc_lo, s0, v4
	v_add_co_ci_u32_e64 v5, null, s1, v5, vcc_lo
	v_add3_u32 v33, s6, s6, v0
	s_lshl_b64 s[0:1], s[2:3], 3
	s_ashr_i32 s7, s6, 31
	global_load_dwordx2 v[4:5], v[4:5], off
	v_add_nc_u32_e32 v24, s6, v33
	v_ashrrev_i32_e32 v34, 31, v33
	v_add_nc_u32_e32 v31, s6, v24
	v_ashrrev_i32_e32 v25, 31, v24
	v_lshlrev_b64 v[33:34], 3, v[33:34]
	v_add_nc_u32_e32 v36, s6, v31
	v_lshlrev_b64 v[58:59], 3, v[24:25]
	v_ashrrev_i32_e32 v32, 31, v31
	v_add_nc_u32_e32 v28, s6, v36
	v_ashrrev_i32_e32 v37, 31, v36
	v_lshlrev_b64 v[60:61], 3, v[31:32]
	v_add_nc_u32_e32 v21, s6, v28
	v_lshlrev_b64 v[62:63], 3, v[36:37]
	;; [unrolled: 6-line block ×3, first 2 shown]
	v_ashrrev_i32_e32 v27, 31, v26
	v_add_nc_u32_e32 v8, s6, v35
	v_ashrrev_i32_e32 v36, 31, v35
	v_lshlrev_b64 v[66:67], 3, v[26:27]
	v_add_nc_u32_e32 v6, s6, v8
	v_ashrrev_i32_e32 v9, 31, v8
	v_lshlrev_b64 v[35:36], 3, v[35:36]
	;; [unrolled: 3-line block ×21, first 2 shown]
	v_add_nc_u32_e32 v37, s6, v25
	v_lshlrev_b64 v[55:56], 3, v[56:57]
	v_ashrrev_i32_e32 v26, 31, v25
	v_add_nc_u32_e32 v22, s6, v37
	v_ashrrev_i32_e32 v38, 31, v37
	v_lshlrev_b64 v[26:27], 3, v[25:26]
	v_add_nc_u32_e32 v68, s6, v22
	v_ashrrev_i32_e32 v23, 31, v22
	v_lshlrev_b64 v[37:38], 3, v[37:38]
	;; [unrolled: 3-line block ×19, first 2 shown]
	v_add_nc_u32_e32 v106, s6, v104
	v_lshlrev_b64 v[102:103], 3, v[102:103]
	v_ashrrev_i32_e32 v105, 31, v104
	v_ashrrev_i32_e32 v107, 31, v106
	v_lshlrev_b64 v[104:105], 3, v[104:105]
	s_waitcnt vmcnt(0)
	v_add_co_u32 v32, vcc_lo, v4, s0
	v_add_co_ci_u32_e64 v57, null, s1, v5, vcc_lo
	s_lshl_b64 s[0:1], s[6:7], 3
	v_add_co_u32 v4, vcc_lo, v32, v33
	v_add_co_ci_u32_e64 v5, null, v57, v34, vcc_lo
	v_add_co_u32 v33, vcc_lo, v32, v58
	v_add_co_ci_u32_e64 v34, null, v57, v59, vcc_lo
	;; [unrolled: 2-line block ×41, first 2 shown]
	v_mov_b32_e32 v89, v34
	v_mov_b32_e32 v88, v33
	v_add_co_u32 v33, vcc_lo, v32, v90
	v_add_co_ci_u32_e64 v34, null, v57, v91, vcc_lo
	v_mov_b32_e32 v91, v59
	v_mov_b32_e32 v90, v58
	v_add_co_u32 v58, vcc_lo, v32, v92
	v_add_co_ci_u32_e64 v59, null, v57, v93, vcc_lo
	;; [unrolled: 4-line block ×5, first 2 shown]
	v_mov_b32_e32 v99, v65
	v_mov_b32_e32 v133, v5
	;; [unrolled: 1-line block ×3, first 2 shown]
	v_add_co_u32 v64, vcc_lo, v32, v100
	v_mov_b32_e32 v132, v4
	v_add_nc_u32_e32 v4, s6, v106
	v_add_co_ci_u32_e64 v65, null, v57, v101, vcc_lo
	v_mov_b32_e32 v101, v36
	v_mov_b32_e32 v100, v35
	v_add_co_u32 v35, vcc_lo, v32, v102
	v_add_co_ci_u32_e64 v36, null, v57, v103, vcc_lo
	v_mov_b32_e32 v103, v9
	v_mov_b32_e32 v102, v8
	v_add_nc_u32_e32 v8, s6, v4
	v_lshlrev_b64 v[6:7], 3, v[106:107]
	v_ashrrev_i32_e32 v5, 31, v4
	v_mov_b32_e32 v107, v11
	v_mov_b32_e32 v106, v10
	v_add_co_u32 v70, vcc_lo, v32, v104
	v_ashrrev_i32_e32 v9, 31, v8
	v_add_nc_u32_e32 v10, s6, v8
	v_add_co_ci_u32_e64 v71, null, v57, v105, vcc_lo
	v_mov_b32_e32 v105, v67
	v_lshlrev_b64 v[4:5], 3, v[4:5]
	v_mov_b32_e32 v104, v66
	v_add_co_u32 v66, vcc_lo, v32, v6
	v_add_co_ci_u32_e64 v67, null, v57, v7, vcc_lo
	v_lshlrev_b64 v[6:7], 3, v[8:9]
	v_ashrrev_i32_e32 v11, 31, v10
	v_add_nc_u32_e32 v8, s6, v10
	v_add_co_u32 v72, vcc_lo, v32, v4
	v_add_co_ci_u32_e64 v73, null, v57, v5, vcc_lo
	v_lshlrev_b64 v[4:5], 3, v[10:11]
	v_ashrrev_i32_e32 v9, 31, v8
	v_add_nc_u32_e32 v10, s6, v8
	v_add_co_u32 v74, vcc_lo, v32, v6
	v_add_co_ci_u32_e64 v75, null, v57, v7, vcc_lo
	v_lshlrev_b64 v[6:7], 3, v[8:9]
	v_add_nc_u32_e32 v8, s6, v10
	v_ashrrev_i32_e32 v11, 31, v10
	v_add_co_u32 v76, vcc_lo, v32, v4
	v_add_co_ci_u32_e64 v77, null, v57, v5, vcc_lo
	v_ashrrev_i32_e32 v9, 31, v8
	v_lshlrev_b64 v[4:5], 3, v[10:11]
	v_add_co_u32 v10, vcc_lo, v32, v6
	v_add_co_ci_u32_e64 v11, null, v57, v7, vcc_lo
	v_lshlrev_b64 v[6:7], 3, v[8:9]
	v_add_nc_u32_e32 v8, s6, v8
	v_add_co_u32 v78, vcc_lo, v32, v4
	v_add_co_ci_u32_e64 v79, null, v57, v5, vcc_lo
	v_ashrrev_i32_e32 v9, 31, v8
	v_add_co_u32 v81, vcc_lo, v32, v6
	v_add_co_ci_u32_e64 v82, null, v57, v7, vcc_lo
	v_lshlrev_b64 v[4:5], 3, v[8:9]
	v_mad_u32_u24 v80, 0x1f8, v1, 0
	v_lshlrev_b32_e32 v1, 3, v1
	v_add_co_u32 v83, vcc_lo, v32, v4
	v_add_nc_u32_e32 v4, s6, v8
	v_add_co_ci_u32_e64 v84, null, v57, v5, vcc_lo
	v_add3_u32 v1, 0, s10, v1
	v_ashrrev_i32_e32 v5, 31, v4
	v_lshlrev_b64 v[5:6], 3, v[4:5]
	v_add_nc_u32_e32 v4, s6, v4
	v_add_co_u32 v7, vcc_lo, v32, v5
	v_ashrrev_i32_e32 v5, 31, v4
	v_add_co_ci_u32_e64 v8, null, v57, v6, vcc_lo
	v_lshlrev_b64 v[5:6], 3, v[4:5]
	v_add_nc_u32_e32 v4, s6, v4
	v_add_co_u32 v130, vcc_lo, v32, v5
	v_ashrrev_i32_e32 v5, 31, v4
	v_add_co_ci_u32_e64 v131, null, v57, v6, vcc_lo
	;; [unrolled: 5-line block ×3, first 2 shown]
	v_lshlrev_b64 v[4:5], 3, v[4:5]
	v_add_co_u32 v85, vcc_lo, v32, v4
	v_lshlrev_b32_e32 v4, 3, v0
	v_add_co_ci_u32_e64 v86, null, v57, v5, vcc_lo
	v_add_co_u32 v126, vcc_lo, v32, v4
	v_add_co_ci_u32_e64 v127, null, 0, v57, vcc_lo
	v_add_co_u32 v4, vcc_lo, v126, s0
	v_add_co_ci_u32_e64 v5, null, s1, v127, vcc_lo
	flat_load_dwordx2 v[252:253], v[126:127]
	buffer_store_dword v4, off, s[12:15], 0 offset:328 ; 4-byte Folded Spill
	buffer_store_dword v5, off, s[12:15], 0 offset:332 ; 4-byte Folded Spill
	v_cmp_ne_u32_e64 s1, 0, v0
	v_cmp_eq_u32_e64 s0, 0, v0
	flat_load_dwordx2 v[232:233], v[4:5]
	buffer_store_dword v132, off, s[12:15], 0 offset:320 ; 4-byte Folded Spill
	buffer_store_dword v133, off, s[12:15], 0 offset:324 ; 4-byte Folded Spill
	s_clause 0xa
	flat_load_dwordx2 v[250:251], v[132:133]
	flat_load_dwordx2 v[230:231], v[88:89]
	;; [unrolled: 1-line block ×11, first 2 shown]
	buffer_store_dword v124, off, s[12:15], 0 offset:528 ; 4-byte Folded Spill
	buffer_store_dword v125, off, s[12:15], 0 offset:532 ; 4-byte Folded Spill
	flat_load_dwordx2 v[220:221], v[124:125]
	buffer_store_dword v108, off, s[12:15], 0 offset:536 ; 4-byte Folded Spill
	buffer_store_dword v109, off, s[12:15], 0 offset:540 ; 4-byte Folded Spill
	flat_load_dwordx2 v[238:239], v[108:109]
	buffer_store_dword v134, off, s[12:15], 0 offset:544 ; 4-byte Folded Spill
	buffer_store_dword v135, off, s[12:15], 0 offset:548 ; 4-byte Folded Spill
	s_clause 0x7
	flat_load_dwordx2 v[218:219], v[134:135]
	flat_load_dwordx2 v[236:237], v[114:115]
	;; [unrolled: 1-line block ×8, first 2 shown]
	buffer_store_dword v12, off, s[12:15], 0 ; 4-byte Folded Spill
	buffer_store_dword v13, off, s[12:15], 0 offset:4 ; 4-byte Folded Spill
	flat_load_dwordx2 v[168:169], v[12:13]
	buffer_store_dword v14, off, s[12:15], 0 offset:8 ; 4-byte Folded Spill
	buffer_store_dword v15, off, s[12:15], 0 offset:12 ; 4-byte Folded Spill
	flat_load_dwordx2 v[210:211], v[14:15]
	buffer_store_dword v16, off, s[12:15], 0 offset:16 ; 4-byte Folded Spill
	;; [unrolled: 3-line block ×39, first 2 shown]
	buffer_store_dword v86, off, s[12:15], 0 offset:316 ; 4-byte Folded Spill
	flat_load_dwordx2 v[254:255], v[85:86]
	s_and_saveexec_b32 s2, s0
	s_cbranch_execz .LBB125_4
; %bb.2:
	s_waitcnt vmcnt(62) lgkmcnt(62)
	ds_write_b64 v1, v[252:253]
	s_waitcnt vmcnt(60) lgkmcnt(61)
	ds_write2_b64 v80, v[232:233], v[250:251] offset0:1 offset1:2
	s_waitcnt vmcnt(58) lgkmcnt(60)
	ds_write2_b64 v80, v[230:231], v[248:249] offset0:3 offset1:4
	s_waitcnt vmcnt(56) lgkmcnt(59)
	ds_write2_b64 v80, v[228:229], v[246:247] offset0:5 offset1:6
	s_waitcnt vmcnt(54) lgkmcnt(58)
	ds_write2_b64 v80, v[226:227], v[244:245] offset0:7 offset1:8
	s_waitcnt vmcnt(52) lgkmcnt(57)
	ds_write2_b64 v80, v[224:225], v[242:243] offset0:9 offset1:10
	s_waitcnt vmcnt(50) lgkmcnt(56)
	ds_write2_b64 v80, v[222:223], v[240:241] offset0:11 offset1:12
	s_waitcnt vmcnt(48) lgkmcnt(55)
	ds_write2_b64 v80, v[220:221], v[238:239] offset0:13 offset1:14
	s_waitcnt vmcnt(46) lgkmcnt(54)
	ds_write2_b64 v80, v[218:219], v[236:237] offset0:15 offset1:16
	s_waitcnt vmcnt(44) lgkmcnt(53)
	ds_write2_b64 v80, v[216:217], v[234:235] offset0:17 offset1:18
	s_waitcnt vmcnt(42) lgkmcnt(52)
	ds_write2_b64 v80, v[172:173], v[214:215] offset0:19 offset1:20
	s_waitcnt vmcnt(40) lgkmcnt(51)
	ds_write2_b64 v80, v[170:171], v[212:213] offset0:21 offset1:22
	s_waitcnt vmcnt(38) lgkmcnt(50)
	ds_write2_b64 v80, v[168:169], v[210:211] offset0:23 offset1:24
	s_waitcnt vmcnt(36) lgkmcnt(49)
	ds_write2_b64 v80, v[166:167], v[208:209] offset0:25 offset1:26
	s_waitcnt vmcnt(34) lgkmcnt(48)
	ds_write2_b64 v80, v[164:165], v[206:207] offset0:27 offset1:28
	s_waitcnt vmcnt(32) lgkmcnt(47)
	ds_write2_b64 v80, v[162:163], v[204:205] offset0:29 offset1:30
	s_waitcnt vmcnt(30) lgkmcnt(46)
	ds_write2_b64 v80, v[160:161], v[202:203] offset0:31 offset1:32
	s_waitcnt vmcnt(28) lgkmcnt(45)
	ds_write2_b64 v80, v[158:159], v[200:201] offset0:33 offset1:34
	s_waitcnt vmcnt(26) lgkmcnt(44)
	ds_write2_b64 v80, v[156:157], v[198:199] offset0:35 offset1:36
	s_waitcnt vmcnt(24) lgkmcnt(43)
	ds_write2_b64 v80, v[154:155], v[196:197] offset0:37 offset1:38
	s_waitcnt vmcnt(22) lgkmcnt(42)
	ds_write2_b64 v80, v[152:153], v[194:195] offset0:39 offset1:40
	s_waitcnt vmcnt(20) lgkmcnt(41)
	ds_write2_b64 v80, v[150:151], v[192:193] offset0:41 offset1:42
	s_waitcnt vmcnt(18) lgkmcnt(40)
	ds_write2_b64 v80, v[148:149], v[190:191] offset0:43 offset1:44
	s_waitcnt vmcnt(16) lgkmcnt(39)
	ds_write2_b64 v80, v[146:147], v[188:189] offset0:45 offset1:46
	s_waitcnt vmcnt(14) lgkmcnt(38)
	ds_write2_b64 v80, v[144:145], v[186:187] offset0:47 offset1:48
	s_waitcnt vmcnt(12) lgkmcnt(37)
	ds_write2_b64 v80, v[142:143], v[184:185] offset0:49 offset1:50
	s_waitcnt vmcnt(10) lgkmcnt(36)
	ds_write2_b64 v80, v[140:141], v[182:183] offset0:51 offset1:52
	s_waitcnt vmcnt(8) lgkmcnt(35)
	ds_write2_b64 v80, v[138:139], v[180:181] offset0:53 offset1:54
	s_waitcnt vmcnt(6) lgkmcnt(34)
	ds_write2_b64 v80, v[136:137], v[178:179] offset0:55 offset1:56
	s_waitcnt vmcnt(4) lgkmcnt(33)
	ds_write2_b64 v80, v[134:135], v[176:177] offset0:57 offset1:58
	s_waitcnt vmcnt(2) lgkmcnt(32)
	ds_write2_b64 v80, v[132:133], v[174:175] offset0:59 offset1:60
	s_waitcnt vmcnt(0) lgkmcnt(31)
	ds_write2_b64 v80, v[130:131], v[254:255] offset0:61 offset1:62
	ds_read_b64 v[4:5], v1
	s_waitcnt lgkmcnt(0)
	v_cmp_neq_f64_e32 vcc_lo, 0, v[4:5]
	s_and_b32 exec_lo, exec_lo, vcc_lo
	s_cbranch_execz .LBB125_4
; %bb.3:
	v_div_scale_f64 v[6:7], null, v[4:5], v[4:5], 1.0
	v_rcp_f64_e32 v[8:9], v[6:7]
	v_fma_f64 v[10:11], -v[6:7], v[8:9], 1.0
	v_fma_f64 v[8:9], v[8:9], v[10:11], v[8:9]
	v_fma_f64 v[10:11], -v[6:7], v[8:9], 1.0
	v_fma_f64 v[8:9], v[8:9], v[10:11], v[8:9]
	v_div_scale_f64 v[10:11], vcc_lo, 1.0, v[4:5], 1.0
	v_mul_f64 v[12:13], v[10:11], v[8:9]
	v_fma_f64 v[6:7], -v[6:7], v[12:13], v[10:11]
	v_div_fmas_f64 v[6:7], v[6:7], v[8:9], v[12:13]
	v_div_fixup_f64 v[4:5], v[6:7], v[4:5], 1.0
	ds_write_b64 v1, v[4:5]
.LBB125_4:
	s_or_b32 exec_lo, exec_lo, s2
	s_waitcnt vmcnt(0) lgkmcnt(0)
	s_waitcnt_vscnt null, 0x0
	s_barrier
	buffer_gl0_inv
	ds_read_b64 v[86:87], v1
	s_and_saveexec_b32 s2, s1
	s_cbranch_execz .LBB125_6
; %bb.5:
	s_waitcnt lgkmcnt(0)
	v_mul_f64 v[252:253], v[86:87], v[252:253]
	ds_read2_b64 v[4:7], v80 offset0:1 offset1:2
	s_waitcnt lgkmcnt(0)
	v_fma_f64 v[232:233], -v[252:253], v[4:5], v[232:233]
	v_fma_f64 v[250:251], -v[252:253], v[6:7], v[250:251]
	ds_read2_b64 v[4:7], v80 offset0:3 offset1:4
	s_waitcnt lgkmcnt(0)
	v_fma_f64 v[230:231], -v[252:253], v[4:5], v[230:231]
	v_fma_f64 v[248:249], -v[252:253], v[6:7], v[248:249]
	;; [unrolled: 4-line block ×31, first 2 shown]
.LBB125_6:
	s_or_b32 exec_lo, exec_lo, s2
	s_mov_b32 s1, exec_lo
	s_waitcnt lgkmcnt(0)
	s_barrier
	buffer_gl0_inv
	v_cmpx_eq_u32_e32 1, v0
	s_cbranch_execz .LBB125_9
; %bb.7:
	v_mov_b32_e32 v4, v250
	v_mov_b32_e32 v5, v251
	;; [unrolled: 1-line block ×4, first 2 shown]
	ds_write_b64 v1, v[232:233]
	ds_write2_b64 v80, v[4:5], v[6:7] offset0:2 offset1:3
	v_mov_b32_e32 v4, v248
	v_mov_b32_e32 v5, v249
	v_mov_b32_e32 v6, v228
	v_mov_b32_e32 v7, v229
	ds_write2_b64 v80, v[4:5], v[6:7] offset0:4 offset1:5
	v_mov_b32_e32 v4, v246
	v_mov_b32_e32 v5, v247
	v_mov_b32_e32 v6, v226
	v_mov_b32_e32 v7, v227
	;; [unrolled: 5-line block ×29, first 2 shown]
	ds_write2_b64 v80, v[4:5], v[6:7] offset0:60 offset1:61
	ds_write_b64 v80, v[254:255] offset:496
	ds_read_b64 v[4:5], v1
	s_waitcnt lgkmcnt(0)
	v_cmp_neq_f64_e32 vcc_lo, 0, v[4:5]
	s_and_b32 exec_lo, exec_lo, vcc_lo
	s_cbranch_execz .LBB125_9
; %bb.8:
	v_div_scale_f64 v[6:7], null, v[4:5], v[4:5], 1.0
	v_rcp_f64_e32 v[8:9], v[6:7]
	v_fma_f64 v[10:11], -v[6:7], v[8:9], 1.0
	v_fma_f64 v[8:9], v[8:9], v[10:11], v[8:9]
	v_fma_f64 v[10:11], -v[6:7], v[8:9], 1.0
	v_fma_f64 v[8:9], v[8:9], v[10:11], v[8:9]
	v_div_scale_f64 v[10:11], vcc_lo, 1.0, v[4:5], 1.0
	v_mul_f64 v[12:13], v[10:11], v[8:9]
	v_fma_f64 v[6:7], -v[6:7], v[12:13], v[10:11]
	v_div_fmas_f64 v[6:7], v[6:7], v[8:9], v[12:13]
	v_div_fixup_f64 v[4:5], v[6:7], v[4:5], 1.0
	ds_write_b64 v1, v[4:5]
.LBB125_9:
	s_or_b32 exec_lo, exec_lo, s1
	s_waitcnt lgkmcnt(0)
	s_barrier
	buffer_gl0_inv
	ds_read_b64 v[4:5], v1
	s_mov_b32 s1, exec_lo
	s_waitcnt lgkmcnt(0)
	buffer_store_dword v4, off, s[12:15], 0 offset:336 ; 4-byte Folded Spill
	buffer_store_dword v5, off, s[12:15], 0 offset:340 ; 4-byte Folded Spill
	v_cmpx_lt_u32_e32 1, v0
	s_cbranch_execz .LBB125_11
; %bb.10:
	s_clause 0x1
	buffer_load_dword v4, off, s[12:15], 0 offset:336
	buffer_load_dword v5, off, s[12:15], 0 offset:340
	s_waitcnt vmcnt(0)
	v_mul_f64 v[232:233], v[4:5], v[232:233]
	ds_read2_b64 v[4:7], v80 offset0:2 offset1:3
	s_waitcnt lgkmcnt(0)
	v_fma_f64 v[250:251], -v[232:233], v[4:5], v[250:251]
	v_fma_f64 v[230:231], -v[232:233], v[6:7], v[230:231]
	ds_read2_b64 v[4:7], v80 offset0:4 offset1:5
	s_waitcnt lgkmcnt(0)
	v_fma_f64 v[248:249], -v[232:233], v[4:5], v[248:249]
	v_fma_f64 v[228:229], -v[232:233], v[6:7], v[228:229]
	;; [unrolled: 4-line block ×29, first 2 shown]
	ds_read2_b64 v[4:7], v80 offset0:60 offset1:61
	s_waitcnt lgkmcnt(0)
	v_fma_f64 v[174:175], -v[232:233], v[4:5], v[174:175]
	ds_read_b64 v[4:5], v80 offset:496
	v_fma_f64 v[130:131], -v[232:233], v[6:7], v[130:131]
	s_waitcnt lgkmcnt(0)
	v_fma_f64 v[254:255], -v[232:233], v[4:5], v[254:255]
.LBB125_11:
	s_or_b32 exec_lo, exec_lo, s1
	s_mov_b32 s1, exec_lo
	s_waitcnt_vscnt null, 0x0
	s_barrier
	buffer_gl0_inv
	v_cmpx_eq_u32_e32 2, v0
	s_cbranch_execz .LBB125_14
; %bb.12:
	ds_write_b64 v1, v[250:251]
	ds_write2_b64 v80, v[230:231], v[248:249] offset0:3 offset1:4
	ds_write2_b64 v80, v[228:229], v[246:247] offset0:5 offset1:6
	;; [unrolled: 1-line block ×30, first 2 shown]
	ds_read_b64 v[4:5], v1
	s_waitcnt lgkmcnt(0)
	v_cmp_neq_f64_e32 vcc_lo, 0, v[4:5]
	s_and_b32 exec_lo, exec_lo, vcc_lo
	s_cbranch_execz .LBB125_14
; %bb.13:
	v_div_scale_f64 v[6:7], null, v[4:5], v[4:5], 1.0
	v_rcp_f64_e32 v[8:9], v[6:7]
	v_fma_f64 v[10:11], -v[6:7], v[8:9], 1.0
	v_fma_f64 v[8:9], v[8:9], v[10:11], v[8:9]
	v_fma_f64 v[10:11], -v[6:7], v[8:9], 1.0
	v_fma_f64 v[8:9], v[8:9], v[10:11], v[8:9]
	v_div_scale_f64 v[10:11], vcc_lo, 1.0, v[4:5], 1.0
	v_mul_f64 v[12:13], v[10:11], v[8:9]
	v_fma_f64 v[6:7], -v[6:7], v[12:13], v[10:11]
	v_div_fmas_f64 v[6:7], v[6:7], v[8:9], v[12:13]
	v_div_fixup_f64 v[4:5], v[6:7], v[4:5], 1.0
	ds_write_b64 v1, v[4:5]
.LBB125_14:
	s_or_b32 exec_lo, exec_lo, s1
	s_waitcnt lgkmcnt(0)
	s_barrier
	buffer_gl0_inv
	ds_read_b64 v[4:5], v1
	s_mov_b32 s1, exec_lo
	s_waitcnt lgkmcnt(0)
	buffer_store_dword v4, off, s[12:15], 0 offset:344 ; 4-byte Folded Spill
	buffer_store_dword v5, off, s[12:15], 0 offset:348 ; 4-byte Folded Spill
	v_cmpx_lt_u32_e32 2, v0
	s_cbranch_execz .LBB125_16
; %bb.15:
	s_clause 0x1
	buffer_load_dword v4, off, s[12:15], 0 offset:344
	buffer_load_dword v5, off, s[12:15], 0 offset:348
	s_waitcnt vmcnt(0)
	v_mul_f64 v[250:251], v[4:5], v[250:251]
	ds_read2_b64 v[4:7], v80 offset0:3 offset1:4
	s_waitcnt lgkmcnt(0)
	v_fma_f64 v[230:231], -v[250:251], v[4:5], v[230:231]
	v_fma_f64 v[248:249], -v[250:251], v[6:7], v[248:249]
	ds_read2_b64 v[4:7], v80 offset0:5 offset1:6
	s_waitcnt lgkmcnt(0)
	v_fma_f64 v[228:229], -v[250:251], v[4:5], v[228:229]
	v_fma_f64 v[246:247], -v[250:251], v[6:7], v[246:247]
	;; [unrolled: 4-line block ×30, first 2 shown]
.LBB125_16:
	s_or_b32 exec_lo, exec_lo, s1
	s_mov_b32 s1, exec_lo
	s_waitcnt_vscnt null, 0x0
	s_barrier
	buffer_gl0_inv
	v_cmpx_eq_u32_e32 3, v0
	s_cbranch_execz .LBB125_19
; %bb.17:
	v_mov_b32_e32 v4, v248
	v_mov_b32_e32 v5, v249
	;; [unrolled: 1-line block ×4, first 2 shown]
	ds_write_b64 v1, v[230:231]
	ds_write2_b64 v80, v[4:5], v[6:7] offset0:4 offset1:5
	v_mov_b32_e32 v4, v246
	v_mov_b32_e32 v5, v247
	v_mov_b32_e32 v6, v226
	v_mov_b32_e32 v7, v227
	ds_write2_b64 v80, v[4:5], v[6:7] offset0:6 offset1:7
	v_mov_b32_e32 v4, v244
	v_mov_b32_e32 v5, v245
	v_mov_b32_e32 v6, v224
	v_mov_b32_e32 v7, v225
	;; [unrolled: 5-line block ×28, first 2 shown]
	ds_write2_b64 v80, v[4:5], v[6:7] offset0:60 offset1:61
	ds_write_b64 v80, v[254:255] offset:496
	ds_read_b64 v[4:5], v1
	s_waitcnt lgkmcnt(0)
	v_cmp_neq_f64_e32 vcc_lo, 0, v[4:5]
	s_and_b32 exec_lo, exec_lo, vcc_lo
	s_cbranch_execz .LBB125_19
; %bb.18:
	v_div_scale_f64 v[6:7], null, v[4:5], v[4:5], 1.0
	v_rcp_f64_e32 v[8:9], v[6:7]
	v_fma_f64 v[10:11], -v[6:7], v[8:9], 1.0
	v_fma_f64 v[8:9], v[8:9], v[10:11], v[8:9]
	v_fma_f64 v[10:11], -v[6:7], v[8:9], 1.0
	v_fma_f64 v[8:9], v[8:9], v[10:11], v[8:9]
	v_div_scale_f64 v[10:11], vcc_lo, 1.0, v[4:5], 1.0
	v_mul_f64 v[12:13], v[10:11], v[8:9]
	v_fma_f64 v[6:7], -v[6:7], v[12:13], v[10:11]
	v_div_fmas_f64 v[6:7], v[6:7], v[8:9], v[12:13]
	v_div_fixup_f64 v[4:5], v[6:7], v[4:5], 1.0
	ds_write_b64 v1, v[4:5]
.LBB125_19:
	s_or_b32 exec_lo, exec_lo, s1
	s_waitcnt lgkmcnt(0)
	s_barrier
	buffer_gl0_inv
	ds_read_b64 v[4:5], v1
	s_mov_b32 s1, exec_lo
	s_waitcnt lgkmcnt(0)
	buffer_store_dword v4, off, s[12:15], 0 offset:352 ; 4-byte Folded Spill
	buffer_store_dword v5, off, s[12:15], 0 offset:356 ; 4-byte Folded Spill
	v_cmpx_lt_u32_e32 3, v0
	s_cbranch_execz .LBB125_21
; %bb.20:
	s_clause 0x1
	buffer_load_dword v4, off, s[12:15], 0 offset:352
	buffer_load_dword v5, off, s[12:15], 0 offset:356
	s_waitcnt vmcnt(0)
	v_mul_f64 v[230:231], v[4:5], v[230:231]
	ds_read2_b64 v[4:7], v80 offset0:4 offset1:5
	s_waitcnt lgkmcnt(0)
	v_fma_f64 v[248:249], -v[230:231], v[4:5], v[248:249]
	v_fma_f64 v[228:229], -v[230:231], v[6:7], v[228:229]
	ds_read2_b64 v[4:7], v80 offset0:6 offset1:7
	s_waitcnt lgkmcnt(0)
	v_fma_f64 v[246:247], -v[230:231], v[4:5], v[246:247]
	v_fma_f64 v[226:227], -v[230:231], v[6:7], v[226:227]
	ds_read2_b64 v[4:7], v80 offset0:8 offset1:9
	s_waitcnt lgkmcnt(0)
	v_fma_f64 v[244:245], -v[230:231], v[4:5], v[244:245]
	v_fma_f64 v[224:225], -v[230:231], v[6:7], v[224:225]
	ds_read2_b64 v[4:7], v80 offset0:10 offset1:11
	s_waitcnt lgkmcnt(0)
	v_fma_f64 v[242:243], -v[230:231], v[4:5], v[242:243]
	v_fma_f64 v[222:223], -v[230:231], v[6:7], v[222:223]
	ds_read2_b64 v[4:7], v80 offset0:12 offset1:13
	s_waitcnt lgkmcnt(0)
	v_fma_f64 v[240:241], -v[230:231], v[4:5], v[240:241]
	v_fma_f64 v[220:221], -v[230:231], v[6:7], v[220:221]
	ds_read2_b64 v[4:7], v80 offset0:14 offset1:15
	s_waitcnt lgkmcnt(0)
	v_fma_f64 v[238:239], -v[230:231], v[4:5], v[238:239]
	v_fma_f64 v[218:219], -v[230:231], v[6:7], v[218:219]
	ds_read2_b64 v[4:7], v80 offset0:16 offset1:17
	s_waitcnt lgkmcnt(0)
	v_fma_f64 v[236:237], -v[230:231], v[4:5], v[236:237]
	v_fma_f64 v[216:217], -v[230:231], v[6:7], v[216:217]
	ds_read2_b64 v[4:7], v80 offset0:18 offset1:19
	s_waitcnt lgkmcnt(0)
	v_fma_f64 v[234:235], -v[230:231], v[4:5], v[234:235]
	v_fma_f64 v[172:173], -v[230:231], v[6:7], v[172:173]
	ds_read2_b64 v[4:7], v80 offset0:20 offset1:21
	s_waitcnt lgkmcnt(0)
	v_fma_f64 v[214:215], -v[230:231], v[4:5], v[214:215]
	v_fma_f64 v[170:171], -v[230:231], v[6:7], v[170:171]
	ds_read2_b64 v[4:7], v80 offset0:22 offset1:23
	s_waitcnt lgkmcnt(0)
	v_fma_f64 v[212:213], -v[230:231], v[4:5], v[212:213]
	v_fma_f64 v[168:169], -v[230:231], v[6:7], v[168:169]
	ds_read2_b64 v[4:7], v80 offset0:24 offset1:25
	s_waitcnt lgkmcnt(0)
	v_fma_f64 v[210:211], -v[230:231], v[4:5], v[210:211]
	v_fma_f64 v[166:167], -v[230:231], v[6:7], v[166:167]
	ds_read2_b64 v[4:7], v80 offset0:26 offset1:27
	s_waitcnt lgkmcnt(0)
	v_fma_f64 v[208:209], -v[230:231], v[4:5], v[208:209]
	v_fma_f64 v[164:165], -v[230:231], v[6:7], v[164:165]
	ds_read2_b64 v[4:7], v80 offset0:28 offset1:29
	s_waitcnt lgkmcnt(0)
	v_fma_f64 v[206:207], -v[230:231], v[4:5], v[206:207]
	v_fma_f64 v[162:163], -v[230:231], v[6:7], v[162:163]
	ds_read2_b64 v[4:7], v80 offset0:30 offset1:31
	s_waitcnt lgkmcnt(0)
	v_fma_f64 v[204:205], -v[230:231], v[4:5], v[204:205]
	v_fma_f64 v[160:161], -v[230:231], v[6:7], v[160:161]
	ds_read2_b64 v[4:7], v80 offset0:32 offset1:33
	s_waitcnt lgkmcnt(0)
	v_fma_f64 v[202:203], -v[230:231], v[4:5], v[202:203]
	v_fma_f64 v[158:159], -v[230:231], v[6:7], v[158:159]
	ds_read2_b64 v[4:7], v80 offset0:34 offset1:35
	s_waitcnt lgkmcnt(0)
	v_fma_f64 v[200:201], -v[230:231], v[4:5], v[200:201]
	v_fma_f64 v[156:157], -v[230:231], v[6:7], v[156:157]
	ds_read2_b64 v[4:7], v80 offset0:36 offset1:37
	s_waitcnt lgkmcnt(0)
	v_fma_f64 v[198:199], -v[230:231], v[4:5], v[198:199]
	v_fma_f64 v[154:155], -v[230:231], v[6:7], v[154:155]
	ds_read2_b64 v[4:7], v80 offset0:38 offset1:39
	s_waitcnt lgkmcnt(0)
	v_fma_f64 v[196:197], -v[230:231], v[4:5], v[196:197]
	v_fma_f64 v[152:153], -v[230:231], v[6:7], v[152:153]
	ds_read2_b64 v[4:7], v80 offset0:40 offset1:41
	s_waitcnt lgkmcnt(0)
	v_fma_f64 v[194:195], -v[230:231], v[4:5], v[194:195]
	v_fma_f64 v[150:151], -v[230:231], v[6:7], v[150:151]
	ds_read2_b64 v[4:7], v80 offset0:42 offset1:43
	s_waitcnt lgkmcnt(0)
	v_fma_f64 v[192:193], -v[230:231], v[4:5], v[192:193]
	v_fma_f64 v[148:149], -v[230:231], v[6:7], v[148:149]
	ds_read2_b64 v[4:7], v80 offset0:44 offset1:45
	s_waitcnt lgkmcnt(0)
	v_fma_f64 v[190:191], -v[230:231], v[4:5], v[190:191]
	v_fma_f64 v[146:147], -v[230:231], v[6:7], v[146:147]
	ds_read2_b64 v[4:7], v80 offset0:46 offset1:47
	s_waitcnt lgkmcnt(0)
	v_fma_f64 v[188:189], -v[230:231], v[4:5], v[188:189]
	v_fma_f64 v[144:145], -v[230:231], v[6:7], v[144:145]
	ds_read2_b64 v[4:7], v80 offset0:48 offset1:49
	s_waitcnt lgkmcnt(0)
	v_fma_f64 v[186:187], -v[230:231], v[4:5], v[186:187]
	v_fma_f64 v[142:143], -v[230:231], v[6:7], v[142:143]
	ds_read2_b64 v[4:7], v80 offset0:50 offset1:51
	s_waitcnt lgkmcnt(0)
	v_fma_f64 v[184:185], -v[230:231], v[4:5], v[184:185]
	v_fma_f64 v[140:141], -v[230:231], v[6:7], v[140:141]
	ds_read2_b64 v[4:7], v80 offset0:52 offset1:53
	s_waitcnt lgkmcnt(0)
	v_fma_f64 v[182:183], -v[230:231], v[4:5], v[182:183]
	v_fma_f64 v[138:139], -v[230:231], v[6:7], v[138:139]
	ds_read2_b64 v[4:7], v80 offset0:54 offset1:55
	s_waitcnt lgkmcnt(0)
	v_fma_f64 v[180:181], -v[230:231], v[4:5], v[180:181]
	v_fma_f64 v[136:137], -v[230:231], v[6:7], v[136:137]
	ds_read2_b64 v[4:7], v80 offset0:56 offset1:57
	s_waitcnt lgkmcnt(0)
	v_fma_f64 v[178:179], -v[230:231], v[4:5], v[178:179]
	v_fma_f64 v[134:135], -v[230:231], v[6:7], v[134:135]
	ds_read2_b64 v[4:7], v80 offset0:58 offset1:59
	s_waitcnt lgkmcnt(0)
	v_fma_f64 v[176:177], -v[230:231], v[4:5], v[176:177]
	v_fma_f64 v[132:133], -v[230:231], v[6:7], v[132:133]
	ds_read2_b64 v[4:7], v80 offset0:60 offset1:61
	s_waitcnt lgkmcnt(0)
	v_fma_f64 v[174:175], -v[230:231], v[4:5], v[174:175]
	ds_read_b64 v[4:5], v80 offset:496
	v_fma_f64 v[130:131], -v[230:231], v[6:7], v[130:131]
	s_waitcnt lgkmcnt(0)
	v_fma_f64 v[254:255], -v[230:231], v[4:5], v[254:255]
.LBB125_21:
	s_or_b32 exec_lo, exec_lo, s1
	s_mov_b32 s1, exec_lo
	s_waitcnt_vscnt null, 0x0
	s_barrier
	buffer_gl0_inv
	v_cmpx_eq_u32_e32 4, v0
	s_cbranch_execz .LBB125_24
; %bb.22:
	ds_write_b64 v1, v[248:249]
	ds_write2_b64 v80, v[228:229], v[246:247] offset0:5 offset1:6
	ds_write2_b64 v80, v[226:227], v[244:245] offset0:7 offset1:8
	;; [unrolled: 1-line block ×29, first 2 shown]
	ds_read_b64 v[4:5], v1
	s_waitcnt lgkmcnt(0)
	v_cmp_neq_f64_e32 vcc_lo, 0, v[4:5]
	s_and_b32 exec_lo, exec_lo, vcc_lo
	s_cbranch_execz .LBB125_24
; %bb.23:
	v_div_scale_f64 v[6:7], null, v[4:5], v[4:5], 1.0
	v_rcp_f64_e32 v[8:9], v[6:7]
	v_fma_f64 v[10:11], -v[6:7], v[8:9], 1.0
	v_fma_f64 v[8:9], v[8:9], v[10:11], v[8:9]
	v_fma_f64 v[10:11], -v[6:7], v[8:9], 1.0
	v_fma_f64 v[8:9], v[8:9], v[10:11], v[8:9]
	v_div_scale_f64 v[10:11], vcc_lo, 1.0, v[4:5], 1.0
	v_mul_f64 v[12:13], v[10:11], v[8:9]
	v_fma_f64 v[6:7], -v[6:7], v[12:13], v[10:11]
	v_div_fmas_f64 v[6:7], v[6:7], v[8:9], v[12:13]
	v_div_fixup_f64 v[4:5], v[6:7], v[4:5], 1.0
	ds_write_b64 v1, v[4:5]
.LBB125_24:
	s_or_b32 exec_lo, exec_lo, s1
	s_waitcnt lgkmcnt(0)
	s_barrier
	buffer_gl0_inv
	ds_read_b64 v[4:5], v1
	s_mov_b32 s1, exec_lo
	s_waitcnt lgkmcnt(0)
	buffer_store_dword v4, off, s[12:15], 0 offset:360 ; 4-byte Folded Spill
	buffer_store_dword v5, off, s[12:15], 0 offset:364 ; 4-byte Folded Spill
	v_cmpx_lt_u32_e32 4, v0
	s_cbranch_execz .LBB125_26
; %bb.25:
	s_clause 0x1
	buffer_load_dword v4, off, s[12:15], 0 offset:360
	buffer_load_dword v5, off, s[12:15], 0 offset:364
	s_waitcnt vmcnt(0)
	v_mul_f64 v[248:249], v[4:5], v[248:249]
	ds_read2_b64 v[4:7], v80 offset0:5 offset1:6
	s_waitcnt lgkmcnt(0)
	v_fma_f64 v[228:229], -v[248:249], v[4:5], v[228:229]
	v_fma_f64 v[246:247], -v[248:249], v[6:7], v[246:247]
	ds_read2_b64 v[4:7], v80 offset0:7 offset1:8
	s_waitcnt lgkmcnt(0)
	v_fma_f64 v[226:227], -v[248:249], v[4:5], v[226:227]
	v_fma_f64 v[244:245], -v[248:249], v[6:7], v[244:245]
	;; [unrolled: 4-line block ×29, first 2 shown]
.LBB125_26:
	s_or_b32 exec_lo, exec_lo, s1
	s_mov_b32 s1, exec_lo
	s_waitcnt_vscnt null, 0x0
	s_barrier
	buffer_gl0_inv
	v_cmpx_eq_u32_e32 5, v0
	s_cbranch_execz .LBB125_29
; %bb.27:
	v_mov_b32_e32 v4, v246
	v_mov_b32_e32 v5, v247
	;; [unrolled: 1-line block ×4, first 2 shown]
	ds_write_b64 v1, v[228:229]
	ds_write2_b64 v80, v[4:5], v[6:7] offset0:6 offset1:7
	v_mov_b32_e32 v4, v244
	v_mov_b32_e32 v5, v245
	v_mov_b32_e32 v6, v224
	v_mov_b32_e32 v7, v225
	ds_write2_b64 v80, v[4:5], v[6:7] offset0:8 offset1:9
	v_mov_b32_e32 v4, v242
	v_mov_b32_e32 v5, v243
	v_mov_b32_e32 v6, v222
	v_mov_b32_e32 v7, v223
	;; [unrolled: 5-line block ×27, first 2 shown]
	ds_write2_b64 v80, v[4:5], v[6:7] offset0:60 offset1:61
	ds_write_b64 v80, v[254:255] offset:496
	ds_read_b64 v[4:5], v1
	s_waitcnt lgkmcnt(0)
	v_cmp_neq_f64_e32 vcc_lo, 0, v[4:5]
	s_and_b32 exec_lo, exec_lo, vcc_lo
	s_cbranch_execz .LBB125_29
; %bb.28:
	v_div_scale_f64 v[6:7], null, v[4:5], v[4:5], 1.0
	v_rcp_f64_e32 v[8:9], v[6:7]
	v_fma_f64 v[10:11], -v[6:7], v[8:9], 1.0
	v_fma_f64 v[8:9], v[8:9], v[10:11], v[8:9]
	v_fma_f64 v[10:11], -v[6:7], v[8:9], 1.0
	v_fma_f64 v[8:9], v[8:9], v[10:11], v[8:9]
	v_div_scale_f64 v[10:11], vcc_lo, 1.0, v[4:5], 1.0
	v_mul_f64 v[12:13], v[10:11], v[8:9]
	v_fma_f64 v[6:7], -v[6:7], v[12:13], v[10:11]
	v_div_fmas_f64 v[6:7], v[6:7], v[8:9], v[12:13]
	v_div_fixup_f64 v[4:5], v[6:7], v[4:5], 1.0
	ds_write_b64 v1, v[4:5]
.LBB125_29:
	s_or_b32 exec_lo, exec_lo, s1
	s_waitcnt lgkmcnt(0)
	s_barrier
	buffer_gl0_inv
	ds_read_b64 v[4:5], v1
	s_mov_b32 s1, exec_lo
	s_waitcnt lgkmcnt(0)
	buffer_store_dword v4, off, s[12:15], 0 offset:368 ; 4-byte Folded Spill
	buffer_store_dword v5, off, s[12:15], 0 offset:372 ; 4-byte Folded Spill
	v_cmpx_lt_u32_e32 5, v0
	s_cbranch_execz .LBB125_31
; %bb.30:
	s_clause 0x1
	buffer_load_dword v4, off, s[12:15], 0 offset:368
	buffer_load_dword v5, off, s[12:15], 0 offset:372
	s_waitcnt vmcnt(0)
	v_mul_f64 v[228:229], v[4:5], v[228:229]
	ds_read2_b64 v[4:7], v80 offset0:6 offset1:7
	s_waitcnt lgkmcnt(0)
	v_fma_f64 v[246:247], -v[228:229], v[4:5], v[246:247]
	v_fma_f64 v[226:227], -v[228:229], v[6:7], v[226:227]
	ds_read2_b64 v[4:7], v80 offset0:8 offset1:9
	s_waitcnt lgkmcnt(0)
	v_fma_f64 v[244:245], -v[228:229], v[4:5], v[244:245]
	v_fma_f64 v[224:225], -v[228:229], v[6:7], v[224:225]
	;; [unrolled: 4-line block ×27, first 2 shown]
	ds_read2_b64 v[4:7], v80 offset0:60 offset1:61
	s_waitcnt lgkmcnt(0)
	v_fma_f64 v[174:175], -v[228:229], v[4:5], v[174:175]
	ds_read_b64 v[4:5], v80 offset:496
	v_fma_f64 v[130:131], -v[228:229], v[6:7], v[130:131]
	s_waitcnt lgkmcnt(0)
	v_fma_f64 v[254:255], -v[228:229], v[4:5], v[254:255]
.LBB125_31:
	s_or_b32 exec_lo, exec_lo, s1
	s_mov_b32 s1, exec_lo
	s_waitcnt_vscnt null, 0x0
	s_barrier
	buffer_gl0_inv
	v_cmpx_eq_u32_e32 6, v0
	s_cbranch_execz .LBB125_34
; %bb.32:
	ds_write_b64 v1, v[246:247]
	ds_write2_b64 v80, v[226:227], v[244:245] offset0:7 offset1:8
	ds_write2_b64 v80, v[224:225], v[242:243] offset0:9 offset1:10
	;; [unrolled: 1-line block ×28, first 2 shown]
	ds_read_b64 v[4:5], v1
	s_waitcnt lgkmcnt(0)
	v_cmp_neq_f64_e32 vcc_lo, 0, v[4:5]
	s_and_b32 exec_lo, exec_lo, vcc_lo
	s_cbranch_execz .LBB125_34
; %bb.33:
	v_div_scale_f64 v[6:7], null, v[4:5], v[4:5], 1.0
	v_rcp_f64_e32 v[8:9], v[6:7]
	v_fma_f64 v[10:11], -v[6:7], v[8:9], 1.0
	v_fma_f64 v[8:9], v[8:9], v[10:11], v[8:9]
	v_fma_f64 v[10:11], -v[6:7], v[8:9], 1.0
	v_fma_f64 v[8:9], v[8:9], v[10:11], v[8:9]
	v_div_scale_f64 v[10:11], vcc_lo, 1.0, v[4:5], 1.0
	v_mul_f64 v[12:13], v[10:11], v[8:9]
	v_fma_f64 v[6:7], -v[6:7], v[12:13], v[10:11]
	v_div_fmas_f64 v[6:7], v[6:7], v[8:9], v[12:13]
	v_div_fixup_f64 v[4:5], v[6:7], v[4:5], 1.0
	ds_write_b64 v1, v[4:5]
.LBB125_34:
	s_or_b32 exec_lo, exec_lo, s1
	s_waitcnt lgkmcnt(0)
	s_barrier
	buffer_gl0_inv
	ds_read_b64 v[4:5], v1
	s_mov_b32 s1, exec_lo
	s_waitcnt lgkmcnt(0)
	buffer_store_dword v4, off, s[12:15], 0 offset:376 ; 4-byte Folded Spill
	buffer_store_dword v5, off, s[12:15], 0 offset:380 ; 4-byte Folded Spill
	v_cmpx_lt_u32_e32 6, v0
	s_cbranch_execz .LBB125_36
; %bb.35:
	s_clause 0x1
	buffer_load_dword v4, off, s[12:15], 0 offset:376
	buffer_load_dword v5, off, s[12:15], 0 offset:380
	s_waitcnt vmcnt(0)
	v_mul_f64 v[246:247], v[4:5], v[246:247]
	ds_read2_b64 v[4:7], v80 offset0:7 offset1:8
	s_waitcnt lgkmcnt(0)
	v_fma_f64 v[226:227], -v[246:247], v[4:5], v[226:227]
	v_fma_f64 v[244:245], -v[246:247], v[6:7], v[244:245]
	ds_read2_b64 v[4:7], v80 offset0:9 offset1:10
	s_waitcnt lgkmcnt(0)
	v_fma_f64 v[224:225], -v[246:247], v[4:5], v[224:225]
	v_fma_f64 v[242:243], -v[246:247], v[6:7], v[242:243]
	;; [unrolled: 4-line block ×28, first 2 shown]
.LBB125_36:
	s_or_b32 exec_lo, exec_lo, s1
	s_mov_b32 s1, exec_lo
	s_waitcnt_vscnt null, 0x0
	s_barrier
	buffer_gl0_inv
	v_cmpx_eq_u32_e32 7, v0
	s_cbranch_execz .LBB125_39
; %bb.37:
	v_mov_b32_e32 v4, v244
	v_mov_b32_e32 v5, v245
	;; [unrolled: 1-line block ×4, first 2 shown]
	ds_write_b64 v1, v[226:227]
	ds_write2_b64 v80, v[4:5], v[6:7] offset0:8 offset1:9
	v_mov_b32_e32 v4, v242
	v_mov_b32_e32 v5, v243
	v_mov_b32_e32 v6, v222
	v_mov_b32_e32 v7, v223
	ds_write2_b64 v80, v[4:5], v[6:7] offset0:10 offset1:11
	v_mov_b32_e32 v4, v240
	v_mov_b32_e32 v5, v241
	v_mov_b32_e32 v6, v220
	v_mov_b32_e32 v7, v221
	;; [unrolled: 5-line block ×26, first 2 shown]
	ds_write2_b64 v80, v[4:5], v[6:7] offset0:60 offset1:61
	ds_write_b64 v80, v[254:255] offset:496
	ds_read_b64 v[4:5], v1
	s_waitcnt lgkmcnt(0)
	v_cmp_neq_f64_e32 vcc_lo, 0, v[4:5]
	s_and_b32 exec_lo, exec_lo, vcc_lo
	s_cbranch_execz .LBB125_39
; %bb.38:
	v_div_scale_f64 v[6:7], null, v[4:5], v[4:5], 1.0
	v_rcp_f64_e32 v[8:9], v[6:7]
	v_fma_f64 v[10:11], -v[6:7], v[8:9], 1.0
	v_fma_f64 v[8:9], v[8:9], v[10:11], v[8:9]
	v_fma_f64 v[10:11], -v[6:7], v[8:9], 1.0
	v_fma_f64 v[8:9], v[8:9], v[10:11], v[8:9]
	v_div_scale_f64 v[10:11], vcc_lo, 1.0, v[4:5], 1.0
	v_mul_f64 v[12:13], v[10:11], v[8:9]
	v_fma_f64 v[6:7], -v[6:7], v[12:13], v[10:11]
	v_div_fmas_f64 v[6:7], v[6:7], v[8:9], v[12:13]
	v_div_fixup_f64 v[4:5], v[6:7], v[4:5], 1.0
	ds_write_b64 v1, v[4:5]
.LBB125_39:
	s_or_b32 exec_lo, exec_lo, s1
	s_waitcnt lgkmcnt(0)
	s_barrier
	buffer_gl0_inv
	ds_read_b64 v[4:5], v1
	s_mov_b32 s1, exec_lo
	s_waitcnt lgkmcnt(0)
	buffer_store_dword v4, off, s[12:15], 0 offset:384 ; 4-byte Folded Spill
	buffer_store_dword v5, off, s[12:15], 0 offset:388 ; 4-byte Folded Spill
	v_cmpx_lt_u32_e32 7, v0
	s_cbranch_execz .LBB125_41
; %bb.40:
	s_clause 0x1
	buffer_load_dword v4, off, s[12:15], 0 offset:384
	buffer_load_dword v5, off, s[12:15], 0 offset:388
	s_waitcnt vmcnt(0)
	v_mul_f64 v[226:227], v[4:5], v[226:227]
	ds_read2_b64 v[4:7], v80 offset0:8 offset1:9
	s_waitcnt lgkmcnt(0)
	v_fma_f64 v[244:245], -v[226:227], v[4:5], v[244:245]
	v_fma_f64 v[224:225], -v[226:227], v[6:7], v[224:225]
	ds_read2_b64 v[4:7], v80 offset0:10 offset1:11
	s_waitcnt lgkmcnt(0)
	v_fma_f64 v[242:243], -v[226:227], v[4:5], v[242:243]
	v_fma_f64 v[222:223], -v[226:227], v[6:7], v[222:223]
	ds_read2_b64 v[4:7], v80 offset0:12 offset1:13
	s_waitcnt lgkmcnt(0)
	v_fma_f64 v[240:241], -v[226:227], v[4:5], v[240:241]
	v_fma_f64 v[220:221], -v[226:227], v[6:7], v[220:221]
	ds_read2_b64 v[4:7], v80 offset0:14 offset1:15
	s_waitcnt lgkmcnt(0)
	v_fma_f64 v[238:239], -v[226:227], v[4:5], v[238:239]
	v_fma_f64 v[218:219], -v[226:227], v[6:7], v[218:219]
	ds_read2_b64 v[4:7], v80 offset0:16 offset1:17
	s_waitcnt lgkmcnt(0)
	v_fma_f64 v[236:237], -v[226:227], v[4:5], v[236:237]
	v_fma_f64 v[216:217], -v[226:227], v[6:7], v[216:217]
	ds_read2_b64 v[4:7], v80 offset0:18 offset1:19
	s_waitcnt lgkmcnt(0)
	v_fma_f64 v[234:235], -v[226:227], v[4:5], v[234:235]
	v_fma_f64 v[172:173], -v[226:227], v[6:7], v[172:173]
	ds_read2_b64 v[4:7], v80 offset0:20 offset1:21
	s_waitcnt lgkmcnt(0)
	v_fma_f64 v[214:215], -v[226:227], v[4:5], v[214:215]
	v_fma_f64 v[170:171], -v[226:227], v[6:7], v[170:171]
	ds_read2_b64 v[4:7], v80 offset0:22 offset1:23
	s_waitcnt lgkmcnt(0)
	v_fma_f64 v[212:213], -v[226:227], v[4:5], v[212:213]
	v_fma_f64 v[168:169], -v[226:227], v[6:7], v[168:169]
	ds_read2_b64 v[4:7], v80 offset0:24 offset1:25
	s_waitcnt lgkmcnt(0)
	v_fma_f64 v[210:211], -v[226:227], v[4:5], v[210:211]
	v_fma_f64 v[166:167], -v[226:227], v[6:7], v[166:167]
	ds_read2_b64 v[4:7], v80 offset0:26 offset1:27
	s_waitcnt lgkmcnt(0)
	v_fma_f64 v[208:209], -v[226:227], v[4:5], v[208:209]
	v_fma_f64 v[164:165], -v[226:227], v[6:7], v[164:165]
	ds_read2_b64 v[4:7], v80 offset0:28 offset1:29
	s_waitcnt lgkmcnt(0)
	v_fma_f64 v[206:207], -v[226:227], v[4:5], v[206:207]
	v_fma_f64 v[162:163], -v[226:227], v[6:7], v[162:163]
	ds_read2_b64 v[4:7], v80 offset0:30 offset1:31
	s_waitcnt lgkmcnt(0)
	v_fma_f64 v[204:205], -v[226:227], v[4:5], v[204:205]
	v_fma_f64 v[160:161], -v[226:227], v[6:7], v[160:161]
	ds_read2_b64 v[4:7], v80 offset0:32 offset1:33
	s_waitcnt lgkmcnt(0)
	v_fma_f64 v[202:203], -v[226:227], v[4:5], v[202:203]
	v_fma_f64 v[158:159], -v[226:227], v[6:7], v[158:159]
	ds_read2_b64 v[4:7], v80 offset0:34 offset1:35
	s_waitcnt lgkmcnt(0)
	v_fma_f64 v[200:201], -v[226:227], v[4:5], v[200:201]
	v_fma_f64 v[156:157], -v[226:227], v[6:7], v[156:157]
	ds_read2_b64 v[4:7], v80 offset0:36 offset1:37
	s_waitcnt lgkmcnt(0)
	v_fma_f64 v[198:199], -v[226:227], v[4:5], v[198:199]
	v_fma_f64 v[154:155], -v[226:227], v[6:7], v[154:155]
	ds_read2_b64 v[4:7], v80 offset0:38 offset1:39
	s_waitcnt lgkmcnt(0)
	v_fma_f64 v[196:197], -v[226:227], v[4:5], v[196:197]
	v_fma_f64 v[152:153], -v[226:227], v[6:7], v[152:153]
	ds_read2_b64 v[4:7], v80 offset0:40 offset1:41
	s_waitcnt lgkmcnt(0)
	v_fma_f64 v[194:195], -v[226:227], v[4:5], v[194:195]
	v_fma_f64 v[150:151], -v[226:227], v[6:7], v[150:151]
	ds_read2_b64 v[4:7], v80 offset0:42 offset1:43
	s_waitcnt lgkmcnt(0)
	v_fma_f64 v[192:193], -v[226:227], v[4:5], v[192:193]
	v_fma_f64 v[148:149], -v[226:227], v[6:7], v[148:149]
	ds_read2_b64 v[4:7], v80 offset0:44 offset1:45
	s_waitcnt lgkmcnt(0)
	v_fma_f64 v[190:191], -v[226:227], v[4:5], v[190:191]
	v_fma_f64 v[146:147], -v[226:227], v[6:7], v[146:147]
	ds_read2_b64 v[4:7], v80 offset0:46 offset1:47
	s_waitcnt lgkmcnt(0)
	v_fma_f64 v[188:189], -v[226:227], v[4:5], v[188:189]
	v_fma_f64 v[144:145], -v[226:227], v[6:7], v[144:145]
	ds_read2_b64 v[4:7], v80 offset0:48 offset1:49
	s_waitcnt lgkmcnt(0)
	v_fma_f64 v[186:187], -v[226:227], v[4:5], v[186:187]
	v_fma_f64 v[142:143], -v[226:227], v[6:7], v[142:143]
	ds_read2_b64 v[4:7], v80 offset0:50 offset1:51
	s_waitcnt lgkmcnt(0)
	v_fma_f64 v[184:185], -v[226:227], v[4:5], v[184:185]
	v_fma_f64 v[140:141], -v[226:227], v[6:7], v[140:141]
	ds_read2_b64 v[4:7], v80 offset0:52 offset1:53
	s_waitcnt lgkmcnt(0)
	v_fma_f64 v[182:183], -v[226:227], v[4:5], v[182:183]
	v_fma_f64 v[138:139], -v[226:227], v[6:7], v[138:139]
	ds_read2_b64 v[4:7], v80 offset0:54 offset1:55
	s_waitcnt lgkmcnt(0)
	v_fma_f64 v[180:181], -v[226:227], v[4:5], v[180:181]
	v_fma_f64 v[136:137], -v[226:227], v[6:7], v[136:137]
	ds_read2_b64 v[4:7], v80 offset0:56 offset1:57
	s_waitcnt lgkmcnt(0)
	v_fma_f64 v[178:179], -v[226:227], v[4:5], v[178:179]
	v_fma_f64 v[134:135], -v[226:227], v[6:7], v[134:135]
	ds_read2_b64 v[4:7], v80 offset0:58 offset1:59
	s_waitcnt lgkmcnt(0)
	v_fma_f64 v[176:177], -v[226:227], v[4:5], v[176:177]
	v_fma_f64 v[132:133], -v[226:227], v[6:7], v[132:133]
	ds_read2_b64 v[4:7], v80 offset0:60 offset1:61
	s_waitcnt lgkmcnt(0)
	v_fma_f64 v[174:175], -v[226:227], v[4:5], v[174:175]
	ds_read_b64 v[4:5], v80 offset:496
	v_fma_f64 v[130:131], -v[226:227], v[6:7], v[130:131]
	s_waitcnt lgkmcnt(0)
	v_fma_f64 v[254:255], -v[226:227], v[4:5], v[254:255]
.LBB125_41:
	s_or_b32 exec_lo, exec_lo, s1
	s_mov_b32 s1, exec_lo
	s_waitcnt_vscnt null, 0x0
	s_barrier
	buffer_gl0_inv
	v_cmpx_eq_u32_e32 8, v0
	s_cbranch_execz .LBB125_44
; %bb.42:
	ds_write_b64 v1, v[244:245]
	ds_write2_b64 v80, v[224:225], v[242:243] offset0:9 offset1:10
	ds_write2_b64 v80, v[222:223], v[240:241] offset0:11 offset1:12
	;; [unrolled: 1-line block ×27, first 2 shown]
	ds_read_b64 v[4:5], v1
	s_waitcnt lgkmcnt(0)
	v_cmp_neq_f64_e32 vcc_lo, 0, v[4:5]
	s_and_b32 exec_lo, exec_lo, vcc_lo
	s_cbranch_execz .LBB125_44
; %bb.43:
	v_div_scale_f64 v[6:7], null, v[4:5], v[4:5], 1.0
	v_rcp_f64_e32 v[8:9], v[6:7]
	v_fma_f64 v[10:11], -v[6:7], v[8:9], 1.0
	v_fma_f64 v[8:9], v[8:9], v[10:11], v[8:9]
	v_fma_f64 v[10:11], -v[6:7], v[8:9], 1.0
	v_fma_f64 v[8:9], v[8:9], v[10:11], v[8:9]
	v_div_scale_f64 v[10:11], vcc_lo, 1.0, v[4:5], 1.0
	v_mul_f64 v[12:13], v[10:11], v[8:9]
	v_fma_f64 v[6:7], -v[6:7], v[12:13], v[10:11]
	v_div_fmas_f64 v[6:7], v[6:7], v[8:9], v[12:13]
	v_div_fixup_f64 v[4:5], v[6:7], v[4:5], 1.0
	ds_write_b64 v1, v[4:5]
.LBB125_44:
	s_or_b32 exec_lo, exec_lo, s1
	s_waitcnt lgkmcnt(0)
	s_barrier
	buffer_gl0_inv
	ds_read_b64 v[4:5], v1
	s_mov_b32 s1, exec_lo
	s_waitcnt lgkmcnt(0)
	buffer_store_dword v4, off, s[12:15], 0 offset:392 ; 4-byte Folded Spill
	buffer_store_dword v5, off, s[12:15], 0 offset:396 ; 4-byte Folded Spill
	v_cmpx_lt_u32_e32 8, v0
	s_cbranch_execz .LBB125_46
; %bb.45:
	s_clause 0x1
	buffer_load_dword v4, off, s[12:15], 0 offset:392
	buffer_load_dword v5, off, s[12:15], 0 offset:396
	s_waitcnt vmcnt(0)
	v_mul_f64 v[244:245], v[4:5], v[244:245]
	ds_read2_b64 v[4:7], v80 offset0:9 offset1:10
	s_waitcnt lgkmcnt(0)
	v_fma_f64 v[224:225], -v[244:245], v[4:5], v[224:225]
	v_fma_f64 v[242:243], -v[244:245], v[6:7], v[242:243]
	ds_read2_b64 v[4:7], v80 offset0:11 offset1:12
	s_waitcnt lgkmcnt(0)
	v_fma_f64 v[222:223], -v[244:245], v[4:5], v[222:223]
	v_fma_f64 v[240:241], -v[244:245], v[6:7], v[240:241]
	;; [unrolled: 4-line block ×27, first 2 shown]
.LBB125_46:
	s_or_b32 exec_lo, exec_lo, s1
	s_mov_b32 s1, exec_lo
	s_waitcnt_vscnt null, 0x0
	s_barrier
	buffer_gl0_inv
	v_cmpx_eq_u32_e32 9, v0
	s_cbranch_execz .LBB125_49
; %bb.47:
	v_mov_b32_e32 v4, v242
	v_mov_b32_e32 v5, v243
	;; [unrolled: 1-line block ×4, first 2 shown]
	ds_write_b64 v1, v[224:225]
	ds_write2_b64 v80, v[4:5], v[6:7] offset0:10 offset1:11
	v_mov_b32_e32 v4, v240
	v_mov_b32_e32 v5, v241
	v_mov_b32_e32 v6, v220
	v_mov_b32_e32 v7, v221
	ds_write2_b64 v80, v[4:5], v[6:7] offset0:12 offset1:13
	v_mov_b32_e32 v4, v238
	v_mov_b32_e32 v5, v239
	v_mov_b32_e32 v6, v218
	v_mov_b32_e32 v7, v219
	;; [unrolled: 5-line block ×25, first 2 shown]
	ds_write2_b64 v80, v[4:5], v[6:7] offset0:60 offset1:61
	ds_write_b64 v80, v[254:255] offset:496
	ds_read_b64 v[4:5], v1
	s_waitcnt lgkmcnt(0)
	v_cmp_neq_f64_e32 vcc_lo, 0, v[4:5]
	s_and_b32 exec_lo, exec_lo, vcc_lo
	s_cbranch_execz .LBB125_49
; %bb.48:
	v_div_scale_f64 v[6:7], null, v[4:5], v[4:5], 1.0
	v_rcp_f64_e32 v[8:9], v[6:7]
	v_fma_f64 v[10:11], -v[6:7], v[8:9], 1.0
	v_fma_f64 v[8:9], v[8:9], v[10:11], v[8:9]
	v_fma_f64 v[10:11], -v[6:7], v[8:9], 1.0
	v_fma_f64 v[8:9], v[8:9], v[10:11], v[8:9]
	v_div_scale_f64 v[10:11], vcc_lo, 1.0, v[4:5], 1.0
	v_mul_f64 v[12:13], v[10:11], v[8:9]
	v_fma_f64 v[6:7], -v[6:7], v[12:13], v[10:11]
	v_div_fmas_f64 v[6:7], v[6:7], v[8:9], v[12:13]
	v_div_fixup_f64 v[4:5], v[6:7], v[4:5], 1.0
	ds_write_b64 v1, v[4:5]
.LBB125_49:
	s_or_b32 exec_lo, exec_lo, s1
	s_waitcnt lgkmcnt(0)
	s_barrier
	buffer_gl0_inv
	ds_read_b64 v[4:5], v1
	s_mov_b32 s1, exec_lo
	s_waitcnt lgkmcnt(0)
	buffer_store_dword v4, off, s[12:15], 0 offset:400 ; 4-byte Folded Spill
	buffer_store_dword v5, off, s[12:15], 0 offset:404 ; 4-byte Folded Spill
	v_cmpx_lt_u32_e32 9, v0
	s_cbranch_execz .LBB125_51
; %bb.50:
	s_clause 0x1
	buffer_load_dword v4, off, s[12:15], 0 offset:400
	buffer_load_dword v5, off, s[12:15], 0 offset:404
	s_waitcnt vmcnt(0)
	v_mul_f64 v[224:225], v[4:5], v[224:225]
	ds_read2_b64 v[4:7], v80 offset0:10 offset1:11
	s_waitcnt lgkmcnt(0)
	v_fma_f64 v[242:243], -v[224:225], v[4:5], v[242:243]
	v_fma_f64 v[222:223], -v[224:225], v[6:7], v[222:223]
	ds_read2_b64 v[4:7], v80 offset0:12 offset1:13
	s_waitcnt lgkmcnt(0)
	v_fma_f64 v[240:241], -v[224:225], v[4:5], v[240:241]
	v_fma_f64 v[220:221], -v[224:225], v[6:7], v[220:221]
	;; [unrolled: 4-line block ×25, first 2 shown]
	ds_read2_b64 v[4:7], v80 offset0:60 offset1:61
	s_waitcnt lgkmcnt(0)
	v_fma_f64 v[174:175], -v[224:225], v[4:5], v[174:175]
	ds_read_b64 v[4:5], v80 offset:496
	v_fma_f64 v[130:131], -v[224:225], v[6:7], v[130:131]
	s_waitcnt lgkmcnt(0)
	v_fma_f64 v[254:255], -v[224:225], v[4:5], v[254:255]
.LBB125_51:
	s_or_b32 exec_lo, exec_lo, s1
	s_mov_b32 s1, exec_lo
	s_waitcnt_vscnt null, 0x0
	s_barrier
	buffer_gl0_inv
	v_cmpx_eq_u32_e32 10, v0
	s_cbranch_execz .LBB125_54
; %bb.52:
	ds_write_b64 v1, v[242:243]
	ds_write2_b64 v80, v[222:223], v[240:241] offset0:11 offset1:12
	ds_write2_b64 v80, v[220:221], v[238:239] offset0:13 offset1:14
	;; [unrolled: 1-line block ×26, first 2 shown]
	ds_read_b64 v[4:5], v1
	s_waitcnt lgkmcnt(0)
	v_cmp_neq_f64_e32 vcc_lo, 0, v[4:5]
	s_and_b32 exec_lo, exec_lo, vcc_lo
	s_cbranch_execz .LBB125_54
; %bb.53:
	v_div_scale_f64 v[6:7], null, v[4:5], v[4:5], 1.0
	v_rcp_f64_e32 v[8:9], v[6:7]
	v_fma_f64 v[10:11], -v[6:7], v[8:9], 1.0
	v_fma_f64 v[8:9], v[8:9], v[10:11], v[8:9]
	v_fma_f64 v[10:11], -v[6:7], v[8:9], 1.0
	v_fma_f64 v[8:9], v[8:9], v[10:11], v[8:9]
	v_div_scale_f64 v[10:11], vcc_lo, 1.0, v[4:5], 1.0
	v_mul_f64 v[12:13], v[10:11], v[8:9]
	v_fma_f64 v[6:7], -v[6:7], v[12:13], v[10:11]
	v_div_fmas_f64 v[6:7], v[6:7], v[8:9], v[12:13]
	v_div_fixup_f64 v[4:5], v[6:7], v[4:5], 1.0
	ds_write_b64 v1, v[4:5]
.LBB125_54:
	s_or_b32 exec_lo, exec_lo, s1
	s_waitcnt lgkmcnt(0)
	s_barrier
	buffer_gl0_inv
	ds_read_b64 v[4:5], v1
	s_mov_b32 s1, exec_lo
	s_waitcnt lgkmcnt(0)
	buffer_store_dword v4, off, s[12:15], 0 offset:408 ; 4-byte Folded Spill
	buffer_store_dword v5, off, s[12:15], 0 offset:412 ; 4-byte Folded Spill
	v_cmpx_lt_u32_e32 10, v0
	s_cbranch_execz .LBB125_56
; %bb.55:
	s_clause 0x1
	buffer_load_dword v4, off, s[12:15], 0 offset:408
	buffer_load_dword v5, off, s[12:15], 0 offset:412
	s_waitcnt vmcnt(0)
	v_mul_f64 v[242:243], v[4:5], v[242:243]
	ds_read2_b64 v[4:7], v80 offset0:11 offset1:12
	s_waitcnt lgkmcnt(0)
	v_fma_f64 v[222:223], -v[242:243], v[4:5], v[222:223]
	v_fma_f64 v[240:241], -v[242:243], v[6:7], v[240:241]
	ds_read2_b64 v[4:7], v80 offset0:13 offset1:14
	s_waitcnt lgkmcnt(0)
	v_fma_f64 v[220:221], -v[242:243], v[4:5], v[220:221]
	v_fma_f64 v[238:239], -v[242:243], v[6:7], v[238:239]
	;; [unrolled: 4-line block ×26, first 2 shown]
.LBB125_56:
	s_or_b32 exec_lo, exec_lo, s1
	s_mov_b32 s1, exec_lo
	s_waitcnt_vscnt null, 0x0
	s_barrier
	buffer_gl0_inv
	v_cmpx_eq_u32_e32 11, v0
	s_cbranch_execz .LBB125_59
; %bb.57:
	v_mov_b32_e32 v4, v240
	v_mov_b32_e32 v5, v241
	;; [unrolled: 1-line block ×4, first 2 shown]
	ds_write_b64 v1, v[222:223]
	ds_write2_b64 v80, v[4:5], v[6:7] offset0:12 offset1:13
	v_mov_b32_e32 v4, v238
	v_mov_b32_e32 v5, v239
	v_mov_b32_e32 v6, v218
	v_mov_b32_e32 v7, v219
	ds_write2_b64 v80, v[4:5], v[6:7] offset0:14 offset1:15
	v_mov_b32_e32 v4, v236
	v_mov_b32_e32 v5, v237
	v_mov_b32_e32 v6, v216
	v_mov_b32_e32 v7, v217
	;; [unrolled: 5-line block ×24, first 2 shown]
	ds_write2_b64 v80, v[4:5], v[6:7] offset0:60 offset1:61
	ds_write_b64 v80, v[254:255] offset:496
	ds_read_b64 v[4:5], v1
	s_waitcnt lgkmcnt(0)
	v_cmp_neq_f64_e32 vcc_lo, 0, v[4:5]
	s_and_b32 exec_lo, exec_lo, vcc_lo
	s_cbranch_execz .LBB125_59
; %bb.58:
	v_div_scale_f64 v[6:7], null, v[4:5], v[4:5], 1.0
	v_rcp_f64_e32 v[8:9], v[6:7]
	v_fma_f64 v[10:11], -v[6:7], v[8:9], 1.0
	v_fma_f64 v[8:9], v[8:9], v[10:11], v[8:9]
	v_fma_f64 v[10:11], -v[6:7], v[8:9], 1.0
	v_fma_f64 v[8:9], v[8:9], v[10:11], v[8:9]
	v_div_scale_f64 v[10:11], vcc_lo, 1.0, v[4:5], 1.0
	v_mul_f64 v[12:13], v[10:11], v[8:9]
	v_fma_f64 v[6:7], -v[6:7], v[12:13], v[10:11]
	v_div_fmas_f64 v[6:7], v[6:7], v[8:9], v[12:13]
	v_div_fixup_f64 v[4:5], v[6:7], v[4:5], 1.0
	ds_write_b64 v1, v[4:5]
.LBB125_59:
	s_or_b32 exec_lo, exec_lo, s1
	s_waitcnt lgkmcnt(0)
	s_barrier
	buffer_gl0_inv
	ds_read_b64 v[4:5], v1
	s_mov_b32 s1, exec_lo
	s_waitcnt lgkmcnt(0)
	buffer_store_dword v4, off, s[12:15], 0 offset:416 ; 4-byte Folded Spill
	buffer_store_dword v5, off, s[12:15], 0 offset:420 ; 4-byte Folded Spill
	v_cmpx_lt_u32_e32 11, v0
	s_cbranch_execz .LBB125_61
; %bb.60:
	s_clause 0x1
	buffer_load_dword v4, off, s[12:15], 0 offset:416
	buffer_load_dword v5, off, s[12:15], 0 offset:420
	s_waitcnt vmcnt(0)
	v_mul_f64 v[222:223], v[4:5], v[222:223]
	ds_read2_b64 v[4:7], v80 offset0:12 offset1:13
	s_waitcnt lgkmcnt(0)
	v_fma_f64 v[240:241], -v[222:223], v[4:5], v[240:241]
	v_fma_f64 v[220:221], -v[222:223], v[6:7], v[220:221]
	ds_read2_b64 v[4:7], v80 offset0:14 offset1:15
	s_waitcnt lgkmcnt(0)
	v_fma_f64 v[238:239], -v[222:223], v[4:5], v[238:239]
	v_fma_f64 v[218:219], -v[222:223], v[6:7], v[218:219]
	;; [unrolled: 4-line block ×24, first 2 shown]
	ds_read2_b64 v[4:7], v80 offset0:60 offset1:61
	s_waitcnt lgkmcnt(0)
	v_fma_f64 v[174:175], -v[222:223], v[4:5], v[174:175]
	ds_read_b64 v[4:5], v80 offset:496
	v_fma_f64 v[130:131], -v[222:223], v[6:7], v[130:131]
	s_waitcnt lgkmcnt(0)
	v_fma_f64 v[254:255], -v[222:223], v[4:5], v[254:255]
.LBB125_61:
	s_or_b32 exec_lo, exec_lo, s1
	s_mov_b32 s1, exec_lo
	s_waitcnt_vscnt null, 0x0
	s_barrier
	buffer_gl0_inv
	v_cmpx_eq_u32_e32 12, v0
	s_cbranch_execz .LBB125_64
; %bb.62:
	ds_write_b64 v1, v[240:241]
	ds_write2_b64 v80, v[220:221], v[238:239] offset0:13 offset1:14
	ds_write2_b64 v80, v[218:219], v[236:237] offset0:15 offset1:16
	;; [unrolled: 1-line block ×25, first 2 shown]
	ds_read_b64 v[4:5], v1
	s_waitcnt lgkmcnt(0)
	v_cmp_neq_f64_e32 vcc_lo, 0, v[4:5]
	s_and_b32 exec_lo, exec_lo, vcc_lo
	s_cbranch_execz .LBB125_64
; %bb.63:
	v_div_scale_f64 v[6:7], null, v[4:5], v[4:5], 1.0
	v_rcp_f64_e32 v[8:9], v[6:7]
	v_fma_f64 v[10:11], -v[6:7], v[8:9], 1.0
	v_fma_f64 v[8:9], v[8:9], v[10:11], v[8:9]
	v_fma_f64 v[10:11], -v[6:7], v[8:9], 1.0
	v_fma_f64 v[8:9], v[8:9], v[10:11], v[8:9]
	v_div_scale_f64 v[10:11], vcc_lo, 1.0, v[4:5], 1.0
	v_mul_f64 v[12:13], v[10:11], v[8:9]
	v_fma_f64 v[6:7], -v[6:7], v[12:13], v[10:11]
	v_div_fmas_f64 v[6:7], v[6:7], v[8:9], v[12:13]
	v_div_fixup_f64 v[4:5], v[6:7], v[4:5], 1.0
	ds_write_b64 v1, v[4:5]
.LBB125_64:
	s_or_b32 exec_lo, exec_lo, s1
	s_waitcnt lgkmcnt(0)
	s_barrier
	buffer_gl0_inv
	ds_read_b64 v[4:5], v1
	s_mov_b32 s1, exec_lo
	s_waitcnt lgkmcnt(0)
	buffer_store_dword v4, off, s[12:15], 0 offset:424 ; 4-byte Folded Spill
	buffer_store_dword v5, off, s[12:15], 0 offset:428 ; 4-byte Folded Spill
	v_cmpx_lt_u32_e32 12, v0
	s_cbranch_execz .LBB125_66
; %bb.65:
	s_clause 0x1
	buffer_load_dword v4, off, s[12:15], 0 offset:424
	buffer_load_dword v5, off, s[12:15], 0 offset:428
	s_waitcnt vmcnt(0)
	v_mul_f64 v[240:241], v[4:5], v[240:241]
	ds_read2_b64 v[4:7], v80 offset0:13 offset1:14
	s_waitcnt lgkmcnt(0)
	v_fma_f64 v[220:221], -v[240:241], v[4:5], v[220:221]
	v_fma_f64 v[238:239], -v[240:241], v[6:7], v[238:239]
	ds_read2_b64 v[4:7], v80 offset0:15 offset1:16
	s_waitcnt lgkmcnt(0)
	v_fma_f64 v[218:219], -v[240:241], v[4:5], v[218:219]
	v_fma_f64 v[236:237], -v[240:241], v[6:7], v[236:237]
	;; [unrolled: 4-line block ×25, first 2 shown]
.LBB125_66:
	s_or_b32 exec_lo, exec_lo, s1
	s_mov_b32 s1, exec_lo
	s_waitcnt_vscnt null, 0x0
	s_barrier
	buffer_gl0_inv
	v_cmpx_eq_u32_e32 13, v0
	s_cbranch_execz .LBB125_69
; %bb.67:
	v_mov_b32_e32 v4, v238
	v_mov_b32_e32 v5, v239
	;; [unrolled: 1-line block ×4, first 2 shown]
	ds_write_b64 v1, v[220:221]
	ds_write2_b64 v80, v[4:5], v[6:7] offset0:14 offset1:15
	v_mov_b32_e32 v4, v236
	v_mov_b32_e32 v5, v237
	v_mov_b32_e32 v6, v216
	v_mov_b32_e32 v7, v217
	ds_write2_b64 v80, v[4:5], v[6:7] offset0:16 offset1:17
	v_mov_b32_e32 v4, v234
	v_mov_b32_e32 v5, v235
	v_mov_b32_e32 v6, v172
	v_mov_b32_e32 v7, v173
	ds_write2_b64 v80, v[4:5], v[6:7] offset0:18 offset1:19
	v_mov_b32_e32 v4, v214
	v_mov_b32_e32 v5, v215
	v_mov_b32_e32 v6, v170
	v_mov_b32_e32 v7, v171
	ds_write2_b64 v80, v[4:5], v[6:7] offset0:20 offset1:21
	v_mov_b32_e32 v4, v212
	v_mov_b32_e32 v5, v213
	v_mov_b32_e32 v6, v168
	v_mov_b32_e32 v7, v169
	ds_write2_b64 v80, v[4:5], v[6:7] offset0:22 offset1:23
	v_mov_b32_e32 v4, v210
	v_mov_b32_e32 v5, v211
	v_mov_b32_e32 v6, v166
	v_mov_b32_e32 v7, v167
	ds_write2_b64 v80, v[4:5], v[6:7] offset0:24 offset1:25
	v_mov_b32_e32 v4, v208
	v_mov_b32_e32 v5, v209
	v_mov_b32_e32 v6, v164
	v_mov_b32_e32 v7, v165
	ds_write2_b64 v80, v[4:5], v[6:7] offset0:26 offset1:27
	v_mov_b32_e32 v4, v206
	v_mov_b32_e32 v5, v207
	v_mov_b32_e32 v6, v162
	v_mov_b32_e32 v7, v163
	ds_write2_b64 v80, v[4:5], v[6:7] offset0:28 offset1:29
	v_mov_b32_e32 v4, v204
	v_mov_b32_e32 v5, v205
	v_mov_b32_e32 v6, v160
	v_mov_b32_e32 v7, v161
	ds_write2_b64 v80, v[4:5], v[6:7] offset0:30 offset1:31
	v_mov_b32_e32 v4, v202
	v_mov_b32_e32 v5, v203
	v_mov_b32_e32 v6, v158
	v_mov_b32_e32 v7, v159
	ds_write2_b64 v80, v[4:5], v[6:7] offset0:32 offset1:33
	v_mov_b32_e32 v4, v200
	v_mov_b32_e32 v5, v201
	v_mov_b32_e32 v6, v156
	v_mov_b32_e32 v7, v157
	ds_write2_b64 v80, v[4:5], v[6:7] offset0:34 offset1:35
	v_mov_b32_e32 v4, v198
	v_mov_b32_e32 v5, v199
	v_mov_b32_e32 v6, v154
	v_mov_b32_e32 v7, v155
	ds_write2_b64 v80, v[4:5], v[6:7] offset0:36 offset1:37
	v_mov_b32_e32 v4, v196
	v_mov_b32_e32 v5, v197
	v_mov_b32_e32 v6, v152
	v_mov_b32_e32 v7, v153
	ds_write2_b64 v80, v[4:5], v[6:7] offset0:38 offset1:39
	v_mov_b32_e32 v4, v194
	v_mov_b32_e32 v5, v195
	v_mov_b32_e32 v6, v150
	v_mov_b32_e32 v7, v151
	ds_write2_b64 v80, v[4:5], v[6:7] offset0:40 offset1:41
	v_mov_b32_e32 v4, v192
	v_mov_b32_e32 v5, v193
	v_mov_b32_e32 v6, v148
	v_mov_b32_e32 v7, v149
	ds_write2_b64 v80, v[4:5], v[6:7] offset0:42 offset1:43
	v_mov_b32_e32 v4, v190
	v_mov_b32_e32 v5, v191
	v_mov_b32_e32 v6, v146
	v_mov_b32_e32 v7, v147
	ds_write2_b64 v80, v[4:5], v[6:7] offset0:44 offset1:45
	v_mov_b32_e32 v4, v188
	v_mov_b32_e32 v5, v189
	v_mov_b32_e32 v6, v144
	v_mov_b32_e32 v7, v145
	ds_write2_b64 v80, v[4:5], v[6:7] offset0:46 offset1:47
	v_mov_b32_e32 v4, v186
	v_mov_b32_e32 v5, v187
	v_mov_b32_e32 v6, v142
	v_mov_b32_e32 v7, v143
	ds_write2_b64 v80, v[4:5], v[6:7] offset0:48 offset1:49
	v_mov_b32_e32 v4, v184
	v_mov_b32_e32 v5, v185
	v_mov_b32_e32 v6, v140
	v_mov_b32_e32 v7, v141
	ds_write2_b64 v80, v[4:5], v[6:7] offset0:50 offset1:51
	v_mov_b32_e32 v4, v182
	v_mov_b32_e32 v5, v183
	v_mov_b32_e32 v6, v138
	v_mov_b32_e32 v7, v139
	ds_write2_b64 v80, v[4:5], v[6:7] offset0:52 offset1:53
	v_mov_b32_e32 v4, v180
	v_mov_b32_e32 v5, v181
	v_mov_b32_e32 v6, v136
	v_mov_b32_e32 v7, v137
	ds_write2_b64 v80, v[4:5], v[6:7] offset0:54 offset1:55
	v_mov_b32_e32 v4, v178
	v_mov_b32_e32 v5, v179
	v_mov_b32_e32 v6, v134
	v_mov_b32_e32 v7, v135
	ds_write2_b64 v80, v[4:5], v[6:7] offset0:56 offset1:57
	v_mov_b32_e32 v4, v176
	v_mov_b32_e32 v5, v177
	v_mov_b32_e32 v6, v132
	v_mov_b32_e32 v7, v133
	ds_write2_b64 v80, v[4:5], v[6:7] offset0:58 offset1:59
	v_mov_b32_e32 v4, v174
	v_mov_b32_e32 v5, v175
	v_mov_b32_e32 v6, v130
	v_mov_b32_e32 v7, v131
	ds_write2_b64 v80, v[4:5], v[6:7] offset0:60 offset1:61
	ds_write_b64 v80, v[254:255] offset:496
	ds_read_b64 v[4:5], v1
	s_waitcnt lgkmcnt(0)
	v_cmp_neq_f64_e32 vcc_lo, 0, v[4:5]
	s_and_b32 exec_lo, exec_lo, vcc_lo
	s_cbranch_execz .LBB125_69
; %bb.68:
	v_div_scale_f64 v[6:7], null, v[4:5], v[4:5], 1.0
	v_rcp_f64_e32 v[8:9], v[6:7]
	v_fma_f64 v[10:11], -v[6:7], v[8:9], 1.0
	v_fma_f64 v[8:9], v[8:9], v[10:11], v[8:9]
	v_fma_f64 v[10:11], -v[6:7], v[8:9], 1.0
	v_fma_f64 v[8:9], v[8:9], v[10:11], v[8:9]
	v_div_scale_f64 v[10:11], vcc_lo, 1.0, v[4:5], 1.0
	v_mul_f64 v[12:13], v[10:11], v[8:9]
	v_fma_f64 v[6:7], -v[6:7], v[12:13], v[10:11]
	v_div_fmas_f64 v[6:7], v[6:7], v[8:9], v[12:13]
	v_div_fixup_f64 v[4:5], v[6:7], v[4:5], 1.0
	ds_write_b64 v1, v[4:5]
.LBB125_69:
	s_or_b32 exec_lo, exec_lo, s1
	s_waitcnt lgkmcnt(0)
	s_barrier
	buffer_gl0_inv
	ds_read_b64 v[4:5], v1
	s_mov_b32 s1, exec_lo
	s_waitcnt lgkmcnt(0)
	buffer_store_dword v4, off, s[12:15], 0 offset:432 ; 4-byte Folded Spill
	buffer_store_dword v5, off, s[12:15], 0 offset:436 ; 4-byte Folded Spill
	v_cmpx_lt_u32_e32 13, v0
	s_cbranch_execz .LBB125_71
; %bb.70:
	s_clause 0x1
	buffer_load_dword v4, off, s[12:15], 0 offset:432
	buffer_load_dword v5, off, s[12:15], 0 offset:436
	s_waitcnt vmcnt(0)
	v_mul_f64 v[220:221], v[4:5], v[220:221]
	ds_read2_b64 v[4:7], v80 offset0:14 offset1:15
	s_waitcnt lgkmcnt(0)
	v_fma_f64 v[238:239], -v[220:221], v[4:5], v[238:239]
	v_fma_f64 v[218:219], -v[220:221], v[6:7], v[218:219]
	ds_read2_b64 v[4:7], v80 offset0:16 offset1:17
	s_waitcnt lgkmcnt(0)
	v_fma_f64 v[236:237], -v[220:221], v[4:5], v[236:237]
	v_fma_f64 v[216:217], -v[220:221], v[6:7], v[216:217]
	;; [unrolled: 4-line block ×23, first 2 shown]
	ds_read2_b64 v[4:7], v80 offset0:60 offset1:61
	s_waitcnt lgkmcnt(0)
	v_fma_f64 v[174:175], -v[220:221], v[4:5], v[174:175]
	ds_read_b64 v[4:5], v80 offset:496
	v_fma_f64 v[130:131], -v[220:221], v[6:7], v[130:131]
	s_waitcnt lgkmcnt(0)
	v_fma_f64 v[254:255], -v[220:221], v[4:5], v[254:255]
.LBB125_71:
	s_or_b32 exec_lo, exec_lo, s1
	s_mov_b32 s1, exec_lo
	s_waitcnt_vscnt null, 0x0
	s_barrier
	buffer_gl0_inv
	v_cmpx_eq_u32_e32 14, v0
	s_cbranch_execz .LBB125_74
; %bb.72:
	ds_write_b64 v1, v[238:239]
	ds_write2_b64 v80, v[218:219], v[236:237] offset0:15 offset1:16
	ds_write2_b64 v80, v[216:217], v[234:235] offset0:17 offset1:18
	;; [unrolled: 1-line block ×24, first 2 shown]
	ds_read_b64 v[4:5], v1
	s_waitcnt lgkmcnt(0)
	v_cmp_neq_f64_e32 vcc_lo, 0, v[4:5]
	s_and_b32 exec_lo, exec_lo, vcc_lo
	s_cbranch_execz .LBB125_74
; %bb.73:
	v_div_scale_f64 v[6:7], null, v[4:5], v[4:5], 1.0
	v_rcp_f64_e32 v[8:9], v[6:7]
	v_fma_f64 v[10:11], -v[6:7], v[8:9], 1.0
	v_fma_f64 v[8:9], v[8:9], v[10:11], v[8:9]
	v_fma_f64 v[10:11], -v[6:7], v[8:9], 1.0
	v_fma_f64 v[8:9], v[8:9], v[10:11], v[8:9]
	v_div_scale_f64 v[10:11], vcc_lo, 1.0, v[4:5], 1.0
	v_mul_f64 v[12:13], v[10:11], v[8:9]
	v_fma_f64 v[6:7], -v[6:7], v[12:13], v[10:11]
	v_div_fmas_f64 v[6:7], v[6:7], v[8:9], v[12:13]
	v_div_fixup_f64 v[4:5], v[6:7], v[4:5], 1.0
	ds_write_b64 v1, v[4:5]
.LBB125_74:
	s_or_b32 exec_lo, exec_lo, s1
	s_waitcnt lgkmcnt(0)
	s_barrier
	buffer_gl0_inv
	ds_read_b64 v[4:5], v1
	s_mov_b32 s1, exec_lo
	s_waitcnt lgkmcnt(0)
	buffer_store_dword v4, off, s[12:15], 0 offset:440 ; 4-byte Folded Spill
	buffer_store_dword v5, off, s[12:15], 0 offset:444 ; 4-byte Folded Spill
	v_cmpx_lt_u32_e32 14, v0
	s_cbranch_execz .LBB125_76
; %bb.75:
	s_clause 0x1
	buffer_load_dword v4, off, s[12:15], 0 offset:440
	buffer_load_dword v5, off, s[12:15], 0 offset:444
	s_waitcnt vmcnt(0)
	v_mul_f64 v[238:239], v[4:5], v[238:239]
	ds_read2_b64 v[4:7], v80 offset0:15 offset1:16
	s_waitcnt lgkmcnt(0)
	v_fma_f64 v[218:219], -v[238:239], v[4:5], v[218:219]
	v_fma_f64 v[236:237], -v[238:239], v[6:7], v[236:237]
	ds_read2_b64 v[4:7], v80 offset0:17 offset1:18
	s_waitcnt lgkmcnt(0)
	v_fma_f64 v[216:217], -v[238:239], v[4:5], v[216:217]
	v_fma_f64 v[234:235], -v[238:239], v[6:7], v[234:235]
	;; [unrolled: 4-line block ×24, first 2 shown]
.LBB125_76:
	s_or_b32 exec_lo, exec_lo, s1
	s_mov_b32 s1, exec_lo
	s_waitcnt_vscnt null, 0x0
	s_barrier
	buffer_gl0_inv
	v_cmpx_eq_u32_e32 15, v0
	s_cbranch_execz .LBB125_79
; %bb.77:
	v_mov_b32_e32 v4, v236
	v_mov_b32_e32 v5, v237
	;; [unrolled: 1-line block ×4, first 2 shown]
	ds_write_b64 v1, v[218:219]
	ds_write2_b64 v80, v[4:5], v[6:7] offset0:16 offset1:17
	v_mov_b32_e32 v4, v234
	v_mov_b32_e32 v5, v235
	v_mov_b32_e32 v6, v172
	v_mov_b32_e32 v7, v173
	ds_write2_b64 v80, v[4:5], v[6:7] offset0:18 offset1:19
	v_mov_b32_e32 v4, v214
	v_mov_b32_e32 v5, v215
	v_mov_b32_e32 v6, v170
	v_mov_b32_e32 v7, v171
	;; [unrolled: 5-line block ×22, first 2 shown]
	ds_write2_b64 v80, v[4:5], v[6:7] offset0:60 offset1:61
	ds_write_b64 v80, v[254:255] offset:496
	ds_read_b64 v[4:5], v1
	s_waitcnt lgkmcnt(0)
	v_cmp_neq_f64_e32 vcc_lo, 0, v[4:5]
	s_and_b32 exec_lo, exec_lo, vcc_lo
	s_cbranch_execz .LBB125_79
; %bb.78:
	v_div_scale_f64 v[6:7], null, v[4:5], v[4:5], 1.0
	v_rcp_f64_e32 v[8:9], v[6:7]
	v_fma_f64 v[10:11], -v[6:7], v[8:9], 1.0
	v_fma_f64 v[8:9], v[8:9], v[10:11], v[8:9]
	v_fma_f64 v[10:11], -v[6:7], v[8:9], 1.0
	v_fma_f64 v[8:9], v[8:9], v[10:11], v[8:9]
	v_div_scale_f64 v[10:11], vcc_lo, 1.0, v[4:5], 1.0
	v_mul_f64 v[12:13], v[10:11], v[8:9]
	v_fma_f64 v[6:7], -v[6:7], v[12:13], v[10:11]
	v_div_fmas_f64 v[6:7], v[6:7], v[8:9], v[12:13]
	v_div_fixup_f64 v[4:5], v[6:7], v[4:5], 1.0
	ds_write_b64 v1, v[4:5]
.LBB125_79:
	s_or_b32 exec_lo, exec_lo, s1
	s_waitcnt lgkmcnt(0)
	s_barrier
	buffer_gl0_inv
	ds_read_b64 v[4:5], v1
	s_mov_b32 s1, exec_lo
	s_waitcnt lgkmcnt(0)
	buffer_store_dword v4, off, s[12:15], 0 offset:448 ; 4-byte Folded Spill
	buffer_store_dword v5, off, s[12:15], 0 offset:452 ; 4-byte Folded Spill
	v_cmpx_lt_u32_e32 15, v0
	s_cbranch_execz .LBB125_81
; %bb.80:
	s_clause 0x1
	buffer_load_dword v4, off, s[12:15], 0 offset:448
	buffer_load_dword v5, off, s[12:15], 0 offset:452
	s_waitcnt vmcnt(0)
	v_mul_f64 v[218:219], v[4:5], v[218:219]
	ds_read2_b64 v[4:7], v80 offset0:16 offset1:17
	s_waitcnt lgkmcnt(0)
	v_fma_f64 v[236:237], -v[218:219], v[4:5], v[236:237]
	v_fma_f64 v[216:217], -v[218:219], v[6:7], v[216:217]
	ds_read2_b64 v[4:7], v80 offset0:18 offset1:19
	s_waitcnt lgkmcnt(0)
	v_fma_f64 v[234:235], -v[218:219], v[4:5], v[234:235]
	v_fma_f64 v[172:173], -v[218:219], v[6:7], v[172:173]
	;; [unrolled: 4-line block ×22, first 2 shown]
	ds_read2_b64 v[4:7], v80 offset0:60 offset1:61
	s_waitcnt lgkmcnt(0)
	v_fma_f64 v[174:175], -v[218:219], v[4:5], v[174:175]
	ds_read_b64 v[4:5], v80 offset:496
	v_fma_f64 v[130:131], -v[218:219], v[6:7], v[130:131]
	s_waitcnt lgkmcnt(0)
	v_fma_f64 v[254:255], -v[218:219], v[4:5], v[254:255]
.LBB125_81:
	s_or_b32 exec_lo, exec_lo, s1
	s_mov_b32 s1, exec_lo
	s_waitcnt_vscnt null, 0x0
	s_barrier
	buffer_gl0_inv
	v_cmpx_eq_u32_e32 16, v0
	s_cbranch_execz .LBB125_84
; %bb.82:
	ds_write_b64 v1, v[236:237]
	ds_write2_b64 v80, v[216:217], v[234:235] offset0:17 offset1:18
	ds_write2_b64 v80, v[172:173], v[214:215] offset0:19 offset1:20
	;; [unrolled: 1-line block ×23, first 2 shown]
	ds_read_b64 v[4:5], v1
	s_waitcnt lgkmcnt(0)
	v_cmp_neq_f64_e32 vcc_lo, 0, v[4:5]
	s_and_b32 exec_lo, exec_lo, vcc_lo
	s_cbranch_execz .LBB125_84
; %bb.83:
	v_div_scale_f64 v[6:7], null, v[4:5], v[4:5], 1.0
	v_rcp_f64_e32 v[8:9], v[6:7]
	v_fma_f64 v[10:11], -v[6:7], v[8:9], 1.0
	v_fma_f64 v[8:9], v[8:9], v[10:11], v[8:9]
	v_fma_f64 v[10:11], -v[6:7], v[8:9], 1.0
	v_fma_f64 v[8:9], v[8:9], v[10:11], v[8:9]
	v_div_scale_f64 v[10:11], vcc_lo, 1.0, v[4:5], 1.0
	v_mul_f64 v[12:13], v[10:11], v[8:9]
	v_fma_f64 v[6:7], -v[6:7], v[12:13], v[10:11]
	v_div_fmas_f64 v[6:7], v[6:7], v[8:9], v[12:13]
	v_div_fixup_f64 v[4:5], v[6:7], v[4:5], 1.0
	ds_write_b64 v1, v[4:5]
.LBB125_84:
	s_or_b32 exec_lo, exec_lo, s1
	s_waitcnt lgkmcnt(0)
	s_barrier
	buffer_gl0_inv
	ds_read_b64 v[4:5], v1
	s_mov_b32 s1, exec_lo
	s_waitcnt lgkmcnt(0)
	buffer_store_dword v4, off, s[12:15], 0 offset:456 ; 4-byte Folded Spill
	buffer_store_dword v5, off, s[12:15], 0 offset:460 ; 4-byte Folded Spill
	v_cmpx_lt_u32_e32 16, v0
	s_cbranch_execz .LBB125_86
; %bb.85:
	s_clause 0x1
	buffer_load_dword v4, off, s[12:15], 0 offset:456
	buffer_load_dword v5, off, s[12:15], 0 offset:460
	s_waitcnt vmcnt(0)
	v_mul_f64 v[236:237], v[4:5], v[236:237]
	ds_read2_b64 v[4:7], v80 offset0:17 offset1:18
	s_waitcnt lgkmcnt(0)
	v_fma_f64 v[216:217], -v[236:237], v[4:5], v[216:217]
	v_fma_f64 v[234:235], -v[236:237], v[6:7], v[234:235]
	ds_read2_b64 v[4:7], v80 offset0:19 offset1:20
	s_waitcnt lgkmcnt(0)
	v_fma_f64 v[172:173], -v[236:237], v[4:5], v[172:173]
	v_fma_f64 v[214:215], -v[236:237], v[6:7], v[214:215]
	;; [unrolled: 4-line block ×23, first 2 shown]
.LBB125_86:
	s_or_b32 exec_lo, exec_lo, s1
	s_mov_b32 s1, exec_lo
	s_waitcnt_vscnt null, 0x0
	s_barrier
	buffer_gl0_inv
	v_cmpx_eq_u32_e32 17, v0
	s_cbranch_execz .LBB125_89
; %bb.87:
	v_mov_b32_e32 v4, v234
	v_mov_b32_e32 v5, v235
	;; [unrolled: 1-line block ×4, first 2 shown]
	ds_write_b64 v1, v[216:217]
	ds_write2_b64 v80, v[4:5], v[6:7] offset0:18 offset1:19
	v_mov_b32_e32 v4, v214
	v_mov_b32_e32 v5, v215
	v_mov_b32_e32 v6, v170
	v_mov_b32_e32 v7, v171
	ds_write2_b64 v80, v[4:5], v[6:7] offset0:20 offset1:21
	v_mov_b32_e32 v4, v212
	v_mov_b32_e32 v5, v213
	v_mov_b32_e32 v6, v168
	v_mov_b32_e32 v7, v169
	;; [unrolled: 5-line block ×21, first 2 shown]
	ds_write2_b64 v80, v[4:5], v[6:7] offset0:60 offset1:61
	ds_write_b64 v80, v[254:255] offset:496
	ds_read_b64 v[4:5], v1
	s_waitcnt lgkmcnt(0)
	v_cmp_neq_f64_e32 vcc_lo, 0, v[4:5]
	s_and_b32 exec_lo, exec_lo, vcc_lo
	s_cbranch_execz .LBB125_89
; %bb.88:
	v_div_scale_f64 v[6:7], null, v[4:5], v[4:5], 1.0
	v_rcp_f64_e32 v[8:9], v[6:7]
	v_fma_f64 v[10:11], -v[6:7], v[8:9], 1.0
	v_fma_f64 v[8:9], v[8:9], v[10:11], v[8:9]
	v_fma_f64 v[10:11], -v[6:7], v[8:9], 1.0
	v_fma_f64 v[8:9], v[8:9], v[10:11], v[8:9]
	v_div_scale_f64 v[10:11], vcc_lo, 1.0, v[4:5], 1.0
	v_mul_f64 v[12:13], v[10:11], v[8:9]
	v_fma_f64 v[6:7], -v[6:7], v[12:13], v[10:11]
	v_div_fmas_f64 v[6:7], v[6:7], v[8:9], v[12:13]
	v_div_fixup_f64 v[4:5], v[6:7], v[4:5], 1.0
	ds_write_b64 v1, v[4:5]
.LBB125_89:
	s_or_b32 exec_lo, exec_lo, s1
	s_waitcnt lgkmcnt(0)
	s_barrier
	buffer_gl0_inv
	ds_read_b64 v[4:5], v1
	s_mov_b32 s1, exec_lo
	s_waitcnt lgkmcnt(0)
	buffer_store_dword v4, off, s[12:15], 0 offset:464 ; 4-byte Folded Spill
	buffer_store_dword v5, off, s[12:15], 0 offset:468 ; 4-byte Folded Spill
	v_cmpx_lt_u32_e32 17, v0
	s_cbranch_execz .LBB125_91
; %bb.90:
	s_clause 0x1
	buffer_load_dword v4, off, s[12:15], 0 offset:464
	buffer_load_dword v5, off, s[12:15], 0 offset:468
	s_waitcnt vmcnt(0)
	v_mul_f64 v[216:217], v[4:5], v[216:217]
	ds_read2_b64 v[4:7], v80 offset0:18 offset1:19
	s_waitcnt lgkmcnt(0)
	v_fma_f64 v[234:235], -v[216:217], v[4:5], v[234:235]
	v_fma_f64 v[172:173], -v[216:217], v[6:7], v[172:173]
	ds_read2_b64 v[4:7], v80 offset0:20 offset1:21
	s_waitcnt lgkmcnt(0)
	v_fma_f64 v[214:215], -v[216:217], v[4:5], v[214:215]
	v_fma_f64 v[170:171], -v[216:217], v[6:7], v[170:171]
	;; [unrolled: 4-line block ×21, first 2 shown]
	ds_read2_b64 v[4:7], v80 offset0:60 offset1:61
	s_waitcnt lgkmcnt(0)
	v_fma_f64 v[174:175], -v[216:217], v[4:5], v[174:175]
	ds_read_b64 v[4:5], v80 offset:496
	v_fma_f64 v[130:131], -v[216:217], v[6:7], v[130:131]
	s_waitcnt lgkmcnt(0)
	v_fma_f64 v[254:255], -v[216:217], v[4:5], v[254:255]
.LBB125_91:
	s_or_b32 exec_lo, exec_lo, s1
	s_mov_b32 s1, exec_lo
	s_waitcnt_vscnt null, 0x0
	s_barrier
	buffer_gl0_inv
	v_cmpx_eq_u32_e32 18, v0
	s_cbranch_execz .LBB125_94
; %bb.92:
	ds_write_b64 v1, v[234:235]
	ds_write2_b64 v80, v[172:173], v[214:215] offset0:19 offset1:20
	ds_write2_b64 v80, v[170:171], v[212:213] offset0:21 offset1:22
	;; [unrolled: 1-line block ×22, first 2 shown]
	ds_read_b64 v[4:5], v1
	s_waitcnt lgkmcnt(0)
	v_cmp_neq_f64_e32 vcc_lo, 0, v[4:5]
	s_and_b32 exec_lo, exec_lo, vcc_lo
	s_cbranch_execz .LBB125_94
; %bb.93:
	v_div_scale_f64 v[6:7], null, v[4:5], v[4:5], 1.0
	v_rcp_f64_e32 v[8:9], v[6:7]
	v_fma_f64 v[10:11], -v[6:7], v[8:9], 1.0
	v_fma_f64 v[8:9], v[8:9], v[10:11], v[8:9]
	v_fma_f64 v[10:11], -v[6:7], v[8:9], 1.0
	v_fma_f64 v[8:9], v[8:9], v[10:11], v[8:9]
	v_div_scale_f64 v[10:11], vcc_lo, 1.0, v[4:5], 1.0
	v_mul_f64 v[12:13], v[10:11], v[8:9]
	v_fma_f64 v[6:7], -v[6:7], v[12:13], v[10:11]
	v_div_fmas_f64 v[6:7], v[6:7], v[8:9], v[12:13]
	v_div_fixup_f64 v[4:5], v[6:7], v[4:5], 1.0
	ds_write_b64 v1, v[4:5]
.LBB125_94:
	s_or_b32 exec_lo, exec_lo, s1
	s_waitcnt lgkmcnt(0)
	s_barrier
	buffer_gl0_inv
	ds_read_b64 v[4:5], v1
	s_mov_b32 s1, exec_lo
	s_waitcnt lgkmcnt(0)
	buffer_store_dword v4, off, s[12:15], 0 offset:472 ; 4-byte Folded Spill
	buffer_store_dword v5, off, s[12:15], 0 offset:476 ; 4-byte Folded Spill
	v_cmpx_lt_u32_e32 18, v0
	s_cbranch_execz .LBB125_96
; %bb.95:
	s_clause 0x1
	buffer_load_dword v4, off, s[12:15], 0 offset:472
	buffer_load_dword v5, off, s[12:15], 0 offset:476
	s_waitcnt vmcnt(0)
	v_mul_f64 v[234:235], v[4:5], v[234:235]
	ds_read2_b64 v[4:7], v80 offset0:19 offset1:20
	s_waitcnt lgkmcnt(0)
	v_fma_f64 v[172:173], -v[234:235], v[4:5], v[172:173]
	v_fma_f64 v[214:215], -v[234:235], v[6:7], v[214:215]
	ds_read2_b64 v[4:7], v80 offset0:21 offset1:22
	s_waitcnt lgkmcnt(0)
	v_fma_f64 v[170:171], -v[234:235], v[4:5], v[170:171]
	v_fma_f64 v[212:213], -v[234:235], v[6:7], v[212:213]
	;; [unrolled: 4-line block ×22, first 2 shown]
.LBB125_96:
	s_or_b32 exec_lo, exec_lo, s1
	s_mov_b32 s1, exec_lo
	s_waitcnt_vscnt null, 0x0
	s_barrier
	buffer_gl0_inv
	v_cmpx_eq_u32_e32 19, v0
	s_cbranch_execz .LBB125_99
; %bb.97:
	v_mov_b32_e32 v4, v214
	v_mov_b32_e32 v5, v215
	;; [unrolled: 1-line block ×4, first 2 shown]
	ds_write_b64 v1, v[172:173]
	ds_write2_b64 v80, v[4:5], v[6:7] offset0:20 offset1:21
	v_mov_b32_e32 v4, v212
	v_mov_b32_e32 v5, v213
	v_mov_b32_e32 v6, v168
	v_mov_b32_e32 v7, v169
	ds_write2_b64 v80, v[4:5], v[6:7] offset0:22 offset1:23
	v_mov_b32_e32 v4, v210
	v_mov_b32_e32 v5, v211
	v_mov_b32_e32 v6, v166
	v_mov_b32_e32 v7, v167
	;; [unrolled: 5-line block ×20, first 2 shown]
	ds_write2_b64 v80, v[4:5], v[6:7] offset0:60 offset1:61
	ds_write_b64 v80, v[254:255] offset:496
	ds_read_b64 v[4:5], v1
	s_waitcnt lgkmcnt(0)
	v_cmp_neq_f64_e32 vcc_lo, 0, v[4:5]
	s_and_b32 exec_lo, exec_lo, vcc_lo
	s_cbranch_execz .LBB125_99
; %bb.98:
	v_div_scale_f64 v[6:7], null, v[4:5], v[4:5], 1.0
	v_rcp_f64_e32 v[8:9], v[6:7]
	v_fma_f64 v[10:11], -v[6:7], v[8:9], 1.0
	v_fma_f64 v[8:9], v[8:9], v[10:11], v[8:9]
	v_fma_f64 v[10:11], -v[6:7], v[8:9], 1.0
	v_fma_f64 v[8:9], v[8:9], v[10:11], v[8:9]
	v_div_scale_f64 v[10:11], vcc_lo, 1.0, v[4:5], 1.0
	v_mul_f64 v[12:13], v[10:11], v[8:9]
	v_fma_f64 v[6:7], -v[6:7], v[12:13], v[10:11]
	v_div_fmas_f64 v[6:7], v[6:7], v[8:9], v[12:13]
	v_div_fixup_f64 v[4:5], v[6:7], v[4:5], 1.0
	ds_write_b64 v1, v[4:5]
.LBB125_99:
	s_or_b32 exec_lo, exec_lo, s1
	s_waitcnt lgkmcnt(0)
	s_barrier
	buffer_gl0_inv
	ds_read_b64 v[4:5], v1
	s_mov_b32 s1, exec_lo
	s_waitcnt lgkmcnt(0)
	buffer_store_dword v4, off, s[12:15], 0 offset:480 ; 4-byte Folded Spill
	buffer_store_dword v5, off, s[12:15], 0 offset:484 ; 4-byte Folded Spill
	v_cmpx_lt_u32_e32 19, v0
	s_cbranch_execz .LBB125_101
; %bb.100:
	s_clause 0x1
	buffer_load_dword v4, off, s[12:15], 0 offset:480
	buffer_load_dword v5, off, s[12:15], 0 offset:484
	s_waitcnt vmcnt(0)
	v_mul_f64 v[172:173], v[4:5], v[172:173]
	ds_read2_b64 v[4:7], v80 offset0:20 offset1:21
	s_waitcnt lgkmcnt(0)
	v_fma_f64 v[214:215], -v[172:173], v[4:5], v[214:215]
	v_fma_f64 v[170:171], -v[172:173], v[6:7], v[170:171]
	ds_read2_b64 v[4:7], v80 offset0:22 offset1:23
	s_waitcnt lgkmcnt(0)
	v_fma_f64 v[212:213], -v[172:173], v[4:5], v[212:213]
	v_fma_f64 v[168:169], -v[172:173], v[6:7], v[168:169]
	;; [unrolled: 4-line block ×20, first 2 shown]
	ds_read2_b64 v[4:7], v80 offset0:60 offset1:61
	s_waitcnt lgkmcnt(0)
	v_fma_f64 v[174:175], -v[172:173], v[4:5], v[174:175]
	ds_read_b64 v[4:5], v80 offset:496
	v_fma_f64 v[130:131], -v[172:173], v[6:7], v[130:131]
	s_waitcnt lgkmcnt(0)
	v_fma_f64 v[254:255], -v[172:173], v[4:5], v[254:255]
.LBB125_101:
	s_or_b32 exec_lo, exec_lo, s1
	s_mov_b32 s1, exec_lo
	s_waitcnt_vscnt null, 0x0
	s_barrier
	buffer_gl0_inv
	v_cmpx_eq_u32_e32 20, v0
	s_cbranch_execz .LBB125_104
; %bb.102:
	ds_write_b64 v1, v[214:215]
	ds_write2_b64 v80, v[170:171], v[212:213] offset0:21 offset1:22
	ds_write2_b64 v80, v[168:169], v[210:211] offset0:23 offset1:24
	;; [unrolled: 1-line block ×21, first 2 shown]
	ds_read_b64 v[4:5], v1
	s_waitcnt lgkmcnt(0)
	v_cmp_neq_f64_e32 vcc_lo, 0, v[4:5]
	s_and_b32 exec_lo, exec_lo, vcc_lo
	s_cbranch_execz .LBB125_104
; %bb.103:
	v_div_scale_f64 v[6:7], null, v[4:5], v[4:5], 1.0
	v_rcp_f64_e32 v[8:9], v[6:7]
	v_fma_f64 v[10:11], -v[6:7], v[8:9], 1.0
	v_fma_f64 v[8:9], v[8:9], v[10:11], v[8:9]
	v_fma_f64 v[10:11], -v[6:7], v[8:9], 1.0
	v_fma_f64 v[8:9], v[8:9], v[10:11], v[8:9]
	v_div_scale_f64 v[10:11], vcc_lo, 1.0, v[4:5], 1.0
	v_mul_f64 v[12:13], v[10:11], v[8:9]
	v_fma_f64 v[6:7], -v[6:7], v[12:13], v[10:11]
	v_div_fmas_f64 v[6:7], v[6:7], v[8:9], v[12:13]
	v_div_fixup_f64 v[4:5], v[6:7], v[4:5], 1.0
	ds_write_b64 v1, v[4:5]
.LBB125_104:
	s_or_b32 exec_lo, exec_lo, s1
	s_waitcnt lgkmcnt(0)
	s_barrier
	buffer_gl0_inv
	ds_read_b64 v[4:5], v1
	s_mov_b32 s1, exec_lo
	s_waitcnt lgkmcnt(0)
	buffer_store_dword v4, off, s[12:15], 0 offset:488 ; 4-byte Folded Spill
	buffer_store_dword v5, off, s[12:15], 0 offset:492 ; 4-byte Folded Spill
	v_cmpx_lt_u32_e32 20, v0
	s_cbranch_execz .LBB125_106
; %bb.105:
	s_clause 0x1
	buffer_load_dword v4, off, s[12:15], 0 offset:488
	buffer_load_dword v5, off, s[12:15], 0 offset:492
	s_waitcnt vmcnt(0)
	v_mul_f64 v[214:215], v[4:5], v[214:215]
	ds_read2_b64 v[4:7], v80 offset0:21 offset1:22
	s_waitcnt lgkmcnt(0)
	v_fma_f64 v[170:171], -v[214:215], v[4:5], v[170:171]
	v_fma_f64 v[212:213], -v[214:215], v[6:7], v[212:213]
	ds_read2_b64 v[4:7], v80 offset0:23 offset1:24
	s_waitcnt lgkmcnt(0)
	v_fma_f64 v[168:169], -v[214:215], v[4:5], v[168:169]
	v_fma_f64 v[210:211], -v[214:215], v[6:7], v[210:211]
	;; [unrolled: 4-line block ×21, first 2 shown]
.LBB125_106:
	s_or_b32 exec_lo, exec_lo, s1
	s_mov_b32 s1, exec_lo
	s_waitcnt_vscnt null, 0x0
	s_barrier
	buffer_gl0_inv
	v_cmpx_eq_u32_e32 21, v0
	s_cbranch_execz .LBB125_109
; %bb.107:
	v_mov_b32_e32 v4, v212
	v_mov_b32_e32 v5, v213
	;; [unrolled: 1-line block ×4, first 2 shown]
	ds_write_b64 v1, v[170:171]
	ds_write2_b64 v80, v[4:5], v[6:7] offset0:22 offset1:23
	v_mov_b32_e32 v4, v210
	v_mov_b32_e32 v5, v211
	v_mov_b32_e32 v6, v166
	v_mov_b32_e32 v7, v167
	ds_write2_b64 v80, v[4:5], v[6:7] offset0:24 offset1:25
	v_mov_b32_e32 v4, v208
	v_mov_b32_e32 v5, v209
	v_mov_b32_e32 v6, v164
	v_mov_b32_e32 v7, v165
	;; [unrolled: 5-line block ×19, first 2 shown]
	ds_write2_b64 v80, v[4:5], v[6:7] offset0:60 offset1:61
	ds_write_b64 v80, v[254:255] offset:496
	ds_read_b64 v[4:5], v1
	s_waitcnt lgkmcnt(0)
	v_cmp_neq_f64_e32 vcc_lo, 0, v[4:5]
	s_and_b32 exec_lo, exec_lo, vcc_lo
	s_cbranch_execz .LBB125_109
; %bb.108:
	v_div_scale_f64 v[6:7], null, v[4:5], v[4:5], 1.0
	v_rcp_f64_e32 v[8:9], v[6:7]
	v_fma_f64 v[10:11], -v[6:7], v[8:9], 1.0
	v_fma_f64 v[8:9], v[8:9], v[10:11], v[8:9]
	v_fma_f64 v[10:11], -v[6:7], v[8:9], 1.0
	v_fma_f64 v[8:9], v[8:9], v[10:11], v[8:9]
	v_div_scale_f64 v[10:11], vcc_lo, 1.0, v[4:5], 1.0
	v_mul_f64 v[12:13], v[10:11], v[8:9]
	v_fma_f64 v[6:7], -v[6:7], v[12:13], v[10:11]
	v_div_fmas_f64 v[6:7], v[6:7], v[8:9], v[12:13]
	v_div_fixup_f64 v[4:5], v[6:7], v[4:5], 1.0
	ds_write_b64 v1, v[4:5]
.LBB125_109:
	s_or_b32 exec_lo, exec_lo, s1
	s_waitcnt lgkmcnt(0)
	s_barrier
	buffer_gl0_inv
	ds_read_b64 v[4:5], v1
	s_mov_b32 s1, exec_lo
	s_waitcnt lgkmcnt(0)
	buffer_store_dword v4, off, s[12:15], 0 offset:496 ; 4-byte Folded Spill
	buffer_store_dword v5, off, s[12:15], 0 offset:500 ; 4-byte Folded Spill
	v_cmpx_lt_u32_e32 21, v0
	s_cbranch_execz .LBB125_111
; %bb.110:
	s_clause 0x1
	buffer_load_dword v4, off, s[12:15], 0 offset:496
	buffer_load_dword v5, off, s[12:15], 0 offset:500
	s_waitcnt vmcnt(0)
	v_mul_f64 v[170:171], v[4:5], v[170:171]
	ds_read2_b64 v[4:7], v80 offset0:22 offset1:23
	s_waitcnt lgkmcnt(0)
	v_fma_f64 v[212:213], -v[170:171], v[4:5], v[212:213]
	v_fma_f64 v[168:169], -v[170:171], v[6:7], v[168:169]
	ds_read2_b64 v[4:7], v80 offset0:24 offset1:25
	s_waitcnt lgkmcnt(0)
	v_fma_f64 v[210:211], -v[170:171], v[4:5], v[210:211]
	v_fma_f64 v[166:167], -v[170:171], v[6:7], v[166:167]
	;; [unrolled: 4-line block ×19, first 2 shown]
	ds_read2_b64 v[4:7], v80 offset0:60 offset1:61
	s_waitcnt lgkmcnt(0)
	v_fma_f64 v[174:175], -v[170:171], v[4:5], v[174:175]
	ds_read_b64 v[4:5], v80 offset:496
	v_fma_f64 v[130:131], -v[170:171], v[6:7], v[130:131]
	s_waitcnt lgkmcnt(0)
	v_fma_f64 v[254:255], -v[170:171], v[4:5], v[254:255]
.LBB125_111:
	s_or_b32 exec_lo, exec_lo, s1
	s_mov_b32 s1, exec_lo
	s_waitcnt_vscnt null, 0x0
	s_barrier
	buffer_gl0_inv
	v_cmpx_eq_u32_e32 22, v0
	s_cbranch_execz .LBB125_114
; %bb.112:
	ds_write_b64 v1, v[212:213]
	ds_write2_b64 v80, v[168:169], v[210:211] offset0:23 offset1:24
	ds_write2_b64 v80, v[166:167], v[208:209] offset0:25 offset1:26
	;; [unrolled: 1-line block ×20, first 2 shown]
	ds_read_b64 v[4:5], v1
	s_waitcnt lgkmcnt(0)
	v_cmp_neq_f64_e32 vcc_lo, 0, v[4:5]
	s_and_b32 exec_lo, exec_lo, vcc_lo
	s_cbranch_execz .LBB125_114
; %bb.113:
	v_div_scale_f64 v[6:7], null, v[4:5], v[4:5], 1.0
	v_rcp_f64_e32 v[8:9], v[6:7]
	v_fma_f64 v[10:11], -v[6:7], v[8:9], 1.0
	v_fma_f64 v[8:9], v[8:9], v[10:11], v[8:9]
	v_fma_f64 v[10:11], -v[6:7], v[8:9], 1.0
	v_fma_f64 v[8:9], v[8:9], v[10:11], v[8:9]
	v_div_scale_f64 v[10:11], vcc_lo, 1.0, v[4:5], 1.0
	v_mul_f64 v[12:13], v[10:11], v[8:9]
	v_fma_f64 v[6:7], -v[6:7], v[12:13], v[10:11]
	v_div_fmas_f64 v[6:7], v[6:7], v[8:9], v[12:13]
	v_div_fixup_f64 v[4:5], v[6:7], v[4:5], 1.0
	ds_write_b64 v1, v[4:5]
.LBB125_114:
	s_or_b32 exec_lo, exec_lo, s1
	s_waitcnt lgkmcnt(0)
	s_barrier
	buffer_gl0_inv
	ds_read_b64 v[4:5], v1
	s_mov_b32 s1, exec_lo
	s_waitcnt lgkmcnt(0)
	buffer_store_dword v4, off, s[12:15], 0 offset:504 ; 4-byte Folded Spill
	buffer_store_dword v5, off, s[12:15], 0 offset:508 ; 4-byte Folded Spill
	v_cmpx_lt_u32_e32 22, v0
	s_cbranch_execz .LBB125_116
; %bb.115:
	s_clause 0x1
	buffer_load_dword v4, off, s[12:15], 0 offset:504
	buffer_load_dword v5, off, s[12:15], 0 offset:508
	s_waitcnt vmcnt(0)
	v_mul_f64 v[212:213], v[4:5], v[212:213]
	ds_read2_b64 v[4:7], v80 offset0:23 offset1:24
	s_waitcnt lgkmcnt(0)
	v_fma_f64 v[168:169], -v[212:213], v[4:5], v[168:169]
	v_fma_f64 v[210:211], -v[212:213], v[6:7], v[210:211]
	ds_read2_b64 v[4:7], v80 offset0:25 offset1:26
	s_waitcnt lgkmcnt(0)
	v_fma_f64 v[166:167], -v[212:213], v[4:5], v[166:167]
	v_fma_f64 v[208:209], -v[212:213], v[6:7], v[208:209]
	ds_read2_b64 v[4:7], v80 offset0:27 offset1:28
	s_waitcnt lgkmcnt(0)
	v_fma_f64 v[164:165], -v[212:213], v[4:5], v[164:165]
	v_fma_f64 v[206:207], -v[212:213], v[6:7], v[206:207]
	ds_read2_b64 v[4:7], v80 offset0:29 offset1:30
	s_waitcnt lgkmcnt(0)
	v_fma_f64 v[162:163], -v[212:213], v[4:5], v[162:163]
	v_fma_f64 v[204:205], -v[212:213], v[6:7], v[204:205]
	ds_read2_b64 v[4:7], v80 offset0:31 offset1:32
	s_waitcnt lgkmcnt(0)
	v_fma_f64 v[160:161], -v[212:213], v[4:5], v[160:161]
	v_fma_f64 v[202:203], -v[212:213], v[6:7], v[202:203]
	ds_read2_b64 v[4:7], v80 offset0:33 offset1:34
	s_waitcnt lgkmcnt(0)
	v_fma_f64 v[158:159], -v[212:213], v[4:5], v[158:159]
	v_fma_f64 v[200:201], -v[212:213], v[6:7], v[200:201]
	ds_read2_b64 v[4:7], v80 offset0:35 offset1:36
	s_waitcnt lgkmcnt(0)
	v_fma_f64 v[156:157], -v[212:213], v[4:5], v[156:157]
	v_fma_f64 v[198:199], -v[212:213], v[6:7], v[198:199]
	ds_read2_b64 v[4:7], v80 offset0:37 offset1:38
	s_waitcnt lgkmcnt(0)
	v_fma_f64 v[154:155], -v[212:213], v[4:5], v[154:155]
	v_fma_f64 v[196:197], -v[212:213], v[6:7], v[196:197]
	ds_read2_b64 v[4:7], v80 offset0:39 offset1:40
	s_waitcnt lgkmcnt(0)
	v_fma_f64 v[152:153], -v[212:213], v[4:5], v[152:153]
	v_fma_f64 v[194:195], -v[212:213], v[6:7], v[194:195]
	ds_read2_b64 v[4:7], v80 offset0:41 offset1:42
	s_waitcnt lgkmcnt(0)
	v_fma_f64 v[150:151], -v[212:213], v[4:5], v[150:151]
	v_fma_f64 v[192:193], -v[212:213], v[6:7], v[192:193]
	ds_read2_b64 v[4:7], v80 offset0:43 offset1:44
	s_waitcnt lgkmcnt(0)
	v_fma_f64 v[148:149], -v[212:213], v[4:5], v[148:149]
	v_fma_f64 v[190:191], -v[212:213], v[6:7], v[190:191]
	ds_read2_b64 v[4:7], v80 offset0:45 offset1:46
	s_waitcnt lgkmcnt(0)
	v_fma_f64 v[146:147], -v[212:213], v[4:5], v[146:147]
	v_fma_f64 v[188:189], -v[212:213], v[6:7], v[188:189]
	ds_read2_b64 v[4:7], v80 offset0:47 offset1:48
	s_waitcnt lgkmcnt(0)
	v_fma_f64 v[144:145], -v[212:213], v[4:5], v[144:145]
	v_fma_f64 v[186:187], -v[212:213], v[6:7], v[186:187]
	ds_read2_b64 v[4:7], v80 offset0:49 offset1:50
	s_waitcnt lgkmcnt(0)
	v_fma_f64 v[142:143], -v[212:213], v[4:5], v[142:143]
	v_fma_f64 v[184:185], -v[212:213], v[6:7], v[184:185]
	ds_read2_b64 v[4:7], v80 offset0:51 offset1:52
	s_waitcnt lgkmcnt(0)
	v_fma_f64 v[140:141], -v[212:213], v[4:5], v[140:141]
	v_fma_f64 v[182:183], -v[212:213], v[6:7], v[182:183]
	ds_read2_b64 v[4:7], v80 offset0:53 offset1:54
	s_waitcnt lgkmcnt(0)
	v_fma_f64 v[138:139], -v[212:213], v[4:5], v[138:139]
	v_fma_f64 v[180:181], -v[212:213], v[6:7], v[180:181]
	ds_read2_b64 v[4:7], v80 offset0:55 offset1:56
	s_waitcnt lgkmcnt(0)
	v_fma_f64 v[136:137], -v[212:213], v[4:5], v[136:137]
	v_fma_f64 v[178:179], -v[212:213], v[6:7], v[178:179]
	ds_read2_b64 v[4:7], v80 offset0:57 offset1:58
	s_waitcnt lgkmcnt(0)
	v_fma_f64 v[134:135], -v[212:213], v[4:5], v[134:135]
	v_fma_f64 v[176:177], -v[212:213], v[6:7], v[176:177]
	ds_read2_b64 v[4:7], v80 offset0:59 offset1:60
	s_waitcnt lgkmcnt(0)
	v_fma_f64 v[132:133], -v[212:213], v[4:5], v[132:133]
	v_fma_f64 v[174:175], -v[212:213], v[6:7], v[174:175]
	ds_read2_b64 v[4:7], v80 offset0:61 offset1:62
	s_waitcnt lgkmcnt(0)
	v_fma_f64 v[130:131], -v[212:213], v[4:5], v[130:131]
	v_fma_f64 v[254:255], -v[212:213], v[6:7], v[254:255]
.LBB125_116:
	s_or_b32 exec_lo, exec_lo, s1
	s_mov_b32 s1, exec_lo
	s_waitcnt_vscnt null, 0x0
	s_barrier
	buffer_gl0_inv
	v_cmpx_eq_u32_e32 23, v0
	s_cbranch_execz .LBB125_119
; %bb.117:
	v_mov_b32_e32 v4, v210
	v_mov_b32_e32 v5, v211
	;; [unrolled: 1-line block ×4, first 2 shown]
	ds_write_b64 v1, v[168:169]
	ds_write2_b64 v80, v[4:5], v[6:7] offset0:24 offset1:25
	v_mov_b32_e32 v4, v208
	v_mov_b32_e32 v5, v209
	v_mov_b32_e32 v6, v164
	v_mov_b32_e32 v7, v165
	ds_write2_b64 v80, v[4:5], v[6:7] offset0:26 offset1:27
	v_mov_b32_e32 v4, v206
	v_mov_b32_e32 v5, v207
	v_mov_b32_e32 v6, v162
	v_mov_b32_e32 v7, v163
	;; [unrolled: 5-line block ×18, first 2 shown]
	ds_write2_b64 v80, v[4:5], v[6:7] offset0:60 offset1:61
	ds_write_b64 v80, v[254:255] offset:496
	ds_read_b64 v[4:5], v1
	s_waitcnt lgkmcnt(0)
	v_cmp_neq_f64_e32 vcc_lo, 0, v[4:5]
	s_and_b32 exec_lo, exec_lo, vcc_lo
	s_cbranch_execz .LBB125_119
; %bb.118:
	v_div_scale_f64 v[6:7], null, v[4:5], v[4:5], 1.0
	v_rcp_f64_e32 v[8:9], v[6:7]
	v_fma_f64 v[10:11], -v[6:7], v[8:9], 1.0
	v_fma_f64 v[8:9], v[8:9], v[10:11], v[8:9]
	v_fma_f64 v[10:11], -v[6:7], v[8:9], 1.0
	v_fma_f64 v[8:9], v[8:9], v[10:11], v[8:9]
	v_div_scale_f64 v[10:11], vcc_lo, 1.0, v[4:5], 1.0
	v_mul_f64 v[12:13], v[10:11], v[8:9]
	v_fma_f64 v[6:7], -v[6:7], v[12:13], v[10:11]
	v_div_fmas_f64 v[6:7], v[6:7], v[8:9], v[12:13]
	v_div_fixup_f64 v[4:5], v[6:7], v[4:5], 1.0
	ds_write_b64 v1, v[4:5]
.LBB125_119:
	s_or_b32 exec_lo, exec_lo, s1
	s_waitcnt lgkmcnt(0)
	s_barrier
	buffer_gl0_inv
	ds_read_b64 v[4:5], v1
	s_mov_b32 s1, exec_lo
	s_waitcnt lgkmcnt(0)
	buffer_store_dword v4, off, s[12:15], 0 offset:512 ; 4-byte Folded Spill
	buffer_store_dword v5, off, s[12:15], 0 offset:516 ; 4-byte Folded Spill
	v_cmpx_lt_u32_e32 23, v0
	s_cbranch_execz .LBB125_121
; %bb.120:
	s_clause 0x1
	buffer_load_dword v4, off, s[12:15], 0 offset:512
	buffer_load_dword v5, off, s[12:15], 0 offset:516
	s_waitcnt vmcnt(0)
	v_mul_f64 v[168:169], v[4:5], v[168:169]
	ds_read2_b64 v[4:7], v80 offset0:24 offset1:25
	s_waitcnt lgkmcnt(0)
	v_fma_f64 v[210:211], -v[168:169], v[4:5], v[210:211]
	v_fma_f64 v[166:167], -v[168:169], v[6:7], v[166:167]
	ds_read2_b64 v[4:7], v80 offset0:26 offset1:27
	s_waitcnt lgkmcnt(0)
	v_fma_f64 v[208:209], -v[168:169], v[4:5], v[208:209]
	v_fma_f64 v[164:165], -v[168:169], v[6:7], v[164:165]
	;; [unrolled: 4-line block ×18, first 2 shown]
	ds_read2_b64 v[4:7], v80 offset0:60 offset1:61
	s_waitcnt lgkmcnt(0)
	v_fma_f64 v[174:175], -v[168:169], v[4:5], v[174:175]
	ds_read_b64 v[4:5], v80 offset:496
	v_fma_f64 v[130:131], -v[168:169], v[6:7], v[130:131]
	s_waitcnt lgkmcnt(0)
	v_fma_f64 v[254:255], -v[168:169], v[4:5], v[254:255]
.LBB125_121:
	s_or_b32 exec_lo, exec_lo, s1
	s_mov_b32 s1, exec_lo
	s_waitcnt_vscnt null, 0x0
	s_barrier
	buffer_gl0_inv
	v_cmpx_eq_u32_e32 24, v0
	s_cbranch_execz .LBB125_124
; %bb.122:
	ds_write_b64 v1, v[210:211]
	ds_write2_b64 v80, v[166:167], v[208:209] offset0:25 offset1:26
	ds_write2_b64 v80, v[164:165], v[206:207] offset0:27 offset1:28
	;; [unrolled: 1-line block ×19, first 2 shown]
	ds_read_b64 v[4:5], v1
	s_waitcnt lgkmcnt(0)
	v_cmp_neq_f64_e32 vcc_lo, 0, v[4:5]
	s_and_b32 exec_lo, exec_lo, vcc_lo
	s_cbranch_execz .LBB125_124
; %bb.123:
	v_div_scale_f64 v[6:7], null, v[4:5], v[4:5], 1.0
	v_rcp_f64_e32 v[8:9], v[6:7]
	v_fma_f64 v[10:11], -v[6:7], v[8:9], 1.0
	v_fma_f64 v[8:9], v[8:9], v[10:11], v[8:9]
	v_fma_f64 v[10:11], -v[6:7], v[8:9], 1.0
	v_fma_f64 v[8:9], v[8:9], v[10:11], v[8:9]
	v_div_scale_f64 v[10:11], vcc_lo, 1.0, v[4:5], 1.0
	v_mul_f64 v[12:13], v[10:11], v[8:9]
	v_fma_f64 v[6:7], -v[6:7], v[12:13], v[10:11]
	v_div_fmas_f64 v[6:7], v[6:7], v[8:9], v[12:13]
	v_div_fixup_f64 v[4:5], v[6:7], v[4:5], 1.0
	ds_write_b64 v1, v[4:5]
.LBB125_124:
	s_or_b32 exec_lo, exec_lo, s1
	s_waitcnt lgkmcnt(0)
	s_barrier
	buffer_gl0_inv
	ds_read_b64 v[4:5], v1
	s_mov_b32 s1, exec_lo
	s_waitcnt lgkmcnt(0)
	buffer_store_dword v4, off, s[12:15], 0 offset:520 ; 4-byte Folded Spill
	buffer_store_dword v5, off, s[12:15], 0 offset:524 ; 4-byte Folded Spill
	v_cmpx_lt_u32_e32 24, v0
	s_cbranch_execz .LBB125_126
; %bb.125:
	s_clause 0x1
	buffer_load_dword v4, off, s[12:15], 0 offset:520
	buffer_load_dword v5, off, s[12:15], 0 offset:524
	s_waitcnt vmcnt(0)
	v_mul_f64 v[210:211], v[4:5], v[210:211]
	ds_read2_b64 v[4:7], v80 offset0:25 offset1:26
	s_waitcnt lgkmcnt(0)
	v_fma_f64 v[166:167], -v[210:211], v[4:5], v[166:167]
	v_fma_f64 v[208:209], -v[210:211], v[6:7], v[208:209]
	ds_read2_b64 v[4:7], v80 offset0:27 offset1:28
	s_waitcnt lgkmcnt(0)
	v_fma_f64 v[164:165], -v[210:211], v[4:5], v[164:165]
	v_fma_f64 v[206:207], -v[210:211], v[6:7], v[206:207]
	;; [unrolled: 4-line block ×19, first 2 shown]
.LBB125_126:
	s_or_b32 exec_lo, exec_lo, s1
	s_mov_b32 s1, exec_lo
	s_waitcnt_vscnt null, 0x0
	s_barrier
	buffer_gl0_inv
	v_cmpx_eq_u32_e32 25, v0
	s_cbranch_execz .LBB125_129
; %bb.127:
	v_mov_b32_e32 v4, v208
	v_mov_b32_e32 v5, v209
	;; [unrolled: 1-line block ×4, first 2 shown]
	ds_write_b64 v1, v[166:167]
	ds_write2_b64 v80, v[4:5], v[6:7] offset0:26 offset1:27
	v_mov_b32_e32 v4, v206
	v_mov_b32_e32 v5, v207
	v_mov_b32_e32 v6, v162
	v_mov_b32_e32 v7, v163
	ds_write2_b64 v80, v[4:5], v[6:7] offset0:28 offset1:29
	v_mov_b32_e32 v4, v204
	v_mov_b32_e32 v5, v205
	v_mov_b32_e32 v6, v160
	v_mov_b32_e32 v7, v161
	;; [unrolled: 5-line block ×17, first 2 shown]
	ds_write2_b64 v80, v[4:5], v[6:7] offset0:60 offset1:61
	ds_write_b64 v80, v[254:255] offset:496
	ds_read_b64 v[4:5], v1
	s_waitcnt lgkmcnt(0)
	v_cmp_neq_f64_e32 vcc_lo, 0, v[4:5]
	s_and_b32 exec_lo, exec_lo, vcc_lo
	s_cbranch_execz .LBB125_129
; %bb.128:
	v_div_scale_f64 v[6:7], null, v[4:5], v[4:5], 1.0
	v_rcp_f64_e32 v[8:9], v[6:7]
	v_fma_f64 v[10:11], -v[6:7], v[8:9], 1.0
	v_fma_f64 v[8:9], v[8:9], v[10:11], v[8:9]
	v_fma_f64 v[10:11], -v[6:7], v[8:9], 1.0
	v_fma_f64 v[8:9], v[8:9], v[10:11], v[8:9]
	v_div_scale_f64 v[10:11], vcc_lo, 1.0, v[4:5], 1.0
	v_mul_f64 v[12:13], v[10:11], v[8:9]
	v_fma_f64 v[6:7], -v[6:7], v[12:13], v[10:11]
	v_div_fmas_f64 v[6:7], v[6:7], v[8:9], v[12:13]
	v_div_fixup_f64 v[4:5], v[6:7], v[4:5], 1.0
	ds_write_b64 v1, v[4:5]
.LBB125_129:
	s_or_b32 exec_lo, exec_lo, s1
	s_waitcnt lgkmcnt(0)
	s_barrier
	buffer_gl0_inv
	ds_read_b64 v[4:5], v1
	s_mov_b32 s1, exec_lo
	v_cmpx_lt_u32_e32 25, v0
	s_cbranch_execz .LBB125_131
; %bb.130:
	s_waitcnt lgkmcnt(0)
	v_mul_f64 v[166:167], v[4:5], v[166:167]
	ds_read2_b64 v[6:9], v80 offset0:26 offset1:27
	s_waitcnt lgkmcnt(0)
	v_fma_f64 v[208:209], -v[166:167], v[6:7], v[208:209]
	v_fma_f64 v[164:165], -v[166:167], v[8:9], v[164:165]
	ds_read2_b64 v[6:9], v80 offset0:28 offset1:29
	s_waitcnt lgkmcnt(0)
	v_fma_f64 v[206:207], -v[166:167], v[6:7], v[206:207]
	v_fma_f64 v[162:163], -v[166:167], v[8:9], v[162:163]
	;; [unrolled: 4-line block ×17, first 2 shown]
	ds_read2_b64 v[6:9], v80 offset0:60 offset1:61
	s_waitcnt lgkmcnt(0)
	v_fma_f64 v[174:175], -v[166:167], v[6:7], v[174:175]
	ds_read_b64 v[6:7], v80 offset:496
	v_fma_f64 v[130:131], -v[166:167], v[8:9], v[130:131]
	s_waitcnt lgkmcnt(0)
	v_fma_f64 v[254:255], -v[166:167], v[6:7], v[254:255]
.LBB125_131:
	s_or_b32 exec_lo, exec_lo, s1
	s_mov_b32 s1, exec_lo
	s_waitcnt lgkmcnt(0)
	s_barrier
	buffer_gl0_inv
	v_cmpx_eq_u32_e32 26, v0
	s_cbranch_execz .LBB125_134
; %bb.132:
	ds_write_b64 v1, v[208:209]
	ds_write2_b64 v80, v[164:165], v[206:207] offset0:27 offset1:28
	ds_write2_b64 v80, v[162:163], v[204:205] offset0:29 offset1:30
	;; [unrolled: 1-line block ×18, first 2 shown]
	ds_read_b64 v[6:7], v1
	s_waitcnt lgkmcnt(0)
	v_cmp_neq_f64_e32 vcc_lo, 0, v[6:7]
	s_and_b32 exec_lo, exec_lo, vcc_lo
	s_cbranch_execz .LBB125_134
; %bb.133:
	v_div_scale_f64 v[8:9], null, v[6:7], v[6:7], 1.0
	v_rcp_f64_e32 v[10:11], v[8:9]
	v_fma_f64 v[12:13], -v[8:9], v[10:11], 1.0
	v_fma_f64 v[10:11], v[10:11], v[12:13], v[10:11]
	v_fma_f64 v[12:13], -v[8:9], v[10:11], 1.0
	v_fma_f64 v[10:11], v[10:11], v[12:13], v[10:11]
	v_div_scale_f64 v[12:13], vcc_lo, 1.0, v[6:7], 1.0
	v_mul_f64 v[14:15], v[12:13], v[10:11]
	v_fma_f64 v[8:9], -v[8:9], v[14:15], v[12:13]
	v_div_fmas_f64 v[8:9], v[8:9], v[10:11], v[14:15]
	v_div_fixup_f64 v[6:7], v[8:9], v[6:7], 1.0
	ds_write_b64 v1, v[6:7]
.LBB125_134:
	s_or_b32 exec_lo, exec_lo, s1
	s_waitcnt lgkmcnt(0)
	s_barrier
	buffer_gl0_inv
	ds_read_b64 v[6:7], v1
	s_mov_b32 s1, exec_lo
	v_cmpx_lt_u32_e32 26, v0
	s_cbranch_execz .LBB125_136
; %bb.135:
	s_waitcnt lgkmcnt(0)
	v_mul_f64 v[208:209], v[6:7], v[208:209]
	ds_read2_b64 v[8:11], v80 offset0:27 offset1:28
	s_waitcnt lgkmcnt(0)
	v_fma_f64 v[164:165], -v[208:209], v[8:9], v[164:165]
	v_fma_f64 v[206:207], -v[208:209], v[10:11], v[206:207]
	ds_read2_b64 v[8:11], v80 offset0:29 offset1:30
	s_waitcnt lgkmcnt(0)
	v_fma_f64 v[162:163], -v[208:209], v[8:9], v[162:163]
	v_fma_f64 v[204:205], -v[208:209], v[10:11], v[204:205]
	ds_read2_b64 v[8:11], v80 offset0:31 offset1:32
	s_waitcnt lgkmcnt(0)
	v_fma_f64 v[160:161], -v[208:209], v[8:9], v[160:161]
	v_fma_f64 v[202:203], -v[208:209], v[10:11], v[202:203]
	ds_read2_b64 v[8:11], v80 offset0:33 offset1:34
	s_waitcnt lgkmcnt(0)
	v_fma_f64 v[158:159], -v[208:209], v[8:9], v[158:159]
	v_fma_f64 v[200:201], -v[208:209], v[10:11], v[200:201]
	ds_read2_b64 v[8:11], v80 offset0:35 offset1:36
	s_waitcnt lgkmcnt(0)
	v_fma_f64 v[156:157], -v[208:209], v[8:9], v[156:157]
	v_fma_f64 v[198:199], -v[208:209], v[10:11], v[198:199]
	ds_read2_b64 v[8:11], v80 offset0:37 offset1:38
	s_waitcnt lgkmcnt(0)
	v_fma_f64 v[154:155], -v[208:209], v[8:9], v[154:155]
	v_fma_f64 v[196:197], -v[208:209], v[10:11], v[196:197]
	ds_read2_b64 v[8:11], v80 offset0:39 offset1:40
	s_waitcnt lgkmcnt(0)
	v_fma_f64 v[152:153], -v[208:209], v[8:9], v[152:153]
	v_fma_f64 v[194:195], -v[208:209], v[10:11], v[194:195]
	ds_read2_b64 v[8:11], v80 offset0:41 offset1:42
	s_waitcnt lgkmcnt(0)
	v_fma_f64 v[150:151], -v[208:209], v[8:9], v[150:151]
	v_fma_f64 v[192:193], -v[208:209], v[10:11], v[192:193]
	ds_read2_b64 v[8:11], v80 offset0:43 offset1:44
	s_waitcnt lgkmcnt(0)
	v_fma_f64 v[148:149], -v[208:209], v[8:9], v[148:149]
	v_fma_f64 v[190:191], -v[208:209], v[10:11], v[190:191]
	ds_read2_b64 v[8:11], v80 offset0:45 offset1:46
	s_waitcnt lgkmcnt(0)
	v_fma_f64 v[146:147], -v[208:209], v[8:9], v[146:147]
	v_fma_f64 v[188:189], -v[208:209], v[10:11], v[188:189]
	ds_read2_b64 v[8:11], v80 offset0:47 offset1:48
	s_waitcnt lgkmcnt(0)
	v_fma_f64 v[144:145], -v[208:209], v[8:9], v[144:145]
	v_fma_f64 v[186:187], -v[208:209], v[10:11], v[186:187]
	ds_read2_b64 v[8:11], v80 offset0:49 offset1:50
	s_waitcnt lgkmcnt(0)
	v_fma_f64 v[142:143], -v[208:209], v[8:9], v[142:143]
	v_fma_f64 v[184:185], -v[208:209], v[10:11], v[184:185]
	ds_read2_b64 v[8:11], v80 offset0:51 offset1:52
	s_waitcnt lgkmcnt(0)
	v_fma_f64 v[140:141], -v[208:209], v[8:9], v[140:141]
	v_fma_f64 v[182:183], -v[208:209], v[10:11], v[182:183]
	ds_read2_b64 v[8:11], v80 offset0:53 offset1:54
	s_waitcnt lgkmcnt(0)
	v_fma_f64 v[138:139], -v[208:209], v[8:9], v[138:139]
	v_fma_f64 v[180:181], -v[208:209], v[10:11], v[180:181]
	ds_read2_b64 v[8:11], v80 offset0:55 offset1:56
	s_waitcnt lgkmcnt(0)
	v_fma_f64 v[136:137], -v[208:209], v[8:9], v[136:137]
	v_fma_f64 v[178:179], -v[208:209], v[10:11], v[178:179]
	ds_read2_b64 v[8:11], v80 offset0:57 offset1:58
	s_waitcnt lgkmcnt(0)
	v_fma_f64 v[134:135], -v[208:209], v[8:9], v[134:135]
	v_fma_f64 v[176:177], -v[208:209], v[10:11], v[176:177]
	ds_read2_b64 v[8:11], v80 offset0:59 offset1:60
	s_waitcnt lgkmcnt(0)
	v_fma_f64 v[132:133], -v[208:209], v[8:9], v[132:133]
	v_fma_f64 v[174:175], -v[208:209], v[10:11], v[174:175]
	ds_read2_b64 v[8:11], v80 offset0:61 offset1:62
	s_waitcnt lgkmcnt(0)
	v_fma_f64 v[130:131], -v[208:209], v[8:9], v[130:131]
	v_fma_f64 v[254:255], -v[208:209], v[10:11], v[254:255]
.LBB125_136:
	s_or_b32 exec_lo, exec_lo, s1
	s_mov_b32 s1, exec_lo
	s_waitcnt lgkmcnt(0)
	s_barrier
	buffer_gl0_inv
	v_cmpx_eq_u32_e32 27, v0
	s_cbranch_execz .LBB125_139
; %bb.137:
	v_mov_b32_e32 v8, v206
	v_mov_b32_e32 v9, v207
	v_mov_b32_e32 v10, v162
	v_mov_b32_e32 v11, v163
	ds_write_b64 v1, v[164:165]
	ds_write2_b64 v80, v[8:9], v[10:11] offset0:28 offset1:29
	v_mov_b32_e32 v8, v204
	v_mov_b32_e32 v9, v205
	v_mov_b32_e32 v10, v160
	v_mov_b32_e32 v11, v161
	ds_write2_b64 v80, v[8:9], v[10:11] offset0:30 offset1:31
	v_mov_b32_e32 v8, v202
	v_mov_b32_e32 v9, v203
	v_mov_b32_e32 v10, v158
	v_mov_b32_e32 v11, v159
	;; [unrolled: 5-line block ×16, first 2 shown]
	ds_write2_b64 v80, v[8:9], v[10:11] offset0:60 offset1:61
	ds_write_b64 v80, v[254:255] offset:496
	ds_read_b64 v[8:9], v1
	s_waitcnt lgkmcnt(0)
	v_cmp_neq_f64_e32 vcc_lo, 0, v[8:9]
	s_and_b32 exec_lo, exec_lo, vcc_lo
	s_cbranch_execz .LBB125_139
; %bb.138:
	v_div_scale_f64 v[10:11], null, v[8:9], v[8:9], 1.0
	v_rcp_f64_e32 v[12:13], v[10:11]
	v_fma_f64 v[14:15], -v[10:11], v[12:13], 1.0
	v_fma_f64 v[12:13], v[12:13], v[14:15], v[12:13]
	v_fma_f64 v[14:15], -v[10:11], v[12:13], 1.0
	v_fma_f64 v[12:13], v[12:13], v[14:15], v[12:13]
	v_div_scale_f64 v[14:15], vcc_lo, 1.0, v[8:9], 1.0
	v_mul_f64 v[16:17], v[14:15], v[12:13]
	v_fma_f64 v[10:11], -v[10:11], v[16:17], v[14:15]
	v_div_fmas_f64 v[10:11], v[10:11], v[12:13], v[16:17]
	v_div_fixup_f64 v[8:9], v[10:11], v[8:9], 1.0
	ds_write_b64 v1, v[8:9]
.LBB125_139:
	s_or_b32 exec_lo, exec_lo, s1
	s_waitcnt lgkmcnt(0)
	s_barrier
	buffer_gl0_inv
	ds_read_b64 v[8:9], v1
	s_mov_b32 s1, exec_lo
	v_cmpx_lt_u32_e32 27, v0
	s_cbranch_execz .LBB125_141
; %bb.140:
	s_waitcnt lgkmcnt(0)
	v_mul_f64 v[164:165], v[8:9], v[164:165]
	ds_read2_b64 v[10:13], v80 offset0:28 offset1:29
	s_waitcnt lgkmcnt(0)
	v_fma_f64 v[206:207], -v[164:165], v[10:11], v[206:207]
	v_fma_f64 v[162:163], -v[164:165], v[12:13], v[162:163]
	ds_read2_b64 v[10:13], v80 offset0:30 offset1:31
	s_waitcnt lgkmcnt(0)
	v_fma_f64 v[204:205], -v[164:165], v[10:11], v[204:205]
	v_fma_f64 v[160:161], -v[164:165], v[12:13], v[160:161]
	;; [unrolled: 4-line block ×16, first 2 shown]
	ds_read2_b64 v[10:13], v80 offset0:60 offset1:61
	s_waitcnt lgkmcnt(0)
	v_fma_f64 v[174:175], -v[164:165], v[10:11], v[174:175]
	ds_read_b64 v[10:11], v80 offset:496
	v_fma_f64 v[130:131], -v[164:165], v[12:13], v[130:131]
	s_waitcnt lgkmcnt(0)
	v_fma_f64 v[254:255], -v[164:165], v[10:11], v[254:255]
.LBB125_141:
	s_or_b32 exec_lo, exec_lo, s1
	s_mov_b32 s1, exec_lo
	s_waitcnt lgkmcnt(0)
	s_barrier
	buffer_gl0_inv
	v_cmpx_eq_u32_e32 28, v0
	s_cbranch_execz .LBB125_144
; %bb.142:
	ds_write_b64 v1, v[206:207]
	ds_write2_b64 v80, v[162:163], v[204:205] offset0:29 offset1:30
	ds_write2_b64 v80, v[160:161], v[202:203] offset0:31 offset1:32
	;; [unrolled: 1-line block ×17, first 2 shown]
	ds_read_b64 v[10:11], v1
	s_waitcnt lgkmcnt(0)
	v_cmp_neq_f64_e32 vcc_lo, 0, v[10:11]
	s_and_b32 exec_lo, exec_lo, vcc_lo
	s_cbranch_execz .LBB125_144
; %bb.143:
	v_div_scale_f64 v[12:13], null, v[10:11], v[10:11], 1.0
	v_rcp_f64_e32 v[14:15], v[12:13]
	v_fma_f64 v[16:17], -v[12:13], v[14:15], 1.0
	v_fma_f64 v[14:15], v[14:15], v[16:17], v[14:15]
	v_fma_f64 v[16:17], -v[12:13], v[14:15], 1.0
	v_fma_f64 v[14:15], v[14:15], v[16:17], v[14:15]
	v_div_scale_f64 v[16:17], vcc_lo, 1.0, v[10:11], 1.0
	v_mul_f64 v[18:19], v[16:17], v[14:15]
	v_fma_f64 v[12:13], -v[12:13], v[18:19], v[16:17]
	v_div_fmas_f64 v[12:13], v[12:13], v[14:15], v[18:19]
	v_div_fixup_f64 v[10:11], v[12:13], v[10:11], 1.0
	ds_write_b64 v1, v[10:11]
.LBB125_144:
	s_or_b32 exec_lo, exec_lo, s1
	s_waitcnt lgkmcnt(0)
	s_barrier
	buffer_gl0_inv
	ds_read_b64 v[10:11], v1
	s_mov_b32 s1, exec_lo
	v_cmpx_lt_u32_e32 28, v0
	s_cbranch_execz .LBB125_146
; %bb.145:
	s_waitcnt lgkmcnt(0)
	v_mul_f64 v[206:207], v[10:11], v[206:207]
	ds_read2_b64 v[12:15], v80 offset0:29 offset1:30
	s_waitcnt lgkmcnt(0)
	v_fma_f64 v[162:163], -v[206:207], v[12:13], v[162:163]
	v_fma_f64 v[204:205], -v[206:207], v[14:15], v[204:205]
	ds_read2_b64 v[12:15], v80 offset0:31 offset1:32
	s_waitcnt lgkmcnt(0)
	v_fma_f64 v[160:161], -v[206:207], v[12:13], v[160:161]
	v_fma_f64 v[202:203], -v[206:207], v[14:15], v[202:203]
	ds_read2_b64 v[12:15], v80 offset0:33 offset1:34
	s_waitcnt lgkmcnt(0)
	v_fma_f64 v[158:159], -v[206:207], v[12:13], v[158:159]
	v_fma_f64 v[200:201], -v[206:207], v[14:15], v[200:201]
	ds_read2_b64 v[12:15], v80 offset0:35 offset1:36
	s_waitcnt lgkmcnt(0)
	v_fma_f64 v[156:157], -v[206:207], v[12:13], v[156:157]
	v_fma_f64 v[198:199], -v[206:207], v[14:15], v[198:199]
	ds_read2_b64 v[12:15], v80 offset0:37 offset1:38
	s_waitcnt lgkmcnt(0)
	v_fma_f64 v[154:155], -v[206:207], v[12:13], v[154:155]
	v_fma_f64 v[196:197], -v[206:207], v[14:15], v[196:197]
	ds_read2_b64 v[12:15], v80 offset0:39 offset1:40
	s_waitcnt lgkmcnt(0)
	v_fma_f64 v[152:153], -v[206:207], v[12:13], v[152:153]
	v_fma_f64 v[194:195], -v[206:207], v[14:15], v[194:195]
	ds_read2_b64 v[12:15], v80 offset0:41 offset1:42
	s_waitcnt lgkmcnt(0)
	v_fma_f64 v[150:151], -v[206:207], v[12:13], v[150:151]
	v_fma_f64 v[192:193], -v[206:207], v[14:15], v[192:193]
	ds_read2_b64 v[12:15], v80 offset0:43 offset1:44
	s_waitcnt lgkmcnt(0)
	v_fma_f64 v[148:149], -v[206:207], v[12:13], v[148:149]
	v_fma_f64 v[190:191], -v[206:207], v[14:15], v[190:191]
	ds_read2_b64 v[12:15], v80 offset0:45 offset1:46
	s_waitcnt lgkmcnt(0)
	v_fma_f64 v[146:147], -v[206:207], v[12:13], v[146:147]
	v_fma_f64 v[188:189], -v[206:207], v[14:15], v[188:189]
	ds_read2_b64 v[12:15], v80 offset0:47 offset1:48
	s_waitcnt lgkmcnt(0)
	v_fma_f64 v[144:145], -v[206:207], v[12:13], v[144:145]
	v_fma_f64 v[186:187], -v[206:207], v[14:15], v[186:187]
	ds_read2_b64 v[12:15], v80 offset0:49 offset1:50
	s_waitcnt lgkmcnt(0)
	v_fma_f64 v[142:143], -v[206:207], v[12:13], v[142:143]
	v_fma_f64 v[184:185], -v[206:207], v[14:15], v[184:185]
	ds_read2_b64 v[12:15], v80 offset0:51 offset1:52
	s_waitcnt lgkmcnt(0)
	v_fma_f64 v[140:141], -v[206:207], v[12:13], v[140:141]
	v_fma_f64 v[182:183], -v[206:207], v[14:15], v[182:183]
	ds_read2_b64 v[12:15], v80 offset0:53 offset1:54
	s_waitcnt lgkmcnt(0)
	v_fma_f64 v[138:139], -v[206:207], v[12:13], v[138:139]
	v_fma_f64 v[180:181], -v[206:207], v[14:15], v[180:181]
	ds_read2_b64 v[12:15], v80 offset0:55 offset1:56
	s_waitcnt lgkmcnt(0)
	v_fma_f64 v[136:137], -v[206:207], v[12:13], v[136:137]
	v_fma_f64 v[178:179], -v[206:207], v[14:15], v[178:179]
	ds_read2_b64 v[12:15], v80 offset0:57 offset1:58
	s_waitcnt lgkmcnt(0)
	v_fma_f64 v[134:135], -v[206:207], v[12:13], v[134:135]
	v_fma_f64 v[176:177], -v[206:207], v[14:15], v[176:177]
	ds_read2_b64 v[12:15], v80 offset0:59 offset1:60
	s_waitcnt lgkmcnt(0)
	v_fma_f64 v[132:133], -v[206:207], v[12:13], v[132:133]
	v_fma_f64 v[174:175], -v[206:207], v[14:15], v[174:175]
	ds_read2_b64 v[12:15], v80 offset0:61 offset1:62
	s_waitcnt lgkmcnt(0)
	v_fma_f64 v[130:131], -v[206:207], v[12:13], v[130:131]
	v_fma_f64 v[254:255], -v[206:207], v[14:15], v[254:255]
.LBB125_146:
	s_or_b32 exec_lo, exec_lo, s1
	s_mov_b32 s1, exec_lo
	s_waitcnt lgkmcnt(0)
	s_barrier
	buffer_gl0_inv
	v_cmpx_eq_u32_e32 29, v0
	s_cbranch_execz .LBB125_149
; %bb.147:
	v_mov_b32_e32 v12, v204
	v_mov_b32_e32 v13, v205
	;; [unrolled: 1-line block ×4, first 2 shown]
	ds_write_b64 v1, v[162:163]
	ds_write2_b64 v80, v[12:13], v[14:15] offset0:30 offset1:31
	v_mov_b32_e32 v12, v202
	v_mov_b32_e32 v13, v203
	v_mov_b32_e32 v14, v158
	v_mov_b32_e32 v15, v159
	ds_write2_b64 v80, v[12:13], v[14:15] offset0:32 offset1:33
	v_mov_b32_e32 v12, v200
	v_mov_b32_e32 v13, v201
	v_mov_b32_e32 v14, v156
	v_mov_b32_e32 v15, v157
	;; [unrolled: 5-line block ×15, first 2 shown]
	ds_write2_b64 v80, v[12:13], v[14:15] offset0:60 offset1:61
	ds_write_b64 v80, v[254:255] offset:496
	ds_read_b64 v[12:13], v1
	s_waitcnt lgkmcnt(0)
	v_cmp_neq_f64_e32 vcc_lo, 0, v[12:13]
	s_and_b32 exec_lo, exec_lo, vcc_lo
	s_cbranch_execz .LBB125_149
; %bb.148:
	v_div_scale_f64 v[14:15], null, v[12:13], v[12:13], 1.0
	v_rcp_f64_e32 v[16:17], v[14:15]
	v_fma_f64 v[18:19], -v[14:15], v[16:17], 1.0
	v_fma_f64 v[16:17], v[16:17], v[18:19], v[16:17]
	v_fma_f64 v[18:19], -v[14:15], v[16:17], 1.0
	v_fma_f64 v[16:17], v[16:17], v[18:19], v[16:17]
	v_div_scale_f64 v[18:19], vcc_lo, 1.0, v[12:13], 1.0
	v_mul_f64 v[20:21], v[18:19], v[16:17]
	v_fma_f64 v[14:15], -v[14:15], v[20:21], v[18:19]
	v_div_fmas_f64 v[14:15], v[14:15], v[16:17], v[20:21]
	v_div_fixup_f64 v[12:13], v[14:15], v[12:13], 1.0
	ds_write_b64 v1, v[12:13]
.LBB125_149:
	s_or_b32 exec_lo, exec_lo, s1
	s_waitcnt lgkmcnt(0)
	s_barrier
	buffer_gl0_inv
	ds_read_b64 v[12:13], v1
	s_mov_b32 s1, exec_lo
	v_cmpx_lt_u32_e32 29, v0
	s_cbranch_execz .LBB125_151
; %bb.150:
	s_waitcnt lgkmcnt(0)
	v_mul_f64 v[162:163], v[12:13], v[162:163]
	ds_read2_b64 v[14:17], v80 offset0:30 offset1:31
	s_waitcnt lgkmcnt(0)
	v_fma_f64 v[204:205], -v[162:163], v[14:15], v[204:205]
	v_fma_f64 v[160:161], -v[162:163], v[16:17], v[160:161]
	ds_read2_b64 v[14:17], v80 offset0:32 offset1:33
	s_waitcnt lgkmcnt(0)
	v_fma_f64 v[202:203], -v[162:163], v[14:15], v[202:203]
	v_fma_f64 v[158:159], -v[162:163], v[16:17], v[158:159]
	ds_read2_b64 v[14:17], v80 offset0:34 offset1:35
	s_waitcnt lgkmcnt(0)
	v_fma_f64 v[200:201], -v[162:163], v[14:15], v[200:201]
	v_fma_f64 v[156:157], -v[162:163], v[16:17], v[156:157]
	ds_read2_b64 v[14:17], v80 offset0:36 offset1:37
	s_waitcnt lgkmcnt(0)
	v_fma_f64 v[198:199], -v[162:163], v[14:15], v[198:199]
	v_fma_f64 v[154:155], -v[162:163], v[16:17], v[154:155]
	ds_read2_b64 v[14:17], v80 offset0:38 offset1:39
	s_waitcnt lgkmcnt(0)
	v_fma_f64 v[196:197], -v[162:163], v[14:15], v[196:197]
	v_fma_f64 v[152:153], -v[162:163], v[16:17], v[152:153]
	ds_read2_b64 v[14:17], v80 offset0:40 offset1:41
	s_waitcnt lgkmcnt(0)
	v_fma_f64 v[194:195], -v[162:163], v[14:15], v[194:195]
	v_fma_f64 v[150:151], -v[162:163], v[16:17], v[150:151]
	ds_read2_b64 v[14:17], v80 offset0:42 offset1:43
	s_waitcnt lgkmcnt(0)
	v_fma_f64 v[192:193], -v[162:163], v[14:15], v[192:193]
	v_fma_f64 v[148:149], -v[162:163], v[16:17], v[148:149]
	ds_read2_b64 v[14:17], v80 offset0:44 offset1:45
	s_waitcnt lgkmcnt(0)
	v_fma_f64 v[190:191], -v[162:163], v[14:15], v[190:191]
	v_fma_f64 v[146:147], -v[162:163], v[16:17], v[146:147]
	ds_read2_b64 v[14:17], v80 offset0:46 offset1:47
	s_waitcnt lgkmcnt(0)
	v_fma_f64 v[188:189], -v[162:163], v[14:15], v[188:189]
	v_fma_f64 v[144:145], -v[162:163], v[16:17], v[144:145]
	ds_read2_b64 v[14:17], v80 offset0:48 offset1:49
	s_waitcnt lgkmcnt(0)
	v_fma_f64 v[186:187], -v[162:163], v[14:15], v[186:187]
	v_fma_f64 v[142:143], -v[162:163], v[16:17], v[142:143]
	ds_read2_b64 v[14:17], v80 offset0:50 offset1:51
	s_waitcnt lgkmcnt(0)
	v_fma_f64 v[184:185], -v[162:163], v[14:15], v[184:185]
	v_fma_f64 v[140:141], -v[162:163], v[16:17], v[140:141]
	ds_read2_b64 v[14:17], v80 offset0:52 offset1:53
	s_waitcnt lgkmcnt(0)
	v_fma_f64 v[182:183], -v[162:163], v[14:15], v[182:183]
	v_fma_f64 v[138:139], -v[162:163], v[16:17], v[138:139]
	ds_read2_b64 v[14:17], v80 offset0:54 offset1:55
	s_waitcnt lgkmcnt(0)
	v_fma_f64 v[180:181], -v[162:163], v[14:15], v[180:181]
	v_fma_f64 v[136:137], -v[162:163], v[16:17], v[136:137]
	ds_read2_b64 v[14:17], v80 offset0:56 offset1:57
	s_waitcnt lgkmcnt(0)
	v_fma_f64 v[178:179], -v[162:163], v[14:15], v[178:179]
	v_fma_f64 v[134:135], -v[162:163], v[16:17], v[134:135]
	ds_read2_b64 v[14:17], v80 offset0:58 offset1:59
	s_waitcnt lgkmcnt(0)
	v_fma_f64 v[176:177], -v[162:163], v[14:15], v[176:177]
	v_fma_f64 v[132:133], -v[162:163], v[16:17], v[132:133]
	ds_read2_b64 v[14:17], v80 offset0:60 offset1:61
	s_waitcnt lgkmcnt(0)
	v_fma_f64 v[174:175], -v[162:163], v[14:15], v[174:175]
	ds_read_b64 v[14:15], v80 offset:496
	v_fma_f64 v[130:131], -v[162:163], v[16:17], v[130:131]
	s_waitcnt lgkmcnt(0)
	v_fma_f64 v[254:255], -v[162:163], v[14:15], v[254:255]
.LBB125_151:
	s_or_b32 exec_lo, exec_lo, s1
	s_mov_b32 s1, exec_lo
	s_waitcnt lgkmcnt(0)
	s_barrier
	buffer_gl0_inv
	v_cmpx_eq_u32_e32 30, v0
	s_cbranch_execz .LBB125_154
; %bb.152:
	ds_write_b64 v1, v[204:205]
	ds_write2_b64 v80, v[160:161], v[202:203] offset0:31 offset1:32
	ds_write2_b64 v80, v[158:159], v[200:201] offset0:33 offset1:34
	;; [unrolled: 1-line block ×16, first 2 shown]
	ds_read_b64 v[14:15], v1
	s_waitcnt lgkmcnt(0)
	v_cmp_neq_f64_e32 vcc_lo, 0, v[14:15]
	s_and_b32 exec_lo, exec_lo, vcc_lo
	s_cbranch_execz .LBB125_154
; %bb.153:
	v_div_scale_f64 v[16:17], null, v[14:15], v[14:15], 1.0
	v_rcp_f64_e32 v[18:19], v[16:17]
	v_fma_f64 v[20:21], -v[16:17], v[18:19], 1.0
	v_fma_f64 v[18:19], v[18:19], v[20:21], v[18:19]
	v_fma_f64 v[20:21], -v[16:17], v[18:19], 1.0
	v_fma_f64 v[18:19], v[18:19], v[20:21], v[18:19]
	v_div_scale_f64 v[20:21], vcc_lo, 1.0, v[14:15], 1.0
	v_mul_f64 v[22:23], v[20:21], v[18:19]
	v_fma_f64 v[16:17], -v[16:17], v[22:23], v[20:21]
	v_div_fmas_f64 v[16:17], v[16:17], v[18:19], v[22:23]
	v_div_fixup_f64 v[14:15], v[16:17], v[14:15], 1.0
	ds_write_b64 v1, v[14:15]
.LBB125_154:
	s_or_b32 exec_lo, exec_lo, s1
	s_waitcnt lgkmcnt(0)
	s_barrier
	buffer_gl0_inv
	ds_read_b64 v[14:15], v1
	s_mov_b32 s1, exec_lo
	v_cmpx_lt_u32_e32 30, v0
	s_cbranch_execz .LBB125_156
; %bb.155:
	s_waitcnt lgkmcnt(0)
	v_mul_f64 v[204:205], v[14:15], v[204:205]
	ds_read2_b64 v[16:19], v80 offset0:31 offset1:32
	s_waitcnt lgkmcnt(0)
	v_fma_f64 v[160:161], -v[204:205], v[16:17], v[160:161]
	v_fma_f64 v[202:203], -v[204:205], v[18:19], v[202:203]
	ds_read2_b64 v[16:19], v80 offset0:33 offset1:34
	s_waitcnt lgkmcnt(0)
	v_fma_f64 v[158:159], -v[204:205], v[16:17], v[158:159]
	v_fma_f64 v[200:201], -v[204:205], v[18:19], v[200:201]
	;; [unrolled: 4-line block ×16, first 2 shown]
.LBB125_156:
	s_or_b32 exec_lo, exec_lo, s1
	s_mov_b32 s1, exec_lo
	s_waitcnt lgkmcnt(0)
	s_barrier
	buffer_gl0_inv
	v_cmpx_eq_u32_e32 31, v0
	s_cbranch_execz .LBB125_159
; %bb.157:
	v_mov_b32_e32 v16, v202
	v_mov_b32_e32 v17, v203
	;; [unrolled: 1-line block ×4, first 2 shown]
	ds_write_b64 v1, v[160:161]
	ds_write2_b64 v80, v[16:17], v[18:19] offset0:32 offset1:33
	v_mov_b32_e32 v16, v200
	v_mov_b32_e32 v17, v201
	v_mov_b32_e32 v18, v156
	v_mov_b32_e32 v19, v157
	ds_write2_b64 v80, v[16:17], v[18:19] offset0:34 offset1:35
	v_mov_b32_e32 v16, v198
	v_mov_b32_e32 v17, v199
	v_mov_b32_e32 v18, v154
	v_mov_b32_e32 v19, v155
	;; [unrolled: 5-line block ×14, first 2 shown]
	ds_write2_b64 v80, v[16:17], v[18:19] offset0:60 offset1:61
	ds_write_b64 v80, v[254:255] offset:496
	ds_read_b64 v[16:17], v1
	s_waitcnt lgkmcnt(0)
	v_cmp_neq_f64_e32 vcc_lo, 0, v[16:17]
	s_and_b32 exec_lo, exec_lo, vcc_lo
	s_cbranch_execz .LBB125_159
; %bb.158:
	v_div_scale_f64 v[18:19], null, v[16:17], v[16:17], 1.0
	v_rcp_f64_e32 v[20:21], v[18:19]
	v_fma_f64 v[22:23], -v[18:19], v[20:21], 1.0
	v_fma_f64 v[20:21], v[20:21], v[22:23], v[20:21]
	v_fma_f64 v[22:23], -v[18:19], v[20:21], 1.0
	v_fma_f64 v[20:21], v[20:21], v[22:23], v[20:21]
	v_div_scale_f64 v[22:23], vcc_lo, 1.0, v[16:17], 1.0
	v_mul_f64 v[24:25], v[22:23], v[20:21]
	v_fma_f64 v[18:19], -v[18:19], v[24:25], v[22:23]
	v_div_fmas_f64 v[18:19], v[18:19], v[20:21], v[24:25]
	v_div_fixup_f64 v[16:17], v[18:19], v[16:17], 1.0
	ds_write_b64 v1, v[16:17]
.LBB125_159:
	s_or_b32 exec_lo, exec_lo, s1
	s_waitcnt lgkmcnt(0)
	s_barrier
	buffer_gl0_inv
	ds_read_b64 v[16:17], v1
	s_mov_b32 s1, exec_lo
	v_cmpx_lt_u32_e32 31, v0
	s_cbranch_execz .LBB125_161
; %bb.160:
	s_waitcnt lgkmcnt(0)
	v_mul_f64 v[160:161], v[16:17], v[160:161]
	ds_read2_b64 v[18:21], v80 offset0:32 offset1:33
	s_waitcnt lgkmcnt(0)
	v_fma_f64 v[202:203], -v[160:161], v[18:19], v[202:203]
	v_fma_f64 v[158:159], -v[160:161], v[20:21], v[158:159]
	ds_read2_b64 v[18:21], v80 offset0:34 offset1:35
	s_waitcnt lgkmcnt(0)
	v_fma_f64 v[200:201], -v[160:161], v[18:19], v[200:201]
	v_fma_f64 v[156:157], -v[160:161], v[20:21], v[156:157]
	;; [unrolled: 4-line block ×14, first 2 shown]
	ds_read2_b64 v[18:21], v80 offset0:60 offset1:61
	s_waitcnt lgkmcnt(0)
	v_fma_f64 v[174:175], -v[160:161], v[18:19], v[174:175]
	ds_read_b64 v[18:19], v80 offset:496
	v_fma_f64 v[130:131], -v[160:161], v[20:21], v[130:131]
	s_waitcnt lgkmcnt(0)
	v_fma_f64 v[254:255], -v[160:161], v[18:19], v[254:255]
.LBB125_161:
	s_or_b32 exec_lo, exec_lo, s1
	s_mov_b32 s1, exec_lo
	s_waitcnt lgkmcnt(0)
	s_barrier
	buffer_gl0_inv
	v_cmpx_eq_u32_e32 32, v0
	s_cbranch_execz .LBB125_164
; %bb.162:
	ds_write_b64 v1, v[202:203]
	ds_write2_b64 v80, v[158:159], v[200:201] offset0:33 offset1:34
	ds_write2_b64 v80, v[156:157], v[198:199] offset0:35 offset1:36
	ds_write2_b64 v80, v[154:155], v[196:197] offset0:37 offset1:38
	ds_write2_b64 v80, v[152:153], v[194:195] offset0:39 offset1:40
	ds_write2_b64 v80, v[150:151], v[192:193] offset0:41 offset1:42
	ds_write2_b64 v80, v[148:149], v[190:191] offset0:43 offset1:44
	ds_write2_b64 v80, v[146:147], v[188:189] offset0:45 offset1:46
	ds_write2_b64 v80, v[144:145], v[186:187] offset0:47 offset1:48
	ds_write2_b64 v80, v[142:143], v[184:185] offset0:49 offset1:50
	ds_write2_b64 v80, v[140:141], v[182:183] offset0:51 offset1:52
	ds_write2_b64 v80, v[138:139], v[180:181] offset0:53 offset1:54
	ds_write2_b64 v80, v[136:137], v[178:179] offset0:55 offset1:56
	ds_write2_b64 v80, v[134:135], v[176:177] offset0:57 offset1:58
	ds_write2_b64 v80, v[132:133], v[174:175] offset0:59 offset1:60
	ds_write2_b64 v80, v[130:131], v[254:255] offset0:61 offset1:62
	ds_read_b64 v[18:19], v1
	s_waitcnt lgkmcnt(0)
	v_cmp_neq_f64_e32 vcc_lo, 0, v[18:19]
	s_and_b32 exec_lo, exec_lo, vcc_lo
	s_cbranch_execz .LBB125_164
; %bb.163:
	v_div_scale_f64 v[20:21], null, v[18:19], v[18:19], 1.0
	v_rcp_f64_e32 v[22:23], v[20:21]
	v_fma_f64 v[24:25], -v[20:21], v[22:23], 1.0
	v_fma_f64 v[22:23], v[22:23], v[24:25], v[22:23]
	v_fma_f64 v[24:25], -v[20:21], v[22:23], 1.0
	v_fma_f64 v[22:23], v[22:23], v[24:25], v[22:23]
	v_div_scale_f64 v[24:25], vcc_lo, 1.0, v[18:19], 1.0
	v_mul_f64 v[26:27], v[24:25], v[22:23]
	v_fma_f64 v[20:21], -v[20:21], v[26:27], v[24:25]
	v_div_fmas_f64 v[20:21], v[20:21], v[22:23], v[26:27]
	v_div_fixup_f64 v[18:19], v[20:21], v[18:19], 1.0
	ds_write_b64 v1, v[18:19]
.LBB125_164:
	s_or_b32 exec_lo, exec_lo, s1
	s_waitcnt lgkmcnt(0)
	s_barrier
	buffer_gl0_inv
	ds_read_b64 v[18:19], v1
	s_mov_b32 s1, exec_lo
	v_cmpx_lt_u32_e32 32, v0
	s_cbranch_execz .LBB125_166
; %bb.165:
	s_waitcnt lgkmcnt(0)
	v_mul_f64 v[202:203], v[18:19], v[202:203]
	ds_read2_b64 v[20:23], v80 offset0:33 offset1:34
	s_waitcnt lgkmcnt(0)
	v_fma_f64 v[158:159], -v[202:203], v[20:21], v[158:159]
	v_fma_f64 v[200:201], -v[202:203], v[22:23], v[200:201]
	ds_read2_b64 v[20:23], v80 offset0:35 offset1:36
	s_waitcnt lgkmcnt(0)
	v_fma_f64 v[156:157], -v[202:203], v[20:21], v[156:157]
	v_fma_f64 v[198:199], -v[202:203], v[22:23], v[198:199]
	;; [unrolled: 4-line block ×15, first 2 shown]
.LBB125_166:
	s_or_b32 exec_lo, exec_lo, s1
	s_mov_b32 s1, exec_lo
	s_waitcnt lgkmcnt(0)
	s_barrier
	buffer_gl0_inv
	v_cmpx_eq_u32_e32 33, v0
	s_cbranch_execz .LBB125_169
; %bb.167:
	v_mov_b32_e32 v20, v200
	v_mov_b32_e32 v21, v201
	;; [unrolled: 1-line block ×4, first 2 shown]
	ds_write_b64 v1, v[158:159]
	ds_write2_b64 v80, v[20:21], v[22:23] offset0:34 offset1:35
	v_mov_b32_e32 v20, v198
	v_mov_b32_e32 v21, v199
	v_mov_b32_e32 v22, v154
	v_mov_b32_e32 v23, v155
	ds_write2_b64 v80, v[20:21], v[22:23] offset0:36 offset1:37
	v_mov_b32_e32 v20, v196
	v_mov_b32_e32 v21, v197
	v_mov_b32_e32 v22, v152
	v_mov_b32_e32 v23, v153
	;; [unrolled: 5-line block ×13, first 2 shown]
	ds_write2_b64 v80, v[20:21], v[22:23] offset0:60 offset1:61
	ds_write_b64 v80, v[254:255] offset:496
	ds_read_b64 v[20:21], v1
	s_waitcnt lgkmcnt(0)
	v_cmp_neq_f64_e32 vcc_lo, 0, v[20:21]
	s_and_b32 exec_lo, exec_lo, vcc_lo
	s_cbranch_execz .LBB125_169
; %bb.168:
	v_div_scale_f64 v[22:23], null, v[20:21], v[20:21], 1.0
	v_rcp_f64_e32 v[24:25], v[22:23]
	v_fma_f64 v[26:27], -v[22:23], v[24:25], 1.0
	v_fma_f64 v[24:25], v[24:25], v[26:27], v[24:25]
	v_fma_f64 v[26:27], -v[22:23], v[24:25], 1.0
	v_fma_f64 v[24:25], v[24:25], v[26:27], v[24:25]
	v_div_scale_f64 v[26:27], vcc_lo, 1.0, v[20:21], 1.0
	v_mul_f64 v[28:29], v[26:27], v[24:25]
	v_fma_f64 v[22:23], -v[22:23], v[28:29], v[26:27]
	v_div_fmas_f64 v[22:23], v[22:23], v[24:25], v[28:29]
	v_div_fixup_f64 v[20:21], v[22:23], v[20:21], 1.0
	ds_write_b64 v1, v[20:21]
.LBB125_169:
	s_or_b32 exec_lo, exec_lo, s1
	s_waitcnt lgkmcnt(0)
	s_barrier
	buffer_gl0_inv
	ds_read_b64 v[20:21], v1
	s_mov_b32 s1, exec_lo
	v_cmpx_lt_u32_e32 33, v0
	s_cbranch_execz .LBB125_171
; %bb.170:
	s_waitcnt lgkmcnt(0)
	v_mul_f64 v[158:159], v[20:21], v[158:159]
	ds_read2_b64 v[22:25], v80 offset0:34 offset1:35
	s_waitcnt lgkmcnt(0)
	v_fma_f64 v[200:201], -v[158:159], v[22:23], v[200:201]
	v_fma_f64 v[156:157], -v[158:159], v[24:25], v[156:157]
	ds_read2_b64 v[22:25], v80 offset0:36 offset1:37
	s_waitcnt lgkmcnt(0)
	v_fma_f64 v[198:199], -v[158:159], v[22:23], v[198:199]
	v_fma_f64 v[154:155], -v[158:159], v[24:25], v[154:155]
	;; [unrolled: 4-line block ×13, first 2 shown]
	ds_read2_b64 v[22:25], v80 offset0:60 offset1:61
	s_waitcnt lgkmcnt(0)
	v_fma_f64 v[174:175], -v[158:159], v[22:23], v[174:175]
	ds_read_b64 v[22:23], v80 offset:496
	v_fma_f64 v[130:131], -v[158:159], v[24:25], v[130:131]
	s_waitcnt lgkmcnt(0)
	v_fma_f64 v[254:255], -v[158:159], v[22:23], v[254:255]
.LBB125_171:
	s_or_b32 exec_lo, exec_lo, s1
	s_mov_b32 s1, exec_lo
	s_waitcnt lgkmcnt(0)
	s_barrier
	buffer_gl0_inv
	v_cmpx_eq_u32_e32 34, v0
	s_cbranch_execz .LBB125_174
; %bb.172:
	ds_write_b64 v1, v[200:201]
	ds_write2_b64 v80, v[156:157], v[198:199] offset0:35 offset1:36
	ds_write2_b64 v80, v[154:155], v[196:197] offset0:37 offset1:38
	;; [unrolled: 1-line block ×14, first 2 shown]
	ds_read_b64 v[22:23], v1
	s_waitcnt lgkmcnt(0)
	v_cmp_neq_f64_e32 vcc_lo, 0, v[22:23]
	s_and_b32 exec_lo, exec_lo, vcc_lo
	s_cbranch_execz .LBB125_174
; %bb.173:
	v_div_scale_f64 v[24:25], null, v[22:23], v[22:23], 1.0
	v_rcp_f64_e32 v[26:27], v[24:25]
	v_fma_f64 v[28:29], -v[24:25], v[26:27], 1.0
	v_fma_f64 v[26:27], v[26:27], v[28:29], v[26:27]
	v_fma_f64 v[28:29], -v[24:25], v[26:27], 1.0
	v_fma_f64 v[26:27], v[26:27], v[28:29], v[26:27]
	v_div_scale_f64 v[28:29], vcc_lo, 1.0, v[22:23], 1.0
	v_mul_f64 v[30:31], v[28:29], v[26:27]
	v_fma_f64 v[24:25], -v[24:25], v[30:31], v[28:29]
	v_div_fmas_f64 v[24:25], v[24:25], v[26:27], v[30:31]
	v_div_fixup_f64 v[22:23], v[24:25], v[22:23], 1.0
	ds_write_b64 v1, v[22:23]
.LBB125_174:
	s_or_b32 exec_lo, exec_lo, s1
	s_waitcnt lgkmcnt(0)
	s_barrier
	buffer_gl0_inv
	ds_read_b64 v[22:23], v1
	s_mov_b32 s1, exec_lo
	v_cmpx_lt_u32_e32 34, v0
	s_cbranch_execz .LBB125_176
; %bb.175:
	s_waitcnt lgkmcnt(0)
	v_mul_f64 v[200:201], v[22:23], v[200:201]
	ds_read2_b64 v[24:27], v80 offset0:35 offset1:36
	s_waitcnt lgkmcnt(0)
	v_fma_f64 v[156:157], -v[200:201], v[24:25], v[156:157]
	v_fma_f64 v[198:199], -v[200:201], v[26:27], v[198:199]
	ds_read2_b64 v[24:27], v80 offset0:37 offset1:38
	s_waitcnt lgkmcnt(0)
	v_fma_f64 v[154:155], -v[200:201], v[24:25], v[154:155]
	v_fma_f64 v[196:197], -v[200:201], v[26:27], v[196:197]
	;; [unrolled: 4-line block ×14, first 2 shown]
.LBB125_176:
	s_or_b32 exec_lo, exec_lo, s1
	s_mov_b32 s1, exec_lo
	s_waitcnt lgkmcnt(0)
	s_barrier
	buffer_gl0_inv
	v_cmpx_eq_u32_e32 35, v0
	s_cbranch_execz .LBB125_179
; %bb.177:
	v_mov_b32_e32 v24, v198
	v_mov_b32_e32 v25, v199
	;; [unrolled: 1-line block ×4, first 2 shown]
	ds_write_b64 v1, v[156:157]
	ds_write2_b64 v80, v[24:25], v[26:27] offset0:36 offset1:37
	v_mov_b32_e32 v24, v196
	v_mov_b32_e32 v25, v197
	v_mov_b32_e32 v26, v152
	v_mov_b32_e32 v27, v153
	ds_write2_b64 v80, v[24:25], v[26:27] offset0:38 offset1:39
	v_mov_b32_e32 v24, v194
	v_mov_b32_e32 v25, v195
	v_mov_b32_e32 v26, v150
	v_mov_b32_e32 v27, v151
	;; [unrolled: 5-line block ×12, first 2 shown]
	ds_write2_b64 v80, v[24:25], v[26:27] offset0:60 offset1:61
	ds_write_b64 v80, v[254:255] offset:496
	ds_read_b64 v[24:25], v1
	s_waitcnt lgkmcnt(0)
	v_cmp_neq_f64_e32 vcc_lo, 0, v[24:25]
	s_and_b32 exec_lo, exec_lo, vcc_lo
	s_cbranch_execz .LBB125_179
; %bb.178:
	v_div_scale_f64 v[26:27], null, v[24:25], v[24:25], 1.0
	v_rcp_f64_e32 v[28:29], v[26:27]
	v_fma_f64 v[30:31], -v[26:27], v[28:29], 1.0
	v_fma_f64 v[28:29], v[28:29], v[30:31], v[28:29]
	v_fma_f64 v[30:31], -v[26:27], v[28:29], 1.0
	v_fma_f64 v[28:29], v[28:29], v[30:31], v[28:29]
	v_div_scale_f64 v[30:31], vcc_lo, 1.0, v[24:25], 1.0
	v_mul_f64 v[32:33], v[30:31], v[28:29]
	v_fma_f64 v[26:27], -v[26:27], v[32:33], v[30:31]
	v_div_fmas_f64 v[26:27], v[26:27], v[28:29], v[32:33]
	v_div_fixup_f64 v[24:25], v[26:27], v[24:25], 1.0
	ds_write_b64 v1, v[24:25]
.LBB125_179:
	s_or_b32 exec_lo, exec_lo, s1
	s_waitcnt lgkmcnt(0)
	s_barrier
	buffer_gl0_inv
	ds_read_b64 v[24:25], v1
	s_mov_b32 s1, exec_lo
	v_cmpx_lt_u32_e32 35, v0
	s_cbranch_execz .LBB125_181
; %bb.180:
	s_waitcnt lgkmcnt(0)
	v_mul_f64 v[156:157], v[24:25], v[156:157]
	ds_read2_b64 v[26:29], v80 offset0:36 offset1:37
	s_waitcnt lgkmcnt(0)
	v_fma_f64 v[198:199], -v[156:157], v[26:27], v[198:199]
	v_fma_f64 v[154:155], -v[156:157], v[28:29], v[154:155]
	ds_read2_b64 v[26:29], v80 offset0:38 offset1:39
	s_waitcnt lgkmcnt(0)
	v_fma_f64 v[196:197], -v[156:157], v[26:27], v[196:197]
	v_fma_f64 v[152:153], -v[156:157], v[28:29], v[152:153]
	;; [unrolled: 4-line block ×12, first 2 shown]
	ds_read2_b64 v[26:29], v80 offset0:60 offset1:61
	s_waitcnt lgkmcnt(0)
	v_fma_f64 v[174:175], -v[156:157], v[26:27], v[174:175]
	ds_read_b64 v[26:27], v80 offset:496
	v_fma_f64 v[130:131], -v[156:157], v[28:29], v[130:131]
	s_waitcnt lgkmcnt(0)
	v_fma_f64 v[254:255], -v[156:157], v[26:27], v[254:255]
.LBB125_181:
	s_or_b32 exec_lo, exec_lo, s1
	s_mov_b32 s1, exec_lo
	s_waitcnt lgkmcnt(0)
	s_barrier
	buffer_gl0_inv
	v_cmpx_eq_u32_e32 36, v0
	s_cbranch_execz .LBB125_184
; %bb.182:
	ds_write_b64 v1, v[198:199]
	ds_write2_b64 v80, v[154:155], v[196:197] offset0:37 offset1:38
	ds_write2_b64 v80, v[152:153], v[194:195] offset0:39 offset1:40
	;; [unrolled: 1-line block ×13, first 2 shown]
	ds_read_b64 v[26:27], v1
	s_waitcnt lgkmcnt(0)
	v_cmp_neq_f64_e32 vcc_lo, 0, v[26:27]
	s_and_b32 exec_lo, exec_lo, vcc_lo
	s_cbranch_execz .LBB125_184
; %bb.183:
	v_div_scale_f64 v[28:29], null, v[26:27], v[26:27], 1.0
	v_rcp_f64_e32 v[30:31], v[28:29]
	v_fma_f64 v[32:33], -v[28:29], v[30:31], 1.0
	v_fma_f64 v[30:31], v[30:31], v[32:33], v[30:31]
	v_fma_f64 v[32:33], -v[28:29], v[30:31], 1.0
	v_fma_f64 v[30:31], v[30:31], v[32:33], v[30:31]
	v_div_scale_f64 v[32:33], vcc_lo, 1.0, v[26:27], 1.0
	v_mul_f64 v[34:35], v[32:33], v[30:31]
	v_fma_f64 v[28:29], -v[28:29], v[34:35], v[32:33]
	v_div_fmas_f64 v[28:29], v[28:29], v[30:31], v[34:35]
	v_div_fixup_f64 v[26:27], v[28:29], v[26:27], 1.0
	ds_write_b64 v1, v[26:27]
.LBB125_184:
	s_or_b32 exec_lo, exec_lo, s1
	s_waitcnt lgkmcnt(0)
	s_barrier
	buffer_gl0_inv
	ds_read_b64 v[26:27], v1
	s_mov_b32 s1, exec_lo
	v_cmpx_lt_u32_e32 36, v0
	s_cbranch_execz .LBB125_186
; %bb.185:
	s_waitcnt lgkmcnt(0)
	v_mul_f64 v[198:199], v[26:27], v[198:199]
	ds_read2_b64 v[28:31], v80 offset0:37 offset1:38
	s_waitcnt lgkmcnt(0)
	v_fma_f64 v[154:155], -v[198:199], v[28:29], v[154:155]
	v_fma_f64 v[196:197], -v[198:199], v[30:31], v[196:197]
	ds_read2_b64 v[28:31], v80 offset0:39 offset1:40
	s_waitcnt lgkmcnt(0)
	v_fma_f64 v[152:153], -v[198:199], v[28:29], v[152:153]
	v_fma_f64 v[194:195], -v[198:199], v[30:31], v[194:195]
	;; [unrolled: 4-line block ×13, first 2 shown]
.LBB125_186:
	s_or_b32 exec_lo, exec_lo, s1
	s_mov_b32 s1, exec_lo
	s_waitcnt lgkmcnt(0)
	s_barrier
	buffer_gl0_inv
	v_cmpx_eq_u32_e32 37, v0
	s_cbranch_execz .LBB125_189
; %bb.187:
	v_mov_b32_e32 v28, v196
	v_mov_b32_e32 v29, v197
	;; [unrolled: 1-line block ×4, first 2 shown]
	ds_write_b64 v1, v[154:155]
	ds_write2_b64 v80, v[28:29], v[30:31] offset0:38 offset1:39
	v_mov_b32_e32 v28, v194
	v_mov_b32_e32 v29, v195
	v_mov_b32_e32 v30, v150
	v_mov_b32_e32 v31, v151
	ds_write2_b64 v80, v[28:29], v[30:31] offset0:40 offset1:41
	v_mov_b32_e32 v28, v192
	v_mov_b32_e32 v29, v193
	v_mov_b32_e32 v30, v148
	v_mov_b32_e32 v31, v149
	ds_write2_b64 v80, v[28:29], v[30:31] offset0:42 offset1:43
	v_mov_b32_e32 v28, v190
	v_mov_b32_e32 v29, v191
	v_mov_b32_e32 v30, v146
	v_mov_b32_e32 v31, v147
	ds_write2_b64 v80, v[28:29], v[30:31] offset0:44 offset1:45
	v_mov_b32_e32 v28, v188
	v_mov_b32_e32 v29, v189
	v_mov_b32_e32 v30, v144
	v_mov_b32_e32 v31, v145
	ds_write2_b64 v80, v[28:29], v[30:31] offset0:46 offset1:47
	v_mov_b32_e32 v28, v186
	v_mov_b32_e32 v29, v187
	v_mov_b32_e32 v30, v142
	v_mov_b32_e32 v31, v143
	ds_write2_b64 v80, v[28:29], v[30:31] offset0:48 offset1:49
	v_mov_b32_e32 v28, v184
	v_mov_b32_e32 v29, v185
	v_mov_b32_e32 v30, v140
	v_mov_b32_e32 v31, v141
	ds_write2_b64 v80, v[28:29], v[30:31] offset0:50 offset1:51
	v_mov_b32_e32 v28, v182
	v_mov_b32_e32 v29, v183
	v_mov_b32_e32 v30, v138
	v_mov_b32_e32 v31, v139
	ds_write2_b64 v80, v[28:29], v[30:31] offset0:52 offset1:53
	v_mov_b32_e32 v28, v180
	v_mov_b32_e32 v29, v181
	v_mov_b32_e32 v30, v136
	v_mov_b32_e32 v31, v137
	ds_write2_b64 v80, v[28:29], v[30:31] offset0:54 offset1:55
	v_mov_b32_e32 v28, v178
	v_mov_b32_e32 v29, v179
	v_mov_b32_e32 v30, v134
	v_mov_b32_e32 v31, v135
	ds_write2_b64 v80, v[28:29], v[30:31] offset0:56 offset1:57
	v_mov_b32_e32 v28, v176
	v_mov_b32_e32 v29, v177
	v_mov_b32_e32 v30, v132
	v_mov_b32_e32 v31, v133
	ds_write2_b64 v80, v[28:29], v[30:31] offset0:58 offset1:59
	v_mov_b32_e32 v28, v174
	v_mov_b32_e32 v29, v175
	v_mov_b32_e32 v30, v130
	v_mov_b32_e32 v31, v131
	ds_write2_b64 v80, v[28:29], v[30:31] offset0:60 offset1:61
	ds_write_b64 v80, v[254:255] offset:496
	ds_read_b64 v[28:29], v1
	s_waitcnt lgkmcnt(0)
	v_cmp_neq_f64_e32 vcc_lo, 0, v[28:29]
	s_and_b32 exec_lo, exec_lo, vcc_lo
	s_cbranch_execz .LBB125_189
; %bb.188:
	v_div_scale_f64 v[30:31], null, v[28:29], v[28:29], 1.0
	v_rcp_f64_e32 v[32:33], v[30:31]
	v_fma_f64 v[34:35], -v[30:31], v[32:33], 1.0
	v_fma_f64 v[32:33], v[32:33], v[34:35], v[32:33]
	v_fma_f64 v[34:35], -v[30:31], v[32:33], 1.0
	v_fma_f64 v[32:33], v[32:33], v[34:35], v[32:33]
	v_div_scale_f64 v[34:35], vcc_lo, 1.0, v[28:29], 1.0
	v_mul_f64 v[36:37], v[34:35], v[32:33]
	v_fma_f64 v[30:31], -v[30:31], v[36:37], v[34:35]
	v_div_fmas_f64 v[30:31], v[30:31], v[32:33], v[36:37]
	v_div_fixup_f64 v[28:29], v[30:31], v[28:29], 1.0
	ds_write_b64 v1, v[28:29]
.LBB125_189:
	s_or_b32 exec_lo, exec_lo, s1
	s_waitcnt lgkmcnt(0)
	s_barrier
	buffer_gl0_inv
	ds_read_b64 v[28:29], v1
	s_mov_b32 s1, exec_lo
	v_cmpx_lt_u32_e32 37, v0
	s_cbranch_execz .LBB125_191
; %bb.190:
	s_waitcnt lgkmcnt(0)
	v_mul_f64 v[154:155], v[28:29], v[154:155]
	ds_read2_b64 v[30:33], v80 offset0:38 offset1:39
	s_waitcnt lgkmcnt(0)
	v_fma_f64 v[196:197], -v[154:155], v[30:31], v[196:197]
	v_fma_f64 v[152:153], -v[154:155], v[32:33], v[152:153]
	ds_read2_b64 v[30:33], v80 offset0:40 offset1:41
	s_waitcnt lgkmcnt(0)
	v_fma_f64 v[194:195], -v[154:155], v[30:31], v[194:195]
	v_fma_f64 v[150:151], -v[154:155], v[32:33], v[150:151]
	;; [unrolled: 4-line block ×11, first 2 shown]
	ds_read2_b64 v[30:33], v80 offset0:60 offset1:61
	s_waitcnt lgkmcnt(0)
	v_fma_f64 v[174:175], -v[154:155], v[30:31], v[174:175]
	ds_read_b64 v[30:31], v80 offset:496
	v_fma_f64 v[130:131], -v[154:155], v[32:33], v[130:131]
	s_waitcnt lgkmcnt(0)
	v_fma_f64 v[254:255], -v[154:155], v[30:31], v[254:255]
.LBB125_191:
	s_or_b32 exec_lo, exec_lo, s1
	s_mov_b32 s1, exec_lo
	s_waitcnt lgkmcnt(0)
	s_barrier
	buffer_gl0_inv
	v_cmpx_eq_u32_e32 38, v0
	s_cbranch_execz .LBB125_194
; %bb.192:
	ds_write_b64 v1, v[196:197]
	ds_write2_b64 v80, v[152:153], v[194:195] offset0:39 offset1:40
	ds_write2_b64 v80, v[150:151], v[192:193] offset0:41 offset1:42
	;; [unrolled: 1-line block ×12, first 2 shown]
	ds_read_b64 v[30:31], v1
	s_waitcnt lgkmcnt(0)
	v_cmp_neq_f64_e32 vcc_lo, 0, v[30:31]
	s_and_b32 exec_lo, exec_lo, vcc_lo
	s_cbranch_execz .LBB125_194
; %bb.193:
	v_div_scale_f64 v[32:33], null, v[30:31], v[30:31], 1.0
	v_rcp_f64_e32 v[34:35], v[32:33]
	v_fma_f64 v[36:37], -v[32:33], v[34:35], 1.0
	v_fma_f64 v[34:35], v[34:35], v[36:37], v[34:35]
	v_fma_f64 v[36:37], -v[32:33], v[34:35], 1.0
	v_fma_f64 v[34:35], v[34:35], v[36:37], v[34:35]
	v_div_scale_f64 v[36:37], vcc_lo, 1.0, v[30:31], 1.0
	v_mul_f64 v[38:39], v[36:37], v[34:35]
	v_fma_f64 v[32:33], -v[32:33], v[38:39], v[36:37]
	v_div_fmas_f64 v[32:33], v[32:33], v[34:35], v[38:39]
	v_div_fixup_f64 v[30:31], v[32:33], v[30:31], 1.0
	ds_write_b64 v1, v[30:31]
.LBB125_194:
	s_or_b32 exec_lo, exec_lo, s1
	s_waitcnt lgkmcnt(0)
	s_barrier
	buffer_gl0_inv
	ds_read_b64 v[30:31], v1
	s_mov_b32 s1, exec_lo
	v_cmpx_lt_u32_e32 38, v0
	s_cbranch_execz .LBB125_196
; %bb.195:
	s_waitcnt lgkmcnt(0)
	v_mul_f64 v[196:197], v[30:31], v[196:197]
	ds_read2_b64 v[32:35], v80 offset0:39 offset1:40
	s_waitcnt lgkmcnt(0)
	v_fma_f64 v[152:153], -v[196:197], v[32:33], v[152:153]
	v_fma_f64 v[194:195], -v[196:197], v[34:35], v[194:195]
	ds_read2_b64 v[32:35], v80 offset0:41 offset1:42
	s_waitcnt lgkmcnt(0)
	v_fma_f64 v[150:151], -v[196:197], v[32:33], v[150:151]
	v_fma_f64 v[192:193], -v[196:197], v[34:35], v[192:193]
	;; [unrolled: 4-line block ×12, first 2 shown]
.LBB125_196:
	s_or_b32 exec_lo, exec_lo, s1
	s_mov_b32 s1, exec_lo
	s_waitcnt lgkmcnt(0)
	s_barrier
	buffer_gl0_inv
	v_cmpx_eq_u32_e32 39, v0
	s_cbranch_execz .LBB125_199
; %bb.197:
	v_mov_b32_e32 v32, v194
	v_mov_b32_e32 v33, v195
	;; [unrolled: 1-line block ×4, first 2 shown]
	ds_write_b64 v1, v[152:153]
	ds_write2_b64 v80, v[32:33], v[34:35] offset0:40 offset1:41
	v_mov_b32_e32 v32, v192
	v_mov_b32_e32 v33, v193
	v_mov_b32_e32 v34, v148
	v_mov_b32_e32 v35, v149
	ds_write2_b64 v80, v[32:33], v[34:35] offset0:42 offset1:43
	v_mov_b32_e32 v32, v190
	v_mov_b32_e32 v33, v191
	v_mov_b32_e32 v34, v146
	v_mov_b32_e32 v35, v147
	;; [unrolled: 5-line block ×10, first 2 shown]
	ds_write2_b64 v80, v[32:33], v[34:35] offset0:60 offset1:61
	ds_write_b64 v80, v[254:255] offset:496
	ds_read_b64 v[32:33], v1
	s_waitcnt lgkmcnt(0)
	v_cmp_neq_f64_e32 vcc_lo, 0, v[32:33]
	s_and_b32 exec_lo, exec_lo, vcc_lo
	s_cbranch_execz .LBB125_199
; %bb.198:
	v_div_scale_f64 v[34:35], null, v[32:33], v[32:33], 1.0
	v_rcp_f64_e32 v[36:37], v[34:35]
	v_fma_f64 v[38:39], -v[34:35], v[36:37], 1.0
	v_fma_f64 v[36:37], v[36:37], v[38:39], v[36:37]
	v_fma_f64 v[38:39], -v[34:35], v[36:37], 1.0
	v_fma_f64 v[36:37], v[36:37], v[38:39], v[36:37]
	v_div_scale_f64 v[38:39], vcc_lo, 1.0, v[32:33], 1.0
	v_mul_f64 v[40:41], v[38:39], v[36:37]
	v_fma_f64 v[34:35], -v[34:35], v[40:41], v[38:39]
	v_div_fmas_f64 v[34:35], v[34:35], v[36:37], v[40:41]
	v_div_fixup_f64 v[32:33], v[34:35], v[32:33], 1.0
	ds_write_b64 v1, v[32:33]
.LBB125_199:
	s_or_b32 exec_lo, exec_lo, s1
	s_waitcnt lgkmcnt(0)
	s_barrier
	buffer_gl0_inv
	ds_read_b64 v[32:33], v1
	s_mov_b32 s1, exec_lo
	v_cmpx_lt_u32_e32 39, v0
	s_cbranch_execz .LBB125_201
; %bb.200:
	s_waitcnt lgkmcnt(0)
	v_mul_f64 v[152:153], v[32:33], v[152:153]
	ds_read2_b64 v[34:37], v80 offset0:40 offset1:41
	s_waitcnt lgkmcnt(0)
	v_fma_f64 v[194:195], -v[152:153], v[34:35], v[194:195]
	v_fma_f64 v[150:151], -v[152:153], v[36:37], v[150:151]
	ds_read2_b64 v[34:37], v80 offset0:42 offset1:43
	s_waitcnt lgkmcnt(0)
	v_fma_f64 v[192:193], -v[152:153], v[34:35], v[192:193]
	v_fma_f64 v[148:149], -v[152:153], v[36:37], v[148:149]
	;; [unrolled: 4-line block ×10, first 2 shown]
	ds_read2_b64 v[34:37], v80 offset0:60 offset1:61
	s_waitcnt lgkmcnt(0)
	v_fma_f64 v[174:175], -v[152:153], v[34:35], v[174:175]
	ds_read_b64 v[34:35], v80 offset:496
	v_fma_f64 v[130:131], -v[152:153], v[36:37], v[130:131]
	s_waitcnt lgkmcnt(0)
	v_fma_f64 v[254:255], -v[152:153], v[34:35], v[254:255]
.LBB125_201:
	s_or_b32 exec_lo, exec_lo, s1
	s_mov_b32 s1, exec_lo
	s_waitcnt lgkmcnt(0)
	s_barrier
	buffer_gl0_inv
	v_cmpx_eq_u32_e32 40, v0
	s_cbranch_execz .LBB125_204
; %bb.202:
	ds_write_b64 v1, v[194:195]
	ds_write2_b64 v80, v[150:151], v[192:193] offset0:41 offset1:42
	ds_write2_b64 v80, v[148:149], v[190:191] offset0:43 offset1:44
	ds_write2_b64 v80, v[146:147], v[188:189] offset0:45 offset1:46
	ds_write2_b64 v80, v[144:145], v[186:187] offset0:47 offset1:48
	ds_write2_b64 v80, v[142:143], v[184:185] offset0:49 offset1:50
	ds_write2_b64 v80, v[140:141], v[182:183] offset0:51 offset1:52
	ds_write2_b64 v80, v[138:139], v[180:181] offset0:53 offset1:54
	ds_write2_b64 v80, v[136:137], v[178:179] offset0:55 offset1:56
	ds_write2_b64 v80, v[134:135], v[176:177] offset0:57 offset1:58
	ds_write2_b64 v80, v[132:133], v[174:175] offset0:59 offset1:60
	ds_write2_b64 v80, v[130:131], v[254:255] offset0:61 offset1:62
	ds_read_b64 v[34:35], v1
	s_waitcnt lgkmcnt(0)
	v_cmp_neq_f64_e32 vcc_lo, 0, v[34:35]
	s_and_b32 exec_lo, exec_lo, vcc_lo
	s_cbranch_execz .LBB125_204
; %bb.203:
	v_div_scale_f64 v[36:37], null, v[34:35], v[34:35], 1.0
	v_rcp_f64_e32 v[38:39], v[36:37]
	v_fma_f64 v[40:41], -v[36:37], v[38:39], 1.0
	v_fma_f64 v[38:39], v[38:39], v[40:41], v[38:39]
	v_fma_f64 v[40:41], -v[36:37], v[38:39], 1.0
	v_fma_f64 v[38:39], v[38:39], v[40:41], v[38:39]
	v_div_scale_f64 v[40:41], vcc_lo, 1.0, v[34:35], 1.0
	v_mul_f64 v[42:43], v[40:41], v[38:39]
	v_fma_f64 v[36:37], -v[36:37], v[42:43], v[40:41]
	v_div_fmas_f64 v[36:37], v[36:37], v[38:39], v[42:43]
	v_div_fixup_f64 v[34:35], v[36:37], v[34:35], 1.0
	ds_write_b64 v1, v[34:35]
.LBB125_204:
	s_or_b32 exec_lo, exec_lo, s1
	s_waitcnt lgkmcnt(0)
	s_barrier
	buffer_gl0_inv
	ds_read_b64 v[34:35], v1
	s_mov_b32 s1, exec_lo
	v_cmpx_lt_u32_e32 40, v0
	s_cbranch_execz .LBB125_206
; %bb.205:
	s_waitcnt lgkmcnt(0)
	v_mul_f64 v[194:195], v[34:35], v[194:195]
	ds_read2_b64 v[36:39], v80 offset0:41 offset1:42
	s_waitcnt lgkmcnt(0)
	v_fma_f64 v[150:151], -v[194:195], v[36:37], v[150:151]
	v_fma_f64 v[192:193], -v[194:195], v[38:39], v[192:193]
	ds_read2_b64 v[36:39], v80 offset0:43 offset1:44
	s_waitcnt lgkmcnt(0)
	v_fma_f64 v[148:149], -v[194:195], v[36:37], v[148:149]
	v_fma_f64 v[190:191], -v[194:195], v[38:39], v[190:191]
	ds_read2_b64 v[36:39], v80 offset0:45 offset1:46
	s_waitcnt lgkmcnt(0)
	v_fma_f64 v[146:147], -v[194:195], v[36:37], v[146:147]
	v_fma_f64 v[188:189], -v[194:195], v[38:39], v[188:189]
	ds_read2_b64 v[36:39], v80 offset0:47 offset1:48
	s_waitcnt lgkmcnt(0)
	v_fma_f64 v[144:145], -v[194:195], v[36:37], v[144:145]
	v_fma_f64 v[186:187], -v[194:195], v[38:39], v[186:187]
	ds_read2_b64 v[36:39], v80 offset0:49 offset1:50
	s_waitcnt lgkmcnt(0)
	v_fma_f64 v[142:143], -v[194:195], v[36:37], v[142:143]
	v_fma_f64 v[184:185], -v[194:195], v[38:39], v[184:185]
	ds_read2_b64 v[36:39], v80 offset0:51 offset1:52
	s_waitcnt lgkmcnt(0)
	v_fma_f64 v[140:141], -v[194:195], v[36:37], v[140:141]
	v_fma_f64 v[182:183], -v[194:195], v[38:39], v[182:183]
	ds_read2_b64 v[36:39], v80 offset0:53 offset1:54
	s_waitcnt lgkmcnt(0)
	v_fma_f64 v[138:139], -v[194:195], v[36:37], v[138:139]
	v_fma_f64 v[180:181], -v[194:195], v[38:39], v[180:181]
	ds_read2_b64 v[36:39], v80 offset0:55 offset1:56
	s_waitcnt lgkmcnt(0)
	v_fma_f64 v[136:137], -v[194:195], v[36:37], v[136:137]
	v_fma_f64 v[178:179], -v[194:195], v[38:39], v[178:179]
	ds_read2_b64 v[36:39], v80 offset0:57 offset1:58
	s_waitcnt lgkmcnt(0)
	v_fma_f64 v[134:135], -v[194:195], v[36:37], v[134:135]
	v_fma_f64 v[176:177], -v[194:195], v[38:39], v[176:177]
	ds_read2_b64 v[36:39], v80 offset0:59 offset1:60
	s_waitcnt lgkmcnt(0)
	v_fma_f64 v[132:133], -v[194:195], v[36:37], v[132:133]
	v_fma_f64 v[174:175], -v[194:195], v[38:39], v[174:175]
	ds_read2_b64 v[36:39], v80 offset0:61 offset1:62
	s_waitcnt lgkmcnt(0)
	v_fma_f64 v[130:131], -v[194:195], v[36:37], v[130:131]
	v_fma_f64 v[254:255], -v[194:195], v[38:39], v[254:255]
.LBB125_206:
	s_or_b32 exec_lo, exec_lo, s1
	s_mov_b32 s1, exec_lo
	s_waitcnt lgkmcnt(0)
	s_barrier
	buffer_gl0_inv
	v_cmpx_eq_u32_e32 41, v0
	s_cbranch_execz .LBB125_209
; %bb.207:
	v_mov_b32_e32 v36, v192
	v_mov_b32_e32 v37, v193
	;; [unrolled: 1-line block ×4, first 2 shown]
	ds_write_b64 v1, v[150:151]
	ds_write2_b64 v80, v[36:37], v[38:39] offset0:42 offset1:43
	v_mov_b32_e32 v36, v190
	v_mov_b32_e32 v37, v191
	v_mov_b32_e32 v38, v146
	v_mov_b32_e32 v39, v147
	ds_write2_b64 v80, v[36:37], v[38:39] offset0:44 offset1:45
	v_mov_b32_e32 v36, v188
	v_mov_b32_e32 v37, v189
	v_mov_b32_e32 v38, v144
	v_mov_b32_e32 v39, v145
	;; [unrolled: 5-line block ×9, first 2 shown]
	ds_write2_b64 v80, v[36:37], v[38:39] offset0:60 offset1:61
	ds_write_b64 v80, v[254:255] offset:496
	ds_read_b64 v[36:37], v1
	s_waitcnt lgkmcnt(0)
	v_cmp_neq_f64_e32 vcc_lo, 0, v[36:37]
	s_and_b32 exec_lo, exec_lo, vcc_lo
	s_cbranch_execz .LBB125_209
; %bb.208:
	v_div_scale_f64 v[38:39], null, v[36:37], v[36:37], 1.0
	v_rcp_f64_e32 v[40:41], v[38:39]
	v_fma_f64 v[42:43], -v[38:39], v[40:41], 1.0
	v_fma_f64 v[40:41], v[40:41], v[42:43], v[40:41]
	v_fma_f64 v[42:43], -v[38:39], v[40:41], 1.0
	v_fma_f64 v[40:41], v[40:41], v[42:43], v[40:41]
	v_div_scale_f64 v[42:43], vcc_lo, 1.0, v[36:37], 1.0
	v_mul_f64 v[44:45], v[42:43], v[40:41]
	v_fma_f64 v[38:39], -v[38:39], v[44:45], v[42:43]
	v_div_fmas_f64 v[38:39], v[38:39], v[40:41], v[44:45]
	v_div_fixup_f64 v[36:37], v[38:39], v[36:37], 1.0
	ds_write_b64 v1, v[36:37]
.LBB125_209:
	s_or_b32 exec_lo, exec_lo, s1
	s_waitcnt lgkmcnt(0)
	s_barrier
	buffer_gl0_inv
	ds_read_b64 v[36:37], v1
	s_mov_b32 s1, exec_lo
	v_cmpx_lt_u32_e32 41, v0
	s_cbranch_execz .LBB125_211
; %bb.210:
	s_waitcnt lgkmcnt(0)
	v_mul_f64 v[150:151], v[36:37], v[150:151]
	ds_read2_b64 v[38:41], v80 offset0:42 offset1:43
	s_waitcnt lgkmcnt(0)
	v_fma_f64 v[192:193], -v[150:151], v[38:39], v[192:193]
	v_fma_f64 v[148:149], -v[150:151], v[40:41], v[148:149]
	ds_read2_b64 v[38:41], v80 offset0:44 offset1:45
	s_waitcnt lgkmcnt(0)
	v_fma_f64 v[190:191], -v[150:151], v[38:39], v[190:191]
	v_fma_f64 v[146:147], -v[150:151], v[40:41], v[146:147]
	;; [unrolled: 4-line block ×9, first 2 shown]
	ds_read2_b64 v[38:41], v80 offset0:60 offset1:61
	s_waitcnt lgkmcnt(0)
	v_fma_f64 v[174:175], -v[150:151], v[38:39], v[174:175]
	ds_read_b64 v[38:39], v80 offset:496
	v_fma_f64 v[130:131], -v[150:151], v[40:41], v[130:131]
	s_waitcnt lgkmcnt(0)
	v_fma_f64 v[254:255], -v[150:151], v[38:39], v[254:255]
.LBB125_211:
	s_or_b32 exec_lo, exec_lo, s1
	s_mov_b32 s1, exec_lo
	s_waitcnt lgkmcnt(0)
	s_barrier
	buffer_gl0_inv
	v_cmpx_eq_u32_e32 42, v0
	s_cbranch_execz .LBB125_214
; %bb.212:
	ds_write_b64 v1, v[192:193]
	ds_write2_b64 v80, v[148:149], v[190:191] offset0:43 offset1:44
	ds_write2_b64 v80, v[146:147], v[188:189] offset0:45 offset1:46
	;; [unrolled: 1-line block ×10, first 2 shown]
	ds_read_b64 v[38:39], v1
	s_waitcnt lgkmcnt(0)
	v_cmp_neq_f64_e32 vcc_lo, 0, v[38:39]
	s_and_b32 exec_lo, exec_lo, vcc_lo
	s_cbranch_execz .LBB125_214
; %bb.213:
	v_div_scale_f64 v[40:41], null, v[38:39], v[38:39], 1.0
	v_rcp_f64_e32 v[42:43], v[40:41]
	v_fma_f64 v[44:45], -v[40:41], v[42:43], 1.0
	v_fma_f64 v[42:43], v[42:43], v[44:45], v[42:43]
	v_fma_f64 v[44:45], -v[40:41], v[42:43], 1.0
	v_fma_f64 v[42:43], v[42:43], v[44:45], v[42:43]
	v_div_scale_f64 v[44:45], vcc_lo, 1.0, v[38:39], 1.0
	v_mul_f64 v[46:47], v[44:45], v[42:43]
	v_fma_f64 v[40:41], -v[40:41], v[46:47], v[44:45]
	v_div_fmas_f64 v[40:41], v[40:41], v[42:43], v[46:47]
	v_div_fixup_f64 v[38:39], v[40:41], v[38:39], 1.0
	ds_write_b64 v1, v[38:39]
.LBB125_214:
	s_or_b32 exec_lo, exec_lo, s1
	s_waitcnt lgkmcnt(0)
	s_barrier
	buffer_gl0_inv
	ds_read_b64 v[38:39], v1
	s_mov_b32 s1, exec_lo
	v_cmpx_lt_u32_e32 42, v0
	s_cbranch_execz .LBB125_216
; %bb.215:
	s_waitcnt lgkmcnt(0)
	v_mul_f64 v[192:193], v[38:39], v[192:193]
	ds_read2_b64 v[40:43], v80 offset0:43 offset1:44
	s_waitcnt lgkmcnt(0)
	v_fma_f64 v[148:149], -v[192:193], v[40:41], v[148:149]
	v_fma_f64 v[190:191], -v[192:193], v[42:43], v[190:191]
	ds_read2_b64 v[40:43], v80 offset0:45 offset1:46
	s_waitcnt lgkmcnt(0)
	v_fma_f64 v[146:147], -v[192:193], v[40:41], v[146:147]
	v_fma_f64 v[188:189], -v[192:193], v[42:43], v[188:189]
	;; [unrolled: 4-line block ×10, first 2 shown]
.LBB125_216:
	s_or_b32 exec_lo, exec_lo, s1
	s_mov_b32 s1, exec_lo
	s_waitcnt lgkmcnt(0)
	s_barrier
	buffer_gl0_inv
	v_cmpx_eq_u32_e32 43, v0
	s_cbranch_execz .LBB125_219
; %bb.217:
	v_mov_b32_e32 v40, v190
	v_mov_b32_e32 v41, v191
	;; [unrolled: 1-line block ×4, first 2 shown]
	ds_write_b64 v1, v[148:149]
	ds_write2_b64 v80, v[40:41], v[42:43] offset0:44 offset1:45
	v_mov_b32_e32 v40, v188
	v_mov_b32_e32 v41, v189
	v_mov_b32_e32 v42, v144
	v_mov_b32_e32 v43, v145
	ds_write2_b64 v80, v[40:41], v[42:43] offset0:46 offset1:47
	v_mov_b32_e32 v40, v186
	v_mov_b32_e32 v41, v187
	v_mov_b32_e32 v42, v142
	v_mov_b32_e32 v43, v143
	;; [unrolled: 5-line block ×8, first 2 shown]
	ds_write2_b64 v80, v[40:41], v[42:43] offset0:60 offset1:61
	ds_write_b64 v80, v[254:255] offset:496
	ds_read_b64 v[40:41], v1
	s_waitcnt lgkmcnt(0)
	v_cmp_neq_f64_e32 vcc_lo, 0, v[40:41]
	s_and_b32 exec_lo, exec_lo, vcc_lo
	s_cbranch_execz .LBB125_219
; %bb.218:
	v_div_scale_f64 v[42:43], null, v[40:41], v[40:41], 1.0
	v_rcp_f64_e32 v[44:45], v[42:43]
	v_fma_f64 v[46:47], -v[42:43], v[44:45], 1.0
	v_fma_f64 v[44:45], v[44:45], v[46:47], v[44:45]
	v_fma_f64 v[46:47], -v[42:43], v[44:45], 1.0
	v_fma_f64 v[44:45], v[44:45], v[46:47], v[44:45]
	v_div_scale_f64 v[46:47], vcc_lo, 1.0, v[40:41], 1.0
	v_mul_f64 v[48:49], v[46:47], v[44:45]
	v_fma_f64 v[42:43], -v[42:43], v[48:49], v[46:47]
	v_div_fmas_f64 v[42:43], v[42:43], v[44:45], v[48:49]
	v_div_fixup_f64 v[40:41], v[42:43], v[40:41], 1.0
	ds_write_b64 v1, v[40:41]
.LBB125_219:
	s_or_b32 exec_lo, exec_lo, s1
	s_waitcnt lgkmcnt(0)
	s_barrier
	buffer_gl0_inv
	ds_read_b64 v[40:41], v1
	s_mov_b32 s1, exec_lo
	v_cmpx_lt_u32_e32 43, v0
	s_cbranch_execz .LBB125_221
; %bb.220:
	s_waitcnt lgkmcnt(0)
	v_mul_f64 v[148:149], v[40:41], v[148:149]
	ds_read2_b64 v[42:45], v80 offset0:44 offset1:45
	s_waitcnt lgkmcnt(0)
	v_fma_f64 v[190:191], -v[148:149], v[42:43], v[190:191]
	v_fma_f64 v[146:147], -v[148:149], v[44:45], v[146:147]
	ds_read2_b64 v[42:45], v80 offset0:46 offset1:47
	s_waitcnt lgkmcnt(0)
	v_fma_f64 v[188:189], -v[148:149], v[42:43], v[188:189]
	v_fma_f64 v[144:145], -v[148:149], v[44:45], v[144:145]
	;; [unrolled: 4-line block ×8, first 2 shown]
	ds_read2_b64 v[42:45], v80 offset0:60 offset1:61
	s_waitcnt lgkmcnt(0)
	v_fma_f64 v[174:175], -v[148:149], v[42:43], v[174:175]
	ds_read_b64 v[42:43], v80 offset:496
	v_fma_f64 v[130:131], -v[148:149], v[44:45], v[130:131]
	s_waitcnt lgkmcnt(0)
	v_fma_f64 v[254:255], -v[148:149], v[42:43], v[254:255]
.LBB125_221:
	s_or_b32 exec_lo, exec_lo, s1
	s_mov_b32 s1, exec_lo
	s_waitcnt lgkmcnt(0)
	s_barrier
	buffer_gl0_inv
	v_cmpx_eq_u32_e32 44, v0
	s_cbranch_execz .LBB125_224
; %bb.222:
	ds_write_b64 v1, v[190:191]
	ds_write2_b64 v80, v[146:147], v[188:189] offset0:45 offset1:46
	ds_write2_b64 v80, v[144:145], v[186:187] offset0:47 offset1:48
	;; [unrolled: 1-line block ×9, first 2 shown]
	ds_read_b64 v[42:43], v1
	s_waitcnt lgkmcnt(0)
	v_cmp_neq_f64_e32 vcc_lo, 0, v[42:43]
	s_and_b32 exec_lo, exec_lo, vcc_lo
	s_cbranch_execz .LBB125_224
; %bb.223:
	v_div_scale_f64 v[44:45], null, v[42:43], v[42:43], 1.0
	v_rcp_f64_e32 v[46:47], v[44:45]
	v_fma_f64 v[48:49], -v[44:45], v[46:47], 1.0
	v_fma_f64 v[46:47], v[46:47], v[48:49], v[46:47]
	v_fma_f64 v[48:49], -v[44:45], v[46:47], 1.0
	v_fma_f64 v[46:47], v[46:47], v[48:49], v[46:47]
	v_div_scale_f64 v[48:49], vcc_lo, 1.0, v[42:43], 1.0
	v_mul_f64 v[50:51], v[48:49], v[46:47]
	v_fma_f64 v[44:45], -v[44:45], v[50:51], v[48:49]
	v_div_fmas_f64 v[44:45], v[44:45], v[46:47], v[50:51]
	v_div_fixup_f64 v[42:43], v[44:45], v[42:43], 1.0
	ds_write_b64 v1, v[42:43]
.LBB125_224:
	s_or_b32 exec_lo, exec_lo, s1
	s_waitcnt lgkmcnt(0)
	s_barrier
	buffer_gl0_inv
	ds_read_b64 v[42:43], v1
	s_mov_b32 s1, exec_lo
	v_cmpx_lt_u32_e32 44, v0
	s_cbranch_execz .LBB125_226
; %bb.225:
	s_waitcnt lgkmcnt(0)
	v_mul_f64 v[190:191], v[42:43], v[190:191]
	ds_read2_b64 v[44:47], v80 offset0:45 offset1:46
	s_waitcnt lgkmcnt(0)
	v_fma_f64 v[146:147], -v[190:191], v[44:45], v[146:147]
	v_fma_f64 v[188:189], -v[190:191], v[46:47], v[188:189]
	ds_read2_b64 v[44:47], v80 offset0:47 offset1:48
	s_waitcnt lgkmcnt(0)
	v_fma_f64 v[144:145], -v[190:191], v[44:45], v[144:145]
	v_fma_f64 v[186:187], -v[190:191], v[46:47], v[186:187]
	;; [unrolled: 4-line block ×9, first 2 shown]
.LBB125_226:
	s_or_b32 exec_lo, exec_lo, s1
	s_mov_b32 s1, exec_lo
	s_waitcnt lgkmcnt(0)
	s_barrier
	buffer_gl0_inv
	v_cmpx_eq_u32_e32 45, v0
	s_cbranch_execz .LBB125_229
; %bb.227:
	v_mov_b32_e32 v44, v188
	v_mov_b32_e32 v45, v189
	;; [unrolled: 1-line block ×4, first 2 shown]
	ds_write_b64 v1, v[146:147]
	ds_write2_b64 v80, v[44:45], v[46:47] offset0:46 offset1:47
	v_mov_b32_e32 v44, v186
	v_mov_b32_e32 v45, v187
	v_mov_b32_e32 v46, v142
	v_mov_b32_e32 v47, v143
	ds_write2_b64 v80, v[44:45], v[46:47] offset0:48 offset1:49
	v_mov_b32_e32 v44, v184
	v_mov_b32_e32 v45, v185
	v_mov_b32_e32 v46, v140
	v_mov_b32_e32 v47, v141
	;; [unrolled: 5-line block ×7, first 2 shown]
	ds_write2_b64 v80, v[44:45], v[46:47] offset0:60 offset1:61
	ds_write_b64 v80, v[254:255] offset:496
	ds_read_b64 v[44:45], v1
	s_waitcnt lgkmcnt(0)
	v_cmp_neq_f64_e32 vcc_lo, 0, v[44:45]
	s_and_b32 exec_lo, exec_lo, vcc_lo
	s_cbranch_execz .LBB125_229
; %bb.228:
	v_div_scale_f64 v[46:47], null, v[44:45], v[44:45], 1.0
	v_rcp_f64_e32 v[48:49], v[46:47]
	v_fma_f64 v[50:51], -v[46:47], v[48:49], 1.0
	v_fma_f64 v[48:49], v[48:49], v[50:51], v[48:49]
	v_fma_f64 v[50:51], -v[46:47], v[48:49], 1.0
	v_fma_f64 v[48:49], v[48:49], v[50:51], v[48:49]
	v_div_scale_f64 v[50:51], vcc_lo, 1.0, v[44:45], 1.0
	v_mul_f64 v[52:53], v[50:51], v[48:49]
	v_fma_f64 v[46:47], -v[46:47], v[52:53], v[50:51]
	v_div_fmas_f64 v[46:47], v[46:47], v[48:49], v[52:53]
	v_div_fixup_f64 v[44:45], v[46:47], v[44:45], 1.0
	ds_write_b64 v1, v[44:45]
.LBB125_229:
	s_or_b32 exec_lo, exec_lo, s1
	s_waitcnt lgkmcnt(0)
	s_barrier
	buffer_gl0_inv
	ds_read_b64 v[44:45], v1
	s_mov_b32 s1, exec_lo
	v_cmpx_lt_u32_e32 45, v0
	s_cbranch_execz .LBB125_231
; %bb.230:
	s_waitcnt lgkmcnt(0)
	v_mul_f64 v[146:147], v[44:45], v[146:147]
	ds_read2_b64 v[46:49], v80 offset0:46 offset1:47
	s_waitcnt lgkmcnt(0)
	v_fma_f64 v[188:189], -v[146:147], v[46:47], v[188:189]
	v_fma_f64 v[144:145], -v[146:147], v[48:49], v[144:145]
	ds_read2_b64 v[46:49], v80 offset0:48 offset1:49
	s_waitcnt lgkmcnt(0)
	v_fma_f64 v[186:187], -v[146:147], v[46:47], v[186:187]
	v_fma_f64 v[142:143], -v[146:147], v[48:49], v[142:143]
	;; [unrolled: 4-line block ×7, first 2 shown]
	ds_read2_b64 v[46:49], v80 offset0:60 offset1:61
	s_waitcnt lgkmcnt(0)
	v_fma_f64 v[174:175], -v[146:147], v[46:47], v[174:175]
	ds_read_b64 v[46:47], v80 offset:496
	v_fma_f64 v[130:131], -v[146:147], v[48:49], v[130:131]
	s_waitcnt lgkmcnt(0)
	v_fma_f64 v[254:255], -v[146:147], v[46:47], v[254:255]
.LBB125_231:
	s_or_b32 exec_lo, exec_lo, s1
	s_mov_b32 s1, exec_lo
	s_waitcnt lgkmcnt(0)
	s_barrier
	buffer_gl0_inv
	v_cmpx_eq_u32_e32 46, v0
	s_cbranch_execz .LBB125_234
; %bb.232:
	ds_write_b64 v1, v[188:189]
	ds_write2_b64 v80, v[144:145], v[186:187] offset0:47 offset1:48
	ds_write2_b64 v80, v[142:143], v[184:185] offset0:49 offset1:50
	;; [unrolled: 1-line block ×8, first 2 shown]
	ds_read_b64 v[46:47], v1
	s_waitcnt lgkmcnt(0)
	v_cmp_neq_f64_e32 vcc_lo, 0, v[46:47]
	s_and_b32 exec_lo, exec_lo, vcc_lo
	s_cbranch_execz .LBB125_234
; %bb.233:
	v_div_scale_f64 v[48:49], null, v[46:47], v[46:47], 1.0
	v_rcp_f64_e32 v[50:51], v[48:49]
	v_fma_f64 v[52:53], -v[48:49], v[50:51], 1.0
	v_fma_f64 v[50:51], v[50:51], v[52:53], v[50:51]
	v_fma_f64 v[52:53], -v[48:49], v[50:51], 1.0
	v_fma_f64 v[50:51], v[50:51], v[52:53], v[50:51]
	v_div_scale_f64 v[52:53], vcc_lo, 1.0, v[46:47], 1.0
	v_mul_f64 v[54:55], v[52:53], v[50:51]
	v_fma_f64 v[48:49], -v[48:49], v[54:55], v[52:53]
	v_div_fmas_f64 v[48:49], v[48:49], v[50:51], v[54:55]
	v_div_fixup_f64 v[46:47], v[48:49], v[46:47], 1.0
	ds_write_b64 v1, v[46:47]
.LBB125_234:
	s_or_b32 exec_lo, exec_lo, s1
	s_waitcnt lgkmcnt(0)
	s_barrier
	buffer_gl0_inv
	ds_read_b64 v[46:47], v1
	s_mov_b32 s1, exec_lo
	v_cmpx_lt_u32_e32 46, v0
	s_cbranch_execz .LBB125_236
; %bb.235:
	s_waitcnt lgkmcnt(0)
	v_mul_f64 v[188:189], v[46:47], v[188:189]
	ds_read2_b64 v[48:51], v80 offset0:47 offset1:48
	s_waitcnt lgkmcnt(0)
	v_fma_f64 v[144:145], -v[188:189], v[48:49], v[144:145]
	v_fma_f64 v[186:187], -v[188:189], v[50:51], v[186:187]
	ds_read2_b64 v[48:51], v80 offset0:49 offset1:50
	s_waitcnt lgkmcnt(0)
	v_fma_f64 v[142:143], -v[188:189], v[48:49], v[142:143]
	v_fma_f64 v[184:185], -v[188:189], v[50:51], v[184:185]
	ds_read2_b64 v[48:51], v80 offset0:51 offset1:52
	s_waitcnt lgkmcnt(0)
	v_fma_f64 v[140:141], -v[188:189], v[48:49], v[140:141]
	v_fma_f64 v[182:183], -v[188:189], v[50:51], v[182:183]
	ds_read2_b64 v[48:51], v80 offset0:53 offset1:54
	s_waitcnt lgkmcnt(0)
	v_fma_f64 v[138:139], -v[188:189], v[48:49], v[138:139]
	v_fma_f64 v[180:181], -v[188:189], v[50:51], v[180:181]
	ds_read2_b64 v[48:51], v80 offset0:55 offset1:56
	s_waitcnt lgkmcnt(0)
	v_fma_f64 v[136:137], -v[188:189], v[48:49], v[136:137]
	v_fma_f64 v[178:179], -v[188:189], v[50:51], v[178:179]
	ds_read2_b64 v[48:51], v80 offset0:57 offset1:58
	s_waitcnt lgkmcnt(0)
	v_fma_f64 v[134:135], -v[188:189], v[48:49], v[134:135]
	v_fma_f64 v[176:177], -v[188:189], v[50:51], v[176:177]
	ds_read2_b64 v[48:51], v80 offset0:59 offset1:60
	s_waitcnt lgkmcnt(0)
	v_fma_f64 v[132:133], -v[188:189], v[48:49], v[132:133]
	v_fma_f64 v[174:175], -v[188:189], v[50:51], v[174:175]
	ds_read2_b64 v[48:51], v80 offset0:61 offset1:62
	s_waitcnt lgkmcnt(0)
	v_fma_f64 v[130:131], -v[188:189], v[48:49], v[130:131]
	v_fma_f64 v[254:255], -v[188:189], v[50:51], v[254:255]
.LBB125_236:
	s_or_b32 exec_lo, exec_lo, s1
	s_mov_b32 s1, exec_lo
	s_waitcnt lgkmcnt(0)
	s_barrier
	buffer_gl0_inv
	v_cmpx_eq_u32_e32 47, v0
	s_cbranch_execz .LBB125_239
; %bb.237:
	v_mov_b32_e32 v48, v186
	v_mov_b32_e32 v49, v187
	;; [unrolled: 1-line block ×4, first 2 shown]
	ds_write_b64 v1, v[144:145]
	ds_write2_b64 v80, v[48:49], v[50:51] offset0:48 offset1:49
	v_mov_b32_e32 v48, v184
	v_mov_b32_e32 v49, v185
	v_mov_b32_e32 v50, v140
	v_mov_b32_e32 v51, v141
	ds_write2_b64 v80, v[48:49], v[50:51] offset0:50 offset1:51
	v_mov_b32_e32 v48, v182
	v_mov_b32_e32 v49, v183
	v_mov_b32_e32 v50, v138
	v_mov_b32_e32 v51, v139
	;; [unrolled: 5-line block ×6, first 2 shown]
	ds_write2_b64 v80, v[48:49], v[50:51] offset0:60 offset1:61
	ds_write_b64 v80, v[254:255] offset:496
	ds_read_b64 v[48:49], v1
	s_waitcnt lgkmcnt(0)
	v_cmp_neq_f64_e32 vcc_lo, 0, v[48:49]
	s_and_b32 exec_lo, exec_lo, vcc_lo
	s_cbranch_execz .LBB125_239
; %bb.238:
	v_div_scale_f64 v[50:51], null, v[48:49], v[48:49], 1.0
	v_rcp_f64_e32 v[52:53], v[50:51]
	v_fma_f64 v[54:55], -v[50:51], v[52:53], 1.0
	v_fma_f64 v[52:53], v[52:53], v[54:55], v[52:53]
	v_fma_f64 v[54:55], -v[50:51], v[52:53], 1.0
	v_fma_f64 v[52:53], v[52:53], v[54:55], v[52:53]
	v_div_scale_f64 v[54:55], vcc_lo, 1.0, v[48:49], 1.0
	v_mul_f64 v[56:57], v[54:55], v[52:53]
	v_fma_f64 v[50:51], -v[50:51], v[56:57], v[54:55]
	v_div_fmas_f64 v[50:51], v[50:51], v[52:53], v[56:57]
	v_div_fixup_f64 v[48:49], v[50:51], v[48:49], 1.0
	ds_write_b64 v1, v[48:49]
.LBB125_239:
	s_or_b32 exec_lo, exec_lo, s1
	s_waitcnt lgkmcnt(0)
	s_barrier
	buffer_gl0_inv
	ds_read_b64 v[48:49], v1
	s_mov_b32 s1, exec_lo
	v_cmpx_lt_u32_e32 47, v0
	s_cbranch_execz .LBB125_241
; %bb.240:
	s_waitcnt lgkmcnt(0)
	v_mul_f64 v[144:145], v[48:49], v[144:145]
	ds_read2_b64 v[50:53], v80 offset0:48 offset1:49
	s_waitcnt lgkmcnt(0)
	v_fma_f64 v[186:187], -v[144:145], v[50:51], v[186:187]
	v_fma_f64 v[142:143], -v[144:145], v[52:53], v[142:143]
	ds_read2_b64 v[50:53], v80 offset0:50 offset1:51
	s_waitcnt lgkmcnt(0)
	v_fma_f64 v[184:185], -v[144:145], v[50:51], v[184:185]
	v_fma_f64 v[140:141], -v[144:145], v[52:53], v[140:141]
	;; [unrolled: 4-line block ×6, first 2 shown]
	ds_read2_b64 v[50:53], v80 offset0:60 offset1:61
	s_waitcnt lgkmcnt(0)
	v_fma_f64 v[174:175], -v[144:145], v[50:51], v[174:175]
	ds_read_b64 v[50:51], v80 offset:496
	v_fma_f64 v[130:131], -v[144:145], v[52:53], v[130:131]
	s_waitcnt lgkmcnt(0)
	v_fma_f64 v[254:255], -v[144:145], v[50:51], v[254:255]
.LBB125_241:
	s_or_b32 exec_lo, exec_lo, s1
	s_mov_b32 s1, exec_lo
	s_waitcnt lgkmcnt(0)
	s_barrier
	buffer_gl0_inv
	v_cmpx_eq_u32_e32 48, v0
	s_cbranch_execz .LBB125_244
; %bb.242:
	ds_write_b64 v1, v[186:187]
	ds_write2_b64 v80, v[142:143], v[184:185] offset0:49 offset1:50
	ds_write2_b64 v80, v[140:141], v[182:183] offset0:51 offset1:52
	;; [unrolled: 1-line block ×7, first 2 shown]
	ds_read_b64 v[50:51], v1
	s_waitcnt lgkmcnt(0)
	v_cmp_neq_f64_e32 vcc_lo, 0, v[50:51]
	s_and_b32 exec_lo, exec_lo, vcc_lo
	s_cbranch_execz .LBB125_244
; %bb.243:
	v_div_scale_f64 v[52:53], null, v[50:51], v[50:51], 1.0
	v_rcp_f64_e32 v[54:55], v[52:53]
	v_fma_f64 v[56:57], -v[52:53], v[54:55], 1.0
	v_fma_f64 v[54:55], v[54:55], v[56:57], v[54:55]
	v_fma_f64 v[56:57], -v[52:53], v[54:55], 1.0
	v_fma_f64 v[54:55], v[54:55], v[56:57], v[54:55]
	v_div_scale_f64 v[56:57], vcc_lo, 1.0, v[50:51], 1.0
	v_mul_f64 v[58:59], v[56:57], v[54:55]
	v_fma_f64 v[52:53], -v[52:53], v[58:59], v[56:57]
	v_div_fmas_f64 v[52:53], v[52:53], v[54:55], v[58:59]
	v_div_fixup_f64 v[50:51], v[52:53], v[50:51], 1.0
	ds_write_b64 v1, v[50:51]
.LBB125_244:
	s_or_b32 exec_lo, exec_lo, s1
	s_waitcnt lgkmcnt(0)
	s_barrier
	buffer_gl0_inv
	ds_read_b64 v[50:51], v1
	s_mov_b32 s1, exec_lo
	v_cmpx_lt_u32_e32 48, v0
	s_cbranch_execz .LBB125_246
; %bb.245:
	s_waitcnt lgkmcnt(0)
	v_mul_f64 v[186:187], v[50:51], v[186:187]
	ds_read2_b64 v[52:55], v80 offset0:49 offset1:50
	s_waitcnt lgkmcnt(0)
	v_fma_f64 v[142:143], -v[186:187], v[52:53], v[142:143]
	v_fma_f64 v[184:185], -v[186:187], v[54:55], v[184:185]
	ds_read2_b64 v[52:55], v80 offset0:51 offset1:52
	s_waitcnt lgkmcnt(0)
	v_fma_f64 v[140:141], -v[186:187], v[52:53], v[140:141]
	v_fma_f64 v[182:183], -v[186:187], v[54:55], v[182:183]
	ds_read2_b64 v[52:55], v80 offset0:53 offset1:54
	s_waitcnt lgkmcnt(0)
	v_fma_f64 v[138:139], -v[186:187], v[52:53], v[138:139]
	v_fma_f64 v[180:181], -v[186:187], v[54:55], v[180:181]
	ds_read2_b64 v[52:55], v80 offset0:55 offset1:56
	s_waitcnt lgkmcnt(0)
	v_fma_f64 v[136:137], -v[186:187], v[52:53], v[136:137]
	v_fma_f64 v[178:179], -v[186:187], v[54:55], v[178:179]
	ds_read2_b64 v[52:55], v80 offset0:57 offset1:58
	s_waitcnt lgkmcnt(0)
	v_fma_f64 v[134:135], -v[186:187], v[52:53], v[134:135]
	v_fma_f64 v[176:177], -v[186:187], v[54:55], v[176:177]
	ds_read2_b64 v[52:55], v80 offset0:59 offset1:60
	s_waitcnt lgkmcnt(0)
	v_fma_f64 v[132:133], -v[186:187], v[52:53], v[132:133]
	v_fma_f64 v[174:175], -v[186:187], v[54:55], v[174:175]
	ds_read2_b64 v[52:55], v80 offset0:61 offset1:62
	s_waitcnt lgkmcnt(0)
	v_fma_f64 v[130:131], -v[186:187], v[52:53], v[130:131]
	v_fma_f64 v[254:255], -v[186:187], v[54:55], v[254:255]
.LBB125_246:
	s_or_b32 exec_lo, exec_lo, s1
	s_mov_b32 s1, exec_lo
	s_waitcnt lgkmcnt(0)
	s_barrier
	buffer_gl0_inv
	v_cmpx_eq_u32_e32 49, v0
	s_cbranch_execz .LBB125_249
; %bb.247:
	v_mov_b32_e32 v52, v184
	v_mov_b32_e32 v53, v185
	;; [unrolled: 1-line block ×4, first 2 shown]
	ds_write_b64 v1, v[142:143]
	ds_write2_b64 v80, v[52:53], v[54:55] offset0:50 offset1:51
	v_mov_b32_e32 v52, v182
	v_mov_b32_e32 v53, v183
	v_mov_b32_e32 v54, v138
	v_mov_b32_e32 v55, v139
	ds_write2_b64 v80, v[52:53], v[54:55] offset0:52 offset1:53
	v_mov_b32_e32 v52, v180
	v_mov_b32_e32 v53, v181
	v_mov_b32_e32 v54, v136
	v_mov_b32_e32 v55, v137
	;; [unrolled: 5-line block ×5, first 2 shown]
	ds_write2_b64 v80, v[52:53], v[54:55] offset0:60 offset1:61
	ds_write_b64 v80, v[254:255] offset:496
	ds_read_b64 v[52:53], v1
	s_waitcnt lgkmcnt(0)
	v_cmp_neq_f64_e32 vcc_lo, 0, v[52:53]
	s_and_b32 exec_lo, exec_lo, vcc_lo
	s_cbranch_execz .LBB125_249
; %bb.248:
	v_div_scale_f64 v[54:55], null, v[52:53], v[52:53], 1.0
	v_rcp_f64_e32 v[56:57], v[54:55]
	v_fma_f64 v[58:59], -v[54:55], v[56:57], 1.0
	v_fma_f64 v[56:57], v[56:57], v[58:59], v[56:57]
	v_fma_f64 v[58:59], -v[54:55], v[56:57], 1.0
	v_fma_f64 v[56:57], v[56:57], v[58:59], v[56:57]
	v_div_scale_f64 v[58:59], vcc_lo, 1.0, v[52:53], 1.0
	v_mul_f64 v[60:61], v[58:59], v[56:57]
	v_fma_f64 v[54:55], -v[54:55], v[60:61], v[58:59]
	v_div_fmas_f64 v[54:55], v[54:55], v[56:57], v[60:61]
	v_div_fixup_f64 v[52:53], v[54:55], v[52:53], 1.0
	ds_write_b64 v1, v[52:53]
.LBB125_249:
	s_or_b32 exec_lo, exec_lo, s1
	s_waitcnt lgkmcnt(0)
	s_barrier
	buffer_gl0_inv
	ds_read_b64 v[52:53], v1
	s_mov_b32 s1, exec_lo
	v_cmpx_lt_u32_e32 49, v0
	s_cbranch_execz .LBB125_251
; %bb.250:
	s_waitcnt lgkmcnt(0)
	v_mul_f64 v[142:143], v[52:53], v[142:143]
	ds_read2_b64 v[54:57], v80 offset0:50 offset1:51
	s_waitcnt lgkmcnt(0)
	v_fma_f64 v[184:185], -v[142:143], v[54:55], v[184:185]
	v_fma_f64 v[140:141], -v[142:143], v[56:57], v[140:141]
	ds_read2_b64 v[54:57], v80 offset0:52 offset1:53
	s_waitcnt lgkmcnt(0)
	v_fma_f64 v[182:183], -v[142:143], v[54:55], v[182:183]
	v_fma_f64 v[138:139], -v[142:143], v[56:57], v[138:139]
	;; [unrolled: 4-line block ×5, first 2 shown]
	ds_read2_b64 v[54:57], v80 offset0:60 offset1:61
	s_waitcnt lgkmcnt(0)
	v_fma_f64 v[174:175], -v[142:143], v[54:55], v[174:175]
	ds_read_b64 v[54:55], v80 offset:496
	v_fma_f64 v[130:131], -v[142:143], v[56:57], v[130:131]
	s_waitcnt lgkmcnt(0)
	v_fma_f64 v[254:255], -v[142:143], v[54:55], v[254:255]
.LBB125_251:
	s_or_b32 exec_lo, exec_lo, s1
	s_mov_b32 s1, exec_lo
	s_waitcnt lgkmcnt(0)
	s_barrier
	buffer_gl0_inv
	v_cmpx_eq_u32_e32 50, v0
	s_cbranch_execz .LBB125_254
; %bb.252:
	ds_write_b64 v1, v[184:185]
	ds_write2_b64 v80, v[140:141], v[182:183] offset0:51 offset1:52
	ds_write2_b64 v80, v[138:139], v[180:181] offset0:53 offset1:54
	;; [unrolled: 1-line block ×6, first 2 shown]
	ds_read_b64 v[54:55], v1
	s_waitcnt lgkmcnt(0)
	v_cmp_neq_f64_e32 vcc_lo, 0, v[54:55]
	s_and_b32 exec_lo, exec_lo, vcc_lo
	s_cbranch_execz .LBB125_254
; %bb.253:
	v_div_scale_f64 v[56:57], null, v[54:55], v[54:55], 1.0
	v_rcp_f64_e32 v[58:59], v[56:57]
	v_fma_f64 v[60:61], -v[56:57], v[58:59], 1.0
	v_fma_f64 v[58:59], v[58:59], v[60:61], v[58:59]
	v_fma_f64 v[60:61], -v[56:57], v[58:59], 1.0
	v_fma_f64 v[58:59], v[58:59], v[60:61], v[58:59]
	v_div_scale_f64 v[60:61], vcc_lo, 1.0, v[54:55], 1.0
	v_mul_f64 v[62:63], v[60:61], v[58:59]
	v_fma_f64 v[56:57], -v[56:57], v[62:63], v[60:61]
	v_div_fmas_f64 v[56:57], v[56:57], v[58:59], v[62:63]
	v_div_fixup_f64 v[54:55], v[56:57], v[54:55], 1.0
	ds_write_b64 v1, v[54:55]
.LBB125_254:
	s_or_b32 exec_lo, exec_lo, s1
	s_waitcnt lgkmcnt(0)
	s_barrier
	buffer_gl0_inv
	ds_read_b64 v[54:55], v1
	s_mov_b32 s1, exec_lo
	v_cmpx_lt_u32_e32 50, v0
	s_cbranch_execz .LBB125_256
; %bb.255:
	s_waitcnt lgkmcnt(0)
	v_mul_f64 v[184:185], v[54:55], v[184:185]
	ds_read2_b64 v[56:59], v80 offset0:51 offset1:52
	s_waitcnt lgkmcnt(0)
	v_fma_f64 v[140:141], -v[184:185], v[56:57], v[140:141]
	v_fma_f64 v[182:183], -v[184:185], v[58:59], v[182:183]
	ds_read2_b64 v[56:59], v80 offset0:53 offset1:54
	s_waitcnt lgkmcnt(0)
	v_fma_f64 v[138:139], -v[184:185], v[56:57], v[138:139]
	v_fma_f64 v[180:181], -v[184:185], v[58:59], v[180:181]
	;; [unrolled: 4-line block ×6, first 2 shown]
.LBB125_256:
	s_or_b32 exec_lo, exec_lo, s1
	s_mov_b32 s1, exec_lo
	s_waitcnt lgkmcnt(0)
	s_barrier
	buffer_gl0_inv
	v_cmpx_eq_u32_e32 51, v0
	s_cbranch_execz .LBB125_259
; %bb.257:
	v_mov_b32_e32 v56, v182
	v_mov_b32_e32 v57, v183
	;; [unrolled: 1-line block ×4, first 2 shown]
	ds_write_b64 v1, v[140:141]
	ds_write2_b64 v80, v[56:57], v[58:59] offset0:52 offset1:53
	v_mov_b32_e32 v56, v180
	v_mov_b32_e32 v57, v181
	v_mov_b32_e32 v58, v136
	v_mov_b32_e32 v59, v137
	ds_write2_b64 v80, v[56:57], v[58:59] offset0:54 offset1:55
	v_mov_b32_e32 v56, v178
	v_mov_b32_e32 v57, v179
	v_mov_b32_e32 v58, v134
	v_mov_b32_e32 v59, v135
	;; [unrolled: 5-line block ×4, first 2 shown]
	ds_write2_b64 v80, v[56:57], v[58:59] offset0:60 offset1:61
	ds_write_b64 v80, v[254:255] offset:496
	ds_read_b64 v[56:57], v1
	s_waitcnt lgkmcnt(0)
	v_cmp_neq_f64_e32 vcc_lo, 0, v[56:57]
	s_and_b32 exec_lo, exec_lo, vcc_lo
	s_cbranch_execz .LBB125_259
; %bb.258:
	v_div_scale_f64 v[58:59], null, v[56:57], v[56:57], 1.0
	v_rcp_f64_e32 v[60:61], v[58:59]
	v_fma_f64 v[62:63], -v[58:59], v[60:61], 1.0
	v_fma_f64 v[60:61], v[60:61], v[62:63], v[60:61]
	v_fma_f64 v[62:63], -v[58:59], v[60:61], 1.0
	v_fma_f64 v[60:61], v[60:61], v[62:63], v[60:61]
	v_div_scale_f64 v[62:63], vcc_lo, 1.0, v[56:57], 1.0
	v_mul_f64 v[64:65], v[62:63], v[60:61]
	v_fma_f64 v[58:59], -v[58:59], v[64:65], v[62:63]
	v_div_fmas_f64 v[58:59], v[58:59], v[60:61], v[64:65]
	v_div_fixup_f64 v[56:57], v[58:59], v[56:57], 1.0
	ds_write_b64 v1, v[56:57]
.LBB125_259:
	s_or_b32 exec_lo, exec_lo, s1
	s_waitcnt lgkmcnt(0)
	s_barrier
	buffer_gl0_inv
	ds_read_b64 v[56:57], v1
	s_mov_b32 s1, exec_lo
	v_cmpx_lt_u32_e32 51, v0
	s_cbranch_execz .LBB125_261
; %bb.260:
	s_waitcnt lgkmcnt(0)
	v_mul_f64 v[140:141], v[56:57], v[140:141]
	ds_read2_b64 v[58:61], v80 offset0:52 offset1:53
	s_waitcnt lgkmcnt(0)
	v_fma_f64 v[182:183], -v[140:141], v[58:59], v[182:183]
	v_fma_f64 v[138:139], -v[140:141], v[60:61], v[138:139]
	ds_read2_b64 v[58:61], v80 offset0:54 offset1:55
	s_waitcnt lgkmcnt(0)
	v_fma_f64 v[180:181], -v[140:141], v[58:59], v[180:181]
	v_fma_f64 v[136:137], -v[140:141], v[60:61], v[136:137]
	;; [unrolled: 4-line block ×4, first 2 shown]
	ds_read2_b64 v[58:61], v80 offset0:60 offset1:61
	s_waitcnt lgkmcnt(0)
	v_fma_f64 v[174:175], -v[140:141], v[58:59], v[174:175]
	ds_read_b64 v[58:59], v80 offset:496
	v_fma_f64 v[130:131], -v[140:141], v[60:61], v[130:131]
	s_waitcnt lgkmcnt(0)
	v_fma_f64 v[254:255], -v[140:141], v[58:59], v[254:255]
.LBB125_261:
	s_or_b32 exec_lo, exec_lo, s1
	s_mov_b32 s1, exec_lo
	s_waitcnt lgkmcnt(0)
	s_barrier
	buffer_gl0_inv
	v_cmpx_eq_u32_e32 52, v0
	s_cbranch_execz .LBB125_264
; %bb.262:
	ds_write_b64 v1, v[182:183]
	ds_write2_b64 v80, v[138:139], v[180:181] offset0:53 offset1:54
	ds_write2_b64 v80, v[136:137], v[178:179] offset0:55 offset1:56
	ds_write2_b64 v80, v[134:135], v[176:177] offset0:57 offset1:58
	ds_write2_b64 v80, v[132:133], v[174:175] offset0:59 offset1:60
	ds_write2_b64 v80, v[130:131], v[254:255] offset0:61 offset1:62
	ds_read_b64 v[58:59], v1
	s_waitcnt lgkmcnt(0)
	v_cmp_neq_f64_e32 vcc_lo, 0, v[58:59]
	s_and_b32 exec_lo, exec_lo, vcc_lo
	s_cbranch_execz .LBB125_264
; %bb.263:
	v_div_scale_f64 v[60:61], null, v[58:59], v[58:59], 1.0
	v_rcp_f64_e32 v[62:63], v[60:61]
	v_fma_f64 v[64:65], -v[60:61], v[62:63], 1.0
	v_fma_f64 v[62:63], v[62:63], v[64:65], v[62:63]
	v_fma_f64 v[64:65], -v[60:61], v[62:63], 1.0
	v_fma_f64 v[62:63], v[62:63], v[64:65], v[62:63]
	v_div_scale_f64 v[64:65], vcc_lo, 1.0, v[58:59], 1.0
	v_mul_f64 v[66:67], v[64:65], v[62:63]
	v_fma_f64 v[60:61], -v[60:61], v[66:67], v[64:65]
	v_div_fmas_f64 v[60:61], v[60:61], v[62:63], v[66:67]
	v_div_fixup_f64 v[58:59], v[60:61], v[58:59], 1.0
	ds_write_b64 v1, v[58:59]
.LBB125_264:
	s_or_b32 exec_lo, exec_lo, s1
	s_waitcnt lgkmcnt(0)
	s_barrier
	buffer_gl0_inv
	ds_read_b64 v[58:59], v1
	s_mov_b32 s1, exec_lo
	v_cmpx_lt_u32_e32 52, v0
	s_cbranch_execz .LBB125_266
; %bb.265:
	s_waitcnt lgkmcnt(0)
	v_mul_f64 v[182:183], v[58:59], v[182:183]
	ds_read2_b64 v[60:63], v80 offset0:53 offset1:54
	s_waitcnt lgkmcnt(0)
	v_fma_f64 v[138:139], -v[182:183], v[60:61], v[138:139]
	v_fma_f64 v[180:181], -v[182:183], v[62:63], v[180:181]
	ds_read2_b64 v[60:63], v80 offset0:55 offset1:56
	s_waitcnt lgkmcnt(0)
	v_fma_f64 v[136:137], -v[182:183], v[60:61], v[136:137]
	v_fma_f64 v[178:179], -v[182:183], v[62:63], v[178:179]
	;; [unrolled: 4-line block ×5, first 2 shown]
.LBB125_266:
	s_or_b32 exec_lo, exec_lo, s1
	s_mov_b32 s1, exec_lo
	s_waitcnt lgkmcnt(0)
	s_barrier
	buffer_gl0_inv
	v_cmpx_eq_u32_e32 53, v0
	s_cbranch_execz .LBB125_269
; %bb.267:
	v_mov_b32_e32 v60, v180
	v_mov_b32_e32 v61, v181
	v_mov_b32_e32 v62, v136
	v_mov_b32_e32 v63, v137
	ds_write_b64 v1, v[138:139]
	ds_write2_b64 v80, v[60:61], v[62:63] offset0:54 offset1:55
	v_mov_b32_e32 v60, v178
	v_mov_b32_e32 v61, v179
	v_mov_b32_e32 v62, v134
	v_mov_b32_e32 v63, v135
	ds_write2_b64 v80, v[60:61], v[62:63] offset0:56 offset1:57
	v_mov_b32_e32 v60, v176
	v_mov_b32_e32 v61, v177
	v_mov_b32_e32 v62, v132
	v_mov_b32_e32 v63, v133
	;; [unrolled: 5-line block ×3, first 2 shown]
	ds_write2_b64 v80, v[60:61], v[62:63] offset0:60 offset1:61
	ds_write_b64 v80, v[254:255] offset:496
	ds_read_b64 v[60:61], v1
	s_waitcnt lgkmcnt(0)
	v_cmp_neq_f64_e32 vcc_lo, 0, v[60:61]
	s_and_b32 exec_lo, exec_lo, vcc_lo
	s_cbranch_execz .LBB125_269
; %bb.268:
	v_div_scale_f64 v[62:63], null, v[60:61], v[60:61], 1.0
	v_rcp_f64_e32 v[64:65], v[62:63]
	v_fma_f64 v[66:67], -v[62:63], v[64:65], 1.0
	v_fma_f64 v[64:65], v[64:65], v[66:67], v[64:65]
	v_fma_f64 v[66:67], -v[62:63], v[64:65], 1.0
	v_fma_f64 v[64:65], v[64:65], v[66:67], v[64:65]
	v_div_scale_f64 v[66:67], vcc_lo, 1.0, v[60:61], 1.0
	v_mul_f64 v[68:69], v[66:67], v[64:65]
	v_fma_f64 v[62:63], -v[62:63], v[68:69], v[66:67]
	v_div_fmas_f64 v[62:63], v[62:63], v[64:65], v[68:69]
	v_div_fixup_f64 v[60:61], v[62:63], v[60:61], 1.0
	ds_write_b64 v1, v[60:61]
.LBB125_269:
	s_or_b32 exec_lo, exec_lo, s1
	s_waitcnt lgkmcnt(0)
	s_barrier
	buffer_gl0_inv
	ds_read_b64 v[60:61], v1
	s_mov_b32 s1, exec_lo
	v_cmpx_lt_u32_e32 53, v0
	s_cbranch_execz .LBB125_271
; %bb.270:
	s_waitcnt lgkmcnt(0)
	v_mul_f64 v[138:139], v[60:61], v[138:139]
	ds_read2_b64 v[62:65], v80 offset0:54 offset1:55
	s_waitcnt lgkmcnt(0)
	v_fma_f64 v[180:181], -v[138:139], v[62:63], v[180:181]
	v_fma_f64 v[136:137], -v[138:139], v[64:65], v[136:137]
	ds_read2_b64 v[62:65], v80 offset0:56 offset1:57
	s_waitcnt lgkmcnt(0)
	v_fma_f64 v[178:179], -v[138:139], v[62:63], v[178:179]
	v_fma_f64 v[134:135], -v[138:139], v[64:65], v[134:135]
	;; [unrolled: 4-line block ×3, first 2 shown]
	ds_read2_b64 v[62:65], v80 offset0:60 offset1:61
	s_waitcnt lgkmcnt(0)
	v_fma_f64 v[174:175], -v[138:139], v[62:63], v[174:175]
	ds_read_b64 v[62:63], v80 offset:496
	v_fma_f64 v[130:131], -v[138:139], v[64:65], v[130:131]
	s_waitcnt lgkmcnt(0)
	v_fma_f64 v[254:255], -v[138:139], v[62:63], v[254:255]
.LBB125_271:
	s_or_b32 exec_lo, exec_lo, s1
	s_mov_b32 s1, exec_lo
	s_waitcnt lgkmcnt(0)
	s_barrier
	buffer_gl0_inv
	v_cmpx_eq_u32_e32 54, v0
	s_cbranch_execz .LBB125_274
; %bb.272:
	ds_write_b64 v1, v[180:181]
	ds_write2_b64 v80, v[136:137], v[178:179] offset0:55 offset1:56
	ds_write2_b64 v80, v[134:135], v[176:177] offset0:57 offset1:58
	;; [unrolled: 1-line block ×4, first 2 shown]
	ds_read_b64 v[62:63], v1
	s_waitcnt lgkmcnt(0)
	v_cmp_neq_f64_e32 vcc_lo, 0, v[62:63]
	s_and_b32 exec_lo, exec_lo, vcc_lo
	s_cbranch_execz .LBB125_274
; %bb.273:
	v_div_scale_f64 v[64:65], null, v[62:63], v[62:63], 1.0
	v_rcp_f64_e32 v[66:67], v[64:65]
	v_fma_f64 v[68:69], -v[64:65], v[66:67], 1.0
	v_fma_f64 v[66:67], v[66:67], v[68:69], v[66:67]
	v_fma_f64 v[68:69], -v[64:65], v[66:67], 1.0
	v_fma_f64 v[66:67], v[66:67], v[68:69], v[66:67]
	v_div_scale_f64 v[68:69], vcc_lo, 1.0, v[62:63], 1.0
	v_mul_f64 v[70:71], v[68:69], v[66:67]
	v_fma_f64 v[64:65], -v[64:65], v[70:71], v[68:69]
	v_div_fmas_f64 v[64:65], v[64:65], v[66:67], v[70:71]
	v_div_fixup_f64 v[62:63], v[64:65], v[62:63], 1.0
	ds_write_b64 v1, v[62:63]
.LBB125_274:
	s_or_b32 exec_lo, exec_lo, s1
	s_waitcnt lgkmcnt(0)
	s_barrier
	buffer_gl0_inv
	ds_read_b64 v[62:63], v1
	s_mov_b32 s1, exec_lo
	v_cmpx_lt_u32_e32 54, v0
	s_cbranch_execz .LBB125_276
; %bb.275:
	s_waitcnt lgkmcnt(0)
	v_mul_f64 v[180:181], v[62:63], v[180:181]
	ds_read2_b64 v[64:67], v80 offset0:55 offset1:56
	s_waitcnt lgkmcnt(0)
	v_fma_f64 v[136:137], -v[180:181], v[64:65], v[136:137]
	v_fma_f64 v[178:179], -v[180:181], v[66:67], v[178:179]
	ds_read2_b64 v[64:67], v80 offset0:57 offset1:58
	s_waitcnt lgkmcnt(0)
	v_fma_f64 v[134:135], -v[180:181], v[64:65], v[134:135]
	v_fma_f64 v[176:177], -v[180:181], v[66:67], v[176:177]
	;; [unrolled: 4-line block ×4, first 2 shown]
.LBB125_276:
	s_or_b32 exec_lo, exec_lo, s1
	s_mov_b32 s1, exec_lo
	s_waitcnt lgkmcnt(0)
	s_barrier
	buffer_gl0_inv
	v_cmpx_eq_u32_e32 55, v0
	s_cbranch_execz .LBB125_279
; %bb.277:
	v_mov_b32_e32 v64, v178
	v_mov_b32_e32 v65, v179
	v_mov_b32_e32 v66, v134
	v_mov_b32_e32 v67, v135
	ds_write_b64 v1, v[136:137]
	ds_write2_b64 v80, v[64:65], v[66:67] offset0:56 offset1:57
	v_mov_b32_e32 v64, v176
	v_mov_b32_e32 v65, v177
	;; [unrolled: 1-line block ×4, first 2 shown]
	ds_write2_b64 v80, v[64:65], v[66:67] offset0:58 offset1:59
	v_mov_b32_e32 v64, v174
	v_mov_b32_e32 v65, v175
	;; [unrolled: 1-line block ×4, first 2 shown]
	ds_write2_b64 v80, v[64:65], v[66:67] offset0:60 offset1:61
	ds_write_b64 v80, v[254:255] offset:496
	ds_read_b64 v[64:65], v1
	s_waitcnt lgkmcnt(0)
	v_cmp_neq_f64_e32 vcc_lo, 0, v[64:65]
	s_and_b32 exec_lo, exec_lo, vcc_lo
	s_cbranch_execz .LBB125_279
; %bb.278:
	v_div_scale_f64 v[66:67], null, v[64:65], v[64:65], 1.0
	v_rcp_f64_e32 v[68:69], v[66:67]
	v_fma_f64 v[70:71], -v[66:67], v[68:69], 1.0
	v_fma_f64 v[68:69], v[68:69], v[70:71], v[68:69]
	v_fma_f64 v[70:71], -v[66:67], v[68:69], 1.0
	v_fma_f64 v[68:69], v[68:69], v[70:71], v[68:69]
	v_div_scale_f64 v[70:71], vcc_lo, 1.0, v[64:65], 1.0
	v_mul_f64 v[72:73], v[70:71], v[68:69]
	v_fma_f64 v[66:67], -v[66:67], v[72:73], v[70:71]
	v_div_fmas_f64 v[66:67], v[66:67], v[68:69], v[72:73]
	v_div_fixup_f64 v[64:65], v[66:67], v[64:65], 1.0
	ds_write_b64 v1, v[64:65]
.LBB125_279:
	s_or_b32 exec_lo, exec_lo, s1
	s_waitcnt lgkmcnt(0)
	s_barrier
	buffer_gl0_inv
	ds_read_b64 v[66:67], v1
	s_mov_b32 s1, exec_lo
	v_cmpx_lt_u32_e32 55, v0
	s_cbranch_execz .LBB125_281
; %bb.280:
	s_waitcnt lgkmcnt(0)
	v_mul_f64 v[136:137], v[66:67], v[136:137]
	ds_read2_b64 v[68:71], v80 offset0:56 offset1:57
	ds_read_b64 v[64:65], v80 offset:496
	s_waitcnt lgkmcnt(1)
	v_fma_f64 v[178:179], -v[136:137], v[68:69], v[178:179]
	v_fma_f64 v[134:135], -v[136:137], v[70:71], v[134:135]
	ds_read2_b64 v[68:71], v80 offset0:58 offset1:59
	s_waitcnt lgkmcnt(1)
	v_fma_f64 v[254:255], -v[136:137], v[64:65], v[254:255]
	s_waitcnt lgkmcnt(0)
	v_fma_f64 v[176:177], -v[136:137], v[68:69], v[176:177]
	v_fma_f64 v[132:133], -v[136:137], v[70:71], v[132:133]
	ds_read2_b64 v[68:71], v80 offset0:60 offset1:61
	s_waitcnt lgkmcnt(0)
	v_fma_f64 v[174:175], -v[136:137], v[68:69], v[174:175]
	v_fma_f64 v[130:131], -v[136:137], v[70:71], v[130:131]
.LBB125_281:
	s_or_b32 exec_lo, exec_lo, s1
	s_mov_b32 s1, exec_lo
	s_waitcnt lgkmcnt(0)
	s_barrier
	buffer_gl0_inv
	v_cmpx_eq_u32_e32 56, v0
	s_cbranch_execz .LBB125_284
; %bb.282:
	ds_write_b64 v1, v[178:179]
	ds_write2_b64 v80, v[134:135], v[176:177] offset0:57 offset1:58
	ds_write2_b64 v80, v[132:133], v[174:175] offset0:59 offset1:60
	;; [unrolled: 1-line block ×3, first 2 shown]
	ds_read_b64 v[64:65], v1
	s_waitcnt lgkmcnt(0)
	v_cmp_neq_f64_e32 vcc_lo, 0, v[64:65]
	s_and_b32 exec_lo, exec_lo, vcc_lo
	s_cbranch_execz .LBB125_284
; %bb.283:
	v_div_scale_f64 v[68:69], null, v[64:65], v[64:65], 1.0
	v_rcp_f64_e32 v[70:71], v[68:69]
	v_fma_f64 v[72:73], -v[68:69], v[70:71], 1.0
	v_fma_f64 v[70:71], v[70:71], v[72:73], v[70:71]
	v_fma_f64 v[72:73], -v[68:69], v[70:71], 1.0
	v_fma_f64 v[70:71], v[70:71], v[72:73], v[70:71]
	v_div_scale_f64 v[72:73], vcc_lo, 1.0, v[64:65], 1.0
	v_mul_f64 v[74:75], v[72:73], v[70:71]
	v_fma_f64 v[68:69], -v[68:69], v[74:75], v[72:73]
	v_div_fmas_f64 v[68:69], v[68:69], v[70:71], v[74:75]
	v_div_fixup_f64 v[64:65], v[68:69], v[64:65], 1.0
	ds_write_b64 v1, v[64:65]
.LBB125_284:
	s_or_b32 exec_lo, exec_lo, s1
	s_waitcnt lgkmcnt(0)
	s_barrier
	buffer_gl0_inv
	ds_read_b64 v[68:69], v1
	s_mov_b32 s1, exec_lo
	v_cmpx_lt_u32_e32 56, v0
	s_cbranch_execz .LBB125_286
; %bb.285:
	s_waitcnt lgkmcnt(0)
	v_mul_f64 v[178:179], v[68:69], v[178:179]
	ds_read2_b64 v[70:73], v80 offset0:57 offset1:58
	s_waitcnt lgkmcnt(0)
	v_fma_f64 v[134:135], -v[178:179], v[70:71], v[134:135]
	v_fma_f64 v[176:177], -v[178:179], v[72:73], v[176:177]
	ds_read2_b64 v[70:73], v80 offset0:59 offset1:60
	s_waitcnt lgkmcnt(0)
	v_fma_f64 v[132:133], -v[178:179], v[70:71], v[132:133]
	v_fma_f64 v[174:175], -v[178:179], v[72:73], v[174:175]
	;; [unrolled: 4-line block ×3, first 2 shown]
.LBB125_286:
	s_or_b32 exec_lo, exec_lo, s1
	s_mov_b32 s1, exec_lo
	s_waitcnt lgkmcnt(0)
	s_barrier
	buffer_gl0_inv
	v_cmpx_eq_u32_e32 57, v0
	s_cbranch_execz .LBB125_289
; %bb.287:
	v_mov_b32_e32 v64, v176
	v_mov_b32_e32 v65, v177
	;; [unrolled: 1-line block ×4, first 2 shown]
	ds_write_b64 v1, v[134:135]
	ds_write2_b64 v80, v[64:65], v[70:71] offset0:58 offset1:59
	v_mov_b32_e32 v64, v174
	v_mov_b32_e32 v65, v175
	;; [unrolled: 1-line block ×4, first 2 shown]
	ds_write2_b64 v80, v[64:65], v[70:71] offset0:60 offset1:61
	ds_write_b64 v80, v[254:255] offset:496
	ds_read_b64 v[64:65], v1
	s_waitcnt lgkmcnt(0)
	v_cmp_neq_f64_e32 vcc_lo, 0, v[64:65]
	s_and_b32 exec_lo, exec_lo, vcc_lo
	s_cbranch_execz .LBB125_289
; %bb.288:
	v_div_scale_f64 v[70:71], null, v[64:65], v[64:65], 1.0
	v_rcp_f64_e32 v[72:73], v[70:71]
	v_fma_f64 v[74:75], -v[70:71], v[72:73], 1.0
	v_fma_f64 v[72:73], v[72:73], v[74:75], v[72:73]
	v_fma_f64 v[74:75], -v[70:71], v[72:73], 1.0
	v_fma_f64 v[72:73], v[72:73], v[74:75], v[72:73]
	v_div_scale_f64 v[74:75], vcc_lo, 1.0, v[64:65], 1.0
	v_mul_f64 v[76:77], v[74:75], v[72:73]
	v_fma_f64 v[70:71], -v[70:71], v[76:77], v[74:75]
	v_div_fmas_f64 v[70:71], v[70:71], v[72:73], v[76:77]
	v_div_fixup_f64 v[64:65], v[70:71], v[64:65], 1.0
	ds_write_b64 v1, v[64:65]
.LBB125_289:
	s_or_b32 exec_lo, exec_lo, s1
	s_waitcnt lgkmcnt(0)
	s_barrier
	buffer_gl0_inv
	ds_read_b64 v[70:71], v1
	s_mov_b32 s1, exec_lo
	v_cmpx_lt_u32_e32 57, v0
	s_cbranch_execz .LBB125_291
; %bb.290:
	s_waitcnt lgkmcnt(0)
	v_mul_f64 v[134:135], v[70:71], v[134:135]
	ds_read2_b64 v[72:75], v80 offset0:58 offset1:59
	ds_read_b64 v[64:65], v80 offset:496
	s_waitcnt lgkmcnt(1)
	v_fma_f64 v[176:177], -v[134:135], v[72:73], v[176:177]
	v_fma_f64 v[132:133], -v[134:135], v[74:75], v[132:133]
	ds_read2_b64 v[72:75], v80 offset0:60 offset1:61
	s_waitcnt lgkmcnt(1)
	v_fma_f64 v[254:255], -v[134:135], v[64:65], v[254:255]
	s_waitcnt lgkmcnt(0)
	v_fma_f64 v[174:175], -v[134:135], v[72:73], v[174:175]
	v_fma_f64 v[130:131], -v[134:135], v[74:75], v[130:131]
.LBB125_291:
	s_or_b32 exec_lo, exec_lo, s1
	s_mov_b32 s1, exec_lo
	s_waitcnt lgkmcnt(0)
	s_barrier
	buffer_gl0_inv
	v_cmpx_eq_u32_e32 58, v0
	s_cbranch_execz .LBB125_294
; %bb.292:
	ds_write_b64 v1, v[176:177]
	ds_write2_b64 v80, v[132:133], v[174:175] offset0:59 offset1:60
	ds_write2_b64 v80, v[130:131], v[254:255] offset0:61 offset1:62
	ds_read_b64 v[64:65], v1
	s_waitcnt lgkmcnt(0)
	v_cmp_neq_f64_e32 vcc_lo, 0, v[64:65]
	s_and_b32 exec_lo, exec_lo, vcc_lo
	s_cbranch_execz .LBB125_294
; %bb.293:
	v_div_scale_f64 v[72:73], null, v[64:65], v[64:65], 1.0
	v_rcp_f64_e32 v[74:75], v[72:73]
	v_fma_f64 v[76:77], -v[72:73], v[74:75], 1.0
	v_fma_f64 v[74:75], v[74:75], v[76:77], v[74:75]
	v_fma_f64 v[76:77], -v[72:73], v[74:75], 1.0
	v_fma_f64 v[74:75], v[74:75], v[76:77], v[74:75]
	v_div_scale_f64 v[76:77], vcc_lo, 1.0, v[64:65], 1.0
	v_mul_f64 v[78:79], v[76:77], v[74:75]
	v_fma_f64 v[72:73], -v[72:73], v[78:79], v[76:77]
	v_div_fmas_f64 v[72:73], v[72:73], v[74:75], v[78:79]
	v_div_fixup_f64 v[64:65], v[72:73], v[64:65], 1.0
	ds_write_b64 v1, v[64:65]
.LBB125_294:
	s_or_b32 exec_lo, exec_lo, s1
	s_waitcnt lgkmcnt(0)
	s_barrier
	buffer_gl0_inv
	ds_read_b64 v[72:73], v1
	s_mov_b32 s1, exec_lo
	v_cmpx_lt_u32_e32 58, v0
	s_cbranch_execz .LBB125_296
; %bb.295:
	s_waitcnt lgkmcnt(0)
	v_mul_f64 v[176:177], v[72:73], v[176:177]
	ds_read2_b64 v[74:77], v80 offset0:59 offset1:60
	s_waitcnt lgkmcnt(0)
	v_fma_f64 v[132:133], -v[176:177], v[74:75], v[132:133]
	v_fma_f64 v[174:175], -v[176:177], v[76:77], v[174:175]
	ds_read2_b64 v[74:77], v80 offset0:61 offset1:62
	s_waitcnt lgkmcnt(0)
	v_fma_f64 v[130:131], -v[176:177], v[74:75], v[130:131]
	v_fma_f64 v[254:255], -v[176:177], v[76:77], v[254:255]
.LBB125_296:
	s_or_b32 exec_lo, exec_lo, s1
	s_mov_b32 s1, exec_lo
	s_waitcnt lgkmcnt(0)
	s_barrier
	buffer_gl0_inv
	v_cmpx_eq_u32_e32 59, v0
	s_cbranch_execz .LBB125_299
; %bb.297:
	v_mov_b32_e32 v64, v174
	v_mov_b32_e32 v65, v175
	;; [unrolled: 1-line block ×4, first 2 shown]
	ds_write_b64 v1, v[132:133]
	ds_write2_b64 v80, v[64:65], v[74:75] offset0:60 offset1:61
	ds_write_b64 v80, v[254:255] offset:496
	ds_read_b64 v[64:65], v1
	s_waitcnt lgkmcnt(0)
	v_cmp_neq_f64_e32 vcc_lo, 0, v[64:65]
	s_and_b32 exec_lo, exec_lo, vcc_lo
	s_cbranch_execz .LBB125_299
; %bb.298:
	v_div_scale_f64 v[74:75], null, v[64:65], v[64:65], 1.0
	v_rcp_f64_e32 v[76:77], v[74:75]
	v_fma_f64 v[78:79], -v[74:75], v[76:77], 1.0
	v_fma_f64 v[76:77], v[76:77], v[78:79], v[76:77]
	v_fma_f64 v[78:79], -v[74:75], v[76:77], 1.0
	v_fma_f64 v[76:77], v[76:77], v[78:79], v[76:77]
	v_div_scale_f64 v[78:79], vcc_lo, 1.0, v[64:65], 1.0
	v_mul_f64 v[81:82], v[78:79], v[76:77]
	v_fma_f64 v[74:75], -v[74:75], v[81:82], v[78:79]
	v_div_fmas_f64 v[74:75], v[74:75], v[76:77], v[81:82]
	v_div_fixup_f64 v[64:65], v[74:75], v[64:65], 1.0
	ds_write_b64 v1, v[64:65]
.LBB125_299:
	s_or_b32 exec_lo, exec_lo, s1
	s_waitcnt lgkmcnt(0)
	s_barrier
	buffer_gl0_inv
	ds_read_b64 v[74:75], v1
	s_mov_b32 s1, exec_lo
	v_cmpx_lt_u32_e32 59, v0
	s_cbranch_execz .LBB125_301
; %bb.300:
	s_waitcnt lgkmcnt(0)
	v_mul_f64 v[132:133], v[74:75], v[132:133]
	ds_read2_b64 v[76:79], v80 offset0:60 offset1:61
	ds_read_b64 v[64:65], v80 offset:496
	s_waitcnt lgkmcnt(1)
	v_fma_f64 v[174:175], -v[132:133], v[76:77], v[174:175]
	v_fma_f64 v[130:131], -v[132:133], v[78:79], v[130:131]
	s_waitcnt lgkmcnt(0)
	v_fma_f64 v[254:255], -v[132:133], v[64:65], v[254:255]
.LBB125_301:
	s_or_b32 exec_lo, exec_lo, s1
	s_mov_b32 s1, exec_lo
	s_waitcnt lgkmcnt(0)
	s_barrier
	buffer_gl0_inv
	v_cmpx_eq_u32_e32 60, v0
	s_cbranch_execz .LBB125_304
; %bb.302:
	ds_write_b64 v1, v[174:175]
	ds_write2_b64 v80, v[130:131], v[254:255] offset0:61 offset1:62
	ds_read_b64 v[64:65], v1
	s_waitcnt lgkmcnt(0)
	v_cmp_neq_f64_e32 vcc_lo, 0, v[64:65]
	s_and_b32 exec_lo, exec_lo, vcc_lo
	s_cbranch_execz .LBB125_304
; %bb.303:
	v_div_scale_f64 v[76:77], null, v[64:65], v[64:65], 1.0
	v_rcp_f64_e32 v[78:79], v[76:77]
	v_fma_f64 v[81:82], -v[76:77], v[78:79], 1.0
	v_fma_f64 v[78:79], v[78:79], v[81:82], v[78:79]
	v_fma_f64 v[81:82], -v[76:77], v[78:79], 1.0
	v_fma_f64 v[78:79], v[78:79], v[81:82], v[78:79]
	v_div_scale_f64 v[81:82], vcc_lo, 1.0, v[64:65], 1.0
	v_mul_f64 v[83:84], v[81:82], v[78:79]
	v_fma_f64 v[76:77], -v[76:77], v[83:84], v[81:82]
	v_div_fmas_f64 v[76:77], v[76:77], v[78:79], v[83:84]
	v_div_fixup_f64 v[64:65], v[76:77], v[64:65], 1.0
	ds_write_b64 v1, v[64:65]
.LBB125_304:
	s_or_b32 exec_lo, exec_lo, s1
	s_waitcnt lgkmcnt(0)
	s_barrier
	buffer_gl0_inv
	ds_read_b64 v[76:77], v1
	s_mov_b32 s1, exec_lo
	v_cmpx_lt_u32_e32 60, v0
	s_cbranch_execz .LBB125_306
; %bb.305:
	s_waitcnt lgkmcnt(0)
	v_mul_f64 v[174:175], v[76:77], v[174:175]
	ds_read2_b64 v[81:84], v80 offset0:61 offset1:62
	s_waitcnt lgkmcnt(0)
	v_fma_f64 v[130:131], -v[174:175], v[81:82], v[130:131]
	v_fma_f64 v[254:255], -v[174:175], v[83:84], v[254:255]
.LBB125_306:
	s_or_b32 exec_lo, exec_lo, s1
	s_mov_b32 s1, exec_lo
	s_waitcnt lgkmcnt(0)
	s_barrier
	buffer_gl0_inv
	v_cmpx_eq_u32_e32 61, v0
	s_cbranch_execz .LBB125_309
; %bb.307:
	ds_write_b64 v1, v[130:131]
	ds_write_b64 v80, v[254:255] offset:496
	ds_read_b64 v[64:65], v1
	s_waitcnt lgkmcnt(0)
	v_cmp_neq_f64_e32 vcc_lo, 0, v[64:65]
	s_and_b32 exec_lo, exec_lo, vcc_lo
	s_cbranch_execz .LBB125_309
; %bb.308:
	v_div_scale_f64 v[78:79], null, v[64:65], v[64:65], 1.0
	v_mov_b32_e32 v108, v107
	v_mov_b32_e32 v107, v106
	v_mov_b32_e32 v106, v105
	v_mov_b32_e32 v105, v104
	v_mov_b32_e32 v104, v103
	v_mov_b32_e32 v103, v102
	v_mov_b32_e32 v102, v101
	v_mov_b32_e32 v101, v100
	v_mov_b32_e32 v100, v99
	v_mov_b32_e32 v99, v98
	v_mov_b32_e32 v98, v97
	v_mov_b32_e32 v97, v96
	v_mov_b32_e32 v96, v95
	v_mov_b32_e32 v95, v94
	v_mov_b32_e32 v94, v93
	v_mov_b32_e32 v93, v92
	v_mov_b32_e32 v92, v91
	v_mov_b32_e32 v91, v90
	v_mov_b32_e32 v90, v89
	v_mov_b32_e32 v89, v88
	v_rcp_f64_e32 v[81:82], v[78:79]
	v_mov_b32_e32 v88, v87
	v_mov_b32_e32 v87, v86
	;; [unrolled: 1-line block ×23, first 2 shown]
	v_fma_f64 v[83:84], -v[78:79], v[81:82], 1.0
	v_mov_b32_e32 v119, v118
	v_mov_b32_e32 v118, v117
	;; [unrolled: 1-line block ×21, first 2 shown]
	v_fma_f64 v[81:82], v[81:82], v[83:84], v[81:82]
	v_mov_b32_e32 v119, v120
	v_mov_b32_e32 v120, v121
	;; [unrolled: 1-line block ×10, first 2 shown]
	v_fma_f64 v[83:84], -v[78:79], v[81:82], 1.0
	v_fma_f64 v[81:82], v[81:82], v[83:84], v[81:82]
	v_div_scale_f64 v[83:84], vcc_lo, 1.0, v[64:65], 1.0
	v_mul_f64 v[85:86], v[83:84], v[81:82]
	v_fma_f64 v[78:79], -v[78:79], v[85:86], v[83:84]
	v_div_fmas_f64 v[78:79], v[78:79], v[81:82], v[85:86]
	v_mov_b32_e32 v86, v87
	v_mov_b32_e32 v87, v88
	;; [unrolled: 1-line block ×21, first 2 shown]
	v_div_fixup_f64 v[64:65], v[78:79], v[64:65], 1.0
	v_mov_b32_e32 v107, v108
	ds_write_b64 v1, v[64:65]
.LBB125_309:
	s_or_b32 exec_lo, exec_lo, s1
	s_waitcnt lgkmcnt(0)
	s_barrier
	buffer_gl0_inv
	ds_read_b64 v[78:79], v1
	s_mov_b32 s1, exec_lo
	v_cmpx_lt_u32_e32 61, v0
	s_cbranch_execz .LBB125_311
; %bb.310:
	s_waitcnt lgkmcnt(0)
	v_mul_f64 v[130:131], v[78:79], v[130:131]
	ds_read_b64 v[64:65], v80 offset:496
	s_waitcnt lgkmcnt(0)
	v_fma_f64 v[254:255], -v[130:131], v[64:65], v[254:255]
.LBB125_311:
	s_or_b32 exec_lo, exec_lo, s1
	s_mov_b32 s1, exec_lo
	s_waitcnt lgkmcnt(0)
	s_barrier
	buffer_gl0_inv
	v_cmpx_eq_u32_e32 62, v0
	s_cbranch_execz .LBB125_314
; %bb.312:
	v_cmp_neq_f64_e32 vcc_lo, 0, v[254:255]
	ds_write_b64 v1, v[254:255]
	s_and_b32 exec_lo, exec_lo, vcc_lo
	s_cbranch_execz .LBB125_314
; %bb.313:
	v_div_scale_f64 v[64:65], null, v[254:255], v[254:255], 1.0
	v_rcp_f64_e32 v[80:81], v[64:65]
	v_fma_f64 v[82:83], -v[64:65], v[80:81], 1.0
	v_fma_f64 v[80:81], v[80:81], v[82:83], v[80:81]
	v_fma_f64 v[82:83], -v[64:65], v[80:81], 1.0
	v_fma_f64 v[80:81], v[80:81], v[82:83], v[80:81]
	v_div_scale_f64 v[82:83], vcc_lo, 1.0, v[254:255], 1.0
	v_mul_f64 v[84:85], v[82:83], v[80:81]
	v_fma_f64 v[64:65], -v[64:65], v[84:85], v[82:83]
	v_div_fmas_f64 v[64:65], v[64:65], v[80:81], v[84:85]
	v_div_fixup_f64 v[64:65], v[64:65], v[254:255], 1.0
	ds_write_b64 v1, v[64:65]
.LBB125_314:
	s_or_b32 exec_lo, exec_lo, s1
	s_waitcnt lgkmcnt(0)
	s_barrier
	buffer_gl0_inv
	ds_read_b64 v[64:65], v1
	s_waitcnt lgkmcnt(0)
	s_barrier
	buffer_gl0_inv
	s_and_saveexec_b32 s1, s0
	s_cbranch_execz .LBB125_317
; %bb.315:
	v_mov_b32_e32 v81, v5
	v_mov_b32_e32 v80, v4
	s_clause 0x1
	buffer_load_dword v4, off, s[12:15], 0 offset:336
	buffer_load_dword v5, off, s[12:15], 0 offset:340
	v_cmp_eq_f64_e32 vcc_lo, 0, v[86:87]
	s_load_dwordx2 s[2:3], s[4:5], 0x28
	v_cndmask_b32_e64 v1, 0, 1, vcc_lo
	s_waitcnt vmcnt(0)
	v_cmp_neq_f64_e64 s0, 0, v[4:5]
	s_clause 0x1
	buffer_load_dword v4, off, s[12:15], 0 offset:344
	buffer_load_dword v5, off, s[12:15], 0 offset:348
	s_or_b32 vcc_lo, s0, vcc_lo
	v_cndmask_b32_e32 v1, 2, v1, vcc_lo
	v_cmp_eq_u32_e64 s0, 0, v1
	s_waitcnt vmcnt(0)
	v_cmp_eq_f64_e32 vcc_lo, 0, v[4:5]
	s_clause 0x1
	buffer_load_dword v4, off, s[12:15], 0 offset:352
	buffer_load_dword v5, off, s[12:15], 0 offset:356
	s_and_b32 s0, vcc_lo, s0
	v_cndmask_b32_e64 v1, v1, 3, s0
	v_cmp_eq_u32_e64 s0, 0, v1
	s_waitcnt vmcnt(0)
	v_cmp_eq_f64_e32 vcc_lo, 0, v[4:5]
	s_clause 0x1
	buffer_load_dword v4, off, s[12:15], 0 offset:360
	buffer_load_dword v5, off, s[12:15], 0 offset:364
	s_and_b32 s0, vcc_lo, s0
	v_cndmask_b32_e64 v1, v1, 4, s0
	;; [unrolled: 8-line block ×22, first 2 shown]
	v_cmp_eq_u32_e64 s0, 0, v1
	s_waitcnt vmcnt(0)
	v_cmp_eq_f64_e32 vcc_lo, 0, v[4:5]
	s_and_b32 s0, vcc_lo, s0
	v_cmp_eq_f64_e32 vcc_lo, 0, v[80:81]
	v_cndmask_b32_e64 v1, v1, 25, s0
	v_cmp_eq_u32_e64 s0, 0, v1
	s_and_b32 s0, vcc_lo, s0
	v_cmp_eq_f64_e32 vcc_lo, 0, v[6:7]
	v_cndmask_b32_e64 v1, v1, 26, s0
	v_cmp_eq_u32_e64 s0, 0, v1
	;; [unrolled: 4-line block ×38, first 2 shown]
	s_and_b32 s0, vcc_lo, s0
	v_cndmask_b32_e64 v4, v1, 63, s0
	v_lshlrev_b64 v[1:2], 2, v[2:3]
	v_cmp_ne_u32_e64 s0, 0, v4
	s_waitcnt lgkmcnt(0)
	v_add_co_u32 v1, vcc_lo, s2, v1
	v_add_co_ci_u32_e64 v2, null, s3, v2, vcc_lo
	global_load_dword v3, v[1:2], off
	s_waitcnt vmcnt(0)
	v_cmp_eq_u32_e32 vcc_lo, 0, v3
	s_and_b32 s0, vcc_lo, s0
	s_and_b32 exec_lo, exec_lo, s0
	s_cbranch_execz .LBB125_317
; %bb.316:
	v_add_nc_u32_e32 v3, s9, v4
	global_store_dword v[1:2], v3, off
.LBB125_317:
	s_or_b32 exec_lo, exec_lo, s1
	flat_store_dwordx2 v[126:127], v[252:253]
	s_clause 0x1
	buffer_load_dword v3, off, s[12:15], 0 offset:328
	buffer_load_dword v4, off, s[12:15], 0 offset:332
	v_mul_f64 v[1:2], v[64:65], v[254:255]
	v_cmp_lt_u32_e32 vcc_lo, 62, v0
	v_cndmask_b32_e32 v2, v255, v2, vcc_lo
	v_cndmask_b32_e32 v1, v254, v1, vcc_lo
	s_waitcnt vmcnt(0)
	flat_store_dwordx2 v[3:4], v[232:233]
	s_clause 0x1
	buffer_load_dword v3, off, s[12:15], 0 offset:320
	buffer_load_dword v4, off, s[12:15], 0 offset:324
	s_waitcnt vmcnt(0)
	flat_store_dwordx2 v[3:4], v[250:251]
	flat_store_dwordx2 v[88:89], v[230:231]
	;; [unrolled: 1-line block ×11, first 2 shown]
	s_clause 0x1
	buffer_load_dword v3, off, s[12:15], 0 offset:528
	buffer_load_dword v4, off, s[12:15], 0 offset:532
	s_waitcnt vmcnt(0)
	flat_store_dwordx2 v[3:4], v[220:221]
	s_clause 0x1
	buffer_load_dword v3, off, s[12:15], 0 offset:536
	buffer_load_dword v4, off, s[12:15], 0 offset:540
	s_waitcnt vmcnt(0)
	flat_store_dwordx2 v[3:4], v[238:239]
	;; [unrolled: 5-line block ×3, first 2 shown]
	flat_store_dwordx2 v[114:115], v[236:237]
	flat_store_dwordx2 v[116:117], v[216:217]
	;; [unrolled: 1-line block ×7, first 2 shown]
	s_clause 0x1
	buffer_load_dword v3, off, s[12:15], 0
	buffer_load_dword v4, off, s[12:15], 0 offset:4
	s_waitcnt vmcnt(0)
	flat_store_dwordx2 v[3:4], v[168:169]
	s_clause 0x1
	buffer_load_dword v3, off, s[12:15], 0 offset:8
	buffer_load_dword v4, off, s[12:15], 0 offset:12
	s_waitcnt vmcnt(0)
	flat_store_dwordx2 v[3:4], v[210:211]
	s_clause 0x1
	buffer_load_dword v3, off, s[12:15], 0 offset:16
	;; [unrolled: 5-line block ×39, first 2 shown]
	buffer_load_dword v4, off, s[12:15], 0 offset:316
	s_waitcnt vmcnt(0)
	flat_store_dwordx2 v[3:4], v[1:2]
.LBB125_318:
	s_endpgm
	.section	.rodata,"a",@progbits
	.p2align	6, 0x0
	.amdhsa_kernel _ZN9rocsolver6v33100L23getf2_npvt_small_kernelILi63EdiiPKPdEEvT1_T3_lS5_lPT2_S5_S5_
		.amdhsa_group_segment_fixed_size 0
		.amdhsa_private_segment_fixed_size 556
		.amdhsa_kernarg_size 312
		.amdhsa_user_sgpr_count 6
		.amdhsa_user_sgpr_private_segment_buffer 1
		.amdhsa_user_sgpr_dispatch_ptr 0
		.amdhsa_user_sgpr_queue_ptr 0
		.amdhsa_user_sgpr_kernarg_segment_ptr 1
		.amdhsa_user_sgpr_dispatch_id 0
		.amdhsa_user_sgpr_flat_scratch_init 0
		.amdhsa_user_sgpr_private_segment_size 0
		.amdhsa_wavefront_size32 1
		.amdhsa_uses_dynamic_stack 0
		.amdhsa_system_sgpr_private_segment_wavefront_offset 1
		.amdhsa_system_sgpr_workgroup_id_x 1
		.amdhsa_system_sgpr_workgroup_id_y 1
		.amdhsa_system_sgpr_workgroup_id_z 0
		.amdhsa_system_sgpr_workgroup_info 0
		.amdhsa_system_vgpr_workitem_id 1
		.amdhsa_next_free_vgpr 256
		.amdhsa_next_free_sgpr 16
		.amdhsa_reserve_vcc 1
		.amdhsa_reserve_flat_scratch 1
		.amdhsa_float_round_mode_32 0
		.amdhsa_float_round_mode_16_64 0
		.amdhsa_float_denorm_mode_32 3
		.amdhsa_float_denorm_mode_16_64 3
		.amdhsa_dx10_clamp 1
		.amdhsa_ieee_mode 1
		.amdhsa_fp16_overflow 0
		.amdhsa_workgroup_processor_mode 1
		.amdhsa_memory_ordered 1
		.amdhsa_forward_progress 1
		.amdhsa_shared_vgpr_count 0
		.amdhsa_exception_fp_ieee_invalid_op 0
		.amdhsa_exception_fp_denorm_src 0
		.amdhsa_exception_fp_ieee_div_zero 0
		.amdhsa_exception_fp_ieee_overflow 0
		.amdhsa_exception_fp_ieee_underflow 0
		.amdhsa_exception_fp_ieee_inexact 0
		.amdhsa_exception_int_div_zero 0
	.end_amdhsa_kernel
	.section	.text._ZN9rocsolver6v33100L23getf2_npvt_small_kernelILi63EdiiPKPdEEvT1_T3_lS5_lPT2_S5_S5_,"axG",@progbits,_ZN9rocsolver6v33100L23getf2_npvt_small_kernelILi63EdiiPKPdEEvT1_T3_lS5_lPT2_S5_S5_,comdat
.Lfunc_end125:
	.size	_ZN9rocsolver6v33100L23getf2_npvt_small_kernelILi63EdiiPKPdEEvT1_T3_lS5_lPT2_S5_S5_, .Lfunc_end125-_ZN9rocsolver6v33100L23getf2_npvt_small_kernelILi63EdiiPKPdEEvT1_T3_lS5_lPT2_S5_S5_
                                        ; -- End function
	.set _ZN9rocsolver6v33100L23getf2_npvt_small_kernelILi63EdiiPKPdEEvT1_T3_lS5_lPT2_S5_S5_.num_vgpr, 256
	.set _ZN9rocsolver6v33100L23getf2_npvt_small_kernelILi63EdiiPKPdEEvT1_T3_lS5_lPT2_S5_S5_.num_agpr, 0
	.set _ZN9rocsolver6v33100L23getf2_npvt_small_kernelILi63EdiiPKPdEEvT1_T3_lS5_lPT2_S5_S5_.numbered_sgpr, 16
	.set _ZN9rocsolver6v33100L23getf2_npvt_small_kernelILi63EdiiPKPdEEvT1_T3_lS5_lPT2_S5_S5_.num_named_barrier, 0
	.set _ZN9rocsolver6v33100L23getf2_npvt_small_kernelILi63EdiiPKPdEEvT1_T3_lS5_lPT2_S5_S5_.private_seg_size, 556
	.set _ZN9rocsolver6v33100L23getf2_npvt_small_kernelILi63EdiiPKPdEEvT1_T3_lS5_lPT2_S5_S5_.uses_vcc, 1
	.set _ZN9rocsolver6v33100L23getf2_npvt_small_kernelILi63EdiiPKPdEEvT1_T3_lS5_lPT2_S5_S5_.uses_flat_scratch, 1
	.set _ZN9rocsolver6v33100L23getf2_npvt_small_kernelILi63EdiiPKPdEEvT1_T3_lS5_lPT2_S5_S5_.has_dyn_sized_stack, 0
	.set _ZN9rocsolver6v33100L23getf2_npvt_small_kernelILi63EdiiPKPdEEvT1_T3_lS5_lPT2_S5_S5_.has_recursion, 0
	.set _ZN9rocsolver6v33100L23getf2_npvt_small_kernelILi63EdiiPKPdEEvT1_T3_lS5_lPT2_S5_S5_.has_indirect_call, 0
	.section	.AMDGPU.csdata,"",@progbits
; Kernel info:
; codeLenInByte = 64732
; TotalNumSgprs: 18
; NumVgprs: 256
; ScratchSize: 556
; MemoryBound: 0
; FloatMode: 240
; IeeeMode: 1
; LDSByteSize: 0 bytes/workgroup (compile time only)
; SGPRBlocks: 0
; VGPRBlocks: 31
; NumSGPRsForWavesPerEU: 18
; NumVGPRsForWavesPerEU: 256
; Occupancy: 4
; WaveLimiterHint : 1
; COMPUTE_PGM_RSRC2:SCRATCH_EN: 1
; COMPUTE_PGM_RSRC2:USER_SGPR: 6
; COMPUTE_PGM_RSRC2:TRAP_HANDLER: 0
; COMPUTE_PGM_RSRC2:TGID_X_EN: 1
; COMPUTE_PGM_RSRC2:TGID_Y_EN: 1
; COMPUTE_PGM_RSRC2:TGID_Z_EN: 0
; COMPUTE_PGM_RSRC2:TIDIG_COMP_CNT: 1
	.section	.text._ZN9rocsolver6v33100L18getf2_small_kernelILi64EdiiPKPdEEvT1_T3_lS5_lPS5_llPT2_S5_S5_S7_l,"axG",@progbits,_ZN9rocsolver6v33100L18getf2_small_kernelILi64EdiiPKPdEEvT1_T3_lS5_lPS5_llPT2_S5_S5_S7_l,comdat
	.globl	_ZN9rocsolver6v33100L18getf2_small_kernelILi64EdiiPKPdEEvT1_T3_lS5_lPS5_llPT2_S5_S5_S7_l ; -- Begin function _ZN9rocsolver6v33100L18getf2_small_kernelILi64EdiiPKPdEEvT1_T3_lS5_lPS5_llPT2_S5_S5_S7_l
	.p2align	8
	.type	_ZN9rocsolver6v33100L18getf2_small_kernelILi64EdiiPKPdEEvT1_T3_lS5_lPS5_llPT2_S5_S5_S7_l,@function
_ZN9rocsolver6v33100L18getf2_small_kernelILi64EdiiPKPdEEvT1_T3_lS5_lPS5_llPT2_S5_S5_S7_l: ; @_ZN9rocsolver6v33100L18getf2_small_kernelILi64EdiiPKPdEEvT1_T3_lS5_lPS5_llPT2_S5_S5_S7_l
; %bb.0:
	s_clause 0x1
	s_load_dword s0, s[4:5], 0x6c
	s_load_dwordx2 s[12:13], s[4:5], 0x48
	s_waitcnt lgkmcnt(0)
	s_lshr_b32 s0, s0, 16
	v_mad_u64_u32 v[2:3], null, s7, s0, v[1:2]
	s_mov_b32 s0, exec_lo
	v_cmpx_gt_i32_e64 s12, v2
	s_cbranch_execz .LBB126_1085
; %bb.1:
	s_clause 0x1
	s_load_dwordx4 s[0:3], s[4:5], 0x8
	s_load_dwordx4 s[8:11], s[4:5], 0x50
	v_ashrrev_i32_e32 v3, 31, v2
	v_lshlrev_b64 v[4:5], 3, v[2:3]
	s_waitcnt lgkmcnt(0)
	v_add_co_u32 v4, vcc_lo, s0, v4
	v_add_co_ci_u32_e64 v5, null, s1, v5, vcc_lo
	s_cmp_eq_u64 s[8:9], 0
	s_cselect_b32 s6, -1, 0
	global_load_dwordx2 v[6:7], v[4:5], off
	v_mov_b32_e32 v4, 0
	v_mov_b32_e32 v5, 0
	s_and_b32 vcc_lo, exec_lo, s6
	s_cbranch_vccnz .LBB126_3
; %bb.2:
	v_mul_lo_u32 v8, s11, v2
	v_mul_lo_u32 v9, s10, v3
	v_mad_u64_u32 v[4:5], null, s10, v2, 0
	v_add3_u32 v5, v5, v9, v8
	v_lshlrev_b64 v[4:5], 2, v[4:5]
	v_add_co_u32 v4, vcc_lo, s8, v4
	v_add_co_ci_u32_e64 v5, null, s9, v5, vcc_lo
.LBB126_3:
	s_clause 0x1
	s_load_dword s8, s[4:5], 0x18
	s_load_dword s7, s[4:5], 0x0
	s_lshl_b64 s[0:1], s[2:3], 3
	v_lshlrev_b32_e32 v196, 3, v0
	s_waitcnt vmcnt(0)
	v_add_co_u32 v138, vcc_lo, v6, s0
	v_add_co_ci_u32_e64 v139, null, s1, v7, vcc_lo
	s_waitcnt lgkmcnt(0)
	v_add3_u32 v8, s8, s8, v0
	s_ashr_i32 s9, s8, 31
	s_max_i32 s0, s7, 64
	s_lshl_b64 s[10:11], s[8:9], 3
	v_mul_lo_u32 v1, s0, v1
	v_add_nc_u32_e32 v10, s8, v8
	v_ashrrev_i32_e32 v9, 31, v8
	s_cmp_lt_i32 s7, 2
	v_ashrrev_i32_e32 v11, 31, v10
	v_add_nc_u32_e32 v12, s8, v10
	v_lshlrev_b64 v[8:9], 3, v[8:9]
	v_lshlrev_b64 v[6:7], 3, v[10:11]
	v_add_nc_u32_e32 v10, s8, v12
	v_ashrrev_i32_e32 v13, 31, v12
	v_add_co_u32 v8, vcc_lo, v138, v8
	v_add_co_ci_u32_e64 v9, null, v139, v9, vcc_lo
	v_add_nc_u32_e32 v14, s8, v10
	v_ashrrev_i32_e32 v11, 31, v10
	v_lshlrev_b64 v[12:13], 3, v[12:13]
	v_add_co_u32 v6, vcc_lo, v138, v6
	v_add_nc_u32_e32 v16, s8, v14
	v_ashrrev_i32_e32 v15, 31, v14
	v_lshlrev_b64 v[10:11], 3, v[10:11]
	v_add_co_ci_u32_e64 v7, null, v139, v7, vcc_lo
	v_add_nc_u32_e32 v18, s8, v16
	v_ashrrev_i32_e32 v17, 31, v16
	v_lshlrev_b64 v[14:15], 3, v[14:15]
	v_add_co_u32 v12, vcc_lo, v138, v12
	v_add_nc_u32_e32 v20, s8, v18
	v_ashrrev_i32_e32 v19, 31, v18
	v_lshlrev_b64 v[16:17], 3, v[16:17]
	v_add_co_ci_u32_e64 v13, null, v139, v13, vcc_lo
	v_add_nc_u32_e32 v22, s8, v20
	v_ashrrev_i32_e32 v21, 31, v20
	v_add_co_u32 v10, vcc_lo, v138, v10
	v_lshlrev_b64 v[18:19], 3, v[18:19]
	v_add_nc_u32_e32 v24, s8, v22
	v_ashrrev_i32_e32 v23, 31, v22
	v_add_co_ci_u32_e64 v11, null, v139, v11, vcc_lo
	v_add_co_u32 v14, vcc_lo, v138, v14
	v_add_nc_u32_e32 v26, s8, v24
	v_ashrrev_i32_e32 v25, 31, v24
	v_lshlrev_b64 v[20:21], 3, v[20:21]
	v_add_co_ci_u32_e64 v15, null, v139, v15, vcc_lo
	v_add_nc_u32_e32 v28, s8, v26
	v_ashrrev_i32_e32 v27, 31, v26
	v_add_co_u32 v16, vcc_lo, v138, v16
	v_lshlrev_b64 v[22:23], 3, v[22:23]
	v_add_nc_u32_e32 v30, s8, v28
	v_ashrrev_i32_e32 v29, 31, v28
	v_add_co_ci_u32_e64 v17, null, v139, v17, vcc_lo
	v_add_co_u32 v18, vcc_lo, v138, v18
	v_add_nc_u32_e32 v32, s8, v30
	v_lshlrev_b64 v[24:25], 3, v[24:25]
	v_ashrrev_i32_e32 v31, 31, v30
	v_add_co_ci_u32_e64 v19, null, v139, v19, vcc_lo
	v_add_nc_u32_e32 v34, s8, v32
	v_add_co_u32 v20, vcc_lo, v138, v20
	v_lshlrev_b64 v[26:27], 3, v[26:27]
	v_ashrrev_i32_e32 v33, 31, v32
	v_add_nc_u32_e32 v36, s8, v34
	v_add_co_ci_u32_e64 v21, null, v139, v21, vcc_lo
	v_add_co_u32 v22, vcc_lo, v138, v22
	v_add_nc_u32_e32 v38, s8, v36
	v_lshlrev_b64 v[28:29], 3, v[28:29]
	v_ashrrev_i32_e32 v35, 31, v34
	v_add_co_ci_u32_e64 v23, null, v139, v23, vcc_lo
	v_add_nc_u32_e32 v40, s8, v38
	v_add_co_u32 v24, vcc_lo, v138, v24
	v_lshlrev_b64 v[30:31], 3, v[30:31]
	v_ashrrev_i32_e32 v37, 31, v36
	v_add_nc_u32_e32 v42, s8, v40
	;; [unrolled: 11-line block ×5, first 2 shown]
	v_add_co_ci_u32_e64 v37, null, v139, v37, vcc_lo
	v_add_co_u32 v38, vcc_lo, v138, v38
	v_add_nc_u32_e32 v62, s8, v60
	v_lshlrev_b64 v[44:45], 3, v[44:45]
	v_ashrrev_i32_e32 v51, 31, v50
	v_add_co_ci_u32_e64 v39, null, v139, v39, vcc_lo
	v_add_co_u32 v40, vcc_lo, v138, v40
	v_lshlrev_b64 v[46:47], 3, v[46:47]
	v_add_nc_u32_e32 v64, s8, v62
	v_ashrrev_i32_e32 v53, 31, v52
	v_add_co_ci_u32_e64 v41, null, v139, v41, vcc_lo
	v_add_co_u32 v42, vcc_lo, v138, v42
	v_lshlrev_b64 v[48:49], 3, v[48:49]
	v_ashrrev_i32_e32 v55, 31, v54
	v_add_co_ci_u32_e64 v43, null, v139, v43, vcc_lo
	v_add_co_u32 v44, vcc_lo, v138, v44
	v_lshlrev_b64 v[50:51], 3, v[50:51]
	v_ashrrev_i32_e32 v57, 31, v56
	v_add_nc_u32_e32 v66, s8, v64
	v_add_co_ci_u32_e64 v45, null, v139, v45, vcc_lo
	v_add_co_u32 v46, vcc_lo, v138, v46
	v_lshlrev_b64 v[52:53], 3, v[52:53]
	v_ashrrev_i32_e32 v59, 31, v58
	v_add_co_ci_u32_e64 v47, null, v139, v47, vcc_lo
	v_add_co_u32 v48, vcc_lo, v138, v48
	v_lshlrev_b64 v[54:55], 3, v[54:55]
	v_ashrrev_i32_e32 v61, 31, v60
	v_add_co_ci_u32_e64 v49, null, v139, v49, vcc_lo
	v_add_co_u32 v50, vcc_lo, v138, v50
	v_lshlrev_b64 v[56:57], 3, v[56:57]
	v_add_nc_u32_e32 v68, s8, v66
	v_ashrrev_i32_e32 v63, 31, v62
	v_add_co_ci_u32_e64 v51, null, v139, v51, vcc_lo
	v_add_co_u32 v52, vcc_lo, v138, v52
	v_lshlrev_b64 v[58:59], 3, v[58:59]
	v_ashrrev_i32_e32 v65, 31, v64
	v_add_co_ci_u32_e64 v53, null, v139, v53, vcc_lo
	v_add_co_u32 v54, vcc_lo, v138, v54
	v_lshlrev_b64 v[60:61], 3, v[60:61]
	v_ashrrev_i32_e32 v67, 31, v66
	v_add_nc_u32_e32 v70, s8, v68
	v_add_co_ci_u32_e64 v55, null, v139, v55, vcc_lo
	v_add_co_u32 v56, vcc_lo, v138, v56
	v_lshlrev_b64 v[62:63], 3, v[62:63]
	v_ashrrev_i32_e32 v69, 31, v68
	v_add_co_ci_u32_e64 v57, null, v139, v57, vcc_lo
	v_add_co_u32 v58, vcc_lo, v138, v58
	v_lshlrev_b64 v[64:65], 3, v[64:65]
	v_add_co_ci_u32_e64 v59, null, v139, v59, vcc_lo
	v_add_co_u32 v60, vcc_lo, v138, v60
	v_lshlrev_b64 v[66:67], 3, v[66:67]
	v_add_nc_u32_e32 v72, s8, v70
	v_add_co_ci_u32_e64 v61, null, v139, v61, vcc_lo
	v_add_co_u32 v62, vcc_lo, v138, v62
	v_lshlrev_b64 v[68:69], 3, v[68:69]
	v_ashrrev_i32_e32 v71, 31, v70
	v_add_co_ci_u32_e64 v63, null, v139, v63, vcc_lo
	v_add_co_u32 v64, vcc_lo, v138, v64
	v_ashrrev_i32_e32 v73, 31, v72
	v_add_nc_u32_e32 v74, s8, v72
	v_add_co_ci_u32_e64 v65, null, v139, v65, vcc_lo
	v_add_co_u32 v66, vcc_lo, v138, v66
	v_lshlrev_b64 v[70:71], 3, v[70:71]
	v_add_co_ci_u32_e64 v67, null, v139, v67, vcc_lo
	v_add_co_u32 v132, vcc_lo, v138, v68
	v_add_co_ci_u32_e64 v133, null, v139, v69, vcc_lo
	v_lshlrev_b64 v[68:69], 3, v[72:73]
	v_ashrrev_i32_e32 v75, 31, v74
	v_add_nc_u32_e32 v72, s8, v74
	v_add_co_u32 v134, vcc_lo, v138, v70
	v_add_co_ci_u32_e64 v135, null, v139, v71, vcc_lo
	v_lshlrev_b64 v[70:71], 3, v[74:75]
	v_ashrrev_i32_e32 v73, 31, v72
	v_add_nc_u32_e32 v74, s8, v72
	;; [unrolled: 5-line block ×25, first 2 shown]
	v_add_co_u32 v184, vcc_lo, v138, v70
	v_add_co_ci_u32_e64 v185, null, v139, v71, vcc_lo
	v_lshlrev_b64 v[70:71], 3, v[74:75]
	v_add_nc_u32_e32 v74, s8, v72
	v_ashrrev_i32_e32 v73, 31, v72
	v_add_co_u32 v186, vcc_lo, v138, v68
	v_add_co_ci_u32_e64 v187, null, v139, v69, vcc_lo
	v_ashrrev_i32_e32 v75, 31, v74
	v_lshlrev_b64 v[68:69], 3, v[72:73]
	v_add_co_u32 v188, vcc_lo, v138, v70
	v_add_co_ci_u32_e64 v189, null, v139, v71, vcc_lo
	v_lshlrev_b64 v[70:71], 3, v[74:75]
	v_add_nc_u32_e32 v72, s8, v74
	v_add_co_u32 v190, vcc_lo, v138, v68
	v_add_co_ci_u32_e64 v191, null, v139, v69, vcc_lo
	v_ashrrev_i32_e32 v73, 31, v72
	v_add_co_u32 v192, vcc_lo, v138, v70
	v_add_co_ci_u32_e64 v193, null, v139, v71, vcc_lo
	v_add_co_u32 v70, vcc_lo, v138, v196
	v_add_co_ci_u32_e64 v71, null, 0, v139, vcc_lo
	v_lshlrev_b64 v[68:69], 3, v[72:73]
	v_add_co_u32 v72, vcc_lo, v70, s10
	v_add_co_ci_u32_e64 v73, null, s11, v71, vcc_lo
	v_add_co_u32 v194, vcc_lo, v138, v68
	v_add_co_ci_u32_e64 v195, null, v139, v69, vcc_lo
	s_clause 0x3e
	flat_load_dwordx2 v[130:131], v[70:71]
	flat_load_dwordx2 v[128:129], v[72:73]
	;; [unrolled: 1-line block ×64, first 2 shown]
	v_lshl_add_u32 v140, v1, 3, 0
	v_lshlrev_b32_e32 v141, 3, v1
	v_mov_b32_e32 v136, 0
	v_add_nc_u32_e32 v134, v140, v196
	s_waitcnt vmcnt(62) lgkmcnt(62)
	ds_write_b64 v134, v[130:131]
	s_waitcnt vmcnt(0) lgkmcnt(0)
	s_barrier
	buffer_gl0_inv
	ds_read_b64 v[134:135], v140
	s_cbranch_scc1 .LBB126_6
; %bb.4:
	v_add3_u32 v1, v141, 0, 8
	v_mov_b32_e32 v136, 0
	s_mov_b32 s0, 1
.LBB126_5:                              ; =>This Inner Loop Header: Depth=1
	ds_read_b64 v[142:143], v1
	v_add_nc_u32_e32 v1, 8, v1
	s_waitcnt lgkmcnt(0)
	v_cmp_lt_f64_e64 vcc_lo, |v[134:135]|, |v[142:143]|
	v_cndmask_b32_e32 v135, v135, v143, vcc_lo
	v_cndmask_b32_e32 v134, v134, v142, vcc_lo
	v_cndmask_b32_e64 v136, v136, s0, vcc_lo
	s_add_i32 s0, s0, 1
	s_cmp_eq_u32 s7, s0
	s_cbranch_scc0 .LBB126_5
.LBB126_6:
	s_mov_b32 s0, exec_lo
                                        ; implicit-def: $vgpr143
	v_cmpx_ne_u32_e64 v0, v136
	s_xor_b32 s0, exec_lo, s0
	s_cbranch_execz .LBB126_12
; %bb.7:
	s_mov_b32 s1, exec_lo
	v_cmpx_eq_u32_e32 0, v0
	s_cbranch_execz .LBB126_11
; %bb.8:
	v_cmp_ne_u32_e32 vcc_lo, 0, v136
	s_xor_b32 s2, s6, -1
	s_and_b32 s3, s2, vcc_lo
	s_and_saveexec_b32 s2, s3
	s_cbranch_execz .LBB126_10
; %bb.9:
	v_ashrrev_i32_e32 v137, 31, v136
	v_lshlrev_b64 v[0:1], 2, v[136:137]
	v_add_co_u32 v0, vcc_lo, v4, v0
	v_add_co_ci_u32_e64 v1, null, v5, v1, vcc_lo
	s_clause 0x1
	global_load_dword v137, v[0:1], off
	global_load_dword v142, v[4:5], off
	s_waitcnt vmcnt(1)
	global_store_dword v[4:5], v137, off
	s_waitcnt vmcnt(0)
	global_store_dword v[0:1], v142, off
.LBB126_10:
	s_or_b32 exec_lo, exec_lo, s2
	v_mov_b32_e32 v0, v136
.LBB126_11:
	s_or_b32 exec_lo, exec_lo, s1
	v_mov_b32_e32 v143, v0
                                        ; implicit-def: $vgpr0
.LBB126_12:
	s_or_saveexec_b32 s0, s0
	v_mov_b32_e32 v142, v143
	s_xor_b32 exec_lo, exec_lo, s0
	s_cbranch_execz .LBB126_14
; %bb.13:
	v_mov_b32_e32 v143, 0
	v_mov_b32_e32 v142, v0
	ds_write2_b64 v140, v[128:129], v[126:127] offset0:1 offset1:2
	ds_write2_b64 v140, v[124:125], v[122:123] offset0:3 offset1:4
	;; [unrolled: 1-line block ×31, first 2 shown]
	ds_write_b64 v140, v[132:133] offset:504
.LBB126_14:
	s_or_b32 exec_lo, exec_lo, s0
	s_waitcnt lgkmcnt(0)
	v_cmp_eq_f64_e64 s0, 0, v[134:135]
	s_mov_b32 s1, exec_lo
	s_waitcnt_vscnt null, 0x0
	s_barrier
	buffer_gl0_inv
	v_cmpx_lt_i32_e32 0, v143
	s_cbranch_execz .LBB126_16
; %bb.15:
	v_div_scale_f64 v[0:1], null, v[134:135], v[134:135], 1.0
	v_div_scale_f64 v[146:147], vcc_lo, 1.0, v[134:135], 1.0
	v_rcp_f64_e32 v[136:137], v[0:1]
	v_fma_f64 v[144:145], -v[0:1], v[136:137], 1.0
	v_fma_f64 v[136:137], v[136:137], v[144:145], v[136:137]
	v_fma_f64 v[144:145], -v[0:1], v[136:137], 1.0
	v_fma_f64 v[136:137], v[136:137], v[144:145], v[136:137]
	v_mul_f64 v[144:145], v[146:147], v[136:137]
	v_fma_f64 v[0:1], -v[0:1], v[144:145], v[146:147]
	v_div_fmas_f64 v[0:1], v[0:1], v[136:137], v[144:145]
	v_div_fixup_f64 v[0:1], v[0:1], v[134:135], 1.0
	v_cndmask_b32_e64 v1, v1, v135, s0
	v_cndmask_b32_e64 v0, v0, v134, s0
	ds_read2_b64 v[134:137], v140 offset0:1 offset1:2
	ds_read2_b64 v[144:147], v140 offset0:3 offset1:4
	v_mul_f64 v[130:131], v[0:1], v[130:131]
	s_waitcnt lgkmcnt(1)
	v_fma_f64 v[128:129], -v[130:131], v[134:135], v[128:129]
	v_fma_f64 v[126:127], -v[130:131], v[136:137], v[126:127]
	ds_read2_b64 v[134:137], v140 offset0:5 offset1:6
	s_waitcnt lgkmcnt(1)
	v_fma_f64 v[124:125], -v[130:131], v[144:145], v[124:125]
	v_fma_f64 v[122:123], -v[130:131], v[146:147], v[122:123]
	ds_read2_b64 v[144:147], v140 offset0:7 offset1:8
	;; [unrolled: 4-line block ×29, first 2 shown]
	ds_read_b64 v[0:1], v140 offset:504
	s_waitcnt lgkmcnt(2)
	v_fma_f64 v[8:9], -v[130:131], v[144:145], v[8:9]
	v_fma_f64 v[12:13], -v[130:131], v[146:147], v[12:13]
	s_waitcnt lgkmcnt(1)
	v_fma_f64 v[6:7], -v[130:131], v[134:135], v[6:7]
	v_fma_f64 v[10:11], -v[130:131], v[136:137], v[10:11]
	s_waitcnt lgkmcnt(0)
	v_fma_f64 v[132:133], -v[130:131], v[0:1], v[132:133]
.LBB126_16:
	s_or_b32 exec_lo, exec_lo, s1
	v_lshl_add_u32 v0, v143, 3, v140
	s_barrier
	buffer_gl0_inv
	v_mov_b32_e32 v134, 1
	ds_write_b64 v0, v[128:129]
	s_waitcnt lgkmcnt(0)
	s_barrier
	buffer_gl0_inv
	ds_read_b64 v[0:1], v140 offset:8
	s_cmp_lt_i32 s7, 3
	s_cbranch_scc1 .LBB126_19
; %bb.17:
	v_add3_u32 v135, v141, 0, 16
	v_mov_b32_e32 v134, 1
	s_mov_b32 s1, 2
.LBB126_18:                             ; =>This Inner Loop Header: Depth=1
	ds_read_b64 v[136:137], v135
	v_add_nc_u32_e32 v135, 8, v135
	s_waitcnt lgkmcnt(0)
	v_cmp_lt_f64_e64 vcc_lo, |v[0:1]|, |v[136:137]|
	v_cndmask_b32_e32 v1, v1, v137, vcc_lo
	v_cndmask_b32_e32 v0, v0, v136, vcc_lo
	v_cndmask_b32_e64 v134, v134, s1, vcc_lo
	s_add_i32 s1, s1, 1
	s_cmp_lg_u32 s7, s1
	s_cbranch_scc1 .LBB126_18
.LBB126_19:
	s_mov_b32 s1, exec_lo
	v_cmpx_ne_u32_e64 v143, v134
	s_xor_b32 s1, exec_lo, s1
	s_cbranch_execz .LBB126_25
; %bb.20:
	s_mov_b32 s2, exec_lo
	v_cmpx_eq_u32_e32 1, v143
	s_cbranch_execz .LBB126_24
; %bb.21:
	v_cmp_ne_u32_e32 vcc_lo, 1, v134
	s_xor_b32 s3, s6, -1
	s_and_b32 s9, s3, vcc_lo
	s_and_saveexec_b32 s3, s9
	s_cbranch_execz .LBB126_23
; %bb.22:
	v_ashrrev_i32_e32 v135, 31, v134
	v_lshlrev_b64 v[135:136], 2, v[134:135]
	v_add_co_u32 v135, vcc_lo, v4, v135
	v_add_co_ci_u32_e64 v136, null, v5, v136, vcc_lo
	s_clause 0x1
	global_load_dword v137, v[135:136], off
	global_load_dword v142, v[4:5], off offset:4
	s_waitcnt vmcnt(1)
	global_store_dword v[4:5], v137, off offset:4
	s_waitcnt vmcnt(0)
	global_store_dword v[135:136], v142, off
.LBB126_23:
	s_or_b32 exec_lo, exec_lo, s3
	v_mov_b32_e32 v142, v134
	v_mov_b32_e32 v143, v134
.LBB126_24:
	s_or_b32 exec_lo, exec_lo, s2
.LBB126_25:
	s_andn2_saveexec_b32 s1, s1
	s_cbranch_execz .LBB126_27
; %bb.26:
	v_mov_b32_e32 v134, v126
	v_mov_b32_e32 v135, v127
	;; [unrolled: 1-line block ×8, first 2 shown]
	ds_write2_b64 v140, v[134:135], v[136:137] offset0:2 offset1:3
	ds_write2_b64 v140, v[143:144], v[145:146] offset0:4 offset1:5
	v_mov_b32_e32 v134, v120
	v_mov_b32_e32 v135, v121
	v_mov_b32_e32 v136, v114
	v_mov_b32_e32 v137, v115
	v_mov_b32_e32 v143, v116
	v_mov_b32_e32 v144, v117
	v_mov_b32_e32 v145, v112
	v_mov_b32_e32 v146, v113
	v_mov_b32_e32 v147, v110
	v_mov_b32_e32 v148, v111
	v_mov_b32_e32 v149, v108
	v_mov_b32_e32 v150, v109
	v_mov_b32_e32 v151, v106
	v_mov_b32_e32 v152, v107
	v_mov_b32_e32 v153, v104
	v_mov_b32_e32 v154, v105
	v_mov_b32_e32 v155, v102
	v_mov_b32_e32 v156, v103
	v_mov_b32_e32 v157, v98
	v_mov_b32_e32 v158, v99
	ds_write2_b64 v140, v[134:135], v[136:137] offset0:6 offset1:7
	ds_write2_b64 v140, v[143:144], v[145:146] offset0:8 offset1:9
	ds_write2_b64 v140, v[147:148], v[149:150] offset0:10 offset1:11
	ds_write2_b64 v140, v[151:152], v[153:154] offset0:12 offset1:13
	ds_write2_b64 v140, v[155:156], v[157:158] offset0:14 offset1:15
	v_mov_b32_e32 v134, v100
	v_mov_b32_e32 v135, v101
	v_mov_b32_e32 v136, v94
	v_mov_b32_e32 v137, v95
	v_mov_b32_e32 v143, v96
	v_mov_b32_e32 v144, v97
	v_mov_b32_e32 v145, v92
	v_mov_b32_e32 v146, v93
	v_mov_b32_e32 v147, v90
	v_mov_b32_e32 v148, v91
	v_mov_b32_e32 v149, v88
	v_mov_b32_e32 v150, v89
	v_mov_b32_e32 v151, v86
	v_mov_b32_e32 v152, v87
	v_mov_b32_e32 v153, v84
	v_mov_b32_e32 v154, v85
	v_mov_b32_e32 v155, v82
	v_mov_b32_e32 v156, v83
	v_mov_b32_e32 v157, v78
	v_mov_b32_e32 v158, v79
	ds_write2_b64 v140, v[134:135], v[136:137] offset0:16 offset1:17
	ds_write2_b64 v140, v[143:144], v[145:146] offset0:18 offset1:19
	ds_write2_b64 v140, v[147:148], v[149:150] offset0:20 offset1:21
	;; [unrolled: 25-line block ×5, first 2 shown]
	ds_write2_b64 v140, v[151:152], v[153:154] offset0:52 offset1:53
	ds_write2_b64 v140, v[155:156], v[157:158] offset0:54 offset1:55
	v_mov_b32_e32 v134, v20
	v_mov_b32_e32 v135, v21
	;; [unrolled: 1-line block ×15, first 2 shown]
	ds_write2_b64 v140, v[134:135], v[136:137] offset0:56 offset1:57
	ds_write2_b64 v140, v[144:145], v[146:147] offset0:58 offset1:59
	;; [unrolled: 1-line block ×4, first 2 shown]
.LBB126_27:
	s_or_b32 exec_lo, exec_lo, s1
	s_waitcnt lgkmcnt(0)
	v_cmp_neq_f64_e64 s1, 0, v[0:1]
	s_mov_b32 s2, exec_lo
	s_waitcnt_vscnt null, 0x0
	s_barrier
	buffer_gl0_inv
	v_cmpx_lt_i32_e32 1, v143
	s_cbranch_execz .LBB126_29
; %bb.28:
	v_div_scale_f64 v[134:135], null, v[0:1], v[0:1], 1.0
	v_div_scale_f64 v[146:147], vcc_lo, 1.0, v[0:1], 1.0
	v_rcp_f64_e32 v[136:137], v[134:135]
	v_fma_f64 v[144:145], -v[134:135], v[136:137], 1.0
	v_fma_f64 v[136:137], v[136:137], v[144:145], v[136:137]
	v_fma_f64 v[144:145], -v[134:135], v[136:137], 1.0
	v_fma_f64 v[136:137], v[136:137], v[144:145], v[136:137]
	v_mul_f64 v[144:145], v[146:147], v[136:137]
	v_fma_f64 v[134:135], -v[134:135], v[144:145], v[146:147]
	v_div_fmas_f64 v[134:135], v[134:135], v[136:137], v[144:145]
	v_div_fixup_f64 v[134:135], v[134:135], v[0:1], 1.0
	v_cndmask_b32_e64 v1, v1, v135, s1
	v_cndmask_b32_e64 v0, v0, v134, s1
	ds_read2_b64 v[134:137], v140 offset0:2 offset1:3
	ds_read2_b64 v[144:147], v140 offset0:4 offset1:5
	;; [unrolled: 1-line block ×7, first 2 shown]
	v_mul_f64 v[128:129], v[0:1], v[128:129]
	s_waitcnt lgkmcnt(6)
	v_fma_f64 v[126:127], -v[128:129], v[134:135], v[126:127]
	v_fma_f64 v[124:125], -v[128:129], v[136:137], v[124:125]
	ds_read2_b64 v[134:137], v140 offset0:16 offset1:17
	s_waitcnt lgkmcnt(6)
	v_fma_f64 v[122:123], -v[128:129], v[144:145], v[122:123]
	v_fma_f64 v[118:119], -v[128:129], v[146:147], v[118:119]
	ds_read2_b64 v[144:147], v140 offset0:18 offset1:19
	;; [unrolled: 4-line block ×17, first 2 shown]
	s_waitcnt lgkmcnt(6)
	v_fma_f64 v[60:61], -v[128:129], v[152:153], v[60:61]
	v_fma_f64 v[54:55], -v[128:129], v[154:155], v[54:55]
	s_waitcnt lgkmcnt(5)
	v_fma_f64 v[56:57], -v[128:129], v[156:157], v[56:57]
	v_fma_f64 v[52:53], -v[128:129], v[158:159], v[52:53]
	ds_read2_b64 v[152:155], v140 offset0:50 offset1:51
	ds_read2_b64 v[156:159], v140 offset0:52 offset1:53
	s_waitcnt lgkmcnt(6)
	v_fma_f64 v[50:51], -v[128:129], v[160:161], v[50:51]
	v_fma_f64 v[48:49], -v[128:129], v[162:163], v[48:49]
	s_waitcnt lgkmcnt(5)
	v_fma_f64 v[46:47], -v[128:129], v[164:165], v[46:47]
	v_fma_f64 v[44:45], -v[128:129], v[166:167], v[44:45]
	ds_read2_b64 v[160:163], v140 offset0:54 offset1:55
	ds_read2_b64 v[164:167], v140 offset0:56 offset1:57
	;; [unrolled: 8-line block ×3, first 2 shown]
	s_waitcnt lgkmcnt(6)
	v_fma_f64 v[36:37], -v[128:129], v[148:149], v[36:37]
	v_fma_f64 v[32:33], -v[128:129], v[150:151], v[32:33]
	ds_read2_b64 v[148:151], v140 offset0:62 offset1:63
	s_waitcnt lgkmcnt(6)
	v_fma_f64 v[30:31], -v[128:129], v[152:153], v[30:31]
	v_fma_f64 v[28:29], -v[128:129], v[154:155], v[28:29]
	s_waitcnt lgkmcnt(5)
	v_fma_f64 v[26:27], -v[128:129], v[156:157], v[26:27]
	v_fma_f64 v[24:25], -v[128:129], v[158:159], v[24:25]
	;; [unrolled: 3-line block ×7, first 2 shown]
.LBB126_29:
	s_or_b32 exec_lo, exec_lo, s2
	v_lshl_add_u32 v0, v143, 3, v140
	s_barrier
	buffer_gl0_inv
	v_mov_b32_e32 v134, 2
	ds_write_b64 v0, v[126:127]
	s_waitcnt lgkmcnt(0)
	s_barrier
	buffer_gl0_inv
	ds_read_b64 v[0:1], v140 offset:16
	s_cmp_lt_i32 s7, 4
	s_mov_b32 s2, 3
	s_cbranch_scc1 .LBB126_32
; %bb.30:
	v_add3_u32 v135, v141, 0, 24
	v_mov_b32_e32 v134, 2
.LBB126_31:                             ; =>This Inner Loop Header: Depth=1
	ds_read_b64 v[136:137], v135
	v_add_nc_u32_e32 v135, 8, v135
	s_waitcnt lgkmcnt(0)
	v_cmp_lt_f64_e64 vcc_lo, |v[0:1]|, |v[136:137]|
	v_cndmask_b32_e32 v1, v1, v137, vcc_lo
	v_cndmask_b32_e32 v0, v0, v136, vcc_lo
	v_cndmask_b32_e64 v134, v134, s2, vcc_lo
	s_add_i32 s2, s2, 1
	s_cmp_lg_u32 s7, s2
	s_cbranch_scc1 .LBB126_31
.LBB126_32:
	v_cndmask_b32_e64 v135, 2, 1, s0
	v_cndmask_b32_e64 v136, 0, 1, s0
	s_mov_b32 s0, exec_lo
	v_cndmask_b32_e64 v137, v135, v136, s1
	s_waitcnt lgkmcnt(0)
	v_cmpx_eq_f64_e32 0, v[0:1]
	s_xor_b32 s0, exec_lo, s0
; %bb.33:
	v_cmp_ne_u32_e32 vcc_lo, 0, v137
	v_cndmask_b32_e32 v137, 3, v137, vcc_lo
; %bb.34:
	s_andn2_saveexec_b32 s0, s0
	s_cbranch_execz .LBB126_36
; %bb.35:
	v_div_scale_f64 v[135:136], null, v[0:1], v[0:1], 1.0
	v_rcp_f64_e32 v[144:145], v[135:136]
	v_fma_f64 v[146:147], -v[135:136], v[144:145], 1.0
	v_fma_f64 v[144:145], v[144:145], v[146:147], v[144:145]
	v_fma_f64 v[146:147], -v[135:136], v[144:145], 1.0
	v_fma_f64 v[144:145], v[144:145], v[146:147], v[144:145]
	v_div_scale_f64 v[146:147], vcc_lo, 1.0, v[0:1], 1.0
	v_mul_f64 v[148:149], v[146:147], v[144:145]
	v_fma_f64 v[135:136], -v[135:136], v[148:149], v[146:147]
	v_div_fmas_f64 v[135:136], v[135:136], v[144:145], v[148:149]
	v_div_fixup_f64 v[0:1], v[135:136], v[0:1], 1.0
.LBB126_36:
	s_or_b32 exec_lo, exec_lo, s0
	s_mov_b32 s0, exec_lo
	v_cmpx_ne_u32_e64 v143, v134
	s_xor_b32 s0, exec_lo, s0
	s_cbranch_execz .LBB126_42
; %bb.37:
	s_mov_b32 s1, exec_lo
	v_cmpx_eq_u32_e32 2, v143
	s_cbranch_execz .LBB126_41
; %bb.38:
	v_cmp_ne_u32_e32 vcc_lo, 2, v134
	s_xor_b32 s2, s6, -1
	s_and_b32 s3, s2, vcc_lo
	s_and_saveexec_b32 s2, s3
	s_cbranch_execz .LBB126_40
; %bb.39:
	v_ashrrev_i32_e32 v135, 31, v134
	v_lshlrev_b64 v[135:136], 2, v[134:135]
	v_add_co_u32 v135, vcc_lo, v4, v135
	v_add_co_ci_u32_e64 v136, null, v5, v136, vcc_lo
	s_clause 0x1
	global_load_dword v142, v[135:136], off
	global_load_dword v143, v[4:5], off offset:8
	s_waitcnt vmcnt(1)
	global_store_dword v[4:5], v142, off offset:8
	s_waitcnt vmcnt(0)
	global_store_dword v[135:136], v143, off
.LBB126_40:
	s_or_b32 exec_lo, exec_lo, s2
	v_mov_b32_e32 v142, v134
	v_mov_b32_e32 v143, v134
.LBB126_41:
	s_or_b32 exec_lo, exec_lo, s1
.LBB126_42:
	s_andn2_saveexec_b32 s0, s0
	s_cbranch_execz .LBB126_44
; %bb.43:
	v_mov_b32_e32 v143, 2
	ds_write2_b64 v140, v[124:125], v[122:123] offset0:3 offset1:4
	ds_write2_b64 v140, v[118:119], v[120:121] offset0:5 offset1:6
	;; [unrolled: 1-line block ×30, first 2 shown]
	ds_write_b64 v140, v[132:133] offset:504
.LBB126_44:
	s_or_b32 exec_lo, exec_lo, s0
	s_mov_b32 s0, exec_lo
	s_waitcnt lgkmcnt(0)
	s_waitcnt_vscnt null, 0x0
	s_barrier
	buffer_gl0_inv
	v_cmpx_lt_i32_e32 2, v143
	s_cbranch_execz .LBB126_46
; %bb.45:
	v_mul_f64 v[126:127], v[0:1], v[126:127]
	ds_read2_b64 v[144:147], v140 offset0:3 offset1:4
	ds_read2_b64 v[148:151], v140 offset0:5 offset1:6
	;; [unrolled: 1-line block ×12, first 2 shown]
	ds_read_b64 v[0:1], v140 offset:504
	s_waitcnt lgkmcnt(12)
	v_fma_f64 v[124:125], -v[126:127], v[144:145], v[124:125]
	v_fma_f64 v[122:123], -v[126:127], v[146:147], v[122:123]
	ds_read2_b64 v[144:147], v140 offset0:27 offset1:28
	s_waitcnt lgkmcnt(12)
	v_fma_f64 v[118:119], -v[126:127], v[148:149], v[118:119]
	v_fma_f64 v[120:121], -v[126:127], v[150:151], v[120:121]
	s_waitcnt lgkmcnt(11)
	v_fma_f64 v[114:115], -v[126:127], v[152:153], v[114:115]
	v_fma_f64 v[116:117], -v[126:127], v[154:155], v[116:117]
	;; [unrolled: 3-line block ×5, first 2 shown]
	ds_read2_b64 v[148:151], v140 offset0:29 offset1:30
	s_waitcnt lgkmcnt(8)
	v_fma_f64 v[98:99], -v[126:127], v[168:169], v[98:99]
	v_fma_f64 v[100:101], -v[126:127], v[170:171], v[100:101]
	ds_read2_b64 v[152:155], v140 offset0:31 offset1:32
	ds_read2_b64 v[156:159], v140 offset0:33 offset1:34
	;; [unrolled: 1-line block ×5, first 2 shown]
	s_waitcnt lgkmcnt(12)
	v_fma_f64 v[94:95], -v[126:127], v[172:173], v[94:95]
	s_waitcnt lgkmcnt(6)
	v_fma_f64 v[74:75], -v[126:127], v[144:145], v[74:75]
	v_fma_f64 v[76:77], -v[126:127], v[146:147], v[76:77]
	ds_read2_b64 v[144:147], v140 offset0:41 offset1:42
	v_fma_f64 v[96:97], -v[126:127], v[174:175], v[96:97]
	v_fma_f64 v[92:93], -v[126:127], v[176:177], v[92:93]
	;; [unrolled: 1-line block ×5, first 2 shown]
	ds_read2_b64 v[172:175], v140 offset0:51 offset1:52
	ds_read2_b64 v[176:179], v140 offset0:55 offset1:56
	;; [unrolled: 1-line block ×3, first 2 shown]
	s_waitcnt lgkmcnt(9)
	v_fma_f64 v[72:73], -v[126:127], v[148:149], v[72:73]
	v_fma_f64 v[70:71], -v[126:127], v[150:151], v[70:71]
	ds_read2_b64 v[148:151], v140 offset0:43 offset1:44
	s_waitcnt lgkmcnt(9)
	v_fma_f64 v[68:69], -v[126:127], v[152:153], v[68:69]
	v_fma_f64 v[66:67], -v[126:127], v[154:155], v[66:67]
	s_waitcnt lgkmcnt(8)
	v_fma_f64 v[64:65], -v[126:127], v[156:157], v[64:65]
	v_fma_f64 v[62:63], -v[126:127], v[158:159], v[62:63]
	ds_read2_b64 v[152:155], v140 offset0:45 offset1:46
	s_waitcnt lgkmcnt(8)
	v_fma_f64 v[58:59], -v[126:127], v[160:161], v[58:59]
	ds_read2_b64 v[156:159], v140 offset0:47 offset1:48
	v_fma_f64 v[60:61], -v[126:127], v[162:163], v[60:61]
	ds_read2_b64 v[160:163], v140 offset0:49 offset1:50
	s_waitcnt lgkmcnt(9)
	v_fma_f64 v[54:55], -v[126:127], v[164:165], v[54:55]
	v_fma_f64 v[56:57], -v[126:127], v[166:167], v[56:57]
	ds_read2_b64 v[164:167], v140 offset0:53 offset1:54
	s_waitcnt lgkmcnt(9)
	v_fma_f64 v[52:53], -v[126:127], v[168:169], v[52:53]
	v_fma_f64 v[50:51], -v[126:127], v[170:171], v[50:51]
	ds_read2_b64 v[168:171], v140 offset0:57 offset1:58
	s_waitcnt lgkmcnt(9)
	v_fma_f64 v[48:49], -v[126:127], v[144:145], v[48:49]
	v_fma_f64 v[46:47], -v[126:127], v[146:147], v[46:47]
	ds_read2_b64 v[144:147], v140 offset0:61 offset1:62
	v_fma_f64 v[84:85], -v[126:127], v[184:185], v[84:85]
	v_fma_f64 v[82:83], -v[126:127], v[186:187], v[82:83]
	;; [unrolled: 1-line block ×4, first 2 shown]
	s_waitcnt lgkmcnt(6)
	v_fma_f64 v[44:45], -v[126:127], v[148:149], v[44:45]
	v_fma_f64 v[42:43], -v[126:127], v[150:151], v[42:43]
	s_waitcnt lgkmcnt(5)
	v_fma_f64 v[38:39], -v[126:127], v[152:153], v[38:39]
	v_fma_f64 v[40:41], -v[126:127], v[154:155], v[40:41]
	;; [unrolled: 3-line block ×4, first 2 shown]
	v_fma_f64 v[28:29], -v[126:127], v[172:173], v[28:29]
	v_fma_f64 v[26:27], -v[126:127], v[174:175], v[26:27]
	s_waitcnt lgkmcnt(2)
	v_fma_f64 v[24:25], -v[126:127], v[164:165], v[24:25]
	v_fma_f64 v[22:23], -v[126:127], v[166:167], v[22:23]
	v_fma_f64 v[18:19], -v[126:127], v[176:177], v[18:19]
	v_fma_f64 v[20:21], -v[126:127], v[178:179], v[20:21]
	s_waitcnt lgkmcnt(1)
	v_fma_f64 v[16:17], -v[126:127], v[168:169], v[16:17]
	v_fma_f64 v[14:15], -v[126:127], v[170:171], v[14:15]
	;; [unrolled: 5-line block ×3, first 2 shown]
	v_fma_f64 v[132:133], -v[126:127], v[0:1], v[132:133]
.LBB126_46:
	s_or_b32 exec_lo, exec_lo, s0
	v_lshl_add_u32 v0, v143, 3, v140
	s_barrier
	buffer_gl0_inv
	v_mov_b32_e32 v134, 3
	ds_write_b64 v0, v[124:125]
	s_waitcnt lgkmcnt(0)
	s_barrier
	buffer_gl0_inv
	ds_read_b64 v[0:1], v140 offset:24
	s_cmp_lt_i32 s7, 5
	s_cbranch_scc1 .LBB126_49
; %bb.47:
	v_mov_b32_e32 v134, 3
	v_add3_u32 v135, v141, 0, 32
	s_mov_b32 s0, 4
.LBB126_48:                             ; =>This Inner Loop Header: Depth=1
	ds_read_b64 v[144:145], v135
	v_add_nc_u32_e32 v135, 8, v135
	s_waitcnt lgkmcnt(0)
	v_cmp_lt_f64_e64 vcc_lo, |v[0:1]|, |v[144:145]|
	v_cndmask_b32_e32 v1, v1, v145, vcc_lo
	v_cndmask_b32_e32 v0, v0, v144, vcc_lo
	v_cndmask_b32_e64 v134, v134, s0, vcc_lo
	s_add_i32 s0, s0, 1
	s_cmp_lg_u32 s7, s0
	s_cbranch_scc1 .LBB126_48
.LBB126_49:
	s_mov_b32 s0, exec_lo
	s_waitcnt lgkmcnt(0)
	v_cmpx_eq_f64_e32 0, v[0:1]
	s_xor_b32 s0, exec_lo, s0
; %bb.50:
	v_cmp_ne_u32_e32 vcc_lo, 0, v137
	v_cndmask_b32_e32 v137, 4, v137, vcc_lo
; %bb.51:
	s_andn2_saveexec_b32 s0, s0
	s_cbranch_execz .LBB126_53
; %bb.52:
	v_div_scale_f64 v[135:136], null, v[0:1], v[0:1], 1.0
	v_rcp_f64_e32 v[144:145], v[135:136]
	v_fma_f64 v[146:147], -v[135:136], v[144:145], 1.0
	v_fma_f64 v[144:145], v[144:145], v[146:147], v[144:145]
	v_fma_f64 v[146:147], -v[135:136], v[144:145], 1.0
	v_fma_f64 v[144:145], v[144:145], v[146:147], v[144:145]
	v_div_scale_f64 v[146:147], vcc_lo, 1.0, v[0:1], 1.0
	v_mul_f64 v[148:149], v[146:147], v[144:145]
	v_fma_f64 v[135:136], -v[135:136], v[148:149], v[146:147]
	v_div_fmas_f64 v[135:136], v[135:136], v[144:145], v[148:149]
	v_div_fixup_f64 v[0:1], v[135:136], v[0:1], 1.0
.LBB126_53:
	s_or_b32 exec_lo, exec_lo, s0
	s_mov_b32 s0, exec_lo
	v_cmpx_ne_u32_e64 v143, v134
	s_xor_b32 s0, exec_lo, s0
	s_cbranch_execz .LBB126_59
; %bb.54:
	s_mov_b32 s1, exec_lo
	v_cmpx_eq_u32_e32 3, v143
	s_cbranch_execz .LBB126_58
; %bb.55:
	v_cmp_ne_u32_e32 vcc_lo, 3, v134
	s_xor_b32 s2, s6, -1
	s_and_b32 s3, s2, vcc_lo
	s_and_saveexec_b32 s2, s3
	s_cbranch_execz .LBB126_57
; %bb.56:
	v_ashrrev_i32_e32 v135, 31, v134
	v_lshlrev_b64 v[135:136], 2, v[134:135]
	v_add_co_u32 v135, vcc_lo, v4, v135
	v_add_co_ci_u32_e64 v136, null, v5, v136, vcc_lo
	s_clause 0x1
	global_load_dword v142, v[135:136], off
	global_load_dword v143, v[4:5], off offset:12
	s_waitcnt vmcnt(1)
	global_store_dword v[4:5], v142, off offset:12
	s_waitcnt vmcnt(0)
	global_store_dword v[135:136], v143, off
.LBB126_57:
	s_or_b32 exec_lo, exec_lo, s2
	v_mov_b32_e32 v142, v134
	v_mov_b32_e32 v143, v134
.LBB126_58:
	s_or_b32 exec_lo, exec_lo, s1
.LBB126_59:
	s_andn2_saveexec_b32 s0, s0
	s_cbranch_execz .LBB126_61
; %bb.60:
	v_mov_b32_e32 v134, v122
	v_mov_b32_e32 v135, v123
	;; [unrolled: 1-line block ×8, first 2 shown]
	ds_write2_b64 v140, v[134:135], v[143:144] offset0:4 offset1:5
	v_mov_b32_e32 v134, v114
	v_mov_b32_e32 v135, v115
	v_mov_b32_e32 v143, v116
	v_mov_b32_e32 v144, v117
	v_mov_b32_e32 v149, v110
	v_mov_b32_e32 v150, v111
	v_mov_b32_e32 v151, v108
	v_mov_b32_e32 v152, v109
	v_mov_b32_e32 v153, v106
	v_mov_b32_e32 v154, v107
	v_mov_b32_e32 v155, v104
	v_mov_b32_e32 v156, v105
	v_mov_b32_e32 v157, v102
	v_mov_b32_e32 v158, v103
	v_mov_b32_e32 v159, v98
	v_mov_b32_e32 v160, v99
	ds_write2_b64 v140, v[145:146], v[134:135] offset0:6 offset1:7
	ds_write2_b64 v140, v[143:144], v[147:148] offset0:8 offset1:9
	ds_write2_b64 v140, v[149:150], v[151:152] offset0:10 offset1:11
	ds_write2_b64 v140, v[153:154], v[155:156] offset0:12 offset1:13
	ds_write2_b64 v140, v[157:158], v[159:160] offset0:14 offset1:15
	v_mov_b32_e32 v134, v100
	v_mov_b32_e32 v135, v101
	v_mov_b32_e32 v143, v94
	v_mov_b32_e32 v144, v95
	v_mov_b32_e32 v145, v96
	v_mov_b32_e32 v146, v97
	v_mov_b32_e32 v147, v92
	v_mov_b32_e32 v148, v93
	v_mov_b32_e32 v149, v90
	v_mov_b32_e32 v150, v91
	v_mov_b32_e32 v151, v88
	v_mov_b32_e32 v152, v89
	v_mov_b32_e32 v153, v86
	v_mov_b32_e32 v154, v87
	v_mov_b32_e32 v155, v84
	v_mov_b32_e32 v156, v85
	v_mov_b32_e32 v157, v82
	v_mov_b32_e32 v158, v83
	v_mov_b32_e32 v159, v78
	v_mov_b32_e32 v160, v79
	ds_write2_b64 v140, v[134:135], v[143:144] offset0:16 offset1:17
	ds_write2_b64 v140, v[145:146], v[147:148] offset0:18 offset1:19
	ds_write2_b64 v140, v[149:150], v[151:152] offset0:20 offset1:21
	ds_write2_b64 v140, v[153:154], v[155:156] offset0:22 offset1:23
	ds_write2_b64 v140, v[157:158], v[159:160] offset0:24 offset1:25
	v_mov_b32_e32 v134, v80
	v_mov_b32_e32 v135, v81
	v_mov_b32_e32 v143, v74
	v_mov_b32_e32 v144, v75
	v_mov_b32_e32 v145, v76
	v_mov_b32_e32 v146, v77
	v_mov_b32_e32 v147, v72
	v_mov_b32_e32 v148, v73
	v_mov_b32_e32 v149, v70
	v_mov_b32_e32 v150, v71
	v_mov_b32_e32 v151, v68
	v_mov_b32_e32 v152, v69
	v_mov_b32_e32 v153, v66
	v_mov_b32_e32 v154, v67
	v_mov_b32_e32 v155, v64
	v_mov_b32_e32 v156, v65
	v_mov_b32_e32 v157, v62
	v_mov_b32_e32 v158, v63
	v_mov_b32_e32 v159, v58
	v_mov_b32_e32 v160, v59
	ds_write2_b64 v140, v[134:135], v[143:144] offset0:26 offset1:27
	ds_write2_b64 v140, v[145:146], v[147:148] offset0:28 offset1:29
	ds_write2_b64 v140, v[149:150], v[151:152] offset0:30 offset1:31
	ds_write2_b64 v140, v[153:154], v[155:156] offset0:32 offset1:33
	ds_write2_b64 v140, v[157:158], v[159:160] offset0:34 offset1:35
	v_mov_b32_e32 v134, v60
	v_mov_b32_e32 v135, v61
	v_mov_b32_e32 v143, v54
	v_mov_b32_e32 v144, v55
	v_mov_b32_e32 v145, v56
	v_mov_b32_e32 v146, v57
	v_mov_b32_e32 v147, v52
	v_mov_b32_e32 v148, v53
	v_mov_b32_e32 v149, v50
	v_mov_b32_e32 v150, v51
	v_mov_b32_e32 v151, v48
	v_mov_b32_e32 v152, v49
	v_mov_b32_e32 v153, v46
	v_mov_b32_e32 v154, v47
	v_mov_b32_e32 v155, v44
	v_mov_b32_e32 v156, v45
	v_mov_b32_e32 v157, v42
	v_mov_b32_e32 v158, v43
	v_mov_b32_e32 v159, v38
	v_mov_b32_e32 v160, v39
	ds_write2_b64 v140, v[134:135], v[143:144] offset0:36 offset1:37
	ds_write2_b64 v140, v[145:146], v[147:148] offset0:38 offset1:39
	ds_write2_b64 v140, v[149:150], v[151:152] offset0:40 offset1:41
	ds_write2_b64 v140, v[153:154], v[155:156] offset0:42 offset1:43
	ds_write2_b64 v140, v[157:158], v[159:160] offset0:44 offset1:45
	v_mov_b32_e32 v134, v40
	v_mov_b32_e32 v135, v41
	v_mov_b32_e32 v143, v34
	v_mov_b32_e32 v144, v35
	v_mov_b32_e32 v145, v36
	v_mov_b32_e32 v146, v37
	v_mov_b32_e32 v147, v32
	v_mov_b32_e32 v148, v33
	v_mov_b32_e32 v149, v30
	v_mov_b32_e32 v150, v31
	v_mov_b32_e32 v151, v28
	v_mov_b32_e32 v152, v29
	v_mov_b32_e32 v153, v26
	v_mov_b32_e32 v154, v27
	v_mov_b32_e32 v155, v24
	v_mov_b32_e32 v156, v25
	v_mov_b32_e32 v157, v22
	v_mov_b32_e32 v158, v23
	v_mov_b32_e32 v159, v18
	v_mov_b32_e32 v160, v19
	ds_write2_b64 v140, v[134:135], v[143:144] offset0:46 offset1:47
	ds_write2_b64 v140, v[145:146], v[147:148] offset0:48 offset1:49
	ds_write2_b64 v140, v[149:150], v[151:152] offset0:50 offset1:51
	ds_write2_b64 v140, v[153:154], v[155:156] offset0:52 offset1:53
	ds_write2_b64 v140, v[157:158], v[159:160] offset0:54 offset1:55
	v_mov_b32_e32 v134, v20
	v_mov_b32_e32 v135, v21
	v_mov_b32_e32 v144, v16
	v_mov_b32_e32 v145, v17
	v_mov_b32_e32 v143, 3
	v_mov_b32_e32 v146, v14
	;; [unrolled: 1-line block ×11, first 2 shown]
	ds_write2_b64 v140, v[134:135], v[144:145] offset0:56 offset1:57
	ds_write2_b64 v140, v[146:147], v[148:149] offset0:58 offset1:59
	;; [unrolled: 1-line block ×4, first 2 shown]
.LBB126_61:
	s_or_b32 exec_lo, exec_lo, s0
	s_mov_b32 s0, exec_lo
	s_waitcnt lgkmcnt(0)
	s_waitcnt_vscnt null, 0x0
	s_barrier
	buffer_gl0_inv
	v_cmpx_lt_i32_e32 3, v143
	s_cbranch_execz .LBB126_63
; %bb.62:
	v_mul_f64 v[124:125], v[0:1], v[124:125]
	ds_read2_b64 v[144:147], v140 offset0:4 offset1:5
	ds_read2_b64 v[148:151], v140 offset0:6 offset1:7
	;; [unrolled: 1-line block ×12, first 2 shown]
	s_waitcnt lgkmcnt(11)
	v_fma_f64 v[122:123], -v[124:125], v[144:145], v[122:123]
	v_fma_f64 v[118:119], -v[124:125], v[146:147], v[118:119]
	s_waitcnt lgkmcnt(10)
	v_fma_f64 v[120:121], -v[124:125], v[148:149], v[120:121]
	v_fma_f64 v[114:115], -v[124:125], v[150:151], v[114:115]
	;; [unrolled: 3-line block ×5, first 2 shown]
	ds_read2_b64 v[144:147], v140 offset0:28 offset1:29
	ds_read2_b64 v[148:151], v140 offset0:30 offset1:31
	s_waitcnt lgkmcnt(8)
	v_fma_f64 v[102:103], -v[124:125], v[164:165], v[102:103]
	v_fma_f64 v[98:99], -v[124:125], v[166:167], v[98:99]
	s_waitcnt lgkmcnt(7)
	v_fma_f64 v[100:101], -v[124:125], v[168:169], v[100:101]
	v_fma_f64 v[94:95], -v[124:125], v[170:171], v[94:95]
	ds_read2_b64 v[152:155], v140 offset0:32 offset1:33
	ds_read2_b64 v[156:159], v140 offset0:34 offset1:35
	;; [unrolled: 1-line block ×5, first 2 shown]
	s_waitcnt lgkmcnt(11)
	v_fma_f64 v[96:97], -v[124:125], v[172:173], v[96:97]
	v_fma_f64 v[92:93], -v[124:125], v[174:175], v[92:93]
	s_waitcnt lgkmcnt(10)
	v_fma_f64 v[90:91], -v[124:125], v[176:177], v[90:91]
	v_fma_f64 v[88:89], -v[124:125], v[178:179], v[88:89]
	;; [unrolled: 3-line block ×4, first 2 shown]
	ds_read2_b64 v[172:175], v140 offset0:50 offset1:51
	s_waitcnt lgkmcnt(7)
	v_fma_f64 v[76:77], -v[124:125], v[144:145], v[76:77]
	v_fma_f64 v[72:73], -v[124:125], v[146:147], v[72:73]
	s_waitcnt lgkmcnt(6)
	v_fma_f64 v[70:71], -v[124:125], v[148:149], v[70:71]
	v_fma_f64 v[68:69], -v[124:125], v[150:151], v[68:69]
	ds_read2_b64 v[144:147], v140 offset0:42 offset1:43
	ds_read2_b64 v[148:151], v140 offset0:44 offset1:45
	s_waitcnt lgkmcnt(7)
	v_fma_f64 v[66:67], -v[124:125], v[152:153], v[66:67]
	v_fma_f64 v[64:65], -v[124:125], v[154:155], v[64:65]
	s_waitcnt lgkmcnt(6)
	v_fma_f64 v[62:63], -v[124:125], v[156:157], v[62:63]
	ds_read2_b64 v[152:155], v140 offset0:46 offset1:47
	v_fma_f64 v[58:59], -v[124:125], v[158:159], v[58:59]
	ds_read2_b64 v[156:159], v140 offset0:48 offset1:49
	s_waitcnt lgkmcnt(7)
	v_fma_f64 v[60:61], -v[124:125], v[160:161], v[60:61]
	v_fma_f64 v[54:55], -v[124:125], v[162:163], v[54:55]
	ds_read2_b64 v[160:163], v140 offset0:52 offset1:53
	ds_read2_b64 v[176:179], v140 offset0:54 offset1:55
	s_waitcnt lgkmcnt(8)
	v_fma_f64 v[56:57], -v[124:125], v[164:165], v[56:57]
	v_fma_f64 v[52:53], -v[124:125], v[166:167], v[52:53]
	ds_read2_b64 v[164:167], v140 offset0:56 offset1:57
	;; [unrolled: 5-line block ×3, first 2 shown]
	ds_read2_b64 v[184:187], v140 offset0:62 offset1:63
	v_fma_f64 v[80:81], -v[124:125], v[188:189], v[80:81]
	v_fma_f64 v[74:75], -v[124:125], v[190:191], v[74:75]
	s_waitcnt lgkmcnt(9)
	v_fma_f64 v[46:47], -v[124:125], v[144:145], v[46:47]
	v_fma_f64 v[44:45], -v[124:125], v[146:147], v[44:45]
	s_waitcnt lgkmcnt(8)
	;; [unrolled: 3-line block ×4, first 2 shown]
	v_fma_f64 v[36:37], -v[124:125], v[156:157], v[36:37]
	v_fma_f64 v[32:33], -v[124:125], v[158:159], v[32:33]
	;; [unrolled: 1-line block ×4, first 2 shown]
	s_waitcnt lgkmcnt(5)
	v_fma_f64 v[26:27], -v[124:125], v[160:161], v[26:27]
	v_fma_f64 v[24:25], -v[124:125], v[162:163], v[24:25]
	s_waitcnt lgkmcnt(4)
	v_fma_f64 v[22:23], -v[124:125], v[176:177], v[22:23]
	v_fma_f64 v[18:19], -v[124:125], v[178:179], v[18:19]
	s_waitcnt lgkmcnt(3)
	v_fma_f64 v[20:21], -v[124:125], v[164:165], v[20:21]
	v_fma_f64 v[16:17], -v[124:125], v[166:167], v[16:17]
	s_waitcnt lgkmcnt(2)
	v_fma_f64 v[14:15], -v[124:125], v[180:181], v[14:15]
	v_fma_f64 v[8:9], -v[124:125], v[182:183], v[8:9]
	s_waitcnt lgkmcnt(1)
	v_fma_f64 v[12:13], -v[124:125], v[168:169], v[12:13]
	v_fma_f64 v[6:7], -v[124:125], v[170:171], v[6:7]
	s_waitcnt lgkmcnt(0)
	v_fma_f64 v[10:11], -v[124:125], v[184:185], v[10:11]
	v_fma_f64 v[132:133], -v[124:125], v[186:187], v[132:133]
.LBB126_63:
	s_or_b32 exec_lo, exec_lo, s0
	v_lshl_add_u32 v0, v143, 3, v140
	s_barrier
	buffer_gl0_inv
	v_mov_b32_e32 v134, 4
	ds_write_b64 v0, v[122:123]
	s_waitcnt lgkmcnt(0)
	s_barrier
	buffer_gl0_inv
	ds_read_b64 v[0:1], v140 offset:32
	s_cmp_lt_i32 s7, 6
	s_cbranch_scc1 .LBB126_66
; %bb.64:
	v_add3_u32 v135, v141, 0, 40
	v_mov_b32_e32 v134, 4
	s_mov_b32 s0, 5
.LBB126_65:                             ; =>This Inner Loop Header: Depth=1
	ds_read_b64 v[144:145], v135
	v_add_nc_u32_e32 v135, 8, v135
	s_waitcnt lgkmcnt(0)
	v_cmp_lt_f64_e64 vcc_lo, |v[0:1]|, |v[144:145]|
	v_cndmask_b32_e32 v1, v1, v145, vcc_lo
	v_cndmask_b32_e32 v0, v0, v144, vcc_lo
	v_cndmask_b32_e64 v134, v134, s0, vcc_lo
	s_add_i32 s0, s0, 1
	s_cmp_lg_u32 s7, s0
	s_cbranch_scc1 .LBB126_65
.LBB126_66:
	s_mov_b32 s0, exec_lo
	s_waitcnt lgkmcnt(0)
	v_cmpx_eq_f64_e32 0, v[0:1]
	s_xor_b32 s0, exec_lo, s0
; %bb.67:
	v_cmp_ne_u32_e32 vcc_lo, 0, v137
	v_cndmask_b32_e32 v137, 5, v137, vcc_lo
; %bb.68:
	s_andn2_saveexec_b32 s0, s0
	s_cbranch_execz .LBB126_70
; %bb.69:
	v_div_scale_f64 v[135:136], null, v[0:1], v[0:1], 1.0
	v_rcp_f64_e32 v[144:145], v[135:136]
	v_fma_f64 v[146:147], -v[135:136], v[144:145], 1.0
	v_fma_f64 v[144:145], v[144:145], v[146:147], v[144:145]
	v_fma_f64 v[146:147], -v[135:136], v[144:145], 1.0
	v_fma_f64 v[144:145], v[144:145], v[146:147], v[144:145]
	v_div_scale_f64 v[146:147], vcc_lo, 1.0, v[0:1], 1.0
	v_mul_f64 v[148:149], v[146:147], v[144:145]
	v_fma_f64 v[135:136], -v[135:136], v[148:149], v[146:147]
	v_div_fmas_f64 v[135:136], v[135:136], v[144:145], v[148:149]
	v_div_fixup_f64 v[0:1], v[135:136], v[0:1], 1.0
.LBB126_70:
	s_or_b32 exec_lo, exec_lo, s0
	s_mov_b32 s0, exec_lo
	v_cmpx_ne_u32_e64 v143, v134
	s_xor_b32 s0, exec_lo, s0
	s_cbranch_execz .LBB126_76
; %bb.71:
	s_mov_b32 s1, exec_lo
	v_cmpx_eq_u32_e32 4, v143
	s_cbranch_execz .LBB126_75
; %bb.72:
	v_cmp_ne_u32_e32 vcc_lo, 4, v134
	s_xor_b32 s2, s6, -1
	s_and_b32 s3, s2, vcc_lo
	s_and_saveexec_b32 s2, s3
	s_cbranch_execz .LBB126_74
; %bb.73:
	v_ashrrev_i32_e32 v135, 31, v134
	v_lshlrev_b64 v[135:136], 2, v[134:135]
	v_add_co_u32 v135, vcc_lo, v4, v135
	v_add_co_ci_u32_e64 v136, null, v5, v136, vcc_lo
	s_clause 0x1
	global_load_dword v142, v[135:136], off
	global_load_dword v143, v[4:5], off offset:16
	s_waitcnt vmcnt(1)
	global_store_dword v[4:5], v142, off offset:16
	s_waitcnt vmcnt(0)
	global_store_dword v[135:136], v143, off
.LBB126_74:
	s_or_b32 exec_lo, exec_lo, s2
	v_mov_b32_e32 v142, v134
	v_mov_b32_e32 v143, v134
.LBB126_75:
	s_or_b32 exec_lo, exec_lo, s1
.LBB126_76:
	s_andn2_saveexec_b32 s0, s0
	s_cbranch_execz .LBB126_78
; %bb.77:
	v_mov_b32_e32 v143, 4
	ds_write2_b64 v140, v[118:119], v[120:121] offset0:5 offset1:6
	ds_write2_b64 v140, v[114:115], v[116:117] offset0:7 offset1:8
	;; [unrolled: 1-line block ×29, first 2 shown]
	ds_write_b64 v140, v[132:133] offset:504
.LBB126_78:
	s_or_b32 exec_lo, exec_lo, s0
	s_mov_b32 s0, exec_lo
	s_waitcnt lgkmcnt(0)
	s_waitcnt_vscnt null, 0x0
	s_barrier
	buffer_gl0_inv
	v_cmpx_lt_i32_e32 4, v143
	s_cbranch_execz .LBB126_80
; %bb.79:
	v_mul_f64 v[122:123], v[0:1], v[122:123]
	ds_read2_b64 v[144:147], v140 offset0:5 offset1:6
	ds_read2_b64 v[148:151], v140 offset0:7 offset1:8
	;; [unrolled: 1-line block ×12, first 2 shown]
	ds_read_b64 v[0:1], v140 offset:504
	s_waitcnt lgkmcnt(12)
	v_fma_f64 v[118:119], -v[122:123], v[144:145], v[118:119]
	v_fma_f64 v[120:121], -v[122:123], v[146:147], v[120:121]
	s_waitcnt lgkmcnt(11)
	v_fma_f64 v[114:115], -v[122:123], v[148:149], v[114:115]
	v_fma_f64 v[116:117], -v[122:123], v[150:151], v[116:117]
	;; [unrolled: 3-line block ×5, first 2 shown]
	ds_read2_b64 v[144:147], v140 offset0:29 offset1:30
	ds_read2_b64 v[148:151], v140 offset0:31 offset1:32
	s_waitcnt lgkmcnt(9)
	v_fma_f64 v[98:99], -v[122:123], v[164:165], v[98:99]
	v_fma_f64 v[100:101], -v[122:123], v[166:167], v[100:101]
	s_waitcnt lgkmcnt(8)
	v_fma_f64 v[94:95], -v[122:123], v[168:169], v[94:95]
	v_fma_f64 v[96:97], -v[122:123], v[170:171], v[96:97]
	ds_read2_b64 v[152:155], v140 offset0:33 offset1:34
	ds_read2_b64 v[156:159], v140 offset0:35 offset1:36
	;; [unrolled: 1-line block ×5, first 2 shown]
	s_waitcnt lgkmcnt(12)
	v_fma_f64 v[92:93], -v[122:123], v[172:173], v[92:93]
	v_fma_f64 v[90:91], -v[122:123], v[174:175], v[90:91]
	s_waitcnt lgkmcnt(11)
	v_fma_f64 v[88:89], -v[122:123], v[176:177], v[88:89]
	v_fma_f64 v[86:87], -v[122:123], v[178:179], v[86:87]
	;; [unrolled: 3-line block ×3, first 2 shown]
	ds_read2_b64 v[172:175], v140 offset0:51 offset1:52
	ds_read2_b64 v[176:179], v140 offset0:55 offset1:56
	;; [unrolled: 1-line block ×3, first 2 shown]
	s_waitcnt lgkmcnt(9)
	v_fma_f64 v[72:73], -v[122:123], v[144:145], v[72:73]
	v_fma_f64 v[70:71], -v[122:123], v[146:147], v[70:71]
	s_waitcnt lgkmcnt(8)
	v_fma_f64 v[68:69], -v[122:123], v[148:149], v[68:69]
	v_fma_f64 v[66:67], -v[122:123], v[150:151], v[66:67]
	ds_read2_b64 v[144:147], v140 offset0:43 offset1:44
	ds_read2_b64 v[148:151], v140 offset0:45 offset1:46
	s_waitcnt lgkmcnt(9)
	v_fma_f64 v[64:65], -v[122:123], v[152:153], v[64:65]
	v_fma_f64 v[62:63], -v[122:123], v[154:155], v[62:63]
	s_waitcnt lgkmcnt(8)
	v_fma_f64 v[58:59], -v[122:123], v[156:157], v[58:59]
	ds_read2_b64 v[152:155], v140 offset0:47 offset1:48
	v_fma_f64 v[60:61], -v[122:123], v[158:159], v[60:61]
	ds_read2_b64 v[156:159], v140 offset0:49 offset1:50
	s_waitcnt lgkmcnt(9)
	v_fma_f64 v[54:55], -v[122:123], v[160:161], v[54:55]
	v_fma_f64 v[56:57], -v[122:123], v[162:163], v[56:57]
	ds_read2_b64 v[160:163], v140 offset0:53 offset1:54
	s_waitcnt lgkmcnt(9)
	v_fma_f64 v[52:53], -v[122:123], v[164:165], v[52:53]
	;; [unrolled: 4-line block ×3, first 2 shown]
	v_fma_f64 v[46:47], -v[122:123], v[170:171], v[46:47]
	ds_read2_b64 v[168:171], v140 offset0:61 offset1:62
	v_fma_f64 v[78:79], -v[122:123], v[184:185], v[78:79]
	v_fma_f64 v[80:81], -v[122:123], v[186:187], v[80:81]
	;; [unrolled: 1-line block ×4, first 2 shown]
	s_waitcnt lgkmcnt(6)
	v_fma_f64 v[44:45], -v[122:123], v[144:145], v[44:45]
	v_fma_f64 v[42:43], -v[122:123], v[146:147], v[42:43]
	s_waitcnt lgkmcnt(5)
	v_fma_f64 v[38:39], -v[122:123], v[148:149], v[38:39]
	v_fma_f64 v[40:41], -v[122:123], v[150:151], v[40:41]
	;; [unrolled: 3-line block ×4, first 2 shown]
	v_fma_f64 v[28:29], -v[122:123], v[172:173], v[28:29]
	v_fma_f64 v[26:27], -v[122:123], v[174:175], v[26:27]
	s_waitcnt lgkmcnt(2)
	v_fma_f64 v[24:25], -v[122:123], v[160:161], v[24:25]
	v_fma_f64 v[22:23], -v[122:123], v[162:163], v[22:23]
	v_fma_f64 v[18:19], -v[122:123], v[176:177], v[18:19]
	v_fma_f64 v[20:21], -v[122:123], v[178:179], v[20:21]
	s_waitcnt lgkmcnt(1)
	v_fma_f64 v[16:17], -v[122:123], v[164:165], v[16:17]
	v_fma_f64 v[14:15], -v[122:123], v[166:167], v[14:15]
	;; [unrolled: 5-line block ×3, first 2 shown]
	v_fma_f64 v[132:133], -v[122:123], v[0:1], v[132:133]
.LBB126_80:
	s_or_b32 exec_lo, exec_lo, s0
	v_lshl_add_u32 v0, v143, 3, v140
	s_barrier
	buffer_gl0_inv
	v_mov_b32_e32 v134, 5
	ds_write_b64 v0, v[118:119]
	s_waitcnt lgkmcnt(0)
	s_barrier
	buffer_gl0_inv
	ds_read_b64 v[0:1], v140 offset:40
	s_cmp_lt_i32 s7, 7
	s_cbranch_scc1 .LBB126_83
; %bb.81:
	v_add3_u32 v135, v141, 0, 48
	v_mov_b32_e32 v134, 5
	s_mov_b32 s0, 6
.LBB126_82:                             ; =>This Inner Loop Header: Depth=1
	ds_read_b64 v[144:145], v135
	v_add_nc_u32_e32 v135, 8, v135
	s_waitcnt lgkmcnt(0)
	v_cmp_lt_f64_e64 vcc_lo, |v[0:1]|, |v[144:145]|
	v_cndmask_b32_e32 v1, v1, v145, vcc_lo
	v_cndmask_b32_e32 v0, v0, v144, vcc_lo
	v_cndmask_b32_e64 v134, v134, s0, vcc_lo
	s_add_i32 s0, s0, 1
	s_cmp_lg_u32 s7, s0
	s_cbranch_scc1 .LBB126_82
.LBB126_83:
	s_mov_b32 s0, exec_lo
	s_waitcnt lgkmcnt(0)
	v_cmpx_eq_f64_e32 0, v[0:1]
	s_xor_b32 s0, exec_lo, s0
; %bb.84:
	v_cmp_ne_u32_e32 vcc_lo, 0, v137
	v_cndmask_b32_e32 v137, 6, v137, vcc_lo
; %bb.85:
	s_andn2_saveexec_b32 s0, s0
	s_cbranch_execz .LBB126_87
; %bb.86:
	v_div_scale_f64 v[135:136], null, v[0:1], v[0:1], 1.0
	v_rcp_f64_e32 v[144:145], v[135:136]
	v_fma_f64 v[146:147], -v[135:136], v[144:145], 1.0
	v_fma_f64 v[144:145], v[144:145], v[146:147], v[144:145]
	v_fma_f64 v[146:147], -v[135:136], v[144:145], 1.0
	v_fma_f64 v[144:145], v[144:145], v[146:147], v[144:145]
	v_div_scale_f64 v[146:147], vcc_lo, 1.0, v[0:1], 1.0
	v_mul_f64 v[148:149], v[146:147], v[144:145]
	v_fma_f64 v[135:136], -v[135:136], v[148:149], v[146:147]
	v_div_fmas_f64 v[135:136], v[135:136], v[144:145], v[148:149]
	v_div_fixup_f64 v[0:1], v[135:136], v[0:1], 1.0
.LBB126_87:
	s_or_b32 exec_lo, exec_lo, s0
	s_mov_b32 s0, exec_lo
	v_cmpx_ne_u32_e64 v143, v134
	s_xor_b32 s0, exec_lo, s0
	s_cbranch_execz .LBB126_93
; %bb.88:
	s_mov_b32 s1, exec_lo
	v_cmpx_eq_u32_e32 5, v143
	s_cbranch_execz .LBB126_92
; %bb.89:
	v_cmp_ne_u32_e32 vcc_lo, 5, v134
	s_xor_b32 s2, s6, -1
	s_and_b32 s3, s2, vcc_lo
	s_and_saveexec_b32 s2, s3
	s_cbranch_execz .LBB126_91
; %bb.90:
	v_ashrrev_i32_e32 v135, 31, v134
	v_lshlrev_b64 v[135:136], 2, v[134:135]
	v_add_co_u32 v135, vcc_lo, v4, v135
	v_add_co_ci_u32_e64 v136, null, v5, v136, vcc_lo
	s_clause 0x1
	global_load_dword v142, v[135:136], off
	global_load_dword v143, v[4:5], off offset:20
	s_waitcnt vmcnt(1)
	global_store_dword v[4:5], v142, off offset:20
	s_waitcnt vmcnt(0)
	global_store_dword v[135:136], v143, off
.LBB126_91:
	s_or_b32 exec_lo, exec_lo, s2
	v_mov_b32_e32 v142, v134
	v_mov_b32_e32 v143, v134
.LBB126_92:
	s_or_b32 exec_lo, exec_lo, s1
.LBB126_93:
	s_andn2_saveexec_b32 s0, s0
	s_cbranch_execz .LBB126_95
; %bb.94:
	v_mov_b32_e32 v134, v120
	v_mov_b32_e32 v135, v121
	v_mov_b32_e32 v143, v114
	v_mov_b32_e32 v144, v115
	v_mov_b32_e32 v145, v116
	v_mov_b32_e32 v146, v117
	v_mov_b32_e32 v147, v112
	v_mov_b32_e32 v148, v113
	v_mov_b32_e32 v149, v110
	v_mov_b32_e32 v150, v111
	v_mov_b32_e32 v151, v108
	v_mov_b32_e32 v152, v109
	v_mov_b32_e32 v153, v106
	v_mov_b32_e32 v154, v107
	v_mov_b32_e32 v155, v104
	v_mov_b32_e32 v156, v105
	v_mov_b32_e32 v157, v102
	v_mov_b32_e32 v158, v103
	v_mov_b32_e32 v159, v98
	v_mov_b32_e32 v160, v99
	ds_write2_b64 v140, v[134:135], v[143:144] offset0:6 offset1:7
	ds_write2_b64 v140, v[145:146], v[147:148] offset0:8 offset1:9
	ds_write2_b64 v140, v[149:150], v[151:152] offset0:10 offset1:11
	ds_write2_b64 v140, v[153:154], v[155:156] offset0:12 offset1:13
	ds_write2_b64 v140, v[157:158], v[159:160] offset0:14 offset1:15
	v_mov_b32_e32 v134, v100
	v_mov_b32_e32 v135, v101
	v_mov_b32_e32 v143, v94
	v_mov_b32_e32 v144, v95
	v_mov_b32_e32 v145, v96
	v_mov_b32_e32 v146, v97
	v_mov_b32_e32 v147, v92
	v_mov_b32_e32 v148, v93
	v_mov_b32_e32 v149, v90
	v_mov_b32_e32 v150, v91
	v_mov_b32_e32 v151, v88
	v_mov_b32_e32 v152, v89
	v_mov_b32_e32 v153, v86
	v_mov_b32_e32 v154, v87
	v_mov_b32_e32 v155, v84
	v_mov_b32_e32 v156, v85
	v_mov_b32_e32 v157, v82
	v_mov_b32_e32 v158, v83
	v_mov_b32_e32 v159, v78
	v_mov_b32_e32 v160, v79
	ds_write2_b64 v140, v[134:135], v[143:144] offset0:16 offset1:17
	ds_write2_b64 v140, v[145:146], v[147:148] offset0:18 offset1:19
	ds_write2_b64 v140, v[149:150], v[151:152] offset0:20 offset1:21
	ds_write2_b64 v140, v[153:154], v[155:156] offset0:22 offset1:23
	ds_write2_b64 v140, v[157:158], v[159:160] offset0:24 offset1:25
	;; [unrolled: 25-line block ×5, first 2 shown]
	v_mov_b32_e32 v134, v20
	v_mov_b32_e32 v135, v21
	v_mov_b32_e32 v144, v16
	v_mov_b32_e32 v145, v17
	v_mov_b32_e32 v143, 5
	v_mov_b32_e32 v146, v14
	v_mov_b32_e32 v147, v15
	v_mov_b32_e32 v148, v8
	v_mov_b32_e32 v149, v9
	v_mov_b32_e32 v150, v12
	v_mov_b32_e32 v151, v13
	v_mov_b32_e32 v152, v6
	v_mov_b32_e32 v153, v7
	v_mov_b32_e32 v154, v10
	v_mov_b32_e32 v155, v11
	ds_write2_b64 v140, v[134:135], v[144:145] offset0:56 offset1:57
	ds_write2_b64 v140, v[146:147], v[148:149] offset0:58 offset1:59
	;; [unrolled: 1-line block ×4, first 2 shown]
.LBB126_95:
	s_or_b32 exec_lo, exec_lo, s0
	s_mov_b32 s0, exec_lo
	s_waitcnt lgkmcnt(0)
	s_waitcnt_vscnt null, 0x0
	s_barrier
	buffer_gl0_inv
	v_cmpx_lt_i32_e32 5, v143
	s_cbranch_execz .LBB126_97
; %bb.96:
	v_mul_f64 v[118:119], v[0:1], v[118:119]
	ds_read2_b64 v[144:147], v140 offset0:6 offset1:7
	ds_read2_b64 v[148:151], v140 offset0:8 offset1:9
	;; [unrolled: 1-line block ×12, first 2 shown]
	s_waitcnt lgkmcnt(11)
	v_fma_f64 v[120:121], -v[118:119], v[144:145], v[120:121]
	v_fma_f64 v[114:115], -v[118:119], v[146:147], v[114:115]
	s_waitcnt lgkmcnt(10)
	v_fma_f64 v[116:117], -v[118:119], v[148:149], v[116:117]
	v_fma_f64 v[112:113], -v[118:119], v[150:151], v[112:113]
	;; [unrolled: 3-line block ×5, first 2 shown]
	ds_read2_b64 v[144:147], v140 offset0:30 offset1:31
	ds_read2_b64 v[148:151], v140 offset0:32 offset1:33
	s_waitcnt lgkmcnt(8)
	v_fma_f64 v[100:101], -v[118:119], v[164:165], v[100:101]
	v_fma_f64 v[94:95], -v[118:119], v[166:167], v[94:95]
	ds_read2_b64 v[152:155], v140 offset0:34 offset1:35
	ds_read2_b64 v[156:159], v140 offset0:36 offset1:37
	;; [unrolled: 1-line block ×4, first 2 shown]
	s_waitcnt lgkmcnt(11)
	v_fma_f64 v[96:97], -v[118:119], v[168:169], v[96:97]
	v_fma_f64 v[92:93], -v[118:119], v[170:171], v[92:93]
	s_waitcnt lgkmcnt(10)
	v_fma_f64 v[90:91], -v[118:119], v[172:173], v[90:91]
	v_fma_f64 v[88:89], -v[118:119], v[174:175], v[88:89]
	;; [unrolled: 3-line block ×5, first 2 shown]
	ds_read2_b64 v[168:171], v140 offset0:46 offset1:47
	ds_read2_b64 v[172:175], v140 offset0:50 offset1:51
	s_waitcnt lgkmcnt(7)
	v_fma_f64 v[70:71], -v[118:119], v[144:145], v[70:71]
	v_fma_f64 v[68:69], -v[118:119], v[146:147], v[68:69]
	ds_read2_b64 v[144:147], v140 offset0:42 offset1:43
	s_waitcnt lgkmcnt(7)
	v_fma_f64 v[66:67], -v[118:119], v[148:149], v[66:67]
	v_fma_f64 v[64:65], -v[118:119], v[150:151], v[64:65]
	;; [unrolled: 4-line block ×4, first 2 shown]
	ds_read2_b64 v[156:159], v140 offset0:52 offset1:53
	s_waitcnt lgkmcnt(7)
	v_fma_f64 v[56:57], -v[118:119], v[160:161], v[56:57]
	ds_read2_b64 v[176:179], v140 offset0:54 offset1:55
	v_fma_f64 v[52:53], -v[118:119], v[162:163], v[52:53]
	ds_read2_b64 v[160:163], v140 offset0:56 offset1:57
	s_waitcnt lgkmcnt(8)
	v_fma_f64 v[50:51], -v[118:119], v[164:165], v[50:51]
	ds_read2_b64 v[180:183], v140 offset0:58 offset1:59
	v_fma_f64 v[48:49], -v[118:119], v[166:167], v[48:49]
	ds_read2_b64 v[164:167], v140 offset0:60 offset1:61
	ds_read2_b64 v[184:187], v140 offset0:62 offset1:63
	v_fma_f64 v[76:77], -v[118:119], v[188:189], v[76:77]
	v_fma_f64 v[72:73], -v[118:119], v[190:191], v[72:73]
	s_waitcnt lgkmcnt(8)
	v_fma_f64 v[46:47], -v[118:119], v[144:145], v[46:47]
	v_fma_f64 v[44:45], -v[118:119], v[146:147], v[44:45]
	s_waitcnt lgkmcnt(7)
	v_fma_f64 v[42:43], -v[118:119], v[148:149], v[42:43]
	v_fma_f64 v[38:39], -v[118:119], v[150:151], v[38:39]
	v_fma_f64 v[40:41], -v[118:119], v[168:169], v[40:41]
	v_fma_f64 v[34:35], -v[118:119], v[170:171], v[34:35]
	s_waitcnt lgkmcnt(6)
	v_fma_f64 v[36:37], -v[118:119], v[152:153], v[36:37]
	v_fma_f64 v[32:33], -v[118:119], v[154:155], v[32:33]
	;; [unrolled: 5-line block ×3, first 2 shown]
	s_waitcnt lgkmcnt(4)
	v_fma_f64 v[22:23], -v[118:119], v[176:177], v[22:23]
	v_fma_f64 v[18:19], -v[118:119], v[178:179], v[18:19]
	s_waitcnt lgkmcnt(3)
	v_fma_f64 v[20:21], -v[118:119], v[160:161], v[20:21]
	v_fma_f64 v[16:17], -v[118:119], v[162:163], v[16:17]
	;; [unrolled: 3-line block ×5, first 2 shown]
.LBB126_97:
	s_or_b32 exec_lo, exec_lo, s0
	v_lshl_add_u32 v0, v143, 3, v140
	s_barrier
	buffer_gl0_inv
	v_mov_b32_e32 v134, 6
	ds_write_b64 v0, v[120:121]
	s_waitcnt lgkmcnt(0)
	s_barrier
	buffer_gl0_inv
	ds_read_b64 v[0:1], v140 offset:48
	s_cmp_lt_i32 s7, 8
	s_cbranch_scc1 .LBB126_100
; %bb.98:
	v_add3_u32 v135, v141, 0, 56
	v_mov_b32_e32 v134, 6
	s_mov_b32 s0, 7
.LBB126_99:                             ; =>This Inner Loop Header: Depth=1
	ds_read_b64 v[144:145], v135
	v_add_nc_u32_e32 v135, 8, v135
	s_waitcnt lgkmcnt(0)
	v_cmp_lt_f64_e64 vcc_lo, |v[0:1]|, |v[144:145]|
	v_cndmask_b32_e32 v1, v1, v145, vcc_lo
	v_cndmask_b32_e32 v0, v0, v144, vcc_lo
	v_cndmask_b32_e64 v134, v134, s0, vcc_lo
	s_add_i32 s0, s0, 1
	s_cmp_lg_u32 s7, s0
	s_cbranch_scc1 .LBB126_99
.LBB126_100:
	s_mov_b32 s0, exec_lo
	s_waitcnt lgkmcnt(0)
	v_cmpx_eq_f64_e32 0, v[0:1]
	s_xor_b32 s0, exec_lo, s0
; %bb.101:
	v_cmp_ne_u32_e32 vcc_lo, 0, v137
	v_cndmask_b32_e32 v137, 7, v137, vcc_lo
; %bb.102:
	s_andn2_saveexec_b32 s0, s0
	s_cbranch_execz .LBB126_104
; %bb.103:
	v_div_scale_f64 v[135:136], null, v[0:1], v[0:1], 1.0
	v_rcp_f64_e32 v[144:145], v[135:136]
	v_fma_f64 v[146:147], -v[135:136], v[144:145], 1.0
	v_fma_f64 v[144:145], v[144:145], v[146:147], v[144:145]
	v_fma_f64 v[146:147], -v[135:136], v[144:145], 1.0
	v_fma_f64 v[144:145], v[144:145], v[146:147], v[144:145]
	v_div_scale_f64 v[146:147], vcc_lo, 1.0, v[0:1], 1.0
	v_mul_f64 v[148:149], v[146:147], v[144:145]
	v_fma_f64 v[135:136], -v[135:136], v[148:149], v[146:147]
	v_div_fmas_f64 v[135:136], v[135:136], v[144:145], v[148:149]
	v_div_fixup_f64 v[0:1], v[135:136], v[0:1], 1.0
.LBB126_104:
	s_or_b32 exec_lo, exec_lo, s0
	s_mov_b32 s0, exec_lo
	v_cmpx_ne_u32_e64 v143, v134
	s_xor_b32 s0, exec_lo, s0
	s_cbranch_execz .LBB126_110
; %bb.105:
	s_mov_b32 s1, exec_lo
	v_cmpx_eq_u32_e32 6, v143
	s_cbranch_execz .LBB126_109
; %bb.106:
	v_cmp_ne_u32_e32 vcc_lo, 6, v134
	s_xor_b32 s2, s6, -1
	s_and_b32 s3, s2, vcc_lo
	s_and_saveexec_b32 s2, s3
	s_cbranch_execz .LBB126_108
; %bb.107:
	v_ashrrev_i32_e32 v135, 31, v134
	v_lshlrev_b64 v[135:136], 2, v[134:135]
	v_add_co_u32 v135, vcc_lo, v4, v135
	v_add_co_ci_u32_e64 v136, null, v5, v136, vcc_lo
	s_clause 0x1
	global_load_dword v142, v[135:136], off
	global_load_dword v143, v[4:5], off offset:24
	s_waitcnt vmcnt(1)
	global_store_dword v[4:5], v142, off offset:24
	s_waitcnt vmcnt(0)
	global_store_dword v[135:136], v143, off
.LBB126_108:
	s_or_b32 exec_lo, exec_lo, s2
	v_mov_b32_e32 v142, v134
	v_mov_b32_e32 v143, v134
.LBB126_109:
	s_or_b32 exec_lo, exec_lo, s1
.LBB126_110:
	s_andn2_saveexec_b32 s0, s0
	s_cbranch_execz .LBB126_112
; %bb.111:
	v_mov_b32_e32 v143, 6
	ds_write2_b64 v140, v[114:115], v[116:117] offset0:7 offset1:8
	ds_write2_b64 v140, v[112:113], v[110:111] offset0:9 offset1:10
	;; [unrolled: 1-line block ×28, first 2 shown]
	ds_write_b64 v140, v[132:133] offset:504
.LBB126_112:
	s_or_b32 exec_lo, exec_lo, s0
	s_mov_b32 s0, exec_lo
	s_waitcnt lgkmcnt(0)
	s_waitcnt_vscnt null, 0x0
	s_barrier
	buffer_gl0_inv
	v_cmpx_lt_i32_e32 6, v143
	s_cbranch_execz .LBB126_114
; %bb.113:
	v_mul_f64 v[120:121], v[0:1], v[120:121]
	ds_read2_b64 v[144:147], v140 offset0:7 offset1:8
	ds_read2_b64 v[148:151], v140 offset0:9 offset1:10
	;; [unrolled: 1-line block ×12, first 2 shown]
	ds_read_b64 v[0:1], v140 offset:504
	s_waitcnt lgkmcnt(12)
	v_fma_f64 v[114:115], -v[120:121], v[144:145], v[114:115]
	v_fma_f64 v[116:117], -v[120:121], v[146:147], v[116:117]
	s_waitcnt lgkmcnt(11)
	v_fma_f64 v[112:113], -v[120:121], v[148:149], v[112:113]
	v_fma_f64 v[110:111], -v[120:121], v[150:151], v[110:111]
	;; [unrolled: 3-line block ×5, first 2 shown]
	ds_read2_b64 v[144:147], v140 offset0:31 offset1:32
	ds_read2_b64 v[148:151], v140 offset0:33 offset1:34
	s_waitcnt lgkmcnt(9)
	v_fma_f64 v[94:95], -v[120:121], v[164:165], v[94:95]
	v_fma_f64 v[96:97], -v[120:121], v[166:167], v[96:97]
	ds_read2_b64 v[152:155], v140 offset0:35 offset1:36
	ds_read2_b64 v[156:159], v140 offset0:37 offset1:38
	;; [unrolled: 1-line block ×4, first 2 shown]
	s_waitcnt lgkmcnt(12)
	v_fma_f64 v[92:93], -v[120:121], v[168:169], v[92:93]
	v_fma_f64 v[90:91], -v[120:121], v[170:171], v[90:91]
	s_waitcnt lgkmcnt(11)
	v_fma_f64 v[88:89], -v[120:121], v[172:173], v[88:89]
	v_fma_f64 v[86:87], -v[120:121], v[174:175], v[86:87]
	;; [unrolled: 3-line block ×4, first 2 shown]
	ds_read2_b64 v[168:171], v140 offset0:47 offset1:48
	ds_read2_b64 v[172:175], v140 offset0:51 offset1:52
	;; [unrolled: 1-line block ×4, first 2 shown]
	s_waitcnt lgkmcnt(9)
	v_fma_f64 v[68:69], -v[120:121], v[144:145], v[68:69]
	v_fma_f64 v[66:67], -v[120:121], v[146:147], v[66:67]
	ds_read2_b64 v[144:147], v140 offset0:43 offset1:44
	s_waitcnt lgkmcnt(9)
	v_fma_f64 v[64:65], -v[120:121], v[148:149], v[64:65]
	v_fma_f64 v[62:63], -v[120:121], v[150:151], v[62:63]
	ds_read2_b64 v[148:151], v140 offset0:45 offset1:46
	;; [unrolled: 4-line block ×6, first 2 shown]
	v_fma_f64 v[74:75], -v[120:121], v[184:185], v[74:75]
	v_fma_f64 v[76:77], -v[120:121], v[186:187], v[76:77]
	v_fma_f64 v[72:73], -v[120:121], v[188:189], v[72:73]
	v_fma_f64 v[70:71], -v[120:121], v[190:191], v[70:71]
	s_waitcnt lgkmcnt(5)
	v_fma_f64 v[44:45], -v[120:121], v[144:145], v[44:45]
	v_fma_f64 v[42:43], -v[120:121], v[146:147], v[42:43]
	v_fma_f64 v[34:35], -v[120:121], v[168:169], v[34:35]
	s_waitcnt lgkmcnt(4)
	v_fma_f64 v[38:39], -v[120:121], v[148:149], v[38:39]
	v_fma_f64 v[40:41], -v[120:121], v[150:151], v[40:41]
	v_fma_f64 v[36:37], -v[120:121], v[170:171], v[36:37]
	;; [unrolled: 4-line block ×3, first 2 shown]
	v_fma_f64 v[26:27], -v[120:121], v[174:175], v[26:27]
	s_waitcnt lgkmcnt(2)
	v_fma_f64 v[24:25], -v[120:121], v[156:157], v[24:25]
	v_fma_f64 v[22:23], -v[120:121], v[158:159], v[22:23]
	v_fma_f64 v[18:19], -v[120:121], v[176:177], v[18:19]
	v_fma_f64 v[20:21], -v[120:121], v[178:179], v[20:21]
	s_waitcnt lgkmcnt(1)
	v_fma_f64 v[16:17], -v[120:121], v[160:161], v[16:17]
	v_fma_f64 v[14:15], -v[120:121], v[162:163], v[14:15]
	v_fma_f64 v[8:9], -v[120:121], v[180:181], v[8:9]
	;; [unrolled: 5-line block ×3, first 2 shown]
.LBB126_114:
	s_or_b32 exec_lo, exec_lo, s0
	v_lshl_add_u32 v0, v143, 3, v140
	s_barrier
	buffer_gl0_inv
	v_mov_b32_e32 v134, 7
	ds_write_b64 v0, v[114:115]
	s_waitcnt lgkmcnt(0)
	s_barrier
	buffer_gl0_inv
	ds_read_b64 v[0:1], v140 offset:56
	s_cmp_lt_i32 s7, 9
	s_cbranch_scc1 .LBB126_117
; %bb.115:
	v_add3_u32 v135, v141, 0, 64
	v_mov_b32_e32 v134, 7
	s_mov_b32 s0, 8
.LBB126_116:                            ; =>This Inner Loop Header: Depth=1
	ds_read_b64 v[144:145], v135
	v_add_nc_u32_e32 v135, 8, v135
	s_waitcnt lgkmcnt(0)
	v_cmp_lt_f64_e64 vcc_lo, |v[0:1]|, |v[144:145]|
	v_cndmask_b32_e32 v1, v1, v145, vcc_lo
	v_cndmask_b32_e32 v0, v0, v144, vcc_lo
	v_cndmask_b32_e64 v134, v134, s0, vcc_lo
	s_add_i32 s0, s0, 1
	s_cmp_lg_u32 s7, s0
	s_cbranch_scc1 .LBB126_116
.LBB126_117:
	s_mov_b32 s0, exec_lo
	s_waitcnt lgkmcnt(0)
	v_cmpx_eq_f64_e32 0, v[0:1]
	s_xor_b32 s0, exec_lo, s0
; %bb.118:
	v_cmp_ne_u32_e32 vcc_lo, 0, v137
	v_cndmask_b32_e32 v137, 8, v137, vcc_lo
; %bb.119:
	s_andn2_saveexec_b32 s0, s0
	s_cbranch_execz .LBB126_121
; %bb.120:
	v_div_scale_f64 v[135:136], null, v[0:1], v[0:1], 1.0
	v_rcp_f64_e32 v[144:145], v[135:136]
	v_fma_f64 v[146:147], -v[135:136], v[144:145], 1.0
	v_fma_f64 v[144:145], v[144:145], v[146:147], v[144:145]
	v_fma_f64 v[146:147], -v[135:136], v[144:145], 1.0
	v_fma_f64 v[144:145], v[144:145], v[146:147], v[144:145]
	v_div_scale_f64 v[146:147], vcc_lo, 1.0, v[0:1], 1.0
	v_mul_f64 v[148:149], v[146:147], v[144:145]
	v_fma_f64 v[135:136], -v[135:136], v[148:149], v[146:147]
	v_div_fmas_f64 v[135:136], v[135:136], v[144:145], v[148:149]
	v_div_fixup_f64 v[0:1], v[135:136], v[0:1], 1.0
.LBB126_121:
	s_or_b32 exec_lo, exec_lo, s0
	s_mov_b32 s0, exec_lo
	v_cmpx_ne_u32_e64 v143, v134
	s_xor_b32 s0, exec_lo, s0
	s_cbranch_execz .LBB126_127
; %bb.122:
	s_mov_b32 s1, exec_lo
	v_cmpx_eq_u32_e32 7, v143
	s_cbranch_execz .LBB126_126
; %bb.123:
	v_cmp_ne_u32_e32 vcc_lo, 7, v134
	s_xor_b32 s2, s6, -1
	s_and_b32 s3, s2, vcc_lo
	s_and_saveexec_b32 s2, s3
	s_cbranch_execz .LBB126_125
; %bb.124:
	v_ashrrev_i32_e32 v135, 31, v134
	v_lshlrev_b64 v[135:136], 2, v[134:135]
	v_add_co_u32 v135, vcc_lo, v4, v135
	v_add_co_ci_u32_e64 v136, null, v5, v136, vcc_lo
	s_clause 0x1
	global_load_dword v142, v[135:136], off
	global_load_dword v143, v[4:5], off offset:28
	s_waitcnt vmcnt(1)
	global_store_dword v[4:5], v142, off offset:28
	s_waitcnt vmcnt(0)
	global_store_dword v[135:136], v143, off
.LBB126_125:
	s_or_b32 exec_lo, exec_lo, s2
	v_mov_b32_e32 v142, v134
	v_mov_b32_e32 v143, v134
.LBB126_126:
	s_or_b32 exec_lo, exec_lo, s1
.LBB126_127:
	s_andn2_saveexec_b32 s0, s0
	s_cbranch_execz .LBB126_129
; %bb.128:
	v_mov_b32_e32 v134, v116
	v_mov_b32_e32 v135, v117
	;; [unrolled: 1-line block ×16, first 2 shown]
	ds_write2_b64 v140, v[134:135], v[143:144] offset0:8 offset1:9
	ds_write2_b64 v140, v[145:146], v[147:148] offset0:10 offset1:11
	ds_write2_b64 v140, v[149:150], v[151:152] offset0:12 offset1:13
	ds_write2_b64 v140, v[153:154], v[155:156] offset0:14 offset1:15
	v_mov_b32_e32 v134, v100
	v_mov_b32_e32 v135, v101
	v_mov_b32_e32 v143, v94
	v_mov_b32_e32 v144, v95
	v_mov_b32_e32 v145, v96
	v_mov_b32_e32 v146, v97
	v_mov_b32_e32 v147, v92
	v_mov_b32_e32 v148, v93
	v_mov_b32_e32 v149, v90
	v_mov_b32_e32 v150, v91
	v_mov_b32_e32 v151, v88
	v_mov_b32_e32 v152, v89
	v_mov_b32_e32 v153, v86
	v_mov_b32_e32 v154, v87
	v_mov_b32_e32 v155, v84
	v_mov_b32_e32 v156, v85
	v_mov_b32_e32 v157, v82
	v_mov_b32_e32 v158, v83
	v_mov_b32_e32 v159, v78
	v_mov_b32_e32 v160, v79
	ds_write2_b64 v140, v[134:135], v[143:144] offset0:16 offset1:17
	ds_write2_b64 v140, v[145:146], v[147:148] offset0:18 offset1:19
	ds_write2_b64 v140, v[149:150], v[151:152] offset0:20 offset1:21
	ds_write2_b64 v140, v[153:154], v[155:156] offset0:22 offset1:23
	ds_write2_b64 v140, v[157:158], v[159:160] offset0:24 offset1:25
	v_mov_b32_e32 v134, v80
	v_mov_b32_e32 v135, v81
	v_mov_b32_e32 v143, v74
	v_mov_b32_e32 v144, v75
	v_mov_b32_e32 v145, v76
	v_mov_b32_e32 v146, v77
	v_mov_b32_e32 v147, v72
	v_mov_b32_e32 v148, v73
	v_mov_b32_e32 v149, v70
	v_mov_b32_e32 v150, v71
	v_mov_b32_e32 v151, v68
	v_mov_b32_e32 v152, v69
	v_mov_b32_e32 v153, v66
	v_mov_b32_e32 v154, v67
	v_mov_b32_e32 v155, v64
	v_mov_b32_e32 v156, v65
	v_mov_b32_e32 v157, v62
	v_mov_b32_e32 v158, v63
	v_mov_b32_e32 v159, v58
	v_mov_b32_e32 v160, v59
	ds_write2_b64 v140, v[134:135], v[143:144] offset0:26 offset1:27
	;; [unrolled: 25-line block ×4, first 2 shown]
	ds_write2_b64 v140, v[145:146], v[147:148] offset0:48 offset1:49
	ds_write2_b64 v140, v[149:150], v[151:152] offset0:50 offset1:51
	;; [unrolled: 1-line block ×4, first 2 shown]
	v_mov_b32_e32 v134, v20
	v_mov_b32_e32 v135, v21
	;; [unrolled: 1-line block ×15, first 2 shown]
	ds_write2_b64 v140, v[134:135], v[144:145] offset0:56 offset1:57
	ds_write2_b64 v140, v[146:147], v[148:149] offset0:58 offset1:59
	;; [unrolled: 1-line block ×4, first 2 shown]
.LBB126_129:
	s_or_b32 exec_lo, exec_lo, s0
	s_mov_b32 s0, exec_lo
	s_waitcnt lgkmcnt(0)
	s_waitcnt_vscnt null, 0x0
	s_barrier
	buffer_gl0_inv
	v_cmpx_lt_i32_e32 7, v143
	s_cbranch_execz .LBB126_131
; %bb.130:
	v_mul_f64 v[114:115], v[0:1], v[114:115]
	ds_read2_b64 v[144:147], v140 offset0:8 offset1:9
	ds_read2_b64 v[148:151], v140 offset0:10 offset1:11
	;; [unrolled: 1-line block ×12, first 2 shown]
	s_waitcnt lgkmcnt(11)
	v_fma_f64 v[116:117], -v[114:115], v[144:145], v[116:117]
	v_fma_f64 v[112:113], -v[114:115], v[146:147], v[112:113]
	s_waitcnt lgkmcnt(10)
	v_fma_f64 v[110:111], -v[114:115], v[148:149], v[110:111]
	v_fma_f64 v[108:109], -v[114:115], v[150:151], v[108:109]
	;; [unrolled: 3-line block ×5, first 2 shown]
	ds_read2_b64 v[144:147], v140 offset0:32 offset1:33
	ds_read2_b64 v[148:151], v140 offset0:34 offset1:35
	;; [unrolled: 1-line block ×5, first 2 shown]
	s_waitcnt lgkmcnt(11)
	v_fma_f64 v[96:97], -v[114:115], v[164:165], v[96:97]
	v_fma_f64 v[92:93], -v[114:115], v[166:167], v[92:93]
	s_waitcnt lgkmcnt(10)
	v_fma_f64 v[90:91], -v[114:115], v[168:169], v[90:91]
	v_fma_f64 v[88:89], -v[114:115], v[170:171], v[88:89]
	;; [unrolled: 3-line block ×6, first 2 shown]
	ds_read2_b64 v[164:167], v140 offset0:42 offset1:43
	ds_read2_b64 v[168:171], v140 offset0:46 offset1:47
	;; [unrolled: 1-line block ×3, first 2 shown]
	s_waitcnt lgkmcnt(7)
	v_fma_f64 v[66:67], -v[114:115], v[144:145], v[66:67]
	v_fma_f64 v[64:65], -v[114:115], v[146:147], v[64:65]
	ds_read2_b64 v[144:147], v140 offset0:44 offset1:45
	s_waitcnt lgkmcnt(7)
	v_fma_f64 v[62:63], -v[114:115], v[148:149], v[62:63]
	v_fma_f64 v[58:59], -v[114:115], v[150:151], v[58:59]
	ds_read2_b64 v[148:151], v140 offset0:48 offset1:49
	s_waitcnt lgkmcnt(7)
	v_fma_f64 v[60:61], -v[114:115], v[152:153], v[60:61]
	v_fma_f64 v[54:55], -v[114:115], v[154:155], v[54:55]
	ds_read2_b64 v[152:155], v140 offset0:52 offset1:53
	ds_read2_b64 v[176:179], v140 offset0:54 offset1:55
	s_waitcnt lgkmcnt(8)
	v_fma_f64 v[56:57], -v[114:115], v[156:157], v[56:57]
	v_fma_f64 v[52:53], -v[114:115], v[158:159], v[52:53]
	ds_read2_b64 v[156:159], v140 offset0:56 offset1:57
	ds_read2_b64 v[180:183], v140 offset0:58 offset1:59
	s_waitcnt lgkmcnt(9)
	v_fma_f64 v[50:51], -v[114:115], v[160:161], v[50:51]
	v_fma_f64 v[48:49], -v[114:115], v[162:163], v[48:49]
	ds_read2_b64 v[160:163], v140 offset0:60 offset1:61
	ds_read2_b64 v[184:187], v140 offset0:62 offset1:63
	v_fma_f64 v[70:71], -v[114:115], v[188:189], v[70:71]
	v_fma_f64 v[68:69], -v[114:115], v[190:191], v[68:69]
	s_waitcnt lgkmcnt(10)
	v_fma_f64 v[46:47], -v[114:115], v[164:165], v[46:47]
	v_fma_f64 v[44:45], -v[114:115], v[166:167], v[44:45]
	s_waitcnt lgkmcnt(7)
	v_fma_f64 v[42:43], -v[114:115], v[144:145], v[42:43]
	v_fma_f64 v[38:39], -v[114:115], v[146:147], v[38:39]
	v_fma_f64 v[40:41], -v[114:115], v[168:169], v[40:41]
	v_fma_f64 v[34:35], -v[114:115], v[170:171], v[34:35]
	s_waitcnt lgkmcnt(6)
	v_fma_f64 v[36:37], -v[114:115], v[148:149], v[36:37]
	v_fma_f64 v[32:33], -v[114:115], v[150:151], v[32:33]
	;; [unrolled: 5-line block ×3, first 2 shown]
	s_waitcnt lgkmcnt(4)
	v_fma_f64 v[22:23], -v[114:115], v[176:177], v[22:23]
	v_fma_f64 v[18:19], -v[114:115], v[178:179], v[18:19]
	s_waitcnt lgkmcnt(3)
	v_fma_f64 v[20:21], -v[114:115], v[156:157], v[20:21]
	v_fma_f64 v[16:17], -v[114:115], v[158:159], v[16:17]
	;; [unrolled: 3-line block ×5, first 2 shown]
.LBB126_131:
	s_or_b32 exec_lo, exec_lo, s0
	v_lshl_add_u32 v0, v143, 3, v140
	s_barrier
	buffer_gl0_inv
	v_mov_b32_e32 v134, 8
	ds_write_b64 v0, v[116:117]
	s_waitcnt lgkmcnt(0)
	s_barrier
	buffer_gl0_inv
	ds_read_b64 v[0:1], v140 offset:64
	s_cmp_lt_i32 s7, 10
	s_cbranch_scc1 .LBB126_134
; %bb.132:
	v_add3_u32 v135, v141, 0, 0x48
	v_mov_b32_e32 v134, 8
	s_mov_b32 s0, 9
.LBB126_133:                            ; =>This Inner Loop Header: Depth=1
	ds_read_b64 v[144:145], v135
	v_add_nc_u32_e32 v135, 8, v135
	s_waitcnt lgkmcnt(0)
	v_cmp_lt_f64_e64 vcc_lo, |v[0:1]|, |v[144:145]|
	v_cndmask_b32_e32 v1, v1, v145, vcc_lo
	v_cndmask_b32_e32 v0, v0, v144, vcc_lo
	v_cndmask_b32_e64 v134, v134, s0, vcc_lo
	s_add_i32 s0, s0, 1
	s_cmp_lg_u32 s7, s0
	s_cbranch_scc1 .LBB126_133
.LBB126_134:
	s_mov_b32 s0, exec_lo
	s_waitcnt lgkmcnt(0)
	v_cmpx_eq_f64_e32 0, v[0:1]
	s_xor_b32 s0, exec_lo, s0
; %bb.135:
	v_cmp_ne_u32_e32 vcc_lo, 0, v137
	v_cndmask_b32_e32 v137, 9, v137, vcc_lo
; %bb.136:
	s_andn2_saveexec_b32 s0, s0
	s_cbranch_execz .LBB126_138
; %bb.137:
	v_div_scale_f64 v[135:136], null, v[0:1], v[0:1], 1.0
	v_rcp_f64_e32 v[144:145], v[135:136]
	v_fma_f64 v[146:147], -v[135:136], v[144:145], 1.0
	v_fma_f64 v[144:145], v[144:145], v[146:147], v[144:145]
	v_fma_f64 v[146:147], -v[135:136], v[144:145], 1.0
	v_fma_f64 v[144:145], v[144:145], v[146:147], v[144:145]
	v_div_scale_f64 v[146:147], vcc_lo, 1.0, v[0:1], 1.0
	v_mul_f64 v[148:149], v[146:147], v[144:145]
	v_fma_f64 v[135:136], -v[135:136], v[148:149], v[146:147]
	v_div_fmas_f64 v[135:136], v[135:136], v[144:145], v[148:149]
	v_div_fixup_f64 v[0:1], v[135:136], v[0:1], 1.0
.LBB126_138:
	s_or_b32 exec_lo, exec_lo, s0
	s_mov_b32 s0, exec_lo
	v_cmpx_ne_u32_e64 v143, v134
	s_xor_b32 s0, exec_lo, s0
	s_cbranch_execz .LBB126_144
; %bb.139:
	s_mov_b32 s1, exec_lo
	v_cmpx_eq_u32_e32 8, v143
	s_cbranch_execz .LBB126_143
; %bb.140:
	v_cmp_ne_u32_e32 vcc_lo, 8, v134
	s_xor_b32 s2, s6, -1
	s_and_b32 s3, s2, vcc_lo
	s_and_saveexec_b32 s2, s3
	s_cbranch_execz .LBB126_142
; %bb.141:
	v_ashrrev_i32_e32 v135, 31, v134
	v_lshlrev_b64 v[135:136], 2, v[134:135]
	v_add_co_u32 v135, vcc_lo, v4, v135
	v_add_co_ci_u32_e64 v136, null, v5, v136, vcc_lo
	s_clause 0x1
	global_load_dword v142, v[135:136], off
	global_load_dword v143, v[4:5], off offset:32
	s_waitcnt vmcnt(1)
	global_store_dword v[4:5], v142, off offset:32
	s_waitcnt vmcnt(0)
	global_store_dword v[135:136], v143, off
.LBB126_142:
	s_or_b32 exec_lo, exec_lo, s2
	v_mov_b32_e32 v142, v134
	v_mov_b32_e32 v143, v134
.LBB126_143:
	s_or_b32 exec_lo, exec_lo, s1
.LBB126_144:
	s_andn2_saveexec_b32 s0, s0
	s_cbranch_execz .LBB126_146
; %bb.145:
	v_mov_b32_e32 v143, 8
	ds_write2_b64 v140, v[112:113], v[110:111] offset0:9 offset1:10
	ds_write2_b64 v140, v[108:109], v[106:107] offset0:11 offset1:12
	;; [unrolled: 1-line block ×27, first 2 shown]
	ds_write_b64 v140, v[132:133] offset:504
.LBB126_146:
	s_or_b32 exec_lo, exec_lo, s0
	s_mov_b32 s0, exec_lo
	s_waitcnt lgkmcnt(0)
	s_waitcnt_vscnt null, 0x0
	s_barrier
	buffer_gl0_inv
	v_cmpx_lt_i32_e32 8, v143
	s_cbranch_execz .LBB126_148
; %bb.147:
	v_mul_f64 v[116:117], v[0:1], v[116:117]
	ds_read2_b64 v[144:147], v140 offset0:9 offset1:10
	ds_read2_b64 v[148:151], v140 offset0:11 offset1:12
	ds_read2_b64 v[152:155], v140 offset0:13 offset1:14
	ds_read2_b64 v[156:159], v140 offset0:15 offset1:16
	ds_read2_b64 v[160:163], v140 offset0:17 offset1:18
	ds_read2_b64 v[164:167], v140 offset0:19 offset1:20
	ds_read2_b64 v[168:171], v140 offset0:21 offset1:22
	ds_read2_b64 v[172:175], v140 offset0:23 offset1:24
	ds_read2_b64 v[176:179], v140 offset0:25 offset1:26
	ds_read2_b64 v[180:183], v140 offset0:27 offset1:28
	ds_read2_b64 v[184:187], v140 offset0:29 offset1:30
	ds_read2_b64 v[188:191], v140 offset0:31 offset1:32
	ds_read_b64 v[0:1], v140 offset:504
	s_waitcnt lgkmcnt(12)
	v_fma_f64 v[112:113], -v[116:117], v[144:145], v[112:113]
	v_fma_f64 v[110:111], -v[116:117], v[146:147], v[110:111]
	s_waitcnt lgkmcnt(11)
	v_fma_f64 v[108:109], -v[116:117], v[148:149], v[108:109]
	v_fma_f64 v[106:107], -v[116:117], v[150:151], v[106:107]
	s_waitcnt lgkmcnt(10)
	v_fma_f64 v[104:105], -v[116:117], v[152:153], v[104:105]
	v_fma_f64 v[102:103], -v[116:117], v[154:155], v[102:103]
	s_waitcnt lgkmcnt(9)
	v_fma_f64 v[98:99], -v[116:117], v[156:157], v[98:99]
	v_fma_f64 v[100:101], -v[116:117], v[158:159], v[100:101]
	s_waitcnt lgkmcnt(8)
	v_fma_f64 v[94:95], -v[116:117], v[160:161], v[94:95]
	v_fma_f64 v[96:97], -v[116:117], v[162:163], v[96:97]
	ds_read2_b64 v[144:147], v140 offset0:33 offset1:34
	ds_read2_b64 v[148:151], v140 offset0:35 offset1:36
	;; [unrolled: 1-line block ×5, first 2 shown]
	s_waitcnt lgkmcnt(12)
	v_fma_f64 v[92:93], -v[116:117], v[164:165], v[92:93]
	v_fma_f64 v[90:91], -v[116:117], v[166:167], v[90:91]
	s_waitcnt lgkmcnt(11)
	v_fma_f64 v[88:89], -v[116:117], v[168:169], v[88:89]
	v_fma_f64 v[86:87], -v[116:117], v[170:171], v[86:87]
	;; [unrolled: 3-line block ×5, first 2 shown]
	ds_read2_b64 v[164:167], v140 offset0:43 offset1:44
	ds_read2_b64 v[168:171], v140 offset0:47 offset1:48
	;; [unrolled: 1-line block ×5, first 2 shown]
	s_waitcnt lgkmcnt(9)
	v_fma_f64 v[64:65], -v[116:117], v[144:145], v[64:65]
	v_fma_f64 v[62:63], -v[116:117], v[146:147], v[62:63]
	ds_read2_b64 v[144:147], v140 offset0:45 offset1:46
	s_waitcnt lgkmcnt(9)
	v_fma_f64 v[58:59], -v[116:117], v[148:149], v[58:59]
	v_fma_f64 v[60:61], -v[116:117], v[150:151], v[60:61]
	ds_read2_b64 v[148:151], v140 offset0:49 offset1:50
	;; [unrolled: 4-line block ×5, first 2 shown]
	v_fma_f64 v[72:73], -v[116:117], v[184:185], v[72:73]
	v_fma_f64 v[70:71], -v[116:117], v[186:187], v[70:71]
	;; [unrolled: 1-line block ×4, first 2 shown]
	s_waitcnt lgkmcnt(9)
	v_fma_f64 v[44:45], -v[116:117], v[164:165], v[44:45]
	v_fma_f64 v[42:43], -v[116:117], v[166:167], v[42:43]
	s_waitcnt lgkmcnt(8)
	v_fma_f64 v[34:35], -v[116:117], v[168:169], v[34:35]
	s_waitcnt lgkmcnt(4)
	v_fma_f64 v[38:39], -v[116:117], v[144:145], v[38:39]
	v_fma_f64 v[40:41], -v[116:117], v[146:147], v[40:41]
	v_fma_f64 v[36:37], -v[116:117], v[170:171], v[36:37]
	s_waitcnt lgkmcnt(3)
	v_fma_f64 v[32:33], -v[116:117], v[148:149], v[32:33]
	v_fma_f64 v[30:31], -v[116:117], v[150:151], v[30:31]
	v_fma_f64 v[28:29], -v[116:117], v[172:173], v[28:29]
	v_fma_f64 v[26:27], -v[116:117], v[174:175], v[26:27]
	s_waitcnt lgkmcnt(2)
	v_fma_f64 v[24:25], -v[116:117], v[152:153], v[24:25]
	;; [unrolled: 5-line block ×4, first 2 shown]
	v_fma_f64 v[10:11], -v[116:117], v[162:163], v[10:11]
	v_fma_f64 v[132:133], -v[116:117], v[0:1], v[132:133]
.LBB126_148:
	s_or_b32 exec_lo, exec_lo, s0
	v_lshl_add_u32 v0, v143, 3, v140
	s_barrier
	buffer_gl0_inv
	v_mov_b32_e32 v134, 9
	ds_write_b64 v0, v[112:113]
	s_waitcnt lgkmcnt(0)
	s_barrier
	buffer_gl0_inv
	ds_read_b64 v[0:1], v140 offset:72
	s_cmp_lt_i32 s7, 11
	s_cbranch_scc1 .LBB126_151
; %bb.149:
	v_add3_u32 v135, v141, 0, 0x50
	v_mov_b32_e32 v134, 9
	s_mov_b32 s0, 10
.LBB126_150:                            ; =>This Inner Loop Header: Depth=1
	ds_read_b64 v[144:145], v135
	v_add_nc_u32_e32 v135, 8, v135
	s_waitcnt lgkmcnt(0)
	v_cmp_lt_f64_e64 vcc_lo, |v[0:1]|, |v[144:145]|
	v_cndmask_b32_e32 v1, v1, v145, vcc_lo
	v_cndmask_b32_e32 v0, v0, v144, vcc_lo
	v_cndmask_b32_e64 v134, v134, s0, vcc_lo
	s_add_i32 s0, s0, 1
	s_cmp_lg_u32 s7, s0
	s_cbranch_scc1 .LBB126_150
.LBB126_151:
	s_mov_b32 s0, exec_lo
	s_waitcnt lgkmcnt(0)
	v_cmpx_eq_f64_e32 0, v[0:1]
	s_xor_b32 s0, exec_lo, s0
; %bb.152:
	v_cmp_ne_u32_e32 vcc_lo, 0, v137
	v_cndmask_b32_e32 v137, 10, v137, vcc_lo
; %bb.153:
	s_andn2_saveexec_b32 s0, s0
	s_cbranch_execz .LBB126_155
; %bb.154:
	v_div_scale_f64 v[135:136], null, v[0:1], v[0:1], 1.0
	v_rcp_f64_e32 v[144:145], v[135:136]
	v_fma_f64 v[146:147], -v[135:136], v[144:145], 1.0
	v_fma_f64 v[144:145], v[144:145], v[146:147], v[144:145]
	v_fma_f64 v[146:147], -v[135:136], v[144:145], 1.0
	v_fma_f64 v[144:145], v[144:145], v[146:147], v[144:145]
	v_div_scale_f64 v[146:147], vcc_lo, 1.0, v[0:1], 1.0
	v_mul_f64 v[148:149], v[146:147], v[144:145]
	v_fma_f64 v[135:136], -v[135:136], v[148:149], v[146:147]
	v_div_fmas_f64 v[135:136], v[135:136], v[144:145], v[148:149]
	v_div_fixup_f64 v[0:1], v[135:136], v[0:1], 1.0
.LBB126_155:
	s_or_b32 exec_lo, exec_lo, s0
	s_mov_b32 s0, exec_lo
	v_cmpx_ne_u32_e64 v143, v134
	s_xor_b32 s0, exec_lo, s0
	s_cbranch_execz .LBB126_161
; %bb.156:
	s_mov_b32 s1, exec_lo
	v_cmpx_eq_u32_e32 9, v143
	s_cbranch_execz .LBB126_160
; %bb.157:
	v_cmp_ne_u32_e32 vcc_lo, 9, v134
	s_xor_b32 s2, s6, -1
	s_and_b32 s3, s2, vcc_lo
	s_and_saveexec_b32 s2, s3
	s_cbranch_execz .LBB126_159
; %bb.158:
	v_ashrrev_i32_e32 v135, 31, v134
	v_lshlrev_b64 v[135:136], 2, v[134:135]
	v_add_co_u32 v135, vcc_lo, v4, v135
	v_add_co_ci_u32_e64 v136, null, v5, v136, vcc_lo
	s_clause 0x1
	global_load_dword v142, v[135:136], off
	global_load_dword v143, v[4:5], off offset:36
	s_waitcnt vmcnt(1)
	global_store_dword v[4:5], v142, off offset:36
	s_waitcnt vmcnt(0)
	global_store_dword v[135:136], v143, off
.LBB126_159:
	s_or_b32 exec_lo, exec_lo, s2
	v_mov_b32_e32 v142, v134
	v_mov_b32_e32 v143, v134
.LBB126_160:
	s_or_b32 exec_lo, exec_lo, s1
.LBB126_161:
	s_andn2_saveexec_b32 s0, s0
	s_cbranch_execz .LBB126_163
; %bb.162:
	v_mov_b32_e32 v134, v110
	v_mov_b32_e32 v135, v111
	;; [unrolled: 1-line block ×12, first 2 shown]
	ds_write2_b64 v140, v[134:135], v[143:144] offset0:10 offset1:11
	ds_write2_b64 v140, v[145:146], v[147:148] offset0:12 offset1:13
	ds_write2_b64 v140, v[149:150], v[151:152] offset0:14 offset1:15
	v_mov_b32_e32 v134, v100
	v_mov_b32_e32 v135, v101
	v_mov_b32_e32 v143, v94
	v_mov_b32_e32 v144, v95
	v_mov_b32_e32 v145, v96
	v_mov_b32_e32 v146, v97
	v_mov_b32_e32 v147, v92
	v_mov_b32_e32 v148, v93
	v_mov_b32_e32 v149, v90
	v_mov_b32_e32 v150, v91
	v_mov_b32_e32 v151, v88
	v_mov_b32_e32 v152, v89
	v_mov_b32_e32 v153, v86
	v_mov_b32_e32 v154, v87
	v_mov_b32_e32 v155, v84
	v_mov_b32_e32 v156, v85
	v_mov_b32_e32 v157, v82
	v_mov_b32_e32 v158, v83
	v_mov_b32_e32 v159, v78
	v_mov_b32_e32 v160, v79
	ds_write2_b64 v140, v[134:135], v[143:144] offset0:16 offset1:17
	ds_write2_b64 v140, v[145:146], v[147:148] offset0:18 offset1:19
	ds_write2_b64 v140, v[149:150], v[151:152] offset0:20 offset1:21
	ds_write2_b64 v140, v[153:154], v[155:156] offset0:22 offset1:23
	ds_write2_b64 v140, v[157:158], v[159:160] offset0:24 offset1:25
	v_mov_b32_e32 v134, v80
	v_mov_b32_e32 v135, v81
	v_mov_b32_e32 v143, v74
	v_mov_b32_e32 v144, v75
	v_mov_b32_e32 v145, v76
	v_mov_b32_e32 v146, v77
	v_mov_b32_e32 v147, v72
	v_mov_b32_e32 v148, v73
	v_mov_b32_e32 v149, v70
	v_mov_b32_e32 v150, v71
	v_mov_b32_e32 v151, v68
	v_mov_b32_e32 v152, v69
	v_mov_b32_e32 v153, v66
	v_mov_b32_e32 v154, v67
	v_mov_b32_e32 v155, v64
	v_mov_b32_e32 v156, v65
	v_mov_b32_e32 v157, v62
	v_mov_b32_e32 v158, v63
	v_mov_b32_e32 v159, v58
	v_mov_b32_e32 v160, v59
	ds_write2_b64 v140, v[134:135], v[143:144] offset0:26 offset1:27
	ds_write2_b64 v140, v[145:146], v[147:148] offset0:28 offset1:29
	;; [unrolled: 25-line block ×4, first 2 shown]
	ds_write2_b64 v140, v[149:150], v[151:152] offset0:50 offset1:51
	ds_write2_b64 v140, v[153:154], v[155:156] offset0:52 offset1:53
	;; [unrolled: 1-line block ×3, first 2 shown]
	v_mov_b32_e32 v134, v20
	v_mov_b32_e32 v135, v21
	;; [unrolled: 1-line block ×15, first 2 shown]
	ds_write2_b64 v140, v[134:135], v[144:145] offset0:56 offset1:57
	ds_write2_b64 v140, v[146:147], v[148:149] offset0:58 offset1:59
	;; [unrolled: 1-line block ×4, first 2 shown]
.LBB126_163:
	s_or_b32 exec_lo, exec_lo, s0
	s_mov_b32 s0, exec_lo
	s_waitcnt lgkmcnt(0)
	s_waitcnt_vscnt null, 0x0
	s_barrier
	buffer_gl0_inv
	v_cmpx_lt_i32_e32 9, v143
	s_cbranch_execz .LBB126_165
; %bb.164:
	v_mul_f64 v[112:113], v[0:1], v[112:113]
	ds_read2_b64 v[144:147], v140 offset0:10 offset1:11
	ds_read2_b64 v[148:151], v140 offset0:12 offset1:13
	;; [unrolled: 1-line block ×12, first 2 shown]
	s_waitcnt lgkmcnt(11)
	v_fma_f64 v[110:111], -v[112:113], v[144:145], v[110:111]
	v_fma_f64 v[108:109], -v[112:113], v[146:147], v[108:109]
	s_waitcnt lgkmcnt(10)
	v_fma_f64 v[106:107], -v[112:113], v[148:149], v[106:107]
	v_fma_f64 v[104:105], -v[112:113], v[150:151], v[104:105]
	;; [unrolled: 3-line block ×4, first 2 shown]
	ds_read2_b64 v[144:147], v140 offset0:34 offset1:35
	ds_read2_b64 v[148:151], v140 offset0:36 offset1:37
	;; [unrolled: 1-line block ×4, first 2 shown]
	s_waitcnt lgkmcnt(11)
	v_fma_f64 v[96:97], -v[112:113], v[160:161], v[96:97]
	v_fma_f64 v[92:93], -v[112:113], v[162:163], v[92:93]
	s_waitcnt lgkmcnt(10)
	v_fma_f64 v[90:91], -v[112:113], v[164:165], v[90:91]
	v_fma_f64 v[88:89], -v[112:113], v[166:167], v[88:89]
	;; [unrolled: 3-line block ×7, first 2 shown]
	ds_read2_b64 v[160:163], v140 offset0:42 offset1:43
	ds_read2_b64 v[164:167], v140 offset0:44 offset1:45
	s_waitcnt lgkmcnt(5)
	v_fma_f64 v[62:63], -v[112:113], v[144:145], v[62:63]
	ds_read2_b64 v[168:171], v140 offset0:46 offset1:47
	v_fma_f64 v[58:59], -v[112:113], v[146:147], v[58:59]
	ds_read2_b64 v[144:147], v140 offset0:48 offset1:49
	s_waitcnt lgkmcnt(6)
	v_fma_f64 v[60:61], -v[112:113], v[148:149], v[60:61]
	ds_read2_b64 v[172:175], v140 offset0:50 offset1:51
	v_fma_f64 v[54:55], -v[112:113], v[150:151], v[54:55]
	;; [unrolled: 5-line block ×4, first 2 shown]
	ds_read2_b64 v[156:159], v140 offset0:60 offset1:61
	ds_read2_b64 v[184:187], v140 offset0:62 offset1:63
	v_fma_f64 v[66:67], -v[112:113], v[188:189], v[66:67]
	v_fma_f64 v[64:65], -v[112:113], v[190:191], v[64:65]
	s_waitcnt lgkmcnt(10)
	v_fma_f64 v[46:47], -v[112:113], v[160:161], v[46:47]
	v_fma_f64 v[44:45], -v[112:113], v[162:163], v[44:45]
	s_waitcnt lgkmcnt(9)
	v_fma_f64 v[42:43], -v[112:113], v[164:165], v[42:43]
	v_fma_f64 v[38:39], -v[112:113], v[166:167], v[38:39]
	s_waitcnt lgkmcnt(8)
	v_fma_f64 v[40:41], -v[112:113], v[168:169], v[40:41]
	v_fma_f64 v[34:35], -v[112:113], v[170:171], v[34:35]
	s_waitcnt lgkmcnt(7)
	v_fma_f64 v[36:37], -v[112:113], v[144:145], v[36:37]
	v_fma_f64 v[32:33], -v[112:113], v[146:147], v[32:33]
	s_waitcnt lgkmcnt(6)
	v_fma_f64 v[30:31], -v[112:113], v[172:173], v[30:31]
	v_fma_f64 v[28:29], -v[112:113], v[174:175], v[28:29]
	s_waitcnt lgkmcnt(5)
	v_fma_f64 v[26:27], -v[112:113], v[148:149], v[26:27]
	v_fma_f64 v[24:25], -v[112:113], v[150:151], v[24:25]
	s_waitcnt lgkmcnt(4)
	v_fma_f64 v[22:23], -v[112:113], v[176:177], v[22:23]
	v_fma_f64 v[18:19], -v[112:113], v[178:179], v[18:19]
	s_waitcnt lgkmcnt(3)
	v_fma_f64 v[20:21], -v[112:113], v[152:153], v[20:21]
	v_fma_f64 v[16:17], -v[112:113], v[154:155], v[16:17]
	s_waitcnt lgkmcnt(2)
	v_fma_f64 v[14:15], -v[112:113], v[180:181], v[14:15]
	v_fma_f64 v[8:9], -v[112:113], v[182:183], v[8:9]
	s_waitcnt lgkmcnt(1)
	v_fma_f64 v[12:13], -v[112:113], v[156:157], v[12:13]
	v_fma_f64 v[6:7], -v[112:113], v[158:159], v[6:7]
	s_waitcnt lgkmcnt(0)
	v_fma_f64 v[10:11], -v[112:113], v[184:185], v[10:11]
	v_fma_f64 v[132:133], -v[112:113], v[186:187], v[132:133]
.LBB126_165:
	s_or_b32 exec_lo, exec_lo, s0
	v_lshl_add_u32 v0, v143, 3, v140
	s_barrier
	buffer_gl0_inv
	v_mov_b32_e32 v134, 10
	ds_write_b64 v0, v[110:111]
	s_waitcnt lgkmcnt(0)
	s_barrier
	buffer_gl0_inv
	ds_read_b64 v[0:1], v140 offset:80
	s_cmp_lt_i32 s7, 12
	s_cbranch_scc1 .LBB126_168
; %bb.166:
	v_add3_u32 v135, v141, 0, 0x58
	v_mov_b32_e32 v134, 10
	s_mov_b32 s0, 11
.LBB126_167:                            ; =>This Inner Loop Header: Depth=1
	ds_read_b64 v[144:145], v135
	v_add_nc_u32_e32 v135, 8, v135
	s_waitcnt lgkmcnt(0)
	v_cmp_lt_f64_e64 vcc_lo, |v[0:1]|, |v[144:145]|
	v_cndmask_b32_e32 v1, v1, v145, vcc_lo
	v_cndmask_b32_e32 v0, v0, v144, vcc_lo
	v_cndmask_b32_e64 v134, v134, s0, vcc_lo
	s_add_i32 s0, s0, 1
	s_cmp_lg_u32 s7, s0
	s_cbranch_scc1 .LBB126_167
.LBB126_168:
	s_mov_b32 s0, exec_lo
	s_waitcnt lgkmcnt(0)
	v_cmpx_eq_f64_e32 0, v[0:1]
	s_xor_b32 s0, exec_lo, s0
; %bb.169:
	v_cmp_ne_u32_e32 vcc_lo, 0, v137
	v_cndmask_b32_e32 v137, 11, v137, vcc_lo
; %bb.170:
	s_andn2_saveexec_b32 s0, s0
	s_cbranch_execz .LBB126_172
; %bb.171:
	v_div_scale_f64 v[135:136], null, v[0:1], v[0:1], 1.0
	v_rcp_f64_e32 v[144:145], v[135:136]
	v_fma_f64 v[146:147], -v[135:136], v[144:145], 1.0
	v_fma_f64 v[144:145], v[144:145], v[146:147], v[144:145]
	v_fma_f64 v[146:147], -v[135:136], v[144:145], 1.0
	v_fma_f64 v[144:145], v[144:145], v[146:147], v[144:145]
	v_div_scale_f64 v[146:147], vcc_lo, 1.0, v[0:1], 1.0
	v_mul_f64 v[148:149], v[146:147], v[144:145]
	v_fma_f64 v[135:136], -v[135:136], v[148:149], v[146:147]
	v_div_fmas_f64 v[135:136], v[135:136], v[144:145], v[148:149]
	v_div_fixup_f64 v[0:1], v[135:136], v[0:1], 1.0
.LBB126_172:
	s_or_b32 exec_lo, exec_lo, s0
	s_mov_b32 s0, exec_lo
	v_cmpx_ne_u32_e64 v143, v134
	s_xor_b32 s0, exec_lo, s0
	s_cbranch_execz .LBB126_178
; %bb.173:
	s_mov_b32 s1, exec_lo
	v_cmpx_eq_u32_e32 10, v143
	s_cbranch_execz .LBB126_177
; %bb.174:
	v_cmp_ne_u32_e32 vcc_lo, 10, v134
	s_xor_b32 s2, s6, -1
	s_and_b32 s3, s2, vcc_lo
	s_and_saveexec_b32 s2, s3
	s_cbranch_execz .LBB126_176
; %bb.175:
	v_ashrrev_i32_e32 v135, 31, v134
	v_lshlrev_b64 v[135:136], 2, v[134:135]
	v_add_co_u32 v135, vcc_lo, v4, v135
	v_add_co_ci_u32_e64 v136, null, v5, v136, vcc_lo
	s_clause 0x1
	global_load_dword v142, v[135:136], off
	global_load_dword v143, v[4:5], off offset:40
	s_waitcnt vmcnt(1)
	global_store_dword v[4:5], v142, off offset:40
	s_waitcnt vmcnt(0)
	global_store_dword v[135:136], v143, off
.LBB126_176:
	s_or_b32 exec_lo, exec_lo, s2
	v_mov_b32_e32 v142, v134
	v_mov_b32_e32 v143, v134
.LBB126_177:
	s_or_b32 exec_lo, exec_lo, s1
.LBB126_178:
	s_andn2_saveexec_b32 s0, s0
	s_cbranch_execz .LBB126_180
; %bb.179:
	v_mov_b32_e32 v143, 10
	ds_write2_b64 v140, v[108:109], v[106:107] offset0:11 offset1:12
	ds_write2_b64 v140, v[104:105], v[102:103] offset0:13 offset1:14
	;; [unrolled: 1-line block ×26, first 2 shown]
	ds_write_b64 v140, v[132:133] offset:504
.LBB126_180:
	s_or_b32 exec_lo, exec_lo, s0
	s_mov_b32 s0, exec_lo
	s_waitcnt lgkmcnt(0)
	s_waitcnt_vscnt null, 0x0
	s_barrier
	buffer_gl0_inv
	v_cmpx_lt_i32_e32 10, v143
	s_cbranch_execz .LBB126_182
; %bb.181:
	v_mul_f64 v[110:111], v[0:1], v[110:111]
	ds_read2_b64 v[144:147], v140 offset0:11 offset1:12
	ds_read2_b64 v[148:151], v140 offset0:13 offset1:14
	;; [unrolled: 1-line block ×12, first 2 shown]
	ds_read_b64 v[0:1], v140 offset:504
	s_waitcnt lgkmcnt(12)
	v_fma_f64 v[108:109], -v[110:111], v[144:145], v[108:109]
	v_fma_f64 v[106:107], -v[110:111], v[146:147], v[106:107]
	s_waitcnt lgkmcnt(11)
	v_fma_f64 v[104:105], -v[110:111], v[148:149], v[104:105]
	v_fma_f64 v[102:103], -v[110:111], v[150:151], v[102:103]
	;; [unrolled: 3-line block ×4, first 2 shown]
	ds_read2_b64 v[144:147], v140 offset0:35 offset1:36
	ds_read2_b64 v[148:151], v140 offset0:37 offset1:38
	;; [unrolled: 1-line block ×4, first 2 shown]
	s_waitcnt lgkmcnt(12)
	v_fma_f64 v[92:93], -v[110:111], v[160:161], v[92:93]
	v_fma_f64 v[90:91], -v[110:111], v[162:163], v[90:91]
	s_waitcnt lgkmcnt(11)
	v_fma_f64 v[88:89], -v[110:111], v[164:165], v[88:89]
	v_fma_f64 v[86:87], -v[110:111], v[166:167], v[86:87]
	;; [unrolled: 3-line block ×6, first 2 shown]
	ds_read2_b64 v[160:163], v140 offset0:43 offset1:44
	ds_read2_b64 v[164:167], v140 offset0:45 offset1:46
	;; [unrolled: 1-line block ×4, first 2 shown]
	s_waitcnt lgkmcnt(7)
	v_fma_f64 v[58:59], -v[110:111], v[144:145], v[58:59]
	v_fma_f64 v[60:61], -v[110:111], v[146:147], v[60:61]
	ds_read2_b64 v[144:147], v140 offset0:49 offset1:50
	s_waitcnt lgkmcnt(7)
	v_fma_f64 v[54:55], -v[110:111], v[148:149], v[54:55]
	v_fma_f64 v[56:57], -v[110:111], v[150:151], v[56:57]
	ds_read2_b64 v[148:151], v140 offset0:53 offset1:54
	s_waitcnt lgkmcnt(7)
	v_fma_f64 v[52:53], -v[110:111], v[152:153], v[52:53]
	ds_read2_b64 v[176:179], v140 offset0:55 offset1:56
	v_fma_f64 v[50:51], -v[110:111], v[154:155], v[50:51]
	ds_read2_b64 v[152:155], v140 offset0:57 offset1:58
	s_waitcnt lgkmcnt(8)
	v_fma_f64 v[48:49], -v[110:111], v[156:157], v[48:49]
	ds_read2_b64 v[180:183], v140 offset0:59 offset1:60
	v_fma_f64 v[46:47], -v[110:111], v[158:159], v[46:47]
	ds_read2_b64 v[156:159], v140 offset0:61 offset1:62
	v_fma_f64 v[68:69], -v[110:111], v[184:185], v[68:69]
	v_fma_f64 v[66:67], -v[110:111], v[186:187], v[66:67]
	;; [unrolled: 1-line block ×4, first 2 shown]
	s_waitcnt lgkmcnt(9)
	v_fma_f64 v[44:45], -v[110:111], v[160:161], v[44:45]
	v_fma_f64 v[42:43], -v[110:111], v[162:163], v[42:43]
	s_waitcnt lgkmcnt(8)
	v_fma_f64 v[38:39], -v[110:111], v[164:165], v[38:39]
	v_fma_f64 v[40:41], -v[110:111], v[166:167], v[40:41]
	;; [unrolled: 3-line block ×4, first 2 shown]
	v_fma_f64 v[28:29], -v[110:111], v[172:173], v[28:29]
	v_fma_f64 v[26:27], -v[110:111], v[174:175], v[26:27]
	s_waitcnt lgkmcnt(4)
	v_fma_f64 v[24:25], -v[110:111], v[148:149], v[24:25]
	v_fma_f64 v[22:23], -v[110:111], v[150:151], v[22:23]
	s_waitcnt lgkmcnt(3)
	;; [unrolled: 3-line block ×5, first 2 shown]
	v_fma_f64 v[6:7], -v[110:111], v[156:157], v[6:7]
	v_fma_f64 v[10:11], -v[110:111], v[158:159], v[10:11]
	;; [unrolled: 1-line block ×3, first 2 shown]
.LBB126_182:
	s_or_b32 exec_lo, exec_lo, s0
	v_lshl_add_u32 v0, v143, 3, v140
	s_barrier
	buffer_gl0_inv
	v_mov_b32_e32 v134, 11
	ds_write_b64 v0, v[108:109]
	s_waitcnt lgkmcnt(0)
	s_barrier
	buffer_gl0_inv
	ds_read_b64 v[0:1], v140 offset:88
	s_cmp_lt_i32 s7, 13
	s_cbranch_scc1 .LBB126_185
; %bb.183:
	v_add3_u32 v135, v141, 0, 0x60
	v_mov_b32_e32 v134, 11
	s_mov_b32 s0, 12
.LBB126_184:                            ; =>This Inner Loop Header: Depth=1
	ds_read_b64 v[144:145], v135
	v_add_nc_u32_e32 v135, 8, v135
	s_waitcnt lgkmcnt(0)
	v_cmp_lt_f64_e64 vcc_lo, |v[0:1]|, |v[144:145]|
	v_cndmask_b32_e32 v1, v1, v145, vcc_lo
	v_cndmask_b32_e32 v0, v0, v144, vcc_lo
	v_cndmask_b32_e64 v134, v134, s0, vcc_lo
	s_add_i32 s0, s0, 1
	s_cmp_lg_u32 s7, s0
	s_cbranch_scc1 .LBB126_184
.LBB126_185:
	s_mov_b32 s0, exec_lo
	s_waitcnt lgkmcnt(0)
	v_cmpx_eq_f64_e32 0, v[0:1]
	s_xor_b32 s0, exec_lo, s0
; %bb.186:
	v_cmp_ne_u32_e32 vcc_lo, 0, v137
	v_cndmask_b32_e32 v137, 12, v137, vcc_lo
; %bb.187:
	s_andn2_saveexec_b32 s0, s0
	s_cbranch_execz .LBB126_189
; %bb.188:
	v_div_scale_f64 v[135:136], null, v[0:1], v[0:1], 1.0
	v_rcp_f64_e32 v[144:145], v[135:136]
	v_fma_f64 v[146:147], -v[135:136], v[144:145], 1.0
	v_fma_f64 v[144:145], v[144:145], v[146:147], v[144:145]
	v_fma_f64 v[146:147], -v[135:136], v[144:145], 1.0
	v_fma_f64 v[144:145], v[144:145], v[146:147], v[144:145]
	v_div_scale_f64 v[146:147], vcc_lo, 1.0, v[0:1], 1.0
	v_mul_f64 v[148:149], v[146:147], v[144:145]
	v_fma_f64 v[135:136], -v[135:136], v[148:149], v[146:147]
	v_div_fmas_f64 v[135:136], v[135:136], v[144:145], v[148:149]
	v_div_fixup_f64 v[0:1], v[135:136], v[0:1], 1.0
.LBB126_189:
	s_or_b32 exec_lo, exec_lo, s0
	s_mov_b32 s0, exec_lo
	v_cmpx_ne_u32_e64 v143, v134
	s_xor_b32 s0, exec_lo, s0
	s_cbranch_execz .LBB126_195
; %bb.190:
	s_mov_b32 s1, exec_lo
	v_cmpx_eq_u32_e32 11, v143
	s_cbranch_execz .LBB126_194
; %bb.191:
	v_cmp_ne_u32_e32 vcc_lo, 11, v134
	s_xor_b32 s2, s6, -1
	s_and_b32 s3, s2, vcc_lo
	s_and_saveexec_b32 s2, s3
	s_cbranch_execz .LBB126_193
; %bb.192:
	v_ashrrev_i32_e32 v135, 31, v134
	v_lshlrev_b64 v[135:136], 2, v[134:135]
	v_add_co_u32 v135, vcc_lo, v4, v135
	v_add_co_ci_u32_e64 v136, null, v5, v136, vcc_lo
	s_clause 0x1
	global_load_dword v142, v[135:136], off
	global_load_dword v143, v[4:5], off offset:44
	s_waitcnt vmcnt(1)
	global_store_dword v[4:5], v142, off offset:44
	s_waitcnt vmcnt(0)
	global_store_dword v[135:136], v143, off
.LBB126_193:
	s_or_b32 exec_lo, exec_lo, s2
	v_mov_b32_e32 v142, v134
	v_mov_b32_e32 v143, v134
.LBB126_194:
	s_or_b32 exec_lo, exec_lo, s1
.LBB126_195:
	s_andn2_saveexec_b32 s0, s0
	s_cbranch_execz .LBB126_197
; %bb.196:
	v_mov_b32_e32 v134, v106
	v_mov_b32_e32 v135, v107
	;; [unrolled: 1-line block ×8, first 2 shown]
	ds_write2_b64 v140, v[134:135], v[143:144] offset0:12 offset1:13
	ds_write2_b64 v140, v[145:146], v[147:148] offset0:14 offset1:15
	v_mov_b32_e32 v134, v100
	v_mov_b32_e32 v135, v101
	v_mov_b32_e32 v143, v94
	v_mov_b32_e32 v144, v95
	v_mov_b32_e32 v145, v96
	v_mov_b32_e32 v146, v97
	v_mov_b32_e32 v147, v92
	v_mov_b32_e32 v148, v93
	v_mov_b32_e32 v149, v90
	v_mov_b32_e32 v150, v91
	v_mov_b32_e32 v151, v88
	v_mov_b32_e32 v152, v89
	v_mov_b32_e32 v153, v86
	v_mov_b32_e32 v154, v87
	v_mov_b32_e32 v155, v84
	v_mov_b32_e32 v156, v85
	v_mov_b32_e32 v157, v82
	v_mov_b32_e32 v158, v83
	v_mov_b32_e32 v159, v78
	v_mov_b32_e32 v160, v79
	ds_write2_b64 v140, v[134:135], v[143:144] offset0:16 offset1:17
	ds_write2_b64 v140, v[145:146], v[147:148] offset0:18 offset1:19
	ds_write2_b64 v140, v[149:150], v[151:152] offset0:20 offset1:21
	ds_write2_b64 v140, v[153:154], v[155:156] offset0:22 offset1:23
	ds_write2_b64 v140, v[157:158], v[159:160] offset0:24 offset1:25
	v_mov_b32_e32 v134, v80
	v_mov_b32_e32 v135, v81
	v_mov_b32_e32 v143, v74
	v_mov_b32_e32 v144, v75
	v_mov_b32_e32 v145, v76
	v_mov_b32_e32 v146, v77
	v_mov_b32_e32 v147, v72
	v_mov_b32_e32 v148, v73
	v_mov_b32_e32 v149, v70
	v_mov_b32_e32 v150, v71
	v_mov_b32_e32 v151, v68
	v_mov_b32_e32 v152, v69
	v_mov_b32_e32 v153, v66
	v_mov_b32_e32 v154, v67
	v_mov_b32_e32 v155, v64
	v_mov_b32_e32 v156, v65
	v_mov_b32_e32 v157, v62
	v_mov_b32_e32 v158, v63
	v_mov_b32_e32 v159, v58
	v_mov_b32_e32 v160, v59
	ds_write2_b64 v140, v[134:135], v[143:144] offset0:26 offset1:27
	ds_write2_b64 v140, v[145:146], v[147:148] offset0:28 offset1:29
	ds_write2_b64 v140, v[149:150], v[151:152] offset0:30 offset1:31
	;; [unrolled: 25-line block ×4, first 2 shown]
	ds_write2_b64 v140, v[153:154], v[155:156] offset0:52 offset1:53
	ds_write2_b64 v140, v[157:158], v[159:160] offset0:54 offset1:55
	v_mov_b32_e32 v134, v20
	v_mov_b32_e32 v135, v21
	;; [unrolled: 1-line block ×15, first 2 shown]
	ds_write2_b64 v140, v[134:135], v[144:145] offset0:56 offset1:57
	ds_write2_b64 v140, v[146:147], v[148:149] offset0:58 offset1:59
	;; [unrolled: 1-line block ×4, first 2 shown]
.LBB126_197:
	s_or_b32 exec_lo, exec_lo, s0
	s_mov_b32 s0, exec_lo
	s_waitcnt lgkmcnt(0)
	s_waitcnt_vscnt null, 0x0
	s_barrier
	buffer_gl0_inv
	v_cmpx_lt_i32_e32 11, v143
	s_cbranch_execz .LBB126_199
; %bb.198:
	v_mul_f64 v[108:109], v[0:1], v[108:109]
	ds_read2_b64 v[144:147], v140 offset0:12 offset1:13
	ds_read2_b64 v[148:151], v140 offset0:14 offset1:15
	;; [unrolled: 1-line block ×12, first 2 shown]
	s_waitcnt lgkmcnt(11)
	v_fma_f64 v[106:107], -v[108:109], v[144:145], v[106:107]
	v_fma_f64 v[104:105], -v[108:109], v[146:147], v[104:105]
	s_waitcnt lgkmcnt(10)
	v_fma_f64 v[102:103], -v[108:109], v[148:149], v[102:103]
	v_fma_f64 v[98:99], -v[108:109], v[150:151], v[98:99]
	;; [unrolled: 3-line block ×3, first 2 shown]
	ds_read2_b64 v[144:147], v140 offset0:36 offset1:37
	ds_read2_b64 v[148:151], v140 offset0:38 offset1:39
	;; [unrolled: 1-line block ×3, first 2 shown]
	s_waitcnt lgkmcnt(11)
	v_fma_f64 v[96:97], -v[108:109], v[156:157], v[96:97]
	v_fma_f64 v[92:93], -v[108:109], v[158:159], v[92:93]
	s_waitcnt lgkmcnt(10)
	v_fma_f64 v[90:91], -v[108:109], v[160:161], v[90:91]
	v_fma_f64 v[88:89], -v[108:109], v[162:163], v[88:89]
	;; [unrolled: 3-line block ×7, first 2 shown]
	ds_read2_b64 v[156:159], v140 offset0:42 offset1:43
	s_waitcnt lgkmcnt(5)
	v_fma_f64 v[66:67], -v[108:109], v[184:185], v[66:67]
	v_fma_f64 v[64:65], -v[108:109], v[186:187], v[64:65]
	ds_read2_b64 v[160:163], v140 offset0:44 offset1:45
	ds_read2_b64 v[164:167], v140 offset0:46 offset1:47
	;; [unrolled: 1-line block ×4, first 2 shown]
	s_waitcnt lgkmcnt(7)
	v_fma_f64 v[60:61], -v[108:109], v[144:145], v[60:61]
	v_fma_f64 v[54:55], -v[108:109], v[146:147], v[54:55]
	ds_read2_b64 v[144:147], v140 offset0:52 offset1:53
	ds_read2_b64 v[176:179], v140 offset0:54 offset1:55
	s_waitcnt lgkmcnt(8)
	v_fma_f64 v[56:57], -v[108:109], v[148:149], v[56:57]
	v_fma_f64 v[52:53], -v[108:109], v[150:151], v[52:53]
	ds_read2_b64 v[148:151], v140 offset0:56 offset1:57
	ds_read2_b64 v[180:183], v140 offset0:58 offset1:59
	;; [unrolled: 5-line block ×3, first 2 shown]
	v_fma_f64 v[62:63], -v[108:109], v[188:189], v[62:63]
	v_fma_f64 v[58:59], -v[108:109], v[190:191], v[58:59]
	s_waitcnt lgkmcnt(10)
	v_fma_f64 v[46:47], -v[108:109], v[156:157], v[46:47]
	v_fma_f64 v[44:45], -v[108:109], v[158:159], v[44:45]
	s_waitcnt lgkmcnt(9)
	;; [unrolled: 3-line block ×11, first 2 shown]
	v_fma_f64 v[10:11], -v[108:109], v[184:185], v[10:11]
	v_fma_f64 v[132:133], -v[108:109], v[186:187], v[132:133]
.LBB126_199:
	s_or_b32 exec_lo, exec_lo, s0
	v_lshl_add_u32 v0, v143, 3, v140
	s_barrier
	buffer_gl0_inv
	v_mov_b32_e32 v134, 12
	ds_write_b64 v0, v[106:107]
	s_waitcnt lgkmcnt(0)
	s_barrier
	buffer_gl0_inv
	ds_read_b64 v[0:1], v140 offset:96
	s_cmp_lt_i32 s7, 14
	s_cbranch_scc1 .LBB126_202
; %bb.200:
	v_add3_u32 v135, v141, 0, 0x68
	v_mov_b32_e32 v134, 12
	s_mov_b32 s0, 13
.LBB126_201:                            ; =>This Inner Loop Header: Depth=1
	ds_read_b64 v[144:145], v135
	v_add_nc_u32_e32 v135, 8, v135
	s_waitcnt lgkmcnt(0)
	v_cmp_lt_f64_e64 vcc_lo, |v[0:1]|, |v[144:145]|
	v_cndmask_b32_e32 v1, v1, v145, vcc_lo
	v_cndmask_b32_e32 v0, v0, v144, vcc_lo
	v_cndmask_b32_e64 v134, v134, s0, vcc_lo
	s_add_i32 s0, s0, 1
	s_cmp_lg_u32 s7, s0
	s_cbranch_scc1 .LBB126_201
.LBB126_202:
	s_mov_b32 s0, exec_lo
	s_waitcnt lgkmcnt(0)
	v_cmpx_eq_f64_e32 0, v[0:1]
	s_xor_b32 s0, exec_lo, s0
; %bb.203:
	v_cmp_ne_u32_e32 vcc_lo, 0, v137
	v_cndmask_b32_e32 v137, 13, v137, vcc_lo
; %bb.204:
	s_andn2_saveexec_b32 s0, s0
	s_cbranch_execz .LBB126_206
; %bb.205:
	v_div_scale_f64 v[135:136], null, v[0:1], v[0:1], 1.0
	v_rcp_f64_e32 v[144:145], v[135:136]
	v_fma_f64 v[146:147], -v[135:136], v[144:145], 1.0
	v_fma_f64 v[144:145], v[144:145], v[146:147], v[144:145]
	v_fma_f64 v[146:147], -v[135:136], v[144:145], 1.0
	v_fma_f64 v[144:145], v[144:145], v[146:147], v[144:145]
	v_div_scale_f64 v[146:147], vcc_lo, 1.0, v[0:1], 1.0
	v_mul_f64 v[148:149], v[146:147], v[144:145]
	v_fma_f64 v[135:136], -v[135:136], v[148:149], v[146:147]
	v_div_fmas_f64 v[135:136], v[135:136], v[144:145], v[148:149]
	v_div_fixup_f64 v[0:1], v[135:136], v[0:1], 1.0
.LBB126_206:
	s_or_b32 exec_lo, exec_lo, s0
	s_mov_b32 s0, exec_lo
	v_cmpx_ne_u32_e64 v143, v134
	s_xor_b32 s0, exec_lo, s0
	s_cbranch_execz .LBB126_212
; %bb.207:
	s_mov_b32 s1, exec_lo
	v_cmpx_eq_u32_e32 12, v143
	s_cbranch_execz .LBB126_211
; %bb.208:
	v_cmp_ne_u32_e32 vcc_lo, 12, v134
	s_xor_b32 s2, s6, -1
	s_and_b32 s3, s2, vcc_lo
	s_and_saveexec_b32 s2, s3
	s_cbranch_execz .LBB126_210
; %bb.209:
	v_ashrrev_i32_e32 v135, 31, v134
	v_lshlrev_b64 v[135:136], 2, v[134:135]
	v_add_co_u32 v135, vcc_lo, v4, v135
	v_add_co_ci_u32_e64 v136, null, v5, v136, vcc_lo
	s_clause 0x1
	global_load_dword v142, v[135:136], off
	global_load_dword v143, v[4:5], off offset:48
	s_waitcnt vmcnt(1)
	global_store_dword v[4:5], v142, off offset:48
	s_waitcnt vmcnt(0)
	global_store_dword v[135:136], v143, off
.LBB126_210:
	s_or_b32 exec_lo, exec_lo, s2
	v_mov_b32_e32 v142, v134
	v_mov_b32_e32 v143, v134
.LBB126_211:
	s_or_b32 exec_lo, exec_lo, s1
.LBB126_212:
	s_andn2_saveexec_b32 s0, s0
	s_cbranch_execz .LBB126_214
; %bb.213:
	v_mov_b32_e32 v143, 12
	ds_write2_b64 v140, v[104:105], v[102:103] offset0:13 offset1:14
	ds_write2_b64 v140, v[98:99], v[100:101] offset0:15 offset1:16
	;; [unrolled: 1-line block ×25, first 2 shown]
	ds_write_b64 v140, v[132:133] offset:504
.LBB126_214:
	s_or_b32 exec_lo, exec_lo, s0
	s_mov_b32 s0, exec_lo
	s_waitcnt lgkmcnt(0)
	s_waitcnt_vscnt null, 0x0
	s_barrier
	buffer_gl0_inv
	v_cmpx_lt_i32_e32 12, v143
	s_cbranch_execz .LBB126_216
; %bb.215:
	v_mul_f64 v[106:107], v[0:1], v[106:107]
	ds_read2_b64 v[144:147], v140 offset0:13 offset1:14
	ds_read2_b64 v[148:151], v140 offset0:15 offset1:16
	;; [unrolled: 1-line block ×12, first 2 shown]
	ds_read_b64 v[0:1], v140 offset:504
	s_waitcnt lgkmcnt(12)
	v_fma_f64 v[104:105], -v[106:107], v[144:145], v[104:105]
	v_fma_f64 v[102:103], -v[106:107], v[146:147], v[102:103]
	s_waitcnt lgkmcnt(11)
	v_fma_f64 v[98:99], -v[106:107], v[148:149], v[98:99]
	v_fma_f64 v[100:101], -v[106:107], v[150:151], v[100:101]
	;; [unrolled: 3-line block ×3, first 2 shown]
	ds_read2_b64 v[144:147], v140 offset0:37 offset1:38
	ds_read2_b64 v[148:151], v140 offset0:39 offset1:40
	;; [unrolled: 1-line block ×3, first 2 shown]
	s_waitcnt lgkmcnt(12)
	v_fma_f64 v[92:93], -v[106:107], v[156:157], v[92:93]
	v_fma_f64 v[90:91], -v[106:107], v[158:159], v[90:91]
	s_waitcnt lgkmcnt(11)
	v_fma_f64 v[88:89], -v[106:107], v[160:161], v[88:89]
	v_fma_f64 v[86:87], -v[106:107], v[162:163], v[86:87]
	;; [unrolled: 3-line block ×7, first 2 shown]
	ds_read2_b64 v[156:159], v140 offset0:43 offset1:44
	ds_read2_b64 v[160:163], v140 offset0:45 offset1:46
	;; [unrolled: 1-line block ×5, first 2 shown]
	s_waitcnt lgkmcnt(7)
	v_fma_f64 v[54:55], -v[106:107], v[144:145], v[54:55]
	v_fma_f64 v[56:57], -v[106:107], v[146:147], v[56:57]
	ds_read2_b64 v[144:147], v140 offset0:53 offset1:54
	ds_read2_b64 v[176:179], v140 offset0:55 offset1:56
	s_waitcnt lgkmcnt(8)
	v_fma_f64 v[52:53], -v[106:107], v[148:149], v[52:53]
	v_fma_f64 v[50:51], -v[106:107], v[150:151], v[50:51]
	ds_read2_b64 v[148:151], v140 offset0:57 offset1:58
	ds_read2_b64 v[180:183], v140 offset0:59 offset1:60
	s_waitcnt lgkmcnt(9)
	v_fma_f64 v[48:49], -v[106:107], v[152:153], v[48:49]
	v_fma_f64 v[46:47], -v[106:107], v[154:155], v[46:47]
	ds_read2_b64 v[152:155], v140 offset0:61 offset1:62
	v_fma_f64 v[64:65], -v[106:107], v[184:185], v[64:65]
	v_fma_f64 v[62:63], -v[106:107], v[186:187], v[62:63]
	;; [unrolled: 1-line block ×4, first 2 shown]
	s_waitcnt lgkmcnt(9)
	v_fma_f64 v[44:45], -v[106:107], v[156:157], v[44:45]
	v_fma_f64 v[42:43], -v[106:107], v[158:159], v[42:43]
	s_waitcnt lgkmcnt(8)
	v_fma_f64 v[38:39], -v[106:107], v[160:161], v[38:39]
	v_fma_f64 v[40:41], -v[106:107], v[162:163], v[40:41]
	;; [unrolled: 3-line block ×10, first 2 shown]
	v_fma_f64 v[132:133], -v[106:107], v[0:1], v[132:133]
.LBB126_216:
	s_or_b32 exec_lo, exec_lo, s0
	v_lshl_add_u32 v0, v143, 3, v140
	s_barrier
	buffer_gl0_inv
	v_mov_b32_e32 v134, 13
	ds_write_b64 v0, v[104:105]
	s_waitcnt lgkmcnt(0)
	s_barrier
	buffer_gl0_inv
	ds_read_b64 v[0:1], v140 offset:104
	s_cmp_lt_i32 s7, 15
	s_cbranch_scc1 .LBB126_219
; %bb.217:
	v_add3_u32 v135, v141, 0, 0x70
	v_mov_b32_e32 v134, 13
	s_mov_b32 s0, 14
.LBB126_218:                            ; =>This Inner Loop Header: Depth=1
	ds_read_b64 v[144:145], v135
	v_add_nc_u32_e32 v135, 8, v135
	s_waitcnt lgkmcnt(0)
	v_cmp_lt_f64_e64 vcc_lo, |v[0:1]|, |v[144:145]|
	v_cndmask_b32_e32 v1, v1, v145, vcc_lo
	v_cndmask_b32_e32 v0, v0, v144, vcc_lo
	v_cndmask_b32_e64 v134, v134, s0, vcc_lo
	s_add_i32 s0, s0, 1
	s_cmp_lg_u32 s7, s0
	s_cbranch_scc1 .LBB126_218
.LBB126_219:
	s_mov_b32 s0, exec_lo
	s_waitcnt lgkmcnt(0)
	v_cmpx_eq_f64_e32 0, v[0:1]
	s_xor_b32 s0, exec_lo, s0
; %bb.220:
	v_cmp_ne_u32_e32 vcc_lo, 0, v137
	v_cndmask_b32_e32 v137, 14, v137, vcc_lo
; %bb.221:
	s_andn2_saveexec_b32 s0, s0
	s_cbranch_execz .LBB126_223
; %bb.222:
	v_div_scale_f64 v[135:136], null, v[0:1], v[0:1], 1.0
	v_rcp_f64_e32 v[144:145], v[135:136]
	v_fma_f64 v[146:147], -v[135:136], v[144:145], 1.0
	v_fma_f64 v[144:145], v[144:145], v[146:147], v[144:145]
	v_fma_f64 v[146:147], -v[135:136], v[144:145], 1.0
	v_fma_f64 v[144:145], v[144:145], v[146:147], v[144:145]
	v_div_scale_f64 v[146:147], vcc_lo, 1.0, v[0:1], 1.0
	v_mul_f64 v[148:149], v[146:147], v[144:145]
	v_fma_f64 v[135:136], -v[135:136], v[148:149], v[146:147]
	v_div_fmas_f64 v[135:136], v[135:136], v[144:145], v[148:149]
	v_div_fixup_f64 v[0:1], v[135:136], v[0:1], 1.0
.LBB126_223:
	s_or_b32 exec_lo, exec_lo, s0
	s_mov_b32 s0, exec_lo
	v_cmpx_ne_u32_e64 v143, v134
	s_xor_b32 s0, exec_lo, s0
	s_cbranch_execz .LBB126_229
; %bb.224:
	s_mov_b32 s1, exec_lo
	v_cmpx_eq_u32_e32 13, v143
	s_cbranch_execz .LBB126_228
; %bb.225:
	v_cmp_ne_u32_e32 vcc_lo, 13, v134
	s_xor_b32 s2, s6, -1
	s_and_b32 s3, s2, vcc_lo
	s_and_saveexec_b32 s2, s3
	s_cbranch_execz .LBB126_227
; %bb.226:
	v_ashrrev_i32_e32 v135, 31, v134
	v_lshlrev_b64 v[135:136], 2, v[134:135]
	v_add_co_u32 v135, vcc_lo, v4, v135
	v_add_co_ci_u32_e64 v136, null, v5, v136, vcc_lo
	s_clause 0x1
	global_load_dword v142, v[135:136], off
	global_load_dword v143, v[4:5], off offset:52
	s_waitcnt vmcnt(1)
	global_store_dword v[4:5], v142, off offset:52
	s_waitcnt vmcnt(0)
	global_store_dword v[135:136], v143, off
.LBB126_227:
	s_or_b32 exec_lo, exec_lo, s2
	v_mov_b32_e32 v142, v134
	v_mov_b32_e32 v143, v134
.LBB126_228:
	s_or_b32 exec_lo, exec_lo, s1
.LBB126_229:
	s_andn2_saveexec_b32 s0, s0
	s_cbranch_execz .LBB126_231
; %bb.230:
	v_mov_b32_e32 v134, v102
	v_mov_b32_e32 v135, v103
	v_mov_b32_e32 v143, v98
	v_mov_b32_e32 v144, v99
	v_mov_b32_e32 v145, v100
	v_mov_b32_e32 v146, v101
	v_mov_b32_e32 v147, v92
	v_mov_b32_e32 v148, v93
	ds_write2_b64 v140, v[134:135], v[143:144] offset0:14 offset1:15
	v_mov_b32_e32 v134, v94
	v_mov_b32_e32 v135, v95
	v_mov_b32_e32 v143, v96
	v_mov_b32_e32 v144, v97
	v_mov_b32_e32 v149, v90
	v_mov_b32_e32 v150, v91
	v_mov_b32_e32 v151, v88
	v_mov_b32_e32 v152, v89
	v_mov_b32_e32 v153, v86
	v_mov_b32_e32 v154, v87
	v_mov_b32_e32 v155, v84
	v_mov_b32_e32 v156, v85
	v_mov_b32_e32 v157, v82
	v_mov_b32_e32 v158, v83
	v_mov_b32_e32 v159, v78
	v_mov_b32_e32 v160, v79
	ds_write2_b64 v140, v[145:146], v[134:135] offset0:16 offset1:17
	ds_write2_b64 v140, v[143:144], v[147:148] offset0:18 offset1:19
	ds_write2_b64 v140, v[149:150], v[151:152] offset0:20 offset1:21
	ds_write2_b64 v140, v[153:154], v[155:156] offset0:22 offset1:23
	ds_write2_b64 v140, v[157:158], v[159:160] offset0:24 offset1:25
	v_mov_b32_e32 v134, v80
	v_mov_b32_e32 v135, v81
	v_mov_b32_e32 v143, v74
	v_mov_b32_e32 v144, v75
	v_mov_b32_e32 v145, v76
	v_mov_b32_e32 v146, v77
	v_mov_b32_e32 v147, v72
	v_mov_b32_e32 v148, v73
	v_mov_b32_e32 v149, v70
	v_mov_b32_e32 v150, v71
	v_mov_b32_e32 v151, v68
	v_mov_b32_e32 v152, v69
	v_mov_b32_e32 v153, v66
	v_mov_b32_e32 v154, v67
	v_mov_b32_e32 v155, v64
	v_mov_b32_e32 v156, v65
	v_mov_b32_e32 v157, v62
	v_mov_b32_e32 v158, v63
	v_mov_b32_e32 v159, v58
	v_mov_b32_e32 v160, v59
	ds_write2_b64 v140, v[134:135], v[143:144] offset0:26 offset1:27
	ds_write2_b64 v140, v[145:146], v[147:148] offset0:28 offset1:29
	ds_write2_b64 v140, v[149:150], v[151:152] offset0:30 offset1:31
	ds_write2_b64 v140, v[153:154], v[155:156] offset0:32 offset1:33
	ds_write2_b64 v140, v[157:158], v[159:160] offset0:34 offset1:35
	v_mov_b32_e32 v134, v60
	v_mov_b32_e32 v135, v61
	v_mov_b32_e32 v143, v54
	v_mov_b32_e32 v144, v55
	;; [unrolled: 25-line block ×4, first 2 shown]
	v_mov_b32_e32 v143, 13
	v_mov_b32_e32 v146, v14
	v_mov_b32_e32 v147, v15
	v_mov_b32_e32 v148, v8
	v_mov_b32_e32 v149, v9
	v_mov_b32_e32 v150, v12
	v_mov_b32_e32 v151, v13
	v_mov_b32_e32 v152, v6
	v_mov_b32_e32 v153, v7
	v_mov_b32_e32 v154, v10
	v_mov_b32_e32 v155, v11
	ds_write2_b64 v140, v[134:135], v[144:145] offset0:56 offset1:57
	ds_write2_b64 v140, v[146:147], v[148:149] offset0:58 offset1:59
	;; [unrolled: 1-line block ×4, first 2 shown]
.LBB126_231:
	s_or_b32 exec_lo, exec_lo, s0
	s_mov_b32 s0, exec_lo
	s_waitcnt lgkmcnt(0)
	s_waitcnt_vscnt null, 0x0
	s_barrier
	buffer_gl0_inv
	v_cmpx_lt_i32_e32 13, v143
	s_cbranch_execz .LBB126_233
; %bb.232:
	v_mul_f64 v[104:105], v[0:1], v[104:105]
	ds_read2_b64 v[144:147], v140 offset0:14 offset1:15
	ds_read2_b64 v[148:151], v140 offset0:16 offset1:17
	;; [unrolled: 1-line block ×12, first 2 shown]
	s_waitcnt lgkmcnt(11)
	v_fma_f64 v[102:103], -v[104:105], v[144:145], v[102:103]
	v_fma_f64 v[98:99], -v[104:105], v[146:147], v[98:99]
	s_waitcnt lgkmcnt(10)
	v_fma_f64 v[100:101], -v[104:105], v[148:149], v[100:101]
	v_fma_f64 v[94:95], -v[104:105], v[150:151], v[94:95]
	ds_read2_b64 v[144:147], v140 offset0:38 offset1:39
	ds_read2_b64 v[148:151], v140 offset0:40 offset1:41
	s_waitcnt lgkmcnt(11)
	v_fma_f64 v[96:97], -v[104:105], v[152:153], v[96:97]
	v_fma_f64 v[92:93], -v[104:105], v[154:155], v[92:93]
	s_waitcnt lgkmcnt(10)
	v_fma_f64 v[90:91], -v[104:105], v[156:157], v[90:91]
	v_fma_f64 v[88:89], -v[104:105], v[158:159], v[88:89]
	;; [unrolled: 3-line block ×7, first 2 shown]
	ds_read2_b64 v[152:155], v140 offset0:42 offset1:43
	ds_read2_b64 v[156:159], v140 offset0:44 offset1:45
	s_waitcnt lgkmcnt(6)
	v_fma_f64 v[66:67], -v[104:105], v[180:181], v[66:67]
	v_fma_f64 v[64:65], -v[104:105], v[182:183], v[64:65]
	s_waitcnt lgkmcnt(5)
	v_fma_f64 v[62:63], -v[104:105], v[184:185], v[62:63]
	ds_read2_b64 v[160:163], v140 offset0:46 offset1:47
	ds_read2_b64 v[164:167], v140 offset0:48 offset1:49
	v_fma_f64 v[58:59], -v[104:105], v[186:187], v[58:59]
	ds_read2_b64 v[168:171], v140 offset0:50 offset1:51
	ds_read2_b64 v[172:175], v140 offset0:52 offset1:53
	s_waitcnt lgkmcnt(7)
	v_fma_f64 v[56:57], -v[104:105], v[144:145], v[56:57]
	ds_read2_b64 v[176:179], v140 offset0:54 offset1:55
	v_fma_f64 v[52:53], -v[104:105], v[146:147], v[52:53]
	ds_read2_b64 v[144:147], v140 offset0:56 offset1:57
	s_waitcnt lgkmcnt(8)
	v_fma_f64 v[50:51], -v[104:105], v[148:149], v[50:51]
	ds_read2_b64 v[180:183], v140 offset0:58 offset1:59
	v_fma_f64 v[48:49], -v[104:105], v[150:151], v[48:49]
	ds_read2_b64 v[148:151], v140 offset0:60 offset1:61
	ds_read2_b64 v[184:187], v140 offset0:62 offset1:63
	v_fma_f64 v[60:61], -v[104:105], v[188:189], v[60:61]
	v_fma_f64 v[54:55], -v[104:105], v[190:191], v[54:55]
	s_waitcnt lgkmcnt(10)
	v_fma_f64 v[46:47], -v[104:105], v[152:153], v[46:47]
	v_fma_f64 v[44:45], -v[104:105], v[154:155], v[44:45]
	s_waitcnt lgkmcnt(9)
	;; [unrolled: 3-line block ×11, first 2 shown]
	v_fma_f64 v[10:11], -v[104:105], v[184:185], v[10:11]
	v_fma_f64 v[132:133], -v[104:105], v[186:187], v[132:133]
.LBB126_233:
	s_or_b32 exec_lo, exec_lo, s0
	v_lshl_add_u32 v0, v143, 3, v140
	s_barrier
	buffer_gl0_inv
	v_mov_b32_e32 v134, 14
	ds_write_b64 v0, v[102:103]
	s_waitcnt lgkmcnt(0)
	s_barrier
	buffer_gl0_inv
	ds_read_b64 v[0:1], v140 offset:112
	s_cmp_lt_i32 s7, 16
	s_cbranch_scc1 .LBB126_236
; %bb.234:
	v_add3_u32 v135, v141, 0, 0x78
	v_mov_b32_e32 v134, 14
	s_mov_b32 s0, 15
.LBB126_235:                            ; =>This Inner Loop Header: Depth=1
	ds_read_b64 v[144:145], v135
	v_add_nc_u32_e32 v135, 8, v135
	s_waitcnt lgkmcnt(0)
	v_cmp_lt_f64_e64 vcc_lo, |v[0:1]|, |v[144:145]|
	v_cndmask_b32_e32 v1, v1, v145, vcc_lo
	v_cndmask_b32_e32 v0, v0, v144, vcc_lo
	v_cndmask_b32_e64 v134, v134, s0, vcc_lo
	s_add_i32 s0, s0, 1
	s_cmp_lg_u32 s7, s0
	s_cbranch_scc1 .LBB126_235
.LBB126_236:
	s_mov_b32 s0, exec_lo
	s_waitcnt lgkmcnt(0)
	v_cmpx_eq_f64_e32 0, v[0:1]
	s_xor_b32 s0, exec_lo, s0
; %bb.237:
	v_cmp_ne_u32_e32 vcc_lo, 0, v137
	v_cndmask_b32_e32 v137, 15, v137, vcc_lo
; %bb.238:
	s_andn2_saveexec_b32 s0, s0
	s_cbranch_execz .LBB126_240
; %bb.239:
	v_div_scale_f64 v[135:136], null, v[0:1], v[0:1], 1.0
	v_rcp_f64_e32 v[144:145], v[135:136]
	v_fma_f64 v[146:147], -v[135:136], v[144:145], 1.0
	v_fma_f64 v[144:145], v[144:145], v[146:147], v[144:145]
	v_fma_f64 v[146:147], -v[135:136], v[144:145], 1.0
	v_fma_f64 v[144:145], v[144:145], v[146:147], v[144:145]
	v_div_scale_f64 v[146:147], vcc_lo, 1.0, v[0:1], 1.0
	v_mul_f64 v[148:149], v[146:147], v[144:145]
	v_fma_f64 v[135:136], -v[135:136], v[148:149], v[146:147]
	v_div_fmas_f64 v[135:136], v[135:136], v[144:145], v[148:149]
	v_div_fixup_f64 v[0:1], v[135:136], v[0:1], 1.0
.LBB126_240:
	s_or_b32 exec_lo, exec_lo, s0
	s_mov_b32 s0, exec_lo
	v_cmpx_ne_u32_e64 v143, v134
	s_xor_b32 s0, exec_lo, s0
	s_cbranch_execz .LBB126_246
; %bb.241:
	s_mov_b32 s1, exec_lo
	v_cmpx_eq_u32_e32 14, v143
	s_cbranch_execz .LBB126_245
; %bb.242:
	v_cmp_ne_u32_e32 vcc_lo, 14, v134
	s_xor_b32 s2, s6, -1
	s_and_b32 s3, s2, vcc_lo
	s_and_saveexec_b32 s2, s3
	s_cbranch_execz .LBB126_244
; %bb.243:
	v_ashrrev_i32_e32 v135, 31, v134
	v_lshlrev_b64 v[135:136], 2, v[134:135]
	v_add_co_u32 v135, vcc_lo, v4, v135
	v_add_co_ci_u32_e64 v136, null, v5, v136, vcc_lo
	s_clause 0x1
	global_load_dword v142, v[135:136], off
	global_load_dword v143, v[4:5], off offset:56
	s_waitcnt vmcnt(1)
	global_store_dword v[4:5], v142, off offset:56
	s_waitcnt vmcnt(0)
	global_store_dword v[135:136], v143, off
.LBB126_244:
	s_or_b32 exec_lo, exec_lo, s2
	v_mov_b32_e32 v142, v134
	v_mov_b32_e32 v143, v134
.LBB126_245:
	s_or_b32 exec_lo, exec_lo, s1
.LBB126_246:
	s_andn2_saveexec_b32 s0, s0
	s_cbranch_execz .LBB126_248
; %bb.247:
	v_mov_b32_e32 v143, 14
	ds_write2_b64 v140, v[98:99], v[100:101] offset0:15 offset1:16
	ds_write2_b64 v140, v[94:95], v[96:97] offset0:17 offset1:18
	;; [unrolled: 1-line block ×24, first 2 shown]
	ds_write_b64 v140, v[132:133] offset:504
.LBB126_248:
	s_or_b32 exec_lo, exec_lo, s0
	s_mov_b32 s0, exec_lo
	s_waitcnt lgkmcnt(0)
	s_waitcnt_vscnt null, 0x0
	s_barrier
	buffer_gl0_inv
	v_cmpx_lt_i32_e32 14, v143
	s_cbranch_execz .LBB126_250
; %bb.249:
	v_mul_f64 v[102:103], v[0:1], v[102:103]
	ds_read2_b64 v[144:147], v140 offset0:15 offset1:16
	ds_read2_b64 v[148:151], v140 offset0:17 offset1:18
	;; [unrolled: 1-line block ×12, first 2 shown]
	ds_read_b64 v[0:1], v140 offset:504
	s_waitcnt lgkmcnt(12)
	v_fma_f64 v[98:99], -v[102:103], v[144:145], v[98:99]
	v_fma_f64 v[100:101], -v[102:103], v[146:147], v[100:101]
	s_waitcnt lgkmcnt(11)
	v_fma_f64 v[94:95], -v[102:103], v[148:149], v[94:95]
	v_fma_f64 v[96:97], -v[102:103], v[150:151], v[96:97]
	ds_read2_b64 v[144:147], v140 offset0:39 offset1:40
	ds_read2_b64 v[148:151], v140 offset0:41 offset1:42
	s_waitcnt lgkmcnt(12)
	v_fma_f64 v[92:93], -v[102:103], v[152:153], v[92:93]
	v_fma_f64 v[90:91], -v[102:103], v[154:155], v[90:91]
	s_waitcnt lgkmcnt(11)
	v_fma_f64 v[88:89], -v[102:103], v[156:157], v[88:89]
	v_fma_f64 v[86:87], -v[102:103], v[158:159], v[86:87]
	s_waitcnt lgkmcnt(10)
	v_fma_f64 v[84:85], -v[102:103], v[160:161], v[84:85]
	v_fma_f64 v[82:83], -v[102:103], v[162:163], v[82:83]
	s_waitcnt lgkmcnt(9)
	v_fma_f64 v[78:79], -v[102:103], v[164:165], v[78:79]
	v_fma_f64 v[80:81], -v[102:103], v[166:167], v[80:81]
	s_waitcnt lgkmcnt(8)
	v_fma_f64 v[74:75], -v[102:103], v[168:169], v[74:75]
	v_fma_f64 v[76:77], -v[102:103], v[170:171], v[76:77]
	s_waitcnt lgkmcnt(7)
	v_fma_f64 v[72:73], -v[102:103], v[172:173], v[72:73]
	v_fma_f64 v[70:71], -v[102:103], v[174:175], v[70:71]
	s_waitcnt lgkmcnt(6)
	v_fma_f64 v[68:69], -v[102:103], v[176:177], v[68:69]
	v_fma_f64 v[66:67], -v[102:103], v[178:179], v[66:67]
	ds_read2_b64 v[152:155], v140 offset0:43 offset1:44
	ds_read2_b64 v[156:159], v140 offset0:45 offset1:46
	s_waitcnt lgkmcnt(7)
	v_fma_f64 v[64:65], -v[102:103], v[180:181], v[64:65]
	v_fma_f64 v[62:63], -v[102:103], v[182:183], v[62:63]
	ds_read2_b64 v[160:163], v140 offset0:47 offset1:48
	ds_read2_b64 v[164:167], v140 offset0:49 offset1:50
	;; [unrolled: 1-line block ×4, first 2 shown]
	s_waitcnt lgkmcnt(7)
	v_fma_f64 v[52:53], -v[102:103], v[144:145], v[52:53]
	ds_read2_b64 v[176:179], v140 offset0:55 offset1:56
	v_fma_f64 v[50:51], -v[102:103], v[146:147], v[50:51]
	ds_read2_b64 v[144:147], v140 offset0:57 offset1:58
	s_waitcnt lgkmcnt(8)
	v_fma_f64 v[48:49], -v[102:103], v[148:149], v[48:49]
	ds_read2_b64 v[180:183], v140 offset0:59 offset1:60
	v_fma_f64 v[46:47], -v[102:103], v[150:151], v[46:47]
	ds_read2_b64 v[148:151], v140 offset0:61 offset1:62
	v_fma_f64 v[58:59], -v[102:103], v[184:185], v[58:59]
	v_fma_f64 v[60:61], -v[102:103], v[186:187], v[60:61]
	;; [unrolled: 1-line block ×4, first 2 shown]
	s_waitcnt lgkmcnt(9)
	v_fma_f64 v[44:45], -v[102:103], v[152:153], v[44:45]
	v_fma_f64 v[42:43], -v[102:103], v[154:155], v[42:43]
	s_waitcnt lgkmcnt(8)
	v_fma_f64 v[38:39], -v[102:103], v[156:157], v[38:39]
	v_fma_f64 v[40:41], -v[102:103], v[158:159], v[40:41]
	;; [unrolled: 3-line block ×10, first 2 shown]
	v_fma_f64 v[132:133], -v[102:103], v[0:1], v[132:133]
.LBB126_250:
	s_or_b32 exec_lo, exec_lo, s0
	v_lshl_add_u32 v0, v143, 3, v140
	s_barrier
	buffer_gl0_inv
	v_mov_b32_e32 v134, 15
	ds_write_b64 v0, v[98:99]
	s_waitcnt lgkmcnt(0)
	s_barrier
	buffer_gl0_inv
	ds_read_b64 v[0:1], v140 offset:120
	s_cmp_lt_i32 s7, 17
	s_cbranch_scc1 .LBB126_253
; %bb.251:
	v_add3_u32 v135, v141, 0, 0x80
	v_mov_b32_e32 v134, 15
	s_mov_b32 s0, 16
.LBB126_252:                            ; =>This Inner Loop Header: Depth=1
	ds_read_b64 v[144:145], v135
	v_add_nc_u32_e32 v135, 8, v135
	s_waitcnt lgkmcnt(0)
	v_cmp_lt_f64_e64 vcc_lo, |v[0:1]|, |v[144:145]|
	v_cndmask_b32_e32 v1, v1, v145, vcc_lo
	v_cndmask_b32_e32 v0, v0, v144, vcc_lo
	v_cndmask_b32_e64 v134, v134, s0, vcc_lo
	s_add_i32 s0, s0, 1
	s_cmp_lg_u32 s7, s0
	s_cbranch_scc1 .LBB126_252
.LBB126_253:
	s_mov_b32 s0, exec_lo
	s_waitcnt lgkmcnt(0)
	v_cmpx_eq_f64_e32 0, v[0:1]
	s_xor_b32 s0, exec_lo, s0
; %bb.254:
	v_cmp_ne_u32_e32 vcc_lo, 0, v137
	v_cndmask_b32_e32 v137, 16, v137, vcc_lo
; %bb.255:
	s_andn2_saveexec_b32 s0, s0
	s_cbranch_execz .LBB126_257
; %bb.256:
	v_div_scale_f64 v[135:136], null, v[0:1], v[0:1], 1.0
	v_rcp_f64_e32 v[144:145], v[135:136]
	v_fma_f64 v[146:147], -v[135:136], v[144:145], 1.0
	v_fma_f64 v[144:145], v[144:145], v[146:147], v[144:145]
	v_fma_f64 v[146:147], -v[135:136], v[144:145], 1.0
	v_fma_f64 v[144:145], v[144:145], v[146:147], v[144:145]
	v_div_scale_f64 v[146:147], vcc_lo, 1.0, v[0:1], 1.0
	v_mul_f64 v[148:149], v[146:147], v[144:145]
	v_fma_f64 v[135:136], -v[135:136], v[148:149], v[146:147]
	v_div_fmas_f64 v[135:136], v[135:136], v[144:145], v[148:149]
	v_div_fixup_f64 v[0:1], v[135:136], v[0:1], 1.0
.LBB126_257:
	s_or_b32 exec_lo, exec_lo, s0
	s_mov_b32 s0, exec_lo
	v_cmpx_ne_u32_e64 v143, v134
	s_xor_b32 s0, exec_lo, s0
	s_cbranch_execz .LBB126_263
; %bb.258:
	s_mov_b32 s1, exec_lo
	v_cmpx_eq_u32_e32 15, v143
	s_cbranch_execz .LBB126_262
; %bb.259:
	v_cmp_ne_u32_e32 vcc_lo, 15, v134
	s_xor_b32 s2, s6, -1
	s_and_b32 s3, s2, vcc_lo
	s_and_saveexec_b32 s2, s3
	s_cbranch_execz .LBB126_261
; %bb.260:
	v_ashrrev_i32_e32 v135, 31, v134
	v_lshlrev_b64 v[135:136], 2, v[134:135]
	v_add_co_u32 v135, vcc_lo, v4, v135
	v_add_co_ci_u32_e64 v136, null, v5, v136, vcc_lo
	s_clause 0x1
	global_load_dword v142, v[135:136], off
	global_load_dword v143, v[4:5], off offset:60
	s_waitcnt vmcnt(1)
	global_store_dword v[4:5], v142, off offset:60
	s_waitcnt vmcnt(0)
	global_store_dword v[135:136], v143, off
.LBB126_261:
	s_or_b32 exec_lo, exec_lo, s2
	v_mov_b32_e32 v142, v134
	v_mov_b32_e32 v143, v134
.LBB126_262:
	s_or_b32 exec_lo, exec_lo, s1
.LBB126_263:
	s_andn2_saveexec_b32 s0, s0
	s_cbranch_execz .LBB126_265
; %bb.264:
	v_mov_b32_e32 v134, v100
	v_mov_b32_e32 v135, v101
	v_mov_b32_e32 v143, v94
	v_mov_b32_e32 v144, v95
	v_mov_b32_e32 v145, v96
	v_mov_b32_e32 v146, v97
	v_mov_b32_e32 v147, v92
	v_mov_b32_e32 v148, v93
	v_mov_b32_e32 v149, v90
	v_mov_b32_e32 v150, v91
	v_mov_b32_e32 v151, v88
	v_mov_b32_e32 v152, v89
	v_mov_b32_e32 v153, v86
	v_mov_b32_e32 v154, v87
	v_mov_b32_e32 v155, v84
	v_mov_b32_e32 v156, v85
	v_mov_b32_e32 v157, v82
	v_mov_b32_e32 v158, v83
	v_mov_b32_e32 v159, v78
	v_mov_b32_e32 v160, v79
	ds_write2_b64 v140, v[134:135], v[143:144] offset0:16 offset1:17
	ds_write2_b64 v140, v[145:146], v[147:148] offset0:18 offset1:19
	ds_write2_b64 v140, v[149:150], v[151:152] offset0:20 offset1:21
	ds_write2_b64 v140, v[153:154], v[155:156] offset0:22 offset1:23
	ds_write2_b64 v140, v[157:158], v[159:160] offset0:24 offset1:25
	v_mov_b32_e32 v134, v80
	v_mov_b32_e32 v135, v81
	v_mov_b32_e32 v143, v74
	v_mov_b32_e32 v144, v75
	v_mov_b32_e32 v145, v76
	v_mov_b32_e32 v146, v77
	v_mov_b32_e32 v147, v72
	v_mov_b32_e32 v148, v73
	v_mov_b32_e32 v149, v70
	v_mov_b32_e32 v150, v71
	v_mov_b32_e32 v151, v68
	v_mov_b32_e32 v152, v69
	v_mov_b32_e32 v153, v66
	v_mov_b32_e32 v154, v67
	v_mov_b32_e32 v155, v64
	v_mov_b32_e32 v156, v65
	v_mov_b32_e32 v157, v62
	v_mov_b32_e32 v158, v63
	v_mov_b32_e32 v159, v58
	v_mov_b32_e32 v160, v59
	ds_write2_b64 v140, v[134:135], v[143:144] offset0:26 offset1:27
	ds_write2_b64 v140, v[145:146], v[147:148] offset0:28 offset1:29
	ds_write2_b64 v140, v[149:150], v[151:152] offset0:30 offset1:31
	ds_write2_b64 v140, v[153:154], v[155:156] offset0:32 offset1:33
	ds_write2_b64 v140, v[157:158], v[159:160] offset0:34 offset1:35
	;; [unrolled: 25-line block ×4, first 2 shown]
	v_mov_b32_e32 v134, v20
	v_mov_b32_e32 v135, v21
	v_mov_b32_e32 v144, v16
	v_mov_b32_e32 v145, v17
	v_mov_b32_e32 v143, 15
	v_mov_b32_e32 v146, v14
	v_mov_b32_e32 v147, v15
	v_mov_b32_e32 v148, v8
	v_mov_b32_e32 v149, v9
	v_mov_b32_e32 v150, v12
	v_mov_b32_e32 v151, v13
	v_mov_b32_e32 v152, v6
	v_mov_b32_e32 v153, v7
	v_mov_b32_e32 v154, v10
	v_mov_b32_e32 v155, v11
	ds_write2_b64 v140, v[134:135], v[144:145] offset0:56 offset1:57
	ds_write2_b64 v140, v[146:147], v[148:149] offset0:58 offset1:59
	;; [unrolled: 1-line block ×4, first 2 shown]
.LBB126_265:
	s_or_b32 exec_lo, exec_lo, s0
	s_mov_b32 s0, exec_lo
	s_waitcnt lgkmcnt(0)
	s_waitcnt_vscnt null, 0x0
	s_barrier
	buffer_gl0_inv
	v_cmpx_lt_i32_e32 15, v143
	s_cbranch_execz .LBB126_267
; %bb.266:
	v_mul_f64 v[98:99], v[0:1], v[98:99]
	ds_read2_b64 v[144:147], v140 offset0:16 offset1:17
	ds_read2_b64 v[148:151], v140 offset0:18 offset1:19
	;; [unrolled: 1-line block ×12, first 2 shown]
	s_waitcnt lgkmcnt(11)
	v_fma_f64 v[100:101], -v[98:99], v[144:145], v[100:101]
	v_fma_f64 v[94:95], -v[98:99], v[146:147], v[94:95]
	ds_read2_b64 v[144:147], v140 offset0:40 offset1:41
	s_waitcnt lgkmcnt(11)
	v_fma_f64 v[96:97], -v[98:99], v[148:149], v[96:97]
	v_fma_f64 v[92:93], -v[98:99], v[150:151], v[92:93]
	s_waitcnt lgkmcnt(10)
	v_fma_f64 v[90:91], -v[98:99], v[152:153], v[90:91]
	v_fma_f64 v[88:89], -v[98:99], v[154:155], v[88:89]
	;; [unrolled: 3-line block ×7, first 2 shown]
	ds_read2_b64 v[148:151], v140 offset0:42 offset1:43
	s_waitcnt lgkmcnt(5)
	v_fma_f64 v[66:67], -v[98:99], v[176:177], v[66:67]
	v_fma_f64 v[64:65], -v[98:99], v[178:179], v[64:65]
	ds_read2_b64 v[152:155], v140 offset0:44 offset1:45
	ds_read2_b64 v[156:159], v140 offset0:46 offset1:47
	s_waitcnt lgkmcnt(6)
	v_fma_f64 v[62:63], -v[98:99], v[180:181], v[62:63]
	v_fma_f64 v[58:59], -v[98:99], v[182:183], v[58:59]
	ds_read2_b64 v[160:163], v140 offset0:48 offset1:49
	;; [unrolled: 5-line block ×3, first 2 shown]
	ds_read2_b64 v[172:175], v140 offset0:54 offset1:55
	ds_read2_b64 v[176:179], v140 offset0:56 offset1:57
	;; [unrolled: 1-line block ×3, first 2 shown]
	s_waitcnt lgkmcnt(9)
	v_fma_f64 v[50:51], -v[98:99], v[144:145], v[50:51]
	v_fma_f64 v[48:49], -v[98:99], v[146:147], v[48:49]
	ds_read2_b64 v[144:147], v140 offset0:60 offset1:61
	ds_read2_b64 v[184:187], v140 offset0:62 offset1:63
	v_fma_f64 v[56:57], -v[98:99], v[188:189], v[56:57]
	v_fma_f64 v[52:53], -v[98:99], v[190:191], v[52:53]
	s_waitcnt lgkmcnt(10)
	v_fma_f64 v[46:47], -v[98:99], v[148:149], v[46:47]
	v_fma_f64 v[44:45], -v[98:99], v[150:151], v[44:45]
	s_waitcnt lgkmcnt(9)
	v_fma_f64 v[42:43], -v[98:99], v[152:153], v[42:43]
	v_fma_f64 v[38:39], -v[98:99], v[154:155], v[38:39]
	s_waitcnt lgkmcnt(8)
	v_fma_f64 v[40:41], -v[98:99], v[156:157], v[40:41]
	v_fma_f64 v[34:35], -v[98:99], v[158:159], v[34:35]
	s_waitcnt lgkmcnt(7)
	v_fma_f64 v[36:37], -v[98:99], v[160:161], v[36:37]
	v_fma_f64 v[32:33], -v[98:99], v[162:163], v[32:33]
	s_waitcnt lgkmcnt(6)
	v_fma_f64 v[30:31], -v[98:99], v[164:165], v[30:31]
	v_fma_f64 v[28:29], -v[98:99], v[166:167], v[28:29]
	s_waitcnt lgkmcnt(5)
	v_fma_f64 v[26:27], -v[98:99], v[168:169], v[26:27]
	v_fma_f64 v[24:25], -v[98:99], v[170:171], v[24:25]
	s_waitcnt lgkmcnt(4)
	v_fma_f64 v[22:23], -v[98:99], v[172:173], v[22:23]
	v_fma_f64 v[18:19], -v[98:99], v[174:175], v[18:19]
	s_waitcnt lgkmcnt(3)
	v_fma_f64 v[20:21], -v[98:99], v[176:177], v[20:21]
	v_fma_f64 v[16:17], -v[98:99], v[178:179], v[16:17]
	s_waitcnt lgkmcnt(2)
	v_fma_f64 v[14:15], -v[98:99], v[180:181], v[14:15]
	v_fma_f64 v[8:9], -v[98:99], v[182:183], v[8:9]
	s_waitcnt lgkmcnt(1)
	v_fma_f64 v[12:13], -v[98:99], v[144:145], v[12:13]
	v_fma_f64 v[6:7], -v[98:99], v[146:147], v[6:7]
	s_waitcnt lgkmcnt(0)
	v_fma_f64 v[10:11], -v[98:99], v[184:185], v[10:11]
	v_fma_f64 v[132:133], -v[98:99], v[186:187], v[132:133]
.LBB126_267:
	s_or_b32 exec_lo, exec_lo, s0
	v_lshl_add_u32 v0, v143, 3, v140
	s_barrier
	buffer_gl0_inv
	v_mov_b32_e32 v134, 16
	ds_write_b64 v0, v[100:101]
	s_waitcnt lgkmcnt(0)
	s_barrier
	buffer_gl0_inv
	ds_read_b64 v[0:1], v140 offset:128
	s_cmp_lt_i32 s7, 18
	s_cbranch_scc1 .LBB126_270
; %bb.268:
	v_add3_u32 v135, v141, 0, 0x88
	v_mov_b32_e32 v134, 16
	s_mov_b32 s0, 17
.LBB126_269:                            ; =>This Inner Loop Header: Depth=1
	ds_read_b64 v[144:145], v135
	v_add_nc_u32_e32 v135, 8, v135
	s_waitcnt lgkmcnt(0)
	v_cmp_lt_f64_e64 vcc_lo, |v[0:1]|, |v[144:145]|
	v_cndmask_b32_e32 v1, v1, v145, vcc_lo
	v_cndmask_b32_e32 v0, v0, v144, vcc_lo
	v_cndmask_b32_e64 v134, v134, s0, vcc_lo
	s_add_i32 s0, s0, 1
	s_cmp_lg_u32 s7, s0
	s_cbranch_scc1 .LBB126_269
.LBB126_270:
	s_mov_b32 s0, exec_lo
	s_waitcnt lgkmcnt(0)
	v_cmpx_eq_f64_e32 0, v[0:1]
	s_xor_b32 s0, exec_lo, s0
; %bb.271:
	v_cmp_ne_u32_e32 vcc_lo, 0, v137
	v_cndmask_b32_e32 v137, 17, v137, vcc_lo
; %bb.272:
	s_andn2_saveexec_b32 s0, s0
	s_cbranch_execz .LBB126_274
; %bb.273:
	v_div_scale_f64 v[135:136], null, v[0:1], v[0:1], 1.0
	v_rcp_f64_e32 v[144:145], v[135:136]
	v_fma_f64 v[146:147], -v[135:136], v[144:145], 1.0
	v_fma_f64 v[144:145], v[144:145], v[146:147], v[144:145]
	v_fma_f64 v[146:147], -v[135:136], v[144:145], 1.0
	v_fma_f64 v[144:145], v[144:145], v[146:147], v[144:145]
	v_div_scale_f64 v[146:147], vcc_lo, 1.0, v[0:1], 1.0
	v_mul_f64 v[148:149], v[146:147], v[144:145]
	v_fma_f64 v[135:136], -v[135:136], v[148:149], v[146:147]
	v_div_fmas_f64 v[135:136], v[135:136], v[144:145], v[148:149]
	v_div_fixup_f64 v[0:1], v[135:136], v[0:1], 1.0
.LBB126_274:
	s_or_b32 exec_lo, exec_lo, s0
	s_mov_b32 s0, exec_lo
	v_cmpx_ne_u32_e64 v143, v134
	s_xor_b32 s0, exec_lo, s0
	s_cbranch_execz .LBB126_280
; %bb.275:
	s_mov_b32 s1, exec_lo
	v_cmpx_eq_u32_e32 16, v143
	s_cbranch_execz .LBB126_279
; %bb.276:
	v_cmp_ne_u32_e32 vcc_lo, 16, v134
	s_xor_b32 s2, s6, -1
	s_and_b32 s3, s2, vcc_lo
	s_and_saveexec_b32 s2, s3
	s_cbranch_execz .LBB126_278
; %bb.277:
	v_ashrrev_i32_e32 v135, 31, v134
	v_lshlrev_b64 v[135:136], 2, v[134:135]
	v_add_co_u32 v135, vcc_lo, v4, v135
	v_add_co_ci_u32_e64 v136, null, v5, v136, vcc_lo
	s_clause 0x1
	global_load_dword v142, v[135:136], off
	global_load_dword v143, v[4:5], off offset:64
	s_waitcnt vmcnt(1)
	global_store_dword v[4:5], v142, off offset:64
	s_waitcnt vmcnt(0)
	global_store_dword v[135:136], v143, off
.LBB126_278:
	s_or_b32 exec_lo, exec_lo, s2
	v_mov_b32_e32 v142, v134
	v_mov_b32_e32 v143, v134
.LBB126_279:
	s_or_b32 exec_lo, exec_lo, s1
.LBB126_280:
	s_andn2_saveexec_b32 s0, s0
	s_cbranch_execz .LBB126_282
; %bb.281:
	v_mov_b32_e32 v143, 16
	ds_write2_b64 v140, v[94:95], v[96:97] offset0:17 offset1:18
	ds_write2_b64 v140, v[92:93], v[90:91] offset0:19 offset1:20
	;; [unrolled: 1-line block ×23, first 2 shown]
	ds_write_b64 v140, v[132:133] offset:504
.LBB126_282:
	s_or_b32 exec_lo, exec_lo, s0
	s_mov_b32 s0, exec_lo
	s_waitcnt lgkmcnt(0)
	s_waitcnt_vscnt null, 0x0
	s_barrier
	buffer_gl0_inv
	v_cmpx_lt_i32_e32 16, v143
	s_cbranch_execz .LBB126_284
; %bb.283:
	v_mul_f64 v[100:101], v[0:1], v[100:101]
	ds_read2_b64 v[144:147], v140 offset0:17 offset1:18
	ds_read2_b64 v[148:151], v140 offset0:19 offset1:20
	;; [unrolled: 1-line block ×12, first 2 shown]
	ds_read_b64 v[0:1], v140 offset:504
	s_waitcnt lgkmcnt(12)
	v_fma_f64 v[94:95], -v[100:101], v[144:145], v[94:95]
	v_fma_f64 v[96:97], -v[100:101], v[146:147], v[96:97]
	ds_read2_b64 v[144:147], v140 offset0:41 offset1:42
	s_waitcnt lgkmcnt(12)
	v_fma_f64 v[92:93], -v[100:101], v[148:149], v[92:93]
	v_fma_f64 v[90:91], -v[100:101], v[150:151], v[90:91]
	s_waitcnt lgkmcnt(11)
	v_fma_f64 v[88:89], -v[100:101], v[152:153], v[88:89]
	v_fma_f64 v[86:87], -v[100:101], v[154:155], v[86:87]
	;; [unrolled: 3-line block ×7, first 2 shown]
	ds_read2_b64 v[148:151], v140 offset0:43 offset1:44
	s_waitcnt lgkmcnt(6)
	v_fma_f64 v[64:65], -v[100:101], v[176:177], v[64:65]
	v_fma_f64 v[62:63], -v[100:101], v[178:179], v[62:63]
	ds_read2_b64 v[152:155], v140 offset0:45 offset1:46
	ds_read2_b64 v[156:159], v140 offset0:47 offset1:48
	s_waitcnt lgkmcnt(7)
	v_fma_f64 v[58:59], -v[100:101], v[180:181], v[58:59]
	v_fma_f64 v[60:61], -v[100:101], v[182:183], v[60:61]
	ds_read2_b64 v[160:163], v140 offset0:49 offset1:50
	ds_read2_b64 v[164:167], v140 offset0:51 offset1:52
	;; [unrolled: 1-line block ×6, first 2 shown]
	s_waitcnt lgkmcnt(9)
	v_fma_f64 v[48:49], -v[100:101], v[144:145], v[48:49]
	v_fma_f64 v[46:47], -v[100:101], v[146:147], v[46:47]
	ds_read2_b64 v[144:147], v140 offset0:61 offset1:62
	v_fma_f64 v[54:55], -v[100:101], v[184:185], v[54:55]
	v_fma_f64 v[56:57], -v[100:101], v[186:187], v[56:57]
	;; [unrolled: 1-line block ×4, first 2 shown]
	s_waitcnt lgkmcnt(9)
	v_fma_f64 v[44:45], -v[100:101], v[148:149], v[44:45]
	v_fma_f64 v[42:43], -v[100:101], v[150:151], v[42:43]
	;; [unrolled: 1-line block ×3, first 2 shown]
	s_waitcnt lgkmcnt(8)
	v_fma_f64 v[38:39], -v[100:101], v[152:153], v[38:39]
	v_fma_f64 v[40:41], -v[100:101], v[154:155], v[40:41]
	s_waitcnt lgkmcnt(7)
	v_fma_f64 v[34:35], -v[100:101], v[156:157], v[34:35]
	v_fma_f64 v[36:37], -v[100:101], v[158:159], v[36:37]
	;; [unrolled: 3-line block ×9, first 2 shown]
.LBB126_284:
	s_or_b32 exec_lo, exec_lo, s0
	v_lshl_add_u32 v0, v143, 3, v140
	s_barrier
	buffer_gl0_inv
	v_mov_b32_e32 v134, 17
	ds_write_b64 v0, v[94:95]
	s_waitcnt lgkmcnt(0)
	s_barrier
	buffer_gl0_inv
	ds_read_b64 v[0:1], v140 offset:136
	s_cmp_lt_i32 s7, 19
	s_cbranch_scc1 .LBB126_287
; %bb.285:
	v_add3_u32 v135, v141, 0, 0x90
	v_mov_b32_e32 v134, 17
	s_mov_b32 s0, 18
.LBB126_286:                            ; =>This Inner Loop Header: Depth=1
	ds_read_b64 v[144:145], v135
	v_add_nc_u32_e32 v135, 8, v135
	s_waitcnt lgkmcnt(0)
	v_cmp_lt_f64_e64 vcc_lo, |v[0:1]|, |v[144:145]|
	v_cndmask_b32_e32 v1, v1, v145, vcc_lo
	v_cndmask_b32_e32 v0, v0, v144, vcc_lo
	v_cndmask_b32_e64 v134, v134, s0, vcc_lo
	s_add_i32 s0, s0, 1
	s_cmp_lg_u32 s7, s0
	s_cbranch_scc1 .LBB126_286
.LBB126_287:
	s_mov_b32 s0, exec_lo
	s_waitcnt lgkmcnt(0)
	v_cmpx_eq_f64_e32 0, v[0:1]
	s_xor_b32 s0, exec_lo, s0
; %bb.288:
	v_cmp_ne_u32_e32 vcc_lo, 0, v137
	v_cndmask_b32_e32 v137, 18, v137, vcc_lo
; %bb.289:
	s_andn2_saveexec_b32 s0, s0
	s_cbranch_execz .LBB126_291
; %bb.290:
	v_div_scale_f64 v[135:136], null, v[0:1], v[0:1], 1.0
	v_rcp_f64_e32 v[144:145], v[135:136]
	v_fma_f64 v[146:147], -v[135:136], v[144:145], 1.0
	v_fma_f64 v[144:145], v[144:145], v[146:147], v[144:145]
	v_fma_f64 v[146:147], -v[135:136], v[144:145], 1.0
	v_fma_f64 v[144:145], v[144:145], v[146:147], v[144:145]
	v_div_scale_f64 v[146:147], vcc_lo, 1.0, v[0:1], 1.0
	v_mul_f64 v[148:149], v[146:147], v[144:145]
	v_fma_f64 v[135:136], -v[135:136], v[148:149], v[146:147]
	v_div_fmas_f64 v[135:136], v[135:136], v[144:145], v[148:149]
	v_div_fixup_f64 v[0:1], v[135:136], v[0:1], 1.0
.LBB126_291:
	s_or_b32 exec_lo, exec_lo, s0
	s_mov_b32 s0, exec_lo
	v_cmpx_ne_u32_e64 v143, v134
	s_xor_b32 s0, exec_lo, s0
	s_cbranch_execz .LBB126_297
; %bb.292:
	s_mov_b32 s1, exec_lo
	v_cmpx_eq_u32_e32 17, v143
	s_cbranch_execz .LBB126_296
; %bb.293:
	v_cmp_ne_u32_e32 vcc_lo, 17, v134
	s_xor_b32 s2, s6, -1
	s_and_b32 s3, s2, vcc_lo
	s_and_saveexec_b32 s2, s3
	s_cbranch_execz .LBB126_295
; %bb.294:
	v_ashrrev_i32_e32 v135, 31, v134
	v_lshlrev_b64 v[135:136], 2, v[134:135]
	v_add_co_u32 v135, vcc_lo, v4, v135
	v_add_co_ci_u32_e64 v136, null, v5, v136, vcc_lo
	s_clause 0x1
	global_load_dword v142, v[135:136], off
	global_load_dword v143, v[4:5], off offset:68
	s_waitcnt vmcnt(1)
	global_store_dword v[4:5], v142, off offset:68
	s_waitcnt vmcnt(0)
	global_store_dword v[135:136], v143, off
.LBB126_295:
	s_or_b32 exec_lo, exec_lo, s2
	v_mov_b32_e32 v142, v134
	v_mov_b32_e32 v143, v134
.LBB126_296:
	s_or_b32 exec_lo, exec_lo, s1
.LBB126_297:
	s_andn2_saveexec_b32 s0, s0
	s_cbranch_execz .LBB126_299
; %bb.298:
	v_mov_b32_e32 v134, v96
	v_mov_b32_e32 v135, v97
	;; [unrolled: 1-line block ×16, first 2 shown]
	ds_write2_b64 v140, v[134:135], v[143:144] offset0:18 offset1:19
	ds_write2_b64 v140, v[145:146], v[147:148] offset0:20 offset1:21
	ds_write2_b64 v140, v[149:150], v[151:152] offset0:22 offset1:23
	ds_write2_b64 v140, v[153:154], v[155:156] offset0:24 offset1:25
	v_mov_b32_e32 v134, v80
	v_mov_b32_e32 v135, v81
	v_mov_b32_e32 v143, v74
	v_mov_b32_e32 v144, v75
	v_mov_b32_e32 v145, v76
	v_mov_b32_e32 v146, v77
	v_mov_b32_e32 v147, v72
	v_mov_b32_e32 v148, v73
	v_mov_b32_e32 v149, v70
	v_mov_b32_e32 v150, v71
	v_mov_b32_e32 v151, v68
	v_mov_b32_e32 v152, v69
	v_mov_b32_e32 v153, v66
	v_mov_b32_e32 v154, v67
	v_mov_b32_e32 v155, v64
	v_mov_b32_e32 v156, v65
	v_mov_b32_e32 v157, v62
	v_mov_b32_e32 v158, v63
	v_mov_b32_e32 v159, v58
	v_mov_b32_e32 v160, v59
	ds_write2_b64 v140, v[134:135], v[143:144] offset0:26 offset1:27
	ds_write2_b64 v140, v[145:146], v[147:148] offset0:28 offset1:29
	ds_write2_b64 v140, v[149:150], v[151:152] offset0:30 offset1:31
	ds_write2_b64 v140, v[153:154], v[155:156] offset0:32 offset1:33
	ds_write2_b64 v140, v[157:158], v[159:160] offset0:34 offset1:35
	v_mov_b32_e32 v134, v60
	v_mov_b32_e32 v135, v61
	v_mov_b32_e32 v143, v54
	v_mov_b32_e32 v144, v55
	v_mov_b32_e32 v145, v56
	v_mov_b32_e32 v146, v57
	v_mov_b32_e32 v147, v52
	v_mov_b32_e32 v148, v53
	v_mov_b32_e32 v149, v50
	v_mov_b32_e32 v150, v51
	v_mov_b32_e32 v151, v48
	v_mov_b32_e32 v152, v49
	v_mov_b32_e32 v153, v46
	v_mov_b32_e32 v154, v47
	v_mov_b32_e32 v155, v44
	v_mov_b32_e32 v156, v45
	v_mov_b32_e32 v157, v42
	v_mov_b32_e32 v158, v43
	v_mov_b32_e32 v159, v38
	v_mov_b32_e32 v160, v39
	ds_write2_b64 v140, v[134:135], v[143:144] offset0:36 offset1:37
	;; [unrolled: 25-line block ×3, first 2 shown]
	ds_write2_b64 v140, v[145:146], v[147:148] offset0:48 offset1:49
	ds_write2_b64 v140, v[149:150], v[151:152] offset0:50 offset1:51
	;; [unrolled: 1-line block ×4, first 2 shown]
	v_mov_b32_e32 v134, v20
	v_mov_b32_e32 v135, v21
	;; [unrolled: 1-line block ×15, first 2 shown]
	ds_write2_b64 v140, v[134:135], v[144:145] offset0:56 offset1:57
	ds_write2_b64 v140, v[146:147], v[148:149] offset0:58 offset1:59
	;; [unrolled: 1-line block ×4, first 2 shown]
.LBB126_299:
	s_or_b32 exec_lo, exec_lo, s0
	s_mov_b32 s0, exec_lo
	s_waitcnt lgkmcnt(0)
	s_waitcnt_vscnt null, 0x0
	s_barrier
	buffer_gl0_inv
	v_cmpx_lt_i32_e32 17, v143
	s_cbranch_execz .LBB126_301
; %bb.300:
	v_mul_f64 v[94:95], v[0:1], v[94:95]
	ds_read2_b64 v[144:147], v140 offset0:18 offset1:19
	ds_read2_b64 v[148:151], v140 offset0:20 offset1:21
	;; [unrolled: 1-line block ×11, first 2 shown]
	s_waitcnt lgkmcnt(10)
	v_fma_f64 v[96:97], -v[94:95], v[144:145], v[96:97]
	v_fma_f64 v[92:93], -v[94:95], v[146:147], v[92:93]
	ds_read2_b64 v[144:147], v140 offset0:40 offset1:41
	s_waitcnt lgkmcnt(10)
	v_fma_f64 v[90:91], -v[94:95], v[148:149], v[90:91]
	v_fma_f64 v[88:89], -v[94:95], v[150:151], v[88:89]
	s_waitcnt lgkmcnt(9)
	v_fma_f64 v[86:87], -v[94:95], v[152:153], v[86:87]
	v_fma_f64 v[84:85], -v[94:95], v[154:155], v[84:85]
	;; [unrolled: 3-line block ×6, first 2 shown]
	ds_read2_b64 v[148:151], v140 offset0:42 offset1:43
	s_waitcnt lgkmcnt(5)
	v_fma_f64 v[66:67], -v[94:95], v[172:173], v[66:67]
	v_fma_f64 v[64:65], -v[94:95], v[174:175], v[64:65]
	ds_read2_b64 v[152:155], v140 offset0:44 offset1:45
	ds_read2_b64 v[156:159], v140 offset0:46 offset1:47
	s_waitcnt lgkmcnt(6)
	v_fma_f64 v[62:63], -v[94:95], v[176:177], v[62:63]
	v_fma_f64 v[58:59], -v[94:95], v[178:179], v[58:59]
	ds_read2_b64 v[160:163], v140 offset0:48 offset1:49
	;; [unrolled: 5-line block ×5, first 2 shown]
	ds_read2_b64 v[184:187], v140 offset0:62 offset1:63
	s_waitcnt lgkmcnt(10)
	v_fma_f64 v[46:47], -v[94:95], v[148:149], v[46:47]
	v_fma_f64 v[44:45], -v[94:95], v[150:151], v[44:45]
	s_waitcnt lgkmcnt(9)
	v_fma_f64 v[42:43], -v[94:95], v[152:153], v[42:43]
	v_fma_f64 v[38:39], -v[94:95], v[154:155], v[38:39]
	;; [unrolled: 3-line block ×11, first 2 shown]
.LBB126_301:
	s_or_b32 exec_lo, exec_lo, s0
	v_lshl_add_u32 v0, v143, 3, v140
	s_barrier
	buffer_gl0_inv
	v_mov_b32_e32 v134, 18
	ds_write_b64 v0, v[96:97]
	s_waitcnt lgkmcnt(0)
	s_barrier
	buffer_gl0_inv
	ds_read_b64 v[0:1], v140 offset:144
	s_cmp_lt_i32 s7, 20
	s_cbranch_scc1 .LBB126_304
; %bb.302:
	v_add3_u32 v135, v141, 0, 0x98
	v_mov_b32_e32 v134, 18
	s_mov_b32 s0, 19
.LBB126_303:                            ; =>This Inner Loop Header: Depth=1
	ds_read_b64 v[144:145], v135
	v_add_nc_u32_e32 v135, 8, v135
	s_waitcnt lgkmcnt(0)
	v_cmp_lt_f64_e64 vcc_lo, |v[0:1]|, |v[144:145]|
	v_cndmask_b32_e32 v1, v1, v145, vcc_lo
	v_cndmask_b32_e32 v0, v0, v144, vcc_lo
	v_cndmask_b32_e64 v134, v134, s0, vcc_lo
	s_add_i32 s0, s0, 1
	s_cmp_lg_u32 s7, s0
	s_cbranch_scc1 .LBB126_303
.LBB126_304:
	s_mov_b32 s0, exec_lo
	s_waitcnt lgkmcnt(0)
	v_cmpx_eq_f64_e32 0, v[0:1]
	s_xor_b32 s0, exec_lo, s0
; %bb.305:
	v_cmp_ne_u32_e32 vcc_lo, 0, v137
	v_cndmask_b32_e32 v137, 19, v137, vcc_lo
; %bb.306:
	s_andn2_saveexec_b32 s0, s0
	s_cbranch_execz .LBB126_308
; %bb.307:
	v_div_scale_f64 v[135:136], null, v[0:1], v[0:1], 1.0
	v_rcp_f64_e32 v[144:145], v[135:136]
	v_fma_f64 v[146:147], -v[135:136], v[144:145], 1.0
	v_fma_f64 v[144:145], v[144:145], v[146:147], v[144:145]
	v_fma_f64 v[146:147], -v[135:136], v[144:145], 1.0
	v_fma_f64 v[144:145], v[144:145], v[146:147], v[144:145]
	v_div_scale_f64 v[146:147], vcc_lo, 1.0, v[0:1], 1.0
	v_mul_f64 v[148:149], v[146:147], v[144:145]
	v_fma_f64 v[135:136], -v[135:136], v[148:149], v[146:147]
	v_div_fmas_f64 v[135:136], v[135:136], v[144:145], v[148:149]
	v_div_fixup_f64 v[0:1], v[135:136], v[0:1], 1.0
.LBB126_308:
	s_or_b32 exec_lo, exec_lo, s0
	s_mov_b32 s0, exec_lo
	v_cmpx_ne_u32_e64 v143, v134
	s_xor_b32 s0, exec_lo, s0
	s_cbranch_execz .LBB126_314
; %bb.309:
	s_mov_b32 s1, exec_lo
	v_cmpx_eq_u32_e32 18, v143
	s_cbranch_execz .LBB126_313
; %bb.310:
	v_cmp_ne_u32_e32 vcc_lo, 18, v134
	s_xor_b32 s2, s6, -1
	s_and_b32 s3, s2, vcc_lo
	s_and_saveexec_b32 s2, s3
	s_cbranch_execz .LBB126_312
; %bb.311:
	v_ashrrev_i32_e32 v135, 31, v134
	v_lshlrev_b64 v[135:136], 2, v[134:135]
	v_add_co_u32 v135, vcc_lo, v4, v135
	v_add_co_ci_u32_e64 v136, null, v5, v136, vcc_lo
	s_clause 0x1
	global_load_dword v142, v[135:136], off
	global_load_dword v143, v[4:5], off offset:72
	s_waitcnt vmcnt(1)
	global_store_dword v[4:5], v142, off offset:72
	s_waitcnt vmcnt(0)
	global_store_dword v[135:136], v143, off
.LBB126_312:
	s_or_b32 exec_lo, exec_lo, s2
	v_mov_b32_e32 v142, v134
	v_mov_b32_e32 v143, v134
.LBB126_313:
	s_or_b32 exec_lo, exec_lo, s1
.LBB126_314:
	s_andn2_saveexec_b32 s0, s0
	s_cbranch_execz .LBB126_316
; %bb.315:
	v_mov_b32_e32 v143, 18
	ds_write2_b64 v140, v[92:93], v[90:91] offset0:19 offset1:20
	ds_write2_b64 v140, v[88:89], v[86:87] offset0:21 offset1:22
	;; [unrolled: 1-line block ×22, first 2 shown]
	ds_write_b64 v140, v[132:133] offset:504
.LBB126_316:
	s_or_b32 exec_lo, exec_lo, s0
	s_mov_b32 s0, exec_lo
	s_waitcnt lgkmcnt(0)
	s_waitcnt_vscnt null, 0x0
	s_barrier
	buffer_gl0_inv
	v_cmpx_lt_i32_e32 18, v143
	s_cbranch_execz .LBB126_318
; %bb.317:
	v_mul_f64 v[96:97], v[0:1], v[96:97]
	ds_read2_b64 v[144:147], v140 offset0:19 offset1:20
	ds_read2_b64 v[148:151], v140 offset0:21 offset1:22
	;; [unrolled: 1-line block ×11, first 2 shown]
	ds_read_b64 v[0:1], v140 offset:504
	s_waitcnt lgkmcnt(11)
	v_fma_f64 v[92:93], -v[96:97], v[144:145], v[92:93]
	v_fma_f64 v[90:91], -v[96:97], v[146:147], v[90:91]
	ds_read2_b64 v[144:147], v140 offset0:41 offset1:42
	s_waitcnt lgkmcnt(11)
	v_fma_f64 v[88:89], -v[96:97], v[148:149], v[88:89]
	v_fma_f64 v[86:87], -v[96:97], v[150:151], v[86:87]
	s_waitcnt lgkmcnt(10)
	v_fma_f64 v[84:85], -v[96:97], v[152:153], v[84:85]
	v_fma_f64 v[82:83], -v[96:97], v[154:155], v[82:83]
	;; [unrolled: 3-line block ×6, first 2 shown]
	ds_read2_b64 v[148:151], v140 offset0:43 offset1:44
	s_waitcnt lgkmcnt(6)
	v_fma_f64 v[64:65], -v[96:97], v[172:173], v[64:65]
	v_fma_f64 v[62:63], -v[96:97], v[174:175], v[62:63]
	ds_read2_b64 v[152:155], v140 offset0:45 offset1:46
	ds_read2_b64 v[156:159], v140 offset0:47 offset1:48
	s_waitcnt lgkmcnt(7)
	v_fma_f64 v[58:59], -v[96:97], v[176:177], v[58:59]
	v_fma_f64 v[60:61], -v[96:97], v[178:179], v[60:61]
	ds_read2_b64 v[160:163], v140 offset0:49 offset1:50
	;; [unrolled: 5-line block ×3, first 2 shown]
	ds_read2_b64 v[172:175], v140 offset0:55 offset1:56
	ds_read2_b64 v[176:179], v140 offset0:57 offset1:58
	;; [unrolled: 1-line block ×3, first 2 shown]
	s_waitcnt lgkmcnt(9)
	v_fma_f64 v[48:49], -v[96:97], v[144:145], v[48:49]
	v_fma_f64 v[46:47], -v[96:97], v[146:147], v[46:47]
	ds_read2_b64 v[144:147], v140 offset0:61 offset1:62
	v_fma_f64 v[52:53], -v[96:97], v[184:185], v[52:53]
	v_fma_f64 v[50:51], -v[96:97], v[186:187], v[50:51]
	s_waitcnt lgkmcnt(9)
	v_fma_f64 v[44:45], -v[96:97], v[148:149], v[44:45]
	v_fma_f64 v[42:43], -v[96:97], v[150:151], v[42:43]
	;; [unrolled: 1-line block ×3, first 2 shown]
	s_waitcnt lgkmcnt(8)
	v_fma_f64 v[38:39], -v[96:97], v[152:153], v[38:39]
	v_fma_f64 v[40:41], -v[96:97], v[154:155], v[40:41]
	s_waitcnt lgkmcnt(7)
	v_fma_f64 v[34:35], -v[96:97], v[156:157], v[34:35]
	v_fma_f64 v[36:37], -v[96:97], v[158:159], v[36:37]
	;; [unrolled: 3-line block ×9, first 2 shown]
.LBB126_318:
	s_or_b32 exec_lo, exec_lo, s0
	v_lshl_add_u32 v0, v143, 3, v140
	s_barrier
	buffer_gl0_inv
	v_mov_b32_e32 v134, 19
	ds_write_b64 v0, v[92:93]
	s_waitcnt lgkmcnt(0)
	s_barrier
	buffer_gl0_inv
	ds_read_b64 v[0:1], v140 offset:152
	s_cmp_lt_i32 s7, 21
	s_cbranch_scc1 .LBB126_321
; %bb.319:
	v_add3_u32 v135, v141, 0, 0xa0
	v_mov_b32_e32 v134, 19
	s_mov_b32 s0, 20
.LBB126_320:                            ; =>This Inner Loop Header: Depth=1
	ds_read_b64 v[144:145], v135
	v_add_nc_u32_e32 v135, 8, v135
	s_waitcnt lgkmcnt(0)
	v_cmp_lt_f64_e64 vcc_lo, |v[0:1]|, |v[144:145]|
	v_cndmask_b32_e32 v1, v1, v145, vcc_lo
	v_cndmask_b32_e32 v0, v0, v144, vcc_lo
	v_cndmask_b32_e64 v134, v134, s0, vcc_lo
	s_add_i32 s0, s0, 1
	s_cmp_lg_u32 s7, s0
	s_cbranch_scc1 .LBB126_320
.LBB126_321:
	s_mov_b32 s0, exec_lo
	s_waitcnt lgkmcnt(0)
	v_cmpx_eq_f64_e32 0, v[0:1]
	s_xor_b32 s0, exec_lo, s0
; %bb.322:
	v_cmp_ne_u32_e32 vcc_lo, 0, v137
	v_cndmask_b32_e32 v137, 20, v137, vcc_lo
; %bb.323:
	s_andn2_saveexec_b32 s0, s0
	s_cbranch_execz .LBB126_325
; %bb.324:
	v_div_scale_f64 v[135:136], null, v[0:1], v[0:1], 1.0
	v_rcp_f64_e32 v[144:145], v[135:136]
	v_fma_f64 v[146:147], -v[135:136], v[144:145], 1.0
	v_fma_f64 v[144:145], v[144:145], v[146:147], v[144:145]
	v_fma_f64 v[146:147], -v[135:136], v[144:145], 1.0
	v_fma_f64 v[144:145], v[144:145], v[146:147], v[144:145]
	v_div_scale_f64 v[146:147], vcc_lo, 1.0, v[0:1], 1.0
	v_mul_f64 v[148:149], v[146:147], v[144:145]
	v_fma_f64 v[135:136], -v[135:136], v[148:149], v[146:147]
	v_div_fmas_f64 v[135:136], v[135:136], v[144:145], v[148:149]
	v_div_fixup_f64 v[0:1], v[135:136], v[0:1], 1.0
.LBB126_325:
	s_or_b32 exec_lo, exec_lo, s0
	s_mov_b32 s0, exec_lo
	v_cmpx_ne_u32_e64 v143, v134
	s_xor_b32 s0, exec_lo, s0
	s_cbranch_execz .LBB126_331
; %bb.326:
	s_mov_b32 s1, exec_lo
	v_cmpx_eq_u32_e32 19, v143
	s_cbranch_execz .LBB126_330
; %bb.327:
	v_cmp_ne_u32_e32 vcc_lo, 19, v134
	s_xor_b32 s2, s6, -1
	s_and_b32 s3, s2, vcc_lo
	s_and_saveexec_b32 s2, s3
	s_cbranch_execz .LBB126_329
; %bb.328:
	v_ashrrev_i32_e32 v135, 31, v134
	v_lshlrev_b64 v[135:136], 2, v[134:135]
	v_add_co_u32 v135, vcc_lo, v4, v135
	v_add_co_ci_u32_e64 v136, null, v5, v136, vcc_lo
	s_clause 0x1
	global_load_dword v142, v[135:136], off
	global_load_dword v143, v[4:5], off offset:76
	s_waitcnt vmcnt(1)
	global_store_dword v[4:5], v142, off offset:76
	s_waitcnt vmcnt(0)
	global_store_dword v[135:136], v143, off
.LBB126_329:
	s_or_b32 exec_lo, exec_lo, s2
	v_mov_b32_e32 v142, v134
	v_mov_b32_e32 v143, v134
.LBB126_330:
	s_or_b32 exec_lo, exec_lo, s1
.LBB126_331:
	s_andn2_saveexec_b32 s0, s0
	s_cbranch_execz .LBB126_333
; %bb.332:
	v_mov_b32_e32 v134, v90
	v_mov_b32_e32 v135, v91
	;; [unrolled: 1-line block ×12, first 2 shown]
	ds_write2_b64 v140, v[134:135], v[143:144] offset0:20 offset1:21
	ds_write2_b64 v140, v[145:146], v[147:148] offset0:22 offset1:23
	ds_write2_b64 v140, v[149:150], v[151:152] offset0:24 offset1:25
	v_mov_b32_e32 v134, v80
	v_mov_b32_e32 v135, v81
	v_mov_b32_e32 v143, v74
	v_mov_b32_e32 v144, v75
	v_mov_b32_e32 v145, v76
	v_mov_b32_e32 v146, v77
	v_mov_b32_e32 v147, v72
	v_mov_b32_e32 v148, v73
	v_mov_b32_e32 v149, v70
	v_mov_b32_e32 v150, v71
	v_mov_b32_e32 v151, v68
	v_mov_b32_e32 v152, v69
	v_mov_b32_e32 v153, v66
	v_mov_b32_e32 v154, v67
	v_mov_b32_e32 v155, v64
	v_mov_b32_e32 v156, v65
	v_mov_b32_e32 v157, v62
	v_mov_b32_e32 v158, v63
	v_mov_b32_e32 v159, v58
	v_mov_b32_e32 v160, v59
	ds_write2_b64 v140, v[134:135], v[143:144] offset0:26 offset1:27
	ds_write2_b64 v140, v[145:146], v[147:148] offset0:28 offset1:29
	ds_write2_b64 v140, v[149:150], v[151:152] offset0:30 offset1:31
	ds_write2_b64 v140, v[153:154], v[155:156] offset0:32 offset1:33
	ds_write2_b64 v140, v[157:158], v[159:160] offset0:34 offset1:35
	v_mov_b32_e32 v134, v60
	v_mov_b32_e32 v135, v61
	v_mov_b32_e32 v143, v54
	v_mov_b32_e32 v144, v55
	v_mov_b32_e32 v145, v56
	v_mov_b32_e32 v146, v57
	v_mov_b32_e32 v147, v52
	v_mov_b32_e32 v148, v53
	v_mov_b32_e32 v149, v50
	v_mov_b32_e32 v150, v51
	v_mov_b32_e32 v151, v48
	v_mov_b32_e32 v152, v49
	v_mov_b32_e32 v153, v46
	v_mov_b32_e32 v154, v47
	v_mov_b32_e32 v155, v44
	v_mov_b32_e32 v156, v45
	v_mov_b32_e32 v157, v42
	v_mov_b32_e32 v158, v43
	v_mov_b32_e32 v159, v38
	v_mov_b32_e32 v160, v39
	ds_write2_b64 v140, v[134:135], v[143:144] offset0:36 offset1:37
	ds_write2_b64 v140, v[145:146], v[147:148] offset0:38 offset1:39
	;; [unrolled: 25-line block ×3, first 2 shown]
	ds_write2_b64 v140, v[149:150], v[151:152] offset0:50 offset1:51
	ds_write2_b64 v140, v[153:154], v[155:156] offset0:52 offset1:53
	ds_write2_b64 v140, v[157:158], v[159:160] offset0:54 offset1:55
	v_mov_b32_e32 v134, v20
	v_mov_b32_e32 v135, v21
	;; [unrolled: 1-line block ×15, first 2 shown]
	ds_write2_b64 v140, v[134:135], v[144:145] offset0:56 offset1:57
	ds_write2_b64 v140, v[146:147], v[148:149] offset0:58 offset1:59
	;; [unrolled: 1-line block ×4, first 2 shown]
.LBB126_333:
	s_or_b32 exec_lo, exec_lo, s0
	s_mov_b32 s0, exec_lo
	s_waitcnt lgkmcnt(0)
	s_waitcnt_vscnt null, 0x0
	s_barrier
	buffer_gl0_inv
	v_cmpx_lt_i32_e32 19, v143
	s_cbranch_execz .LBB126_335
; %bb.334:
	v_mul_f64 v[92:93], v[0:1], v[92:93]
	ds_read2_b64 v[144:147], v140 offset0:20 offset1:21
	ds_read2_b64 v[148:151], v140 offset0:22 offset1:23
	;; [unrolled: 1-line block ×11, first 2 shown]
	s_waitcnt lgkmcnt(10)
	v_fma_f64 v[90:91], -v[92:93], v[144:145], v[90:91]
	v_fma_f64 v[88:89], -v[92:93], v[146:147], v[88:89]
	s_waitcnt lgkmcnt(9)
	v_fma_f64 v[86:87], -v[92:93], v[148:149], v[86:87]
	v_fma_f64 v[84:85], -v[92:93], v[150:151], v[84:85]
	;; [unrolled: 3-line block ×6, first 2 shown]
	ds_read2_b64 v[144:147], v140 offset0:42 offset1:43
	ds_read2_b64 v[148:151], v140 offset0:44 offset1:45
	s_waitcnt lgkmcnt(6)
	v_fma_f64 v[66:67], -v[92:93], v[168:169], v[66:67]
	v_fma_f64 v[64:65], -v[92:93], v[170:171], v[64:65]
	s_waitcnt lgkmcnt(5)
	v_fma_f64 v[62:63], -v[92:93], v[172:173], v[62:63]
	ds_read2_b64 v[152:155], v140 offset0:46 offset1:47
	ds_read2_b64 v[156:159], v140 offset0:48 offset1:49
	v_fma_f64 v[58:59], -v[92:93], v[174:175], v[58:59]
	s_waitcnt lgkmcnt(6)
	v_fma_f64 v[60:61], -v[92:93], v[176:177], v[60:61]
	ds_read2_b64 v[160:163], v140 offset0:50 offset1:51
	ds_read2_b64 v[164:167], v140 offset0:52 offset1:53
	;; [unrolled: 5-line block ×4, first 2 shown]
	v_fma_f64 v[48:49], -v[92:93], v[186:187], v[48:49]
	ds_read2_b64 v[184:187], v140 offset0:62 offset1:63
	s_waitcnt lgkmcnt(10)
	v_fma_f64 v[46:47], -v[92:93], v[144:145], v[46:47]
	v_fma_f64 v[44:45], -v[92:93], v[146:147], v[44:45]
	s_waitcnt lgkmcnt(9)
	v_fma_f64 v[42:43], -v[92:93], v[148:149], v[42:43]
	v_fma_f64 v[38:39], -v[92:93], v[150:151], v[38:39]
	;; [unrolled: 3-line block ×11, first 2 shown]
.LBB126_335:
	s_or_b32 exec_lo, exec_lo, s0
	v_lshl_add_u32 v0, v143, 3, v140
	s_barrier
	buffer_gl0_inv
	v_mov_b32_e32 v134, 20
	ds_write_b64 v0, v[90:91]
	s_waitcnt lgkmcnt(0)
	s_barrier
	buffer_gl0_inv
	ds_read_b64 v[0:1], v140 offset:160
	s_cmp_lt_i32 s7, 22
	s_cbranch_scc1 .LBB126_338
; %bb.336:
	v_add3_u32 v135, v141, 0, 0xa8
	v_mov_b32_e32 v134, 20
	s_mov_b32 s0, 21
.LBB126_337:                            ; =>This Inner Loop Header: Depth=1
	ds_read_b64 v[144:145], v135
	v_add_nc_u32_e32 v135, 8, v135
	s_waitcnt lgkmcnt(0)
	v_cmp_lt_f64_e64 vcc_lo, |v[0:1]|, |v[144:145]|
	v_cndmask_b32_e32 v1, v1, v145, vcc_lo
	v_cndmask_b32_e32 v0, v0, v144, vcc_lo
	v_cndmask_b32_e64 v134, v134, s0, vcc_lo
	s_add_i32 s0, s0, 1
	s_cmp_lg_u32 s7, s0
	s_cbranch_scc1 .LBB126_337
.LBB126_338:
	s_mov_b32 s0, exec_lo
	s_waitcnt lgkmcnt(0)
	v_cmpx_eq_f64_e32 0, v[0:1]
	s_xor_b32 s0, exec_lo, s0
; %bb.339:
	v_cmp_ne_u32_e32 vcc_lo, 0, v137
	v_cndmask_b32_e32 v137, 21, v137, vcc_lo
; %bb.340:
	s_andn2_saveexec_b32 s0, s0
	s_cbranch_execz .LBB126_342
; %bb.341:
	v_div_scale_f64 v[135:136], null, v[0:1], v[0:1], 1.0
	v_rcp_f64_e32 v[144:145], v[135:136]
	v_fma_f64 v[146:147], -v[135:136], v[144:145], 1.0
	v_fma_f64 v[144:145], v[144:145], v[146:147], v[144:145]
	v_fma_f64 v[146:147], -v[135:136], v[144:145], 1.0
	v_fma_f64 v[144:145], v[144:145], v[146:147], v[144:145]
	v_div_scale_f64 v[146:147], vcc_lo, 1.0, v[0:1], 1.0
	v_mul_f64 v[148:149], v[146:147], v[144:145]
	v_fma_f64 v[135:136], -v[135:136], v[148:149], v[146:147]
	v_div_fmas_f64 v[135:136], v[135:136], v[144:145], v[148:149]
	v_div_fixup_f64 v[0:1], v[135:136], v[0:1], 1.0
.LBB126_342:
	s_or_b32 exec_lo, exec_lo, s0
	s_mov_b32 s0, exec_lo
	v_cmpx_ne_u32_e64 v143, v134
	s_xor_b32 s0, exec_lo, s0
	s_cbranch_execz .LBB126_348
; %bb.343:
	s_mov_b32 s1, exec_lo
	v_cmpx_eq_u32_e32 20, v143
	s_cbranch_execz .LBB126_347
; %bb.344:
	v_cmp_ne_u32_e32 vcc_lo, 20, v134
	s_xor_b32 s2, s6, -1
	s_and_b32 s3, s2, vcc_lo
	s_and_saveexec_b32 s2, s3
	s_cbranch_execz .LBB126_346
; %bb.345:
	v_ashrrev_i32_e32 v135, 31, v134
	v_lshlrev_b64 v[135:136], 2, v[134:135]
	v_add_co_u32 v135, vcc_lo, v4, v135
	v_add_co_ci_u32_e64 v136, null, v5, v136, vcc_lo
	s_clause 0x1
	global_load_dword v142, v[135:136], off
	global_load_dword v143, v[4:5], off offset:80
	s_waitcnt vmcnt(1)
	global_store_dword v[4:5], v142, off offset:80
	s_waitcnt vmcnt(0)
	global_store_dword v[135:136], v143, off
.LBB126_346:
	s_or_b32 exec_lo, exec_lo, s2
	v_mov_b32_e32 v142, v134
	v_mov_b32_e32 v143, v134
.LBB126_347:
	s_or_b32 exec_lo, exec_lo, s1
.LBB126_348:
	s_andn2_saveexec_b32 s0, s0
	s_cbranch_execz .LBB126_350
; %bb.349:
	v_mov_b32_e32 v143, 20
	ds_write2_b64 v140, v[88:89], v[86:87] offset0:21 offset1:22
	ds_write2_b64 v140, v[84:85], v[82:83] offset0:23 offset1:24
	;; [unrolled: 1-line block ×21, first 2 shown]
	ds_write_b64 v140, v[132:133] offset:504
.LBB126_350:
	s_or_b32 exec_lo, exec_lo, s0
	s_mov_b32 s0, exec_lo
	s_waitcnt lgkmcnt(0)
	s_waitcnt_vscnt null, 0x0
	s_barrier
	buffer_gl0_inv
	v_cmpx_lt_i32_e32 20, v143
	s_cbranch_execz .LBB126_352
; %bb.351:
	v_mul_f64 v[90:91], v[0:1], v[90:91]
	ds_read2_b64 v[144:147], v140 offset0:21 offset1:22
	ds_read2_b64 v[148:151], v140 offset0:23 offset1:24
	;; [unrolled: 1-line block ×11, first 2 shown]
	ds_read_b64 v[0:1], v140 offset:504
	s_waitcnt lgkmcnt(11)
	v_fma_f64 v[88:89], -v[90:91], v[144:145], v[88:89]
	v_fma_f64 v[86:87], -v[90:91], v[146:147], v[86:87]
	s_waitcnt lgkmcnt(10)
	v_fma_f64 v[84:85], -v[90:91], v[148:149], v[84:85]
	v_fma_f64 v[82:83], -v[90:91], v[150:151], v[82:83]
	;; [unrolled: 3-line block ×6, first 2 shown]
	ds_read2_b64 v[144:147], v140 offset0:43 offset1:44
	ds_read2_b64 v[148:151], v140 offset0:45 offset1:46
	s_waitcnt lgkmcnt(7)
	v_fma_f64 v[64:65], -v[90:91], v[168:169], v[64:65]
	v_fma_f64 v[62:63], -v[90:91], v[170:171], v[62:63]
	s_waitcnt lgkmcnt(6)
	v_fma_f64 v[58:59], -v[90:91], v[172:173], v[58:59]
	ds_read2_b64 v[152:155], v140 offset0:47 offset1:48
	ds_read2_b64 v[156:159], v140 offset0:49 offset1:50
	v_fma_f64 v[60:61], -v[90:91], v[174:175], v[60:61]
	s_waitcnt lgkmcnt(7)
	v_fma_f64 v[54:55], -v[90:91], v[176:177], v[54:55]
	ds_read2_b64 v[160:163], v140 offset0:51 offset1:52
	ds_read2_b64 v[164:167], v140 offset0:53 offset1:54
	;; [unrolled: 5-line block ×3, first 2 shown]
	v_fma_f64 v[50:51], -v[90:91], v[182:183], v[50:51]
	ds_read2_b64 v[176:179], v140 offset0:59 offset1:60
	ds_read2_b64 v[180:183], v140 offset0:61 offset1:62
	s_waitcnt lgkmcnt(11)
	v_fma_f64 v[48:49], -v[90:91], v[184:185], v[48:49]
	v_fma_f64 v[46:47], -v[90:91], v[186:187], v[46:47]
	s_waitcnt lgkmcnt(9)
	v_fma_f64 v[44:45], -v[90:91], v[144:145], v[44:45]
	v_fma_f64 v[42:43], -v[90:91], v[146:147], v[42:43]
	;; [unrolled: 3-line block ×3, first 2 shown]
	v_fma_f64 v[132:133], -v[90:91], v[0:1], v[132:133]
	s_waitcnt lgkmcnt(7)
	v_fma_f64 v[34:35], -v[90:91], v[152:153], v[34:35]
	v_fma_f64 v[36:37], -v[90:91], v[154:155], v[36:37]
	s_waitcnt lgkmcnt(6)
	v_fma_f64 v[32:33], -v[90:91], v[156:157], v[32:33]
	;; [unrolled: 3-line block ×8, first 2 shown]
	v_fma_f64 v[10:11], -v[90:91], v[182:183], v[10:11]
.LBB126_352:
	s_or_b32 exec_lo, exec_lo, s0
	v_lshl_add_u32 v0, v143, 3, v140
	s_barrier
	buffer_gl0_inv
	v_mov_b32_e32 v134, 21
	ds_write_b64 v0, v[88:89]
	s_waitcnt lgkmcnt(0)
	s_barrier
	buffer_gl0_inv
	ds_read_b64 v[0:1], v140 offset:168
	s_cmp_lt_i32 s7, 23
	s_cbranch_scc1 .LBB126_355
; %bb.353:
	v_add3_u32 v135, v141, 0, 0xb0
	v_mov_b32_e32 v134, 21
	s_mov_b32 s0, 22
.LBB126_354:                            ; =>This Inner Loop Header: Depth=1
	ds_read_b64 v[144:145], v135
	v_add_nc_u32_e32 v135, 8, v135
	s_waitcnt lgkmcnt(0)
	v_cmp_lt_f64_e64 vcc_lo, |v[0:1]|, |v[144:145]|
	v_cndmask_b32_e32 v1, v1, v145, vcc_lo
	v_cndmask_b32_e32 v0, v0, v144, vcc_lo
	v_cndmask_b32_e64 v134, v134, s0, vcc_lo
	s_add_i32 s0, s0, 1
	s_cmp_lg_u32 s7, s0
	s_cbranch_scc1 .LBB126_354
.LBB126_355:
	s_mov_b32 s0, exec_lo
	s_waitcnt lgkmcnt(0)
	v_cmpx_eq_f64_e32 0, v[0:1]
	s_xor_b32 s0, exec_lo, s0
; %bb.356:
	v_cmp_ne_u32_e32 vcc_lo, 0, v137
	v_cndmask_b32_e32 v137, 22, v137, vcc_lo
; %bb.357:
	s_andn2_saveexec_b32 s0, s0
	s_cbranch_execz .LBB126_359
; %bb.358:
	v_div_scale_f64 v[135:136], null, v[0:1], v[0:1], 1.0
	v_rcp_f64_e32 v[144:145], v[135:136]
	v_fma_f64 v[146:147], -v[135:136], v[144:145], 1.0
	v_fma_f64 v[144:145], v[144:145], v[146:147], v[144:145]
	v_fma_f64 v[146:147], -v[135:136], v[144:145], 1.0
	v_fma_f64 v[144:145], v[144:145], v[146:147], v[144:145]
	v_div_scale_f64 v[146:147], vcc_lo, 1.0, v[0:1], 1.0
	v_mul_f64 v[148:149], v[146:147], v[144:145]
	v_fma_f64 v[135:136], -v[135:136], v[148:149], v[146:147]
	v_div_fmas_f64 v[135:136], v[135:136], v[144:145], v[148:149]
	v_div_fixup_f64 v[0:1], v[135:136], v[0:1], 1.0
.LBB126_359:
	s_or_b32 exec_lo, exec_lo, s0
	s_mov_b32 s0, exec_lo
	v_cmpx_ne_u32_e64 v143, v134
	s_xor_b32 s0, exec_lo, s0
	s_cbranch_execz .LBB126_365
; %bb.360:
	s_mov_b32 s1, exec_lo
	v_cmpx_eq_u32_e32 21, v143
	s_cbranch_execz .LBB126_364
; %bb.361:
	v_cmp_ne_u32_e32 vcc_lo, 21, v134
	s_xor_b32 s2, s6, -1
	s_and_b32 s3, s2, vcc_lo
	s_and_saveexec_b32 s2, s3
	s_cbranch_execz .LBB126_363
; %bb.362:
	v_ashrrev_i32_e32 v135, 31, v134
	v_lshlrev_b64 v[135:136], 2, v[134:135]
	v_add_co_u32 v135, vcc_lo, v4, v135
	v_add_co_ci_u32_e64 v136, null, v5, v136, vcc_lo
	s_clause 0x1
	global_load_dword v142, v[135:136], off
	global_load_dword v143, v[4:5], off offset:84
	s_waitcnt vmcnt(1)
	global_store_dword v[4:5], v142, off offset:84
	s_waitcnt vmcnt(0)
	global_store_dword v[135:136], v143, off
.LBB126_363:
	s_or_b32 exec_lo, exec_lo, s2
	v_mov_b32_e32 v142, v134
	v_mov_b32_e32 v143, v134
.LBB126_364:
	s_or_b32 exec_lo, exec_lo, s1
.LBB126_365:
	s_andn2_saveexec_b32 s0, s0
	s_cbranch_execz .LBB126_367
; %bb.366:
	v_mov_b32_e32 v134, v86
	v_mov_b32_e32 v135, v87
	;; [unrolled: 1-line block ×8, first 2 shown]
	ds_write2_b64 v140, v[134:135], v[143:144] offset0:22 offset1:23
	ds_write2_b64 v140, v[145:146], v[147:148] offset0:24 offset1:25
	v_mov_b32_e32 v134, v80
	v_mov_b32_e32 v135, v81
	v_mov_b32_e32 v143, v74
	v_mov_b32_e32 v144, v75
	v_mov_b32_e32 v145, v76
	v_mov_b32_e32 v146, v77
	v_mov_b32_e32 v147, v72
	v_mov_b32_e32 v148, v73
	v_mov_b32_e32 v149, v70
	v_mov_b32_e32 v150, v71
	v_mov_b32_e32 v151, v68
	v_mov_b32_e32 v152, v69
	v_mov_b32_e32 v153, v66
	v_mov_b32_e32 v154, v67
	v_mov_b32_e32 v155, v64
	v_mov_b32_e32 v156, v65
	v_mov_b32_e32 v157, v62
	v_mov_b32_e32 v158, v63
	v_mov_b32_e32 v159, v58
	v_mov_b32_e32 v160, v59
	ds_write2_b64 v140, v[134:135], v[143:144] offset0:26 offset1:27
	ds_write2_b64 v140, v[145:146], v[147:148] offset0:28 offset1:29
	ds_write2_b64 v140, v[149:150], v[151:152] offset0:30 offset1:31
	ds_write2_b64 v140, v[153:154], v[155:156] offset0:32 offset1:33
	ds_write2_b64 v140, v[157:158], v[159:160] offset0:34 offset1:35
	v_mov_b32_e32 v134, v60
	v_mov_b32_e32 v135, v61
	v_mov_b32_e32 v143, v54
	v_mov_b32_e32 v144, v55
	v_mov_b32_e32 v145, v56
	v_mov_b32_e32 v146, v57
	v_mov_b32_e32 v147, v52
	v_mov_b32_e32 v148, v53
	v_mov_b32_e32 v149, v50
	v_mov_b32_e32 v150, v51
	v_mov_b32_e32 v151, v48
	v_mov_b32_e32 v152, v49
	v_mov_b32_e32 v153, v46
	v_mov_b32_e32 v154, v47
	v_mov_b32_e32 v155, v44
	v_mov_b32_e32 v156, v45
	v_mov_b32_e32 v157, v42
	v_mov_b32_e32 v158, v43
	v_mov_b32_e32 v159, v38
	v_mov_b32_e32 v160, v39
	ds_write2_b64 v140, v[134:135], v[143:144] offset0:36 offset1:37
	ds_write2_b64 v140, v[145:146], v[147:148] offset0:38 offset1:39
	ds_write2_b64 v140, v[149:150], v[151:152] offset0:40 offset1:41
	;; [unrolled: 25-line block ×3, first 2 shown]
	ds_write2_b64 v140, v[153:154], v[155:156] offset0:52 offset1:53
	ds_write2_b64 v140, v[157:158], v[159:160] offset0:54 offset1:55
	v_mov_b32_e32 v134, v20
	v_mov_b32_e32 v135, v21
	;; [unrolled: 1-line block ×15, first 2 shown]
	ds_write2_b64 v140, v[134:135], v[144:145] offset0:56 offset1:57
	ds_write2_b64 v140, v[146:147], v[148:149] offset0:58 offset1:59
	;; [unrolled: 1-line block ×4, first 2 shown]
.LBB126_367:
	s_or_b32 exec_lo, exec_lo, s0
	s_mov_b32 s0, exec_lo
	s_waitcnt lgkmcnt(0)
	s_waitcnt_vscnt null, 0x0
	s_barrier
	buffer_gl0_inv
	v_cmpx_lt_i32_e32 21, v143
	s_cbranch_execz .LBB126_369
; %bb.368:
	v_mul_f64 v[88:89], v[0:1], v[88:89]
	ds_read2_b64 v[144:147], v140 offset0:22 offset1:23
	ds_read2_b64 v[148:151], v140 offset0:24 offset1:25
	;; [unrolled: 1-line block ×11, first 2 shown]
	s_waitcnt lgkmcnt(10)
	v_fma_f64 v[86:87], -v[88:89], v[144:145], v[86:87]
	v_fma_f64 v[84:85], -v[88:89], v[146:147], v[84:85]
	s_waitcnt lgkmcnt(9)
	v_fma_f64 v[82:83], -v[88:89], v[148:149], v[82:83]
	v_fma_f64 v[78:79], -v[88:89], v[150:151], v[78:79]
	;; [unrolled: 3-line block ×6, first 2 shown]
	ds_read2_b64 v[144:147], v140 offset0:44 offset1:45
	ds_read2_b64 v[148:151], v140 offset0:46 offset1:47
	s_waitcnt lgkmcnt(6)
	v_fma_f64 v[62:63], -v[88:89], v[168:169], v[62:63]
	v_fma_f64 v[58:59], -v[88:89], v[170:171], v[58:59]
	ds_read2_b64 v[152:155], v140 offset0:48 offset1:49
	ds_read2_b64 v[156:159], v140 offset0:50 offset1:51
	s_waitcnt lgkmcnt(7)
	v_fma_f64 v[60:61], -v[88:89], v[172:173], v[60:61]
	v_fma_f64 v[54:55], -v[88:89], v[174:175], v[54:55]
	;; [unrolled: 5-line block ×5, first 2 shown]
	s_waitcnt lgkmcnt(9)
	v_fma_f64 v[42:43], -v[88:89], v[144:145], v[42:43]
	v_fma_f64 v[38:39], -v[88:89], v[146:147], v[38:39]
	s_waitcnt lgkmcnt(8)
	v_fma_f64 v[40:41], -v[88:89], v[148:149], v[40:41]
	v_fma_f64 v[34:35], -v[88:89], v[150:151], v[34:35]
	;; [unrolled: 3-line block ×10, first 2 shown]
.LBB126_369:
	s_or_b32 exec_lo, exec_lo, s0
	v_lshl_add_u32 v0, v143, 3, v140
	s_barrier
	buffer_gl0_inv
	v_mov_b32_e32 v134, 22
	ds_write_b64 v0, v[86:87]
	s_waitcnt lgkmcnt(0)
	s_barrier
	buffer_gl0_inv
	ds_read_b64 v[0:1], v140 offset:176
	s_cmp_lt_i32 s7, 24
	s_cbranch_scc1 .LBB126_372
; %bb.370:
	v_add3_u32 v135, v141, 0, 0xb8
	v_mov_b32_e32 v134, 22
	s_mov_b32 s0, 23
.LBB126_371:                            ; =>This Inner Loop Header: Depth=1
	ds_read_b64 v[144:145], v135
	v_add_nc_u32_e32 v135, 8, v135
	s_waitcnt lgkmcnt(0)
	v_cmp_lt_f64_e64 vcc_lo, |v[0:1]|, |v[144:145]|
	v_cndmask_b32_e32 v1, v1, v145, vcc_lo
	v_cndmask_b32_e32 v0, v0, v144, vcc_lo
	v_cndmask_b32_e64 v134, v134, s0, vcc_lo
	s_add_i32 s0, s0, 1
	s_cmp_lg_u32 s7, s0
	s_cbranch_scc1 .LBB126_371
.LBB126_372:
	s_mov_b32 s0, exec_lo
	s_waitcnt lgkmcnt(0)
	v_cmpx_eq_f64_e32 0, v[0:1]
	s_xor_b32 s0, exec_lo, s0
; %bb.373:
	v_cmp_ne_u32_e32 vcc_lo, 0, v137
	v_cndmask_b32_e32 v137, 23, v137, vcc_lo
; %bb.374:
	s_andn2_saveexec_b32 s0, s0
	s_cbranch_execz .LBB126_376
; %bb.375:
	v_div_scale_f64 v[135:136], null, v[0:1], v[0:1], 1.0
	v_rcp_f64_e32 v[144:145], v[135:136]
	v_fma_f64 v[146:147], -v[135:136], v[144:145], 1.0
	v_fma_f64 v[144:145], v[144:145], v[146:147], v[144:145]
	v_fma_f64 v[146:147], -v[135:136], v[144:145], 1.0
	v_fma_f64 v[144:145], v[144:145], v[146:147], v[144:145]
	v_div_scale_f64 v[146:147], vcc_lo, 1.0, v[0:1], 1.0
	v_mul_f64 v[148:149], v[146:147], v[144:145]
	v_fma_f64 v[135:136], -v[135:136], v[148:149], v[146:147]
	v_div_fmas_f64 v[135:136], v[135:136], v[144:145], v[148:149]
	v_div_fixup_f64 v[0:1], v[135:136], v[0:1], 1.0
.LBB126_376:
	s_or_b32 exec_lo, exec_lo, s0
	s_mov_b32 s0, exec_lo
	v_cmpx_ne_u32_e64 v143, v134
	s_xor_b32 s0, exec_lo, s0
	s_cbranch_execz .LBB126_382
; %bb.377:
	s_mov_b32 s1, exec_lo
	v_cmpx_eq_u32_e32 22, v143
	s_cbranch_execz .LBB126_381
; %bb.378:
	v_cmp_ne_u32_e32 vcc_lo, 22, v134
	s_xor_b32 s2, s6, -1
	s_and_b32 s3, s2, vcc_lo
	s_and_saveexec_b32 s2, s3
	s_cbranch_execz .LBB126_380
; %bb.379:
	v_ashrrev_i32_e32 v135, 31, v134
	v_lshlrev_b64 v[135:136], 2, v[134:135]
	v_add_co_u32 v135, vcc_lo, v4, v135
	v_add_co_ci_u32_e64 v136, null, v5, v136, vcc_lo
	s_clause 0x1
	global_load_dword v142, v[135:136], off
	global_load_dword v143, v[4:5], off offset:88
	s_waitcnt vmcnt(1)
	global_store_dword v[4:5], v142, off offset:88
	s_waitcnt vmcnt(0)
	global_store_dword v[135:136], v143, off
.LBB126_380:
	s_or_b32 exec_lo, exec_lo, s2
	v_mov_b32_e32 v142, v134
	v_mov_b32_e32 v143, v134
.LBB126_381:
	s_or_b32 exec_lo, exec_lo, s1
.LBB126_382:
	s_andn2_saveexec_b32 s0, s0
	s_cbranch_execz .LBB126_384
; %bb.383:
	v_mov_b32_e32 v143, 22
	ds_write2_b64 v140, v[84:85], v[82:83] offset0:23 offset1:24
	ds_write2_b64 v140, v[78:79], v[80:81] offset0:25 offset1:26
	;; [unrolled: 1-line block ×20, first 2 shown]
	ds_write_b64 v140, v[132:133] offset:504
.LBB126_384:
	s_or_b32 exec_lo, exec_lo, s0
	s_mov_b32 s0, exec_lo
	s_waitcnt lgkmcnt(0)
	s_waitcnt_vscnt null, 0x0
	s_barrier
	buffer_gl0_inv
	v_cmpx_lt_i32_e32 22, v143
	s_cbranch_execz .LBB126_386
; %bb.385:
	v_mul_f64 v[86:87], v[0:1], v[86:87]
	ds_read2_b64 v[144:147], v140 offset0:23 offset1:24
	ds_read2_b64 v[148:151], v140 offset0:25 offset1:26
	;; [unrolled: 1-line block ×11, first 2 shown]
	ds_read_b64 v[0:1], v140 offset:504
	s_waitcnt lgkmcnt(11)
	v_fma_f64 v[84:85], -v[86:87], v[144:145], v[84:85]
	v_fma_f64 v[82:83], -v[86:87], v[146:147], v[82:83]
	s_waitcnt lgkmcnt(10)
	v_fma_f64 v[78:79], -v[86:87], v[148:149], v[78:79]
	v_fma_f64 v[80:81], -v[86:87], v[150:151], v[80:81]
	;; [unrolled: 3-line block ×6, first 2 shown]
	ds_read2_b64 v[144:147], v140 offset0:45 offset1:46
	ds_read2_b64 v[148:151], v140 offset0:47 offset1:48
	s_waitcnt lgkmcnt(7)
	v_fma_f64 v[58:59], -v[86:87], v[168:169], v[58:59]
	v_fma_f64 v[60:61], -v[86:87], v[170:171], v[60:61]
	ds_read2_b64 v[152:155], v140 offset0:49 offset1:50
	ds_read2_b64 v[156:159], v140 offset0:51 offset1:52
	s_waitcnt lgkmcnt(8)
	v_fma_f64 v[54:55], -v[86:87], v[172:173], v[54:55]
	v_fma_f64 v[56:57], -v[86:87], v[174:175], v[56:57]
	;; [unrolled: 5-line block ×3, first 2 shown]
	ds_read2_b64 v[168:171], v140 offset0:57 offset1:58
	ds_read2_b64 v[172:175], v140 offset0:59 offset1:60
	;; [unrolled: 1-line block ×3, first 2 shown]
	s_waitcnt lgkmcnt(11)
	v_fma_f64 v[48:49], -v[86:87], v[180:181], v[48:49]
	v_fma_f64 v[46:47], -v[86:87], v[182:183], v[46:47]
	s_waitcnt lgkmcnt(10)
	v_fma_f64 v[44:45], -v[86:87], v[184:185], v[44:45]
	v_fma_f64 v[42:43], -v[86:87], v[186:187], v[42:43]
	s_waitcnt lgkmcnt(9)
	v_fma_f64 v[132:133], -v[86:87], v[0:1], v[132:133]
	s_waitcnt lgkmcnt(8)
	v_fma_f64 v[38:39], -v[86:87], v[144:145], v[38:39]
	v_fma_f64 v[40:41], -v[86:87], v[146:147], v[40:41]
	s_waitcnt lgkmcnt(7)
	v_fma_f64 v[34:35], -v[86:87], v[148:149], v[34:35]
	v_fma_f64 v[36:37], -v[86:87], v[150:151], v[36:37]
	s_waitcnt lgkmcnt(6)
	v_fma_f64 v[32:33], -v[86:87], v[152:153], v[32:33]
	v_fma_f64 v[30:31], -v[86:87], v[154:155], v[30:31]
	s_waitcnt lgkmcnt(5)
	v_fma_f64 v[28:29], -v[86:87], v[156:157], v[28:29]
	v_fma_f64 v[26:27], -v[86:87], v[158:159], v[26:27]
	s_waitcnt lgkmcnt(4)
	v_fma_f64 v[24:25], -v[86:87], v[160:161], v[24:25]
	v_fma_f64 v[22:23], -v[86:87], v[162:163], v[22:23]
	s_waitcnt lgkmcnt(3)
	v_fma_f64 v[18:19], -v[86:87], v[164:165], v[18:19]
	v_fma_f64 v[20:21], -v[86:87], v[166:167], v[20:21]
	s_waitcnt lgkmcnt(2)
	v_fma_f64 v[16:17], -v[86:87], v[168:169], v[16:17]
	v_fma_f64 v[14:15], -v[86:87], v[170:171], v[14:15]
	s_waitcnt lgkmcnt(1)
	v_fma_f64 v[8:9], -v[86:87], v[172:173], v[8:9]
	v_fma_f64 v[12:13], -v[86:87], v[174:175], v[12:13]
	s_waitcnt lgkmcnt(0)
	v_fma_f64 v[6:7], -v[86:87], v[176:177], v[6:7]
	v_fma_f64 v[10:11], -v[86:87], v[178:179], v[10:11]
.LBB126_386:
	s_or_b32 exec_lo, exec_lo, s0
	v_lshl_add_u32 v0, v143, 3, v140
	s_barrier
	buffer_gl0_inv
	v_mov_b32_e32 v134, 23
	ds_write_b64 v0, v[84:85]
	s_waitcnt lgkmcnt(0)
	s_barrier
	buffer_gl0_inv
	ds_read_b64 v[0:1], v140 offset:184
	s_cmp_lt_i32 s7, 25
	s_cbranch_scc1 .LBB126_389
; %bb.387:
	v_add3_u32 v135, v141, 0, 0xc0
	v_mov_b32_e32 v134, 23
	s_mov_b32 s0, 24
.LBB126_388:                            ; =>This Inner Loop Header: Depth=1
	ds_read_b64 v[144:145], v135
	v_add_nc_u32_e32 v135, 8, v135
	s_waitcnt lgkmcnt(0)
	v_cmp_lt_f64_e64 vcc_lo, |v[0:1]|, |v[144:145]|
	v_cndmask_b32_e32 v1, v1, v145, vcc_lo
	v_cndmask_b32_e32 v0, v0, v144, vcc_lo
	v_cndmask_b32_e64 v134, v134, s0, vcc_lo
	s_add_i32 s0, s0, 1
	s_cmp_lg_u32 s7, s0
	s_cbranch_scc1 .LBB126_388
.LBB126_389:
	s_mov_b32 s0, exec_lo
	s_waitcnt lgkmcnt(0)
	v_cmpx_eq_f64_e32 0, v[0:1]
	s_xor_b32 s0, exec_lo, s0
; %bb.390:
	v_cmp_ne_u32_e32 vcc_lo, 0, v137
	v_cndmask_b32_e32 v137, 24, v137, vcc_lo
; %bb.391:
	s_andn2_saveexec_b32 s0, s0
	s_cbranch_execz .LBB126_393
; %bb.392:
	v_div_scale_f64 v[135:136], null, v[0:1], v[0:1], 1.0
	v_rcp_f64_e32 v[144:145], v[135:136]
	v_fma_f64 v[146:147], -v[135:136], v[144:145], 1.0
	v_fma_f64 v[144:145], v[144:145], v[146:147], v[144:145]
	v_fma_f64 v[146:147], -v[135:136], v[144:145], 1.0
	v_fma_f64 v[144:145], v[144:145], v[146:147], v[144:145]
	v_div_scale_f64 v[146:147], vcc_lo, 1.0, v[0:1], 1.0
	v_mul_f64 v[148:149], v[146:147], v[144:145]
	v_fma_f64 v[135:136], -v[135:136], v[148:149], v[146:147]
	v_div_fmas_f64 v[135:136], v[135:136], v[144:145], v[148:149]
	v_div_fixup_f64 v[0:1], v[135:136], v[0:1], 1.0
.LBB126_393:
	s_or_b32 exec_lo, exec_lo, s0
	s_mov_b32 s0, exec_lo
	v_cmpx_ne_u32_e64 v143, v134
	s_xor_b32 s0, exec_lo, s0
	s_cbranch_execz .LBB126_399
; %bb.394:
	s_mov_b32 s1, exec_lo
	v_cmpx_eq_u32_e32 23, v143
	s_cbranch_execz .LBB126_398
; %bb.395:
	v_cmp_ne_u32_e32 vcc_lo, 23, v134
	s_xor_b32 s2, s6, -1
	s_and_b32 s3, s2, vcc_lo
	s_and_saveexec_b32 s2, s3
	s_cbranch_execz .LBB126_397
; %bb.396:
	v_ashrrev_i32_e32 v135, 31, v134
	v_lshlrev_b64 v[135:136], 2, v[134:135]
	v_add_co_u32 v135, vcc_lo, v4, v135
	v_add_co_ci_u32_e64 v136, null, v5, v136, vcc_lo
	s_clause 0x1
	global_load_dword v142, v[135:136], off
	global_load_dword v143, v[4:5], off offset:92
	s_waitcnt vmcnt(1)
	global_store_dword v[4:5], v142, off offset:92
	s_waitcnt vmcnt(0)
	global_store_dword v[135:136], v143, off
.LBB126_397:
	s_or_b32 exec_lo, exec_lo, s2
	v_mov_b32_e32 v142, v134
	v_mov_b32_e32 v143, v134
.LBB126_398:
	s_or_b32 exec_lo, exec_lo, s1
.LBB126_399:
	s_andn2_saveexec_b32 s0, s0
	s_cbranch_execz .LBB126_401
; %bb.400:
	v_mov_b32_e32 v134, v82
	v_mov_b32_e32 v135, v83
	;; [unrolled: 1-line block ×8, first 2 shown]
	ds_write2_b64 v140, v[134:135], v[143:144] offset0:24 offset1:25
	v_mov_b32_e32 v134, v74
	v_mov_b32_e32 v135, v75
	v_mov_b32_e32 v143, v76
	v_mov_b32_e32 v144, v77
	v_mov_b32_e32 v149, v70
	v_mov_b32_e32 v150, v71
	v_mov_b32_e32 v151, v68
	v_mov_b32_e32 v152, v69
	v_mov_b32_e32 v153, v66
	v_mov_b32_e32 v154, v67
	v_mov_b32_e32 v155, v64
	v_mov_b32_e32 v156, v65
	v_mov_b32_e32 v157, v62
	v_mov_b32_e32 v158, v63
	v_mov_b32_e32 v159, v58
	v_mov_b32_e32 v160, v59
	ds_write2_b64 v140, v[145:146], v[134:135] offset0:26 offset1:27
	ds_write2_b64 v140, v[143:144], v[147:148] offset0:28 offset1:29
	ds_write2_b64 v140, v[149:150], v[151:152] offset0:30 offset1:31
	ds_write2_b64 v140, v[153:154], v[155:156] offset0:32 offset1:33
	ds_write2_b64 v140, v[157:158], v[159:160] offset0:34 offset1:35
	v_mov_b32_e32 v134, v60
	v_mov_b32_e32 v135, v61
	v_mov_b32_e32 v143, v54
	v_mov_b32_e32 v144, v55
	v_mov_b32_e32 v145, v56
	v_mov_b32_e32 v146, v57
	v_mov_b32_e32 v147, v52
	v_mov_b32_e32 v148, v53
	v_mov_b32_e32 v149, v50
	v_mov_b32_e32 v150, v51
	v_mov_b32_e32 v151, v48
	v_mov_b32_e32 v152, v49
	v_mov_b32_e32 v153, v46
	v_mov_b32_e32 v154, v47
	v_mov_b32_e32 v155, v44
	v_mov_b32_e32 v156, v45
	v_mov_b32_e32 v157, v42
	v_mov_b32_e32 v158, v43
	v_mov_b32_e32 v159, v38
	v_mov_b32_e32 v160, v39
	ds_write2_b64 v140, v[134:135], v[143:144] offset0:36 offset1:37
	ds_write2_b64 v140, v[145:146], v[147:148] offset0:38 offset1:39
	ds_write2_b64 v140, v[149:150], v[151:152] offset0:40 offset1:41
	ds_write2_b64 v140, v[153:154], v[155:156] offset0:42 offset1:43
	ds_write2_b64 v140, v[157:158], v[159:160] offset0:44 offset1:45
	v_mov_b32_e32 v134, v40
	v_mov_b32_e32 v135, v41
	v_mov_b32_e32 v143, v34
	v_mov_b32_e32 v144, v35
	;; [unrolled: 25-line block ×3, first 2 shown]
	v_mov_b32_e32 v143, 23
	v_mov_b32_e32 v146, v14
	;; [unrolled: 1-line block ×11, first 2 shown]
	ds_write2_b64 v140, v[134:135], v[144:145] offset0:56 offset1:57
	ds_write2_b64 v140, v[146:147], v[148:149] offset0:58 offset1:59
	;; [unrolled: 1-line block ×4, first 2 shown]
.LBB126_401:
	s_or_b32 exec_lo, exec_lo, s0
	s_mov_b32 s0, exec_lo
	s_waitcnt lgkmcnt(0)
	s_waitcnt_vscnt null, 0x0
	s_barrier
	buffer_gl0_inv
	v_cmpx_lt_i32_e32 23, v143
	s_cbranch_execz .LBB126_403
; %bb.402:
	v_mul_f64 v[84:85], v[0:1], v[84:85]
	ds_read2_b64 v[144:147], v140 offset0:24 offset1:25
	ds_read2_b64 v[148:151], v140 offset0:26 offset1:27
	;; [unrolled: 1-line block ×11, first 2 shown]
	s_waitcnt lgkmcnt(10)
	v_fma_f64 v[82:83], -v[84:85], v[144:145], v[82:83]
	v_fma_f64 v[78:79], -v[84:85], v[146:147], v[78:79]
	s_waitcnt lgkmcnt(9)
	v_fma_f64 v[80:81], -v[84:85], v[148:149], v[80:81]
	v_fma_f64 v[74:75], -v[84:85], v[150:151], v[74:75]
	;; [unrolled: 3-line block ×5, first 2 shown]
	s_waitcnt lgkmcnt(5)
	v_fma_f64 v[62:63], -v[84:85], v[164:165], v[62:63]
	ds_read2_b64 v[144:147], v140 offset0:46 offset1:47
	ds_read2_b64 v[148:151], v140 offset0:48 offset1:49
	v_fma_f64 v[58:59], -v[84:85], v[166:167], v[58:59]
	s_waitcnt lgkmcnt(6)
	v_fma_f64 v[60:61], -v[84:85], v[168:169], v[60:61]
	ds_read2_b64 v[152:155], v140 offset0:50 offset1:51
	ds_read2_b64 v[156:159], v140 offset0:52 offset1:53
	v_fma_f64 v[54:55], -v[84:85], v[170:171], v[54:55]
	;; [unrolled: 5-line block ×4, first 2 shown]
	ds_read2_b64 v[176:179], v140 offset0:62 offset1:63
	s_waitcnt lgkmcnt(10)
	v_fma_f64 v[46:47], -v[84:85], v[180:181], v[46:47]
	v_fma_f64 v[44:45], -v[84:85], v[182:183], v[44:45]
	s_waitcnt lgkmcnt(9)
	v_fma_f64 v[42:43], -v[84:85], v[184:185], v[42:43]
	v_fma_f64 v[38:39], -v[84:85], v[186:187], v[38:39]
	s_waitcnt lgkmcnt(8)
	v_fma_f64 v[40:41], -v[84:85], v[144:145], v[40:41]
	v_fma_f64 v[34:35], -v[84:85], v[146:147], v[34:35]
	s_waitcnt lgkmcnt(7)
	v_fma_f64 v[36:37], -v[84:85], v[148:149], v[36:37]
	v_fma_f64 v[32:33], -v[84:85], v[150:151], v[32:33]
	s_waitcnt lgkmcnt(6)
	v_fma_f64 v[30:31], -v[84:85], v[152:153], v[30:31]
	v_fma_f64 v[28:29], -v[84:85], v[154:155], v[28:29]
	s_waitcnt lgkmcnt(5)
	v_fma_f64 v[26:27], -v[84:85], v[156:157], v[26:27]
	v_fma_f64 v[24:25], -v[84:85], v[158:159], v[24:25]
	s_waitcnt lgkmcnt(4)
	v_fma_f64 v[22:23], -v[84:85], v[160:161], v[22:23]
	v_fma_f64 v[18:19], -v[84:85], v[162:163], v[18:19]
	s_waitcnt lgkmcnt(3)
	v_fma_f64 v[20:21], -v[84:85], v[164:165], v[20:21]
	v_fma_f64 v[16:17], -v[84:85], v[166:167], v[16:17]
	s_waitcnt lgkmcnt(2)
	v_fma_f64 v[14:15], -v[84:85], v[168:169], v[14:15]
	v_fma_f64 v[8:9], -v[84:85], v[170:171], v[8:9]
	s_waitcnt lgkmcnt(1)
	v_fma_f64 v[12:13], -v[84:85], v[172:173], v[12:13]
	v_fma_f64 v[6:7], -v[84:85], v[174:175], v[6:7]
	s_waitcnt lgkmcnt(0)
	v_fma_f64 v[10:11], -v[84:85], v[176:177], v[10:11]
	v_fma_f64 v[132:133], -v[84:85], v[178:179], v[132:133]
.LBB126_403:
	s_or_b32 exec_lo, exec_lo, s0
	v_lshl_add_u32 v0, v143, 3, v140
	s_barrier
	buffer_gl0_inv
	v_mov_b32_e32 v134, 24
	ds_write_b64 v0, v[82:83]
	s_waitcnt lgkmcnt(0)
	s_barrier
	buffer_gl0_inv
	ds_read_b64 v[0:1], v140 offset:192
	s_cmp_lt_i32 s7, 26
	s_cbranch_scc1 .LBB126_406
; %bb.404:
	v_add3_u32 v135, v141, 0, 0xc8
	v_mov_b32_e32 v134, 24
	s_mov_b32 s0, 25
.LBB126_405:                            ; =>This Inner Loop Header: Depth=1
	ds_read_b64 v[144:145], v135
	v_add_nc_u32_e32 v135, 8, v135
	s_waitcnt lgkmcnt(0)
	v_cmp_lt_f64_e64 vcc_lo, |v[0:1]|, |v[144:145]|
	v_cndmask_b32_e32 v1, v1, v145, vcc_lo
	v_cndmask_b32_e32 v0, v0, v144, vcc_lo
	v_cndmask_b32_e64 v134, v134, s0, vcc_lo
	s_add_i32 s0, s0, 1
	s_cmp_lg_u32 s7, s0
	s_cbranch_scc1 .LBB126_405
.LBB126_406:
	s_mov_b32 s0, exec_lo
	s_waitcnt lgkmcnt(0)
	v_cmpx_eq_f64_e32 0, v[0:1]
	s_xor_b32 s0, exec_lo, s0
; %bb.407:
	v_cmp_ne_u32_e32 vcc_lo, 0, v137
	v_cndmask_b32_e32 v137, 25, v137, vcc_lo
; %bb.408:
	s_andn2_saveexec_b32 s0, s0
	s_cbranch_execz .LBB126_410
; %bb.409:
	v_div_scale_f64 v[135:136], null, v[0:1], v[0:1], 1.0
	v_rcp_f64_e32 v[144:145], v[135:136]
	v_fma_f64 v[146:147], -v[135:136], v[144:145], 1.0
	v_fma_f64 v[144:145], v[144:145], v[146:147], v[144:145]
	v_fma_f64 v[146:147], -v[135:136], v[144:145], 1.0
	v_fma_f64 v[144:145], v[144:145], v[146:147], v[144:145]
	v_div_scale_f64 v[146:147], vcc_lo, 1.0, v[0:1], 1.0
	v_mul_f64 v[148:149], v[146:147], v[144:145]
	v_fma_f64 v[135:136], -v[135:136], v[148:149], v[146:147]
	v_div_fmas_f64 v[135:136], v[135:136], v[144:145], v[148:149]
	v_div_fixup_f64 v[0:1], v[135:136], v[0:1], 1.0
.LBB126_410:
	s_or_b32 exec_lo, exec_lo, s0
	s_mov_b32 s0, exec_lo
	v_cmpx_ne_u32_e64 v143, v134
	s_xor_b32 s0, exec_lo, s0
	s_cbranch_execz .LBB126_416
; %bb.411:
	s_mov_b32 s1, exec_lo
	v_cmpx_eq_u32_e32 24, v143
	s_cbranch_execz .LBB126_415
; %bb.412:
	v_cmp_ne_u32_e32 vcc_lo, 24, v134
	s_xor_b32 s2, s6, -1
	s_and_b32 s3, s2, vcc_lo
	s_and_saveexec_b32 s2, s3
	s_cbranch_execz .LBB126_414
; %bb.413:
	v_ashrrev_i32_e32 v135, 31, v134
	v_lshlrev_b64 v[135:136], 2, v[134:135]
	v_add_co_u32 v135, vcc_lo, v4, v135
	v_add_co_ci_u32_e64 v136, null, v5, v136, vcc_lo
	s_clause 0x1
	global_load_dword v142, v[135:136], off
	global_load_dword v143, v[4:5], off offset:96
	s_waitcnt vmcnt(1)
	global_store_dword v[4:5], v142, off offset:96
	s_waitcnt vmcnt(0)
	global_store_dword v[135:136], v143, off
.LBB126_414:
	s_or_b32 exec_lo, exec_lo, s2
	v_mov_b32_e32 v142, v134
	v_mov_b32_e32 v143, v134
.LBB126_415:
	s_or_b32 exec_lo, exec_lo, s1
.LBB126_416:
	s_andn2_saveexec_b32 s0, s0
	s_cbranch_execz .LBB126_418
; %bb.417:
	v_mov_b32_e32 v143, 24
	ds_write2_b64 v140, v[78:79], v[80:81] offset0:25 offset1:26
	ds_write2_b64 v140, v[74:75], v[76:77] offset0:27 offset1:28
	;; [unrolled: 1-line block ×19, first 2 shown]
	ds_write_b64 v140, v[132:133] offset:504
.LBB126_418:
	s_or_b32 exec_lo, exec_lo, s0
	s_mov_b32 s0, exec_lo
	s_waitcnt lgkmcnt(0)
	s_waitcnt_vscnt null, 0x0
	s_barrier
	buffer_gl0_inv
	v_cmpx_lt_i32_e32 24, v143
	s_cbranch_execz .LBB126_420
; %bb.419:
	v_mul_f64 v[82:83], v[0:1], v[82:83]
	ds_read2_b64 v[144:147], v140 offset0:25 offset1:26
	ds_read2_b64 v[148:151], v140 offset0:27 offset1:28
	;; [unrolled: 1-line block ×11, first 2 shown]
	ds_read_b64 v[0:1], v140 offset:504
	s_waitcnt lgkmcnt(11)
	v_fma_f64 v[78:79], -v[82:83], v[144:145], v[78:79]
	v_fma_f64 v[80:81], -v[82:83], v[146:147], v[80:81]
	s_waitcnt lgkmcnt(10)
	v_fma_f64 v[74:75], -v[82:83], v[148:149], v[74:75]
	v_fma_f64 v[76:77], -v[82:83], v[150:151], v[76:77]
	;; [unrolled: 3-line block ×5, first 2 shown]
	s_waitcnt lgkmcnt(6)
	v_fma_f64 v[58:59], -v[82:83], v[164:165], v[58:59]
	ds_read2_b64 v[144:147], v140 offset0:47 offset1:48
	ds_read2_b64 v[148:151], v140 offset0:49 offset1:50
	v_fma_f64 v[60:61], -v[82:83], v[166:167], v[60:61]
	s_waitcnt lgkmcnt(7)
	v_fma_f64 v[54:55], -v[82:83], v[168:169], v[54:55]
	ds_read2_b64 v[152:155], v140 offset0:51 offset1:52
	ds_read2_b64 v[156:159], v140 offset0:53 offset1:54
	v_fma_f64 v[56:57], -v[82:83], v[170:171], v[56:57]
	;; [unrolled: 5-line block ×3, first 2 shown]
	ds_read2_b64 v[168:171], v140 offset0:59 offset1:60
	ds_read2_b64 v[172:175], v140 offset0:61 offset1:62
	s_waitcnt lgkmcnt(11)
	v_fma_f64 v[48:49], -v[82:83], v[176:177], v[48:49]
	v_fma_f64 v[46:47], -v[82:83], v[178:179], v[46:47]
	s_waitcnt lgkmcnt(10)
	v_fma_f64 v[44:45], -v[82:83], v[180:181], v[44:45]
	v_fma_f64 v[42:43], -v[82:83], v[182:183], v[42:43]
	;; [unrolled: 3-line block ×3, first 2 shown]
	s_waitcnt lgkmcnt(8)
	v_fma_f64 v[132:133], -v[82:83], v[0:1], v[132:133]
	s_waitcnt lgkmcnt(7)
	v_fma_f64 v[34:35], -v[82:83], v[144:145], v[34:35]
	v_fma_f64 v[36:37], -v[82:83], v[146:147], v[36:37]
	s_waitcnt lgkmcnt(6)
	v_fma_f64 v[32:33], -v[82:83], v[148:149], v[32:33]
	;; [unrolled: 3-line block ×8, first 2 shown]
	v_fma_f64 v[10:11], -v[82:83], v[174:175], v[10:11]
.LBB126_420:
	s_or_b32 exec_lo, exec_lo, s0
	v_lshl_add_u32 v0, v143, 3, v140
	s_barrier
	buffer_gl0_inv
	v_mov_b32_e32 v134, 25
	ds_write_b64 v0, v[78:79]
	s_waitcnt lgkmcnt(0)
	s_barrier
	buffer_gl0_inv
	ds_read_b64 v[0:1], v140 offset:200
	s_cmp_lt_i32 s7, 27
	s_cbranch_scc1 .LBB126_423
; %bb.421:
	v_add3_u32 v135, v141, 0, 0xd0
	v_mov_b32_e32 v134, 25
	s_mov_b32 s0, 26
.LBB126_422:                            ; =>This Inner Loop Header: Depth=1
	ds_read_b64 v[144:145], v135
	v_add_nc_u32_e32 v135, 8, v135
	s_waitcnt lgkmcnt(0)
	v_cmp_lt_f64_e64 vcc_lo, |v[0:1]|, |v[144:145]|
	v_cndmask_b32_e32 v1, v1, v145, vcc_lo
	v_cndmask_b32_e32 v0, v0, v144, vcc_lo
	v_cndmask_b32_e64 v134, v134, s0, vcc_lo
	s_add_i32 s0, s0, 1
	s_cmp_lg_u32 s7, s0
	s_cbranch_scc1 .LBB126_422
.LBB126_423:
	s_mov_b32 s0, exec_lo
	s_waitcnt lgkmcnt(0)
	v_cmpx_eq_f64_e32 0, v[0:1]
	s_xor_b32 s0, exec_lo, s0
; %bb.424:
	v_cmp_ne_u32_e32 vcc_lo, 0, v137
	v_cndmask_b32_e32 v137, 26, v137, vcc_lo
; %bb.425:
	s_andn2_saveexec_b32 s0, s0
	s_cbranch_execz .LBB126_427
; %bb.426:
	v_div_scale_f64 v[135:136], null, v[0:1], v[0:1], 1.0
	v_rcp_f64_e32 v[144:145], v[135:136]
	v_fma_f64 v[146:147], -v[135:136], v[144:145], 1.0
	v_fma_f64 v[144:145], v[144:145], v[146:147], v[144:145]
	v_fma_f64 v[146:147], -v[135:136], v[144:145], 1.0
	v_fma_f64 v[144:145], v[144:145], v[146:147], v[144:145]
	v_div_scale_f64 v[146:147], vcc_lo, 1.0, v[0:1], 1.0
	v_mul_f64 v[148:149], v[146:147], v[144:145]
	v_fma_f64 v[135:136], -v[135:136], v[148:149], v[146:147]
	v_div_fmas_f64 v[135:136], v[135:136], v[144:145], v[148:149]
	v_div_fixup_f64 v[0:1], v[135:136], v[0:1], 1.0
.LBB126_427:
	s_or_b32 exec_lo, exec_lo, s0
	s_mov_b32 s0, exec_lo
	v_cmpx_ne_u32_e64 v143, v134
	s_xor_b32 s0, exec_lo, s0
	s_cbranch_execz .LBB126_433
; %bb.428:
	s_mov_b32 s1, exec_lo
	v_cmpx_eq_u32_e32 25, v143
	s_cbranch_execz .LBB126_432
; %bb.429:
	v_cmp_ne_u32_e32 vcc_lo, 25, v134
	s_xor_b32 s2, s6, -1
	s_and_b32 s3, s2, vcc_lo
	s_and_saveexec_b32 s2, s3
	s_cbranch_execz .LBB126_431
; %bb.430:
	v_ashrrev_i32_e32 v135, 31, v134
	v_lshlrev_b64 v[135:136], 2, v[134:135]
	v_add_co_u32 v135, vcc_lo, v4, v135
	v_add_co_ci_u32_e64 v136, null, v5, v136, vcc_lo
	s_clause 0x1
	global_load_dword v142, v[135:136], off
	global_load_dword v143, v[4:5], off offset:100
	s_waitcnt vmcnt(1)
	global_store_dword v[4:5], v142, off offset:100
	s_waitcnt vmcnt(0)
	global_store_dword v[135:136], v143, off
.LBB126_431:
	s_or_b32 exec_lo, exec_lo, s2
	v_mov_b32_e32 v142, v134
	v_mov_b32_e32 v143, v134
.LBB126_432:
	s_or_b32 exec_lo, exec_lo, s1
.LBB126_433:
	s_andn2_saveexec_b32 s0, s0
	s_cbranch_execz .LBB126_435
; %bb.434:
	v_mov_b32_e32 v134, v80
	v_mov_b32_e32 v135, v81
	v_mov_b32_e32 v143, v74
	v_mov_b32_e32 v144, v75
	v_mov_b32_e32 v145, v76
	v_mov_b32_e32 v146, v77
	v_mov_b32_e32 v147, v72
	v_mov_b32_e32 v148, v73
	v_mov_b32_e32 v149, v70
	v_mov_b32_e32 v150, v71
	v_mov_b32_e32 v151, v68
	v_mov_b32_e32 v152, v69
	v_mov_b32_e32 v153, v66
	v_mov_b32_e32 v154, v67
	v_mov_b32_e32 v155, v64
	v_mov_b32_e32 v156, v65
	v_mov_b32_e32 v157, v62
	v_mov_b32_e32 v158, v63
	v_mov_b32_e32 v159, v58
	v_mov_b32_e32 v160, v59
	ds_write2_b64 v140, v[134:135], v[143:144] offset0:26 offset1:27
	ds_write2_b64 v140, v[145:146], v[147:148] offset0:28 offset1:29
	ds_write2_b64 v140, v[149:150], v[151:152] offset0:30 offset1:31
	ds_write2_b64 v140, v[153:154], v[155:156] offset0:32 offset1:33
	ds_write2_b64 v140, v[157:158], v[159:160] offset0:34 offset1:35
	v_mov_b32_e32 v134, v60
	v_mov_b32_e32 v135, v61
	v_mov_b32_e32 v143, v54
	v_mov_b32_e32 v144, v55
	v_mov_b32_e32 v145, v56
	v_mov_b32_e32 v146, v57
	v_mov_b32_e32 v147, v52
	v_mov_b32_e32 v148, v53
	v_mov_b32_e32 v149, v50
	v_mov_b32_e32 v150, v51
	v_mov_b32_e32 v151, v48
	v_mov_b32_e32 v152, v49
	v_mov_b32_e32 v153, v46
	v_mov_b32_e32 v154, v47
	v_mov_b32_e32 v155, v44
	v_mov_b32_e32 v156, v45
	v_mov_b32_e32 v157, v42
	v_mov_b32_e32 v158, v43
	v_mov_b32_e32 v159, v38
	v_mov_b32_e32 v160, v39
	ds_write2_b64 v140, v[134:135], v[143:144] offset0:36 offset1:37
	ds_write2_b64 v140, v[145:146], v[147:148] offset0:38 offset1:39
	ds_write2_b64 v140, v[149:150], v[151:152] offset0:40 offset1:41
	ds_write2_b64 v140, v[153:154], v[155:156] offset0:42 offset1:43
	ds_write2_b64 v140, v[157:158], v[159:160] offset0:44 offset1:45
	;; [unrolled: 25-line block ×3, first 2 shown]
	v_mov_b32_e32 v134, v20
	v_mov_b32_e32 v135, v21
	;; [unrolled: 1-line block ×15, first 2 shown]
	ds_write2_b64 v140, v[134:135], v[144:145] offset0:56 offset1:57
	ds_write2_b64 v140, v[146:147], v[148:149] offset0:58 offset1:59
	;; [unrolled: 1-line block ×4, first 2 shown]
.LBB126_435:
	s_or_b32 exec_lo, exec_lo, s0
	s_mov_b32 s0, exec_lo
	s_waitcnt lgkmcnt(0)
	s_waitcnt_vscnt null, 0x0
	s_barrier
	buffer_gl0_inv
	v_cmpx_lt_i32_e32 25, v143
	s_cbranch_execz .LBB126_437
; %bb.436:
	v_mul_f64 v[78:79], v[0:1], v[78:79]
	ds_read2_b64 v[144:147], v140 offset0:26 offset1:27
	ds_read2_b64 v[148:151], v140 offset0:28 offset1:29
	;; [unrolled: 1-line block ×12, first 2 shown]
	s_waitcnt lgkmcnt(11)
	v_fma_f64 v[80:81], -v[78:79], v[144:145], v[80:81]
	v_fma_f64 v[74:75], -v[78:79], v[146:147], v[74:75]
	s_waitcnt lgkmcnt(10)
	v_fma_f64 v[76:77], -v[78:79], v[148:149], v[76:77]
	v_fma_f64 v[72:73], -v[78:79], v[150:151], v[72:73]
	;; [unrolled: 3-line block ×5, first 2 shown]
	s_waitcnt lgkmcnt(6)
	v_fma_f64 v[60:61], -v[78:79], v[164:165], v[60:61]
	ds_read2_b64 v[144:147], v140 offset0:50 offset1:51
	ds_read2_b64 v[148:151], v140 offset0:52 offset1:53
	v_fma_f64 v[54:55], -v[78:79], v[166:167], v[54:55]
	s_waitcnt lgkmcnt(7)
	v_fma_f64 v[56:57], -v[78:79], v[168:169], v[56:57]
	ds_read2_b64 v[152:155], v140 offset0:54 offset1:55
	ds_read2_b64 v[156:159], v140 offset0:56 offset1:57
	v_fma_f64 v[52:53], -v[78:79], v[170:171], v[52:53]
	ds_read2_b64 v[160:163], v140 offset0:58 offset1:59
	ds_read2_b64 v[164:167], v140 offset0:60 offset1:61
	;; [unrolled: 1-line block ×3, first 2 shown]
	s_waitcnt lgkmcnt(11)
	v_fma_f64 v[50:51], -v[78:79], v[172:173], v[50:51]
	v_fma_f64 v[48:49], -v[78:79], v[174:175], v[48:49]
	s_waitcnt lgkmcnt(10)
	v_fma_f64 v[46:47], -v[78:79], v[176:177], v[46:47]
	v_fma_f64 v[44:45], -v[78:79], v[178:179], v[44:45]
	;; [unrolled: 3-line block ×12, first 2 shown]
.LBB126_437:
	s_or_b32 exec_lo, exec_lo, s0
	v_lshl_add_u32 v0, v143, 3, v140
	s_barrier
	buffer_gl0_inv
	v_mov_b32_e32 v134, 26
	ds_write_b64 v0, v[80:81]
	s_waitcnt lgkmcnt(0)
	s_barrier
	buffer_gl0_inv
	ds_read_b64 v[0:1], v140 offset:208
	s_cmp_lt_i32 s7, 28
	s_cbranch_scc1 .LBB126_440
; %bb.438:
	v_add3_u32 v135, v141, 0, 0xd8
	v_mov_b32_e32 v134, 26
	s_mov_b32 s0, 27
.LBB126_439:                            ; =>This Inner Loop Header: Depth=1
	ds_read_b64 v[144:145], v135
	v_add_nc_u32_e32 v135, 8, v135
	s_waitcnt lgkmcnt(0)
	v_cmp_lt_f64_e64 vcc_lo, |v[0:1]|, |v[144:145]|
	v_cndmask_b32_e32 v1, v1, v145, vcc_lo
	v_cndmask_b32_e32 v0, v0, v144, vcc_lo
	v_cndmask_b32_e64 v134, v134, s0, vcc_lo
	s_add_i32 s0, s0, 1
	s_cmp_lg_u32 s7, s0
	s_cbranch_scc1 .LBB126_439
.LBB126_440:
	s_mov_b32 s0, exec_lo
	s_waitcnt lgkmcnt(0)
	v_cmpx_eq_f64_e32 0, v[0:1]
	s_xor_b32 s0, exec_lo, s0
; %bb.441:
	v_cmp_ne_u32_e32 vcc_lo, 0, v137
	v_cndmask_b32_e32 v137, 27, v137, vcc_lo
; %bb.442:
	s_andn2_saveexec_b32 s0, s0
	s_cbranch_execz .LBB126_444
; %bb.443:
	v_div_scale_f64 v[135:136], null, v[0:1], v[0:1], 1.0
	v_rcp_f64_e32 v[144:145], v[135:136]
	v_fma_f64 v[146:147], -v[135:136], v[144:145], 1.0
	v_fma_f64 v[144:145], v[144:145], v[146:147], v[144:145]
	v_fma_f64 v[146:147], -v[135:136], v[144:145], 1.0
	v_fma_f64 v[144:145], v[144:145], v[146:147], v[144:145]
	v_div_scale_f64 v[146:147], vcc_lo, 1.0, v[0:1], 1.0
	v_mul_f64 v[148:149], v[146:147], v[144:145]
	v_fma_f64 v[135:136], -v[135:136], v[148:149], v[146:147]
	v_div_fmas_f64 v[135:136], v[135:136], v[144:145], v[148:149]
	v_div_fixup_f64 v[0:1], v[135:136], v[0:1], 1.0
.LBB126_444:
	s_or_b32 exec_lo, exec_lo, s0
	s_mov_b32 s0, exec_lo
	v_cmpx_ne_u32_e64 v143, v134
	s_xor_b32 s0, exec_lo, s0
	s_cbranch_execz .LBB126_450
; %bb.445:
	s_mov_b32 s1, exec_lo
	v_cmpx_eq_u32_e32 26, v143
	s_cbranch_execz .LBB126_449
; %bb.446:
	v_cmp_ne_u32_e32 vcc_lo, 26, v134
	s_xor_b32 s2, s6, -1
	s_and_b32 s3, s2, vcc_lo
	s_and_saveexec_b32 s2, s3
	s_cbranch_execz .LBB126_448
; %bb.447:
	v_ashrrev_i32_e32 v135, 31, v134
	v_lshlrev_b64 v[135:136], 2, v[134:135]
	v_add_co_u32 v135, vcc_lo, v4, v135
	v_add_co_ci_u32_e64 v136, null, v5, v136, vcc_lo
	s_clause 0x1
	global_load_dword v142, v[135:136], off
	global_load_dword v143, v[4:5], off offset:104
	s_waitcnt vmcnt(1)
	global_store_dword v[4:5], v142, off offset:104
	s_waitcnt vmcnt(0)
	global_store_dword v[135:136], v143, off
.LBB126_448:
	s_or_b32 exec_lo, exec_lo, s2
	v_mov_b32_e32 v142, v134
	v_mov_b32_e32 v143, v134
.LBB126_449:
	s_or_b32 exec_lo, exec_lo, s1
.LBB126_450:
	s_andn2_saveexec_b32 s0, s0
	s_cbranch_execz .LBB126_452
; %bb.451:
	v_mov_b32_e32 v143, 26
	ds_write2_b64 v140, v[74:75], v[76:77] offset0:27 offset1:28
	ds_write2_b64 v140, v[72:73], v[70:71] offset0:29 offset1:30
	;; [unrolled: 1-line block ×18, first 2 shown]
	ds_write_b64 v140, v[132:133] offset:504
.LBB126_452:
	s_or_b32 exec_lo, exec_lo, s0
	s_mov_b32 s0, exec_lo
	s_waitcnt lgkmcnt(0)
	s_waitcnt_vscnt null, 0x0
	s_barrier
	buffer_gl0_inv
	v_cmpx_lt_i32_e32 26, v143
	s_cbranch_execz .LBB126_454
; %bb.453:
	v_mul_f64 v[80:81], v[0:1], v[80:81]
	ds_read2_b64 v[144:147], v140 offset0:27 offset1:28
	ds_read2_b64 v[148:151], v140 offset0:29 offset1:30
	;; [unrolled: 1-line block ×12, first 2 shown]
	ds_read_b64 v[0:1], v140 offset:504
	s_waitcnt lgkmcnt(12)
	v_fma_f64 v[74:75], -v[80:81], v[144:145], v[74:75]
	v_fma_f64 v[76:77], -v[80:81], v[146:147], v[76:77]
	s_waitcnt lgkmcnt(11)
	v_fma_f64 v[72:73], -v[80:81], v[148:149], v[72:73]
	v_fma_f64 v[70:71], -v[80:81], v[150:151], v[70:71]
	;; [unrolled: 3-line block ×5, first 2 shown]
	s_waitcnt lgkmcnt(7)
	v_fma_f64 v[54:55], -v[80:81], v[164:165], v[54:55]
	ds_read2_b64 v[144:147], v140 offset0:51 offset1:52
	ds_read2_b64 v[148:151], v140 offset0:53 offset1:54
	v_fma_f64 v[56:57], -v[80:81], v[166:167], v[56:57]
	ds_read2_b64 v[152:155], v140 offset0:55 offset1:56
	ds_read2_b64 v[156:159], v140 offset0:57 offset1:58
	;; [unrolled: 1-line block ×4, first 2 shown]
	s_waitcnt lgkmcnt(12)
	v_fma_f64 v[52:53], -v[80:81], v[168:169], v[52:53]
	v_fma_f64 v[50:51], -v[80:81], v[170:171], v[50:51]
	s_waitcnt lgkmcnt(11)
	v_fma_f64 v[48:49], -v[80:81], v[172:173], v[48:49]
	v_fma_f64 v[46:47], -v[80:81], v[174:175], v[46:47]
	;; [unrolled: 3-line block ×6, first 2 shown]
	s_waitcnt lgkmcnt(6)
	v_fma_f64 v[132:133], -v[80:81], v[0:1], v[132:133]
	s_waitcnt lgkmcnt(5)
	v_fma_f64 v[28:29], -v[80:81], v[144:145], v[28:29]
	v_fma_f64 v[26:27], -v[80:81], v[146:147], v[26:27]
	s_waitcnt lgkmcnt(4)
	v_fma_f64 v[24:25], -v[80:81], v[148:149], v[24:25]
	;; [unrolled: 3-line block ×6, first 2 shown]
	v_fma_f64 v[10:11], -v[80:81], v[166:167], v[10:11]
.LBB126_454:
	s_or_b32 exec_lo, exec_lo, s0
	v_lshl_add_u32 v0, v143, 3, v140
	s_barrier
	buffer_gl0_inv
	v_mov_b32_e32 v134, 27
	ds_write_b64 v0, v[74:75]
	s_waitcnt lgkmcnt(0)
	s_barrier
	buffer_gl0_inv
	ds_read_b64 v[0:1], v140 offset:216
	s_cmp_lt_i32 s7, 29
	s_cbranch_scc1 .LBB126_457
; %bb.455:
	v_add3_u32 v135, v141, 0, 0xe0
	v_mov_b32_e32 v134, 27
	s_mov_b32 s0, 28
.LBB126_456:                            ; =>This Inner Loop Header: Depth=1
	ds_read_b64 v[144:145], v135
	v_add_nc_u32_e32 v135, 8, v135
	s_waitcnt lgkmcnt(0)
	v_cmp_lt_f64_e64 vcc_lo, |v[0:1]|, |v[144:145]|
	v_cndmask_b32_e32 v1, v1, v145, vcc_lo
	v_cndmask_b32_e32 v0, v0, v144, vcc_lo
	v_cndmask_b32_e64 v134, v134, s0, vcc_lo
	s_add_i32 s0, s0, 1
	s_cmp_lg_u32 s7, s0
	s_cbranch_scc1 .LBB126_456
.LBB126_457:
	s_mov_b32 s0, exec_lo
	s_waitcnt lgkmcnt(0)
	v_cmpx_eq_f64_e32 0, v[0:1]
	s_xor_b32 s0, exec_lo, s0
; %bb.458:
	v_cmp_ne_u32_e32 vcc_lo, 0, v137
	v_cndmask_b32_e32 v137, 28, v137, vcc_lo
; %bb.459:
	s_andn2_saveexec_b32 s0, s0
	s_cbranch_execz .LBB126_461
; %bb.460:
	v_div_scale_f64 v[135:136], null, v[0:1], v[0:1], 1.0
	v_rcp_f64_e32 v[144:145], v[135:136]
	v_fma_f64 v[146:147], -v[135:136], v[144:145], 1.0
	v_fma_f64 v[144:145], v[144:145], v[146:147], v[144:145]
	v_fma_f64 v[146:147], -v[135:136], v[144:145], 1.0
	v_fma_f64 v[144:145], v[144:145], v[146:147], v[144:145]
	v_div_scale_f64 v[146:147], vcc_lo, 1.0, v[0:1], 1.0
	v_mul_f64 v[148:149], v[146:147], v[144:145]
	v_fma_f64 v[135:136], -v[135:136], v[148:149], v[146:147]
	v_div_fmas_f64 v[135:136], v[135:136], v[144:145], v[148:149]
	v_div_fixup_f64 v[0:1], v[135:136], v[0:1], 1.0
.LBB126_461:
	s_or_b32 exec_lo, exec_lo, s0
	s_mov_b32 s0, exec_lo
	v_cmpx_ne_u32_e64 v143, v134
	s_xor_b32 s0, exec_lo, s0
	s_cbranch_execz .LBB126_467
; %bb.462:
	s_mov_b32 s1, exec_lo
	v_cmpx_eq_u32_e32 27, v143
	s_cbranch_execz .LBB126_466
; %bb.463:
	v_cmp_ne_u32_e32 vcc_lo, 27, v134
	s_xor_b32 s2, s6, -1
	s_and_b32 s3, s2, vcc_lo
	s_and_saveexec_b32 s2, s3
	s_cbranch_execz .LBB126_465
; %bb.464:
	v_ashrrev_i32_e32 v135, 31, v134
	v_lshlrev_b64 v[135:136], 2, v[134:135]
	v_add_co_u32 v135, vcc_lo, v4, v135
	v_add_co_ci_u32_e64 v136, null, v5, v136, vcc_lo
	s_clause 0x1
	global_load_dword v142, v[135:136], off
	global_load_dword v143, v[4:5], off offset:108
	s_waitcnt vmcnt(1)
	global_store_dword v[4:5], v142, off offset:108
	s_waitcnt vmcnt(0)
	global_store_dword v[135:136], v143, off
.LBB126_465:
	s_or_b32 exec_lo, exec_lo, s2
	v_mov_b32_e32 v142, v134
	v_mov_b32_e32 v143, v134
.LBB126_466:
	s_or_b32 exec_lo, exec_lo, s1
.LBB126_467:
	s_andn2_saveexec_b32 s0, s0
	s_cbranch_execz .LBB126_469
; %bb.468:
	v_mov_b32_e32 v134, v76
	v_mov_b32_e32 v135, v77
	;; [unrolled: 1-line block ×16, first 2 shown]
	ds_write2_b64 v140, v[134:135], v[143:144] offset0:28 offset1:29
	ds_write2_b64 v140, v[145:146], v[147:148] offset0:30 offset1:31
	;; [unrolled: 1-line block ×4, first 2 shown]
	v_mov_b32_e32 v134, v60
	v_mov_b32_e32 v135, v61
	;; [unrolled: 1-line block ×20, first 2 shown]
	ds_write2_b64 v140, v[134:135], v[143:144] offset0:36 offset1:37
	ds_write2_b64 v140, v[145:146], v[147:148] offset0:38 offset1:39
	;; [unrolled: 1-line block ×5, first 2 shown]
	v_mov_b32_e32 v134, v40
	v_mov_b32_e32 v135, v41
	;; [unrolled: 1-line block ×20, first 2 shown]
	ds_write2_b64 v140, v[134:135], v[143:144] offset0:46 offset1:47
	ds_write2_b64 v140, v[145:146], v[147:148] offset0:48 offset1:49
	;; [unrolled: 1-line block ×5, first 2 shown]
	v_mov_b32_e32 v134, v20
	v_mov_b32_e32 v135, v21
	;; [unrolled: 1-line block ×15, first 2 shown]
	ds_write2_b64 v140, v[134:135], v[144:145] offset0:56 offset1:57
	ds_write2_b64 v140, v[146:147], v[148:149] offset0:58 offset1:59
	;; [unrolled: 1-line block ×4, first 2 shown]
.LBB126_469:
	s_or_b32 exec_lo, exec_lo, s0
	s_mov_b32 s0, exec_lo
	s_waitcnt lgkmcnt(0)
	s_waitcnt_vscnt null, 0x0
	s_barrier
	buffer_gl0_inv
	v_cmpx_lt_i32_e32 27, v143
	s_cbranch_execz .LBB126_471
; %bb.470:
	v_mul_f64 v[74:75], v[0:1], v[74:75]
	ds_read2_b64 v[144:147], v140 offset0:28 offset1:29
	ds_read2_b64 v[148:151], v140 offset0:30 offset1:31
	;; [unrolled: 1-line block ×12, first 2 shown]
	s_waitcnt lgkmcnt(11)
	v_fma_f64 v[76:77], -v[74:75], v[144:145], v[76:77]
	v_fma_f64 v[72:73], -v[74:75], v[146:147], v[72:73]
	s_waitcnt lgkmcnt(10)
	v_fma_f64 v[70:71], -v[74:75], v[148:149], v[70:71]
	v_fma_f64 v[68:69], -v[74:75], v[150:151], v[68:69]
	s_waitcnt lgkmcnt(9)
	v_fma_f64 v[66:67], -v[74:75], v[152:153], v[66:67]
	v_fma_f64 v[64:65], -v[74:75], v[154:155], v[64:65]
	s_waitcnt lgkmcnt(8)
	v_fma_f64 v[62:63], -v[74:75], v[156:157], v[62:63]
	v_fma_f64 v[58:59], -v[74:75], v[158:159], v[58:59]
	s_waitcnt lgkmcnt(7)
	v_fma_f64 v[60:61], -v[74:75], v[160:161], v[60:61]
	v_fma_f64 v[54:55], -v[74:75], v[162:163], v[54:55]
	ds_read2_b64 v[144:147], v140 offset0:52 offset1:53
	ds_read2_b64 v[148:151], v140 offset0:54 offset1:55
	s_waitcnt lgkmcnt(8)
	v_fma_f64 v[56:57], -v[74:75], v[164:165], v[56:57]
	v_fma_f64 v[52:53], -v[74:75], v[166:167], v[52:53]
	ds_read2_b64 v[152:155], v140 offset0:56 offset1:57
	ds_read2_b64 v[156:159], v140 offset0:58 offset1:59
	;; [unrolled: 1-line block ×4, first 2 shown]
	s_waitcnt lgkmcnt(11)
	v_fma_f64 v[50:51], -v[74:75], v[168:169], v[50:51]
	v_fma_f64 v[48:49], -v[74:75], v[170:171], v[48:49]
	s_waitcnt lgkmcnt(10)
	v_fma_f64 v[46:47], -v[74:75], v[172:173], v[46:47]
	v_fma_f64 v[44:45], -v[74:75], v[174:175], v[44:45]
	;; [unrolled: 3-line block ×12, first 2 shown]
.LBB126_471:
	s_or_b32 exec_lo, exec_lo, s0
	v_lshl_add_u32 v0, v143, 3, v140
	s_barrier
	buffer_gl0_inv
	v_mov_b32_e32 v134, 28
	ds_write_b64 v0, v[76:77]
	s_waitcnt lgkmcnt(0)
	s_barrier
	buffer_gl0_inv
	ds_read_b64 v[0:1], v140 offset:224
	s_cmp_lt_i32 s7, 30
	s_cbranch_scc1 .LBB126_474
; %bb.472:
	v_add3_u32 v135, v141, 0, 0xe8
	v_mov_b32_e32 v134, 28
	s_mov_b32 s0, 29
.LBB126_473:                            ; =>This Inner Loop Header: Depth=1
	ds_read_b64 v[144:145], v135
	v_add_nc_u32_e32 v135, 8, v135
	s_waitcnt lgkmcnt(0)
	v_cmp_lt_f64_e64 vcc_lo, |v[0:1]|, |v[144:145]|
	v_cndmask_b32_e32 v1, v1, v145, vcc_lo
	v_cndmask_b32_e32 v0, v0, v144, vcc_lo
	v_cndmask_b32_e64 v134, v134, s0, vcc_lo
	s_add_i32 s0, s0, 1
	s_cmp_lg_u32 s7, s0
	s_cbranch_scc1 .LBB126_473
.LBB126_474:
	s_mov_b32 s0, exec_lo
	s_waitcnt lgkmcnt(0)
	v_cmpx_eq_f64_e32 0, v[0:1]
	s_xor_b32 s0, exec_lo, s0
; %bb.475:
	v_cmp_ne_u32_e32 vcc_lo, 0, v137
	v_cndmask_b32_e32 v137, 29, v137, vcc_lo
; %bb.476:
	s_andn2_saveexec_b32 s0, s0
	s_cbranch_execz .LBB126_478
; %bb.477:
	v_div_scale_f64 v[135:136], null, v[0:1], v[0:1], 1.0
	v_rcp_f64_e32 v[144:145], v[135:136]
	v_fma_f64 v[146:147], -v[135:136], v[144:145], 1.0
	v_fma_f64 v[144:145], v[144:145], v[146:147], v[144:145]
	v_fma_f64 v[146:147], -v[135:136], v[144:145], 1.0
	v_fma_f64 v[144:145], v[144:145], v[146:147], v[144:145]
	v_div_scale_f64 v[146:147], vcc_lo, 1.0, v[0:1], 1.0
	v_mul_f64 v[148:149], v[146:147], v[144:145]
	v_fma_f64 v[135:136], -v[135:136], v[148:149], v[146:147]
	v_div_fmas_f64 v[135:136], v[135:136], v[144:145], v[148:149]
	v_div_fixup_f64 v[0:1], v[135:136], v[0:1], 1.0
.LBB126_478:
	s_or_b32 exec_lo, exec_lo, s0
	s_mov_b32 s0, exec_lo
	v_cmpx_ne_u32_e64 v143, v134
	s_xor_b32 s0, exec_lo, s0
	s_cbranch_execz .LBB126_484
; %bb.479:
	s_mov_b32 s1, exec_lo
	v_cmpx_eq_u32_e32 28, v143
	s_cbranch_execz .LBB126_483
; %bb.480:
	v_cmp_ne_u32_e32 vcc_lo, 28, v134
	s_xor_b32 s2, s6, -1
	s_and_b32 s3, s2, vcc_lo
	s_and_saveexec_b32 s2, s3
	s_cbranch_execz .LBB126_482
; %bb.481:
	v_ashrrev_i32_e32 v135, 31, v134
	v_lshlrev_b64 v[135:136], 2, v[134:135]
	v_add_co_u32 v135, vcc_lo, v4, v135
	v_add_co_ci_u32_e64 v136, null, v5, v136, vcc_lo
	s_clause 0x1
	global_load_dword v142, v[135:136], off
	global_load_dword v143, v[4:5], off offset:112
	s_waitcnt vmcnt(1)
	global_store_dword v[4:5], v142, off offset:112
	s_waitcnt vmcnt(0)
	global_store_dword v[135:136], v143, off
.LBB126_482:
	s_or_b32 exec_lo, exec_lo, s2
	v_mov_b32_e32 v142, v134
	v_mov_b32_e32 v143, v134
.LBB126_483:
	s_or_b32 exec_lo, exec_lo, s1
.LBB126_484:
	s_andn2_saveexec_b32 s0, s0
	s_cbranch_execz .LBB126_486
; %bb.485:
	v_mov_b32_e32 v143, 28
	ds_write2_b64 v140, v[72:73], v[70:71] offset0:29 offset1:30
	ds_write2_b64 v140, v[68:69], v[66:67] offset0:31 offset1:32
	;; [unrolled: 1-line block ×17, first 2 shown]
	ds_write_b64 v140, v[132:133] offset:504
.LBB126_486:
	s_or_b32 exec_lo, exec_lo, s0
	s_mov_b32 s0, exec_lo
	s_waitcnt lgkmcnt(0)
	s_waitcnt_vscnt null, 0x0
	s_barrier
	buffer_gl0_inv
	v_cmpx_lt_i32_e32 28, v143
	s_cbranch_execz .LBB126_488
; %bb.487:
	v_mul_f64 v[76:77], v[0:1], v[76:77]
	ds_read2_b64 v[144:147], v140 offset0:29 offset1:30
	ds_read2_b64 v[148:151], v140 offset0:31 offset1:32
	ds_read2_b64 v[152:155], v140 offset0:33 offset1:34
	ds_read2_b64 v[156:159], v140 offset0:35 offset1:36
	ds_read2_b64 v[160:163], v140 offset0:37 offset1:38
	ds_read2_b64 v[164:167], v140 offset0:39 offset1:40
	ds_read2_b64 v[168:171], v140 offset0:41 offset1:42
	ds_read2_b64 v[172:175], v140 offset0:43 offset1:44
	ds_read2_b64 v[176:179], v140 offset0:45 offset1:46
	ds_read2_b64 v[180:183], v140 offset0:47 offset1:48
	ds_read2_b64 v[184:187], v140 offset0:49 offset1:50
	ds_read2_b64 v[188:191], v140 offset0:51 offset1:52
	ds_read_b64 v[0:1], v140 offset:504
	s_waitcnt lgkmcnt(12)
	v_fma_f64 v[72:73], -v[76:77], v[144:145], v[72:73]
	v_fma_f64 v[70:71], -v[76:77], v[146:147], v[70:71]
	s_waitcnt lgkmcnt(11)
	v_fma_f64 v[68:69], -v[76:77], v[148:149], v[68:69]
	v_fma_f64 v[66:67], -v[76:77], v[150:151], v[66:67]
	s_waitcnt lgkmcnt(10)
	v_fma_f64 v[64:65], -v[76:77], v[152:153], v[64:65]
	v_fma_f64 v[62:63], -v[76:77], v[154:155], v[62:63]
	s_waitcnt lgkmcnt(9)
	v_fma_f64 v[58:59], -v[76:77], v[156:157], v[58:59]
	v_fma_f64 v[60:61], -v[76:77], v[158:159], v[60:61]
	s_waitcnt lgkmcnt(8)
	v_fma_f64 v[54:55], -v[76:77], v[160:161], v[54:55]
	v_fma_f64 v[56:57], -v[76:77], v[162:163], v[56:57]
	ds_read2_b64 v[144:147], v140 offset0:53 offset1:54
	ds_read2_b64 v[148:151], v140 offset0:55 offset1:56
	;; [unrolled: 1-line block ×5, first 2 shown]
	s_waitcnt lgkmcnt(12)
	v_fma_f64 v[52:53], -v[76:77], v[164:165], v[52:53]
	v_fma_f64 v[50:51], -v[76:77], v[166:167], v[50:51]
	s_waitcnt lgkmcnt(11)
	v_fma_f64 v[48:49], -v[76:77], v[168:169], v[48:49]
	v_fma_f64 v[46:47], -v[76:77], v[170:171], v[46:47]
	;; [unrolled: 3-line block ×7, first 2 shown]
	s_waitcnt lgkmcnt(5)
	v_fma_f64 v[132:133], -v[76:77], v[0:1], v[132:133]
	s_waitcnt lgkmcnt(4)
	v_fma_f64 v[24:25], -v[76:77], v[144:145], v[24:25]
	v_fma_f64 v[22:23], -v[76:77], v[146:147], v[22:23]
	s_waitcnt lgkmcnt(3)
	v_fma_f64 v[18:19], -v[76:77], v[148:149], v[18:19]
	;; [unrolled: 3-line block ×5, first 2 shown]
	v_fma_f64 v[10:11], -v[76:77], v[162:163], v[10:11]
.LBB126_488:
	s_or_b32 exec_lo, exec_lo, s0
	v_lshl_add_u32 v0, v143, 3, v140
	s_barrier
	buffer_gl0_inv
	v_mov_b32_e32 v134, 29
	ds_write_b64 v0, v[72:73]
	s_waitcnt lgkmcnt(0)
	s_barrier
	buffer_gl0_inv
	ds_read_b64 v[0:1], v140 offset:232
	s_cmp_lt_i32 s7, 31
	s_cbranch_scc1 .LBB126_491
; %bb.489:
	v_add3_u32 v135, v141, 0, 0xf0
	v_mov_b32_e32 v134, 29
	s_mov_b32 s0, 30
.LBB126_490:                            ; =>This Inner Loop Header: Depth=1
	ds_read_b64 v[144:145], v135
	v_add_nc_u32_e32 v135, 8, v135
	s_waitcnt lgkmcnt(0)
	v_cmp_lt_f64_e64 vcc_lo, |v[0:1]|, |v[144:145]|
	v_cndmask_b32_e32 v1, v1, v145, vcc_lo
	v_cndmask_b32_e32 v0, v0, v144, vcc_lo
	v_cndmask_b32_e64 v134, v134, s0, vcc_lo
	s_add_i32 s0, s0, 1
	s_cmp_lg_u32 s7, s0
	s_cbranch_scc1 .LBB126_490
.LBB126_491:
	s_mov_b32 s0, exec_lo
	s_waitcnt lgkmcnt(0)
	v_cmpx_eq_f64_e32 0, v[0:1]
	s_xor_b32 s0, exec_lo, s0
; %bb.492:
	v_cmp_ne_u32_e32 vcc_lo, 0, v137
	v_cndmask_b32_e32 v137, 30, v137, vcc_lo
; %bb.493:
	s_andn2_saveexec_b32 s0, s0
	s_cbranch_execz .LBB126_495
; %bb.494:
	v_div_scale_f64 v[135:136], null, v[0:1], v[0:1], 1.0
	v_rcp_f64_e32 v[144:145], v[135:136]
	v_fma_f64 v[146:147], -v[135:136], v[144:145], 1.0
	v_fma_f64 v[144:145], v[144:145], v[146:147], v[144:145]
	v_fma_f64 v[146:147], -v[135:136], v[144:145], 1.0
	v_fma_f64 v[144:145], v[144:145], v[146:147], v[144:145]
	v_div_scale_f64 v[146:147], vcc_lo, 1.0, v[0:1], 1.0
	v_mul_f64 v[148:149], v[146:147], v[144:145]
	v_fma_f64 v[135:136], -v[135:136], v[148:149], v[146:147]
	v_div_fmas_f64 v[135:136], v[135:136], v[144:145], v[148:149]
	v_div_fixup_f64 v[0:1], v[135:136], v[0:1], 1.0
.LBB126_495:
	s_or_b32 exec_lo, exec_lo, s0
	s_mov_b32 s0, exec_lo
	v_cmpx_ne_u32_e64 v143, v134
	s_xor_b32 s0, exec_lo, s0
	s_cbranch_execz .LBB126_501
; %bb.496:
	s_mov_b32 s1, exec_lo
	v_cmpx_eq_u32_e32 29, v143
	s_cbranch_execz .LBB126_500
; %bb.497:
	v_cmp_ne_u32_e32 vcc_lo, 29, v134
	s_xor_b32 s2, s6, -1
	s_and_b32 s3, s2, vcc_lo
	s_and_saveexec_b32 s2, s3
	s_cbranch_execz .LBB126_499
; %bb.498:
	v_ashrrev_i32_e32 v135, 31, v134
	v_lshlrev_b64 v[135:136], 2, v[134:135]
	v_add_co_u32 v135, vcc_lo, v4, v135
	v_add_co_ci_u32_e64 v136, null, v5, v136, vcc_lo
	s_clause 0x1
	global_load_dword v142, v[135:136], off
	global_load_dword v143, v[4:5], off offset:116
	s_waitcnt vmcnt(1)
	global_store_dword v[4:5], v142, off offset:116
	s_waitcnt vmcnt(0)
	global_store_dword v[135:136], v143, off
.LBB126_499:
	s_or_b32 exec_lo, exec_lo, s2
	v_mov_b32_e32 v142, v134
	v_mov_b32_e32 v143, v134
.LBB126_500:
	s_or_b32 exec_lo, exec_lo, s1
.LBB126_501:
	s_andn2_saveexec_b32 s0, s0
	s_cbranch_execz .LBB126_503
; %bb.502:
	v_mov_b32_e32 v134, v70
	v_mov_b32_e32 v135, v71
	;; [unrolled: 1-line block ×12, first 2 shown]
	ds_write2_b64 v140, v[134:135], v[143:144] offset0:30 offset1:31
	ds_write2_b64 v140, v[145:146], v[147:148] offset0:32 offset1:33
	;; [unrolled: 1-line block ×3, first 2 shown]
	v_mov_b32_e32 v134, v60
	v_mov_b32_e32 v135, v61
	;; [unrolled: 1-line block ×20, first 2 shown]
	ds_write2_b64 v140, v[134:135], v[143:144] offset0:36 offset1:37
	ds_write2_b64 v140, v[145:146], v[147:148] offset0:38 offset1:39
	ds_write2_b64 v140, v[149:150], v[151:152] offset0:40 offset1:41
	ds_write2_b64 v140, v[153:154], v[155:156] offset0:42 offset1:43
	ds_write2_b64 v140, v[157:158], v[159:160] offset0:44 offset1:45
	v_mov_b32_e32 v134, v40
	v_mov_b32_e32 v135, v41
	;; [unrolled: 1-line block ×20, first 2 shown]
	ds_write2_b64 v140, v[134:135], v[143:144] offset0:46 offset1:47
	ds_write2_b64 v140, v[145:146], v[147:148] offset0:48 offset1:49
	;; [unrolled: 1-line block ×5, first 2 shown]
	v_mov_b32_e32 v134, v20
	v_mov_b32_e32 v135, v21
	;; [unrolled: 1-line block ×15, first 2 shown]
	ds_write2_b64 v140, v[134:135], v[144:145] offset0:56 offset1:57
	ds_write2_b64 v140, v[146:147], v[148:149] offset0:58 offset1:59
	;; [unrolled: 1-line block ×4, first 2 shown]
.LBB126_503:
	s_or_b32 exec_lo, exec_lo, s0
	s_mov_b32 s0, exec_lo
	s_waitcnt lgkmcnt(0)
	s_waitcnt_vscnt null, 0x0
	s_barrier
	buffer_gl0_inv
	v_cmpx_lt_i32_e32 29, v143
	s_cbranch_execz .LBB126_505
; %bb.504:
	v_mul_f64 v[72:73], v[0:1], v[72:73]
	ds_read2_b64 v[144:147], v140 offset0:30 offset1:31
	ds_read2_b64 v[148:151], v140 offset0:32 offset1:33
	;; [unrolled: 1-line block ×13, first 2 shown]
	s_waitcnt lgkmcnt(12)
	v_fma_f64 v[70:71], -v[72:73], v[144:145], v[70:71]
	v_fma_f64 v[68:69], -v[72:73], v[146:147], v[68:69]
	s_waitcnt lgkmcnt(11)
	v_fma_f64 v[66:67], -v[72:73], v[148:149], v[66:67]
	v_fma_f64 v[64:65], -v[72:73], v[150:151], v[64:65]
	;; [unrolled: 3-line block ×4, first 2 shown]
	ds_read2_b64 v[144:147], v140 offset0:56 offset1:57
	ds_read2_b64 v[148:151], v140 offset0:58 offset1:59
	ds_read2_b64 v[152:155], v140 offset0:60 offset1:61
	ds_read2_b64 v[156:159], v140 offset0:62 offset1:63
	s_waitcnt lgkmcnt(12)
	v_fma_f64 v[56:57], -v[72:73], v[160:161], v[56:57]
	v_fma_f64 v[52:53], -v[72:73], v[162:163], v[52:53]
	s_waitcnt lgkmcnt(11)
	v_fma_f64 v[50:51], -v[72:73], v[164:165], v[50:51]
	v_fma_f64 v[48:49], -v[72:73], v[166:167], v[48:49]
	;; [unrolled: 3-line block ×13, first 2 shown]
.LBB126_505:
	s_or_b32 exec_lo, exec_lo, s0
	v_lshl_add_u32 v0, v143, 3, v140
	s_barrier
	buffer_gl0_inv
	v_mov_b32_e32 v134, 30
	ds_write_b64 v0, v[70:71]
	s_waitcnt lgkmcnt(0)
	s_barrier
	buffer_gl0_inv
	ds_read_b64 v[0:1], v140 offset:240
	s_cmp_lt_i32 s7, 32
	s_cbranch_scc1 .LBB126_508
; %bb.506:
	v_add3_u32 v135, v141, 0, 0xf8
	v_mov_b32_e32 v134, 30
	s_mov_b32 s0, 31
.LBB126_507:                            ; =>This Inner Loop Header: Depth=1
	ds_read_b64 v[144:145], v135
	v_add_nc_u32_e32 v135, 8, v135
	s_waitcnt lgkmcnt(0)
	v_cmp_lt_f64_e64 vcc_lo, |v[0:1]|, |v[144:145]|
	v_cndmask_b32_e32 v1, v1, v145, vcc_lo
	v_cndmask_b32_e32 v0, v0, v144, vcc_lo
	v_cndmask_b32_e64 v134, v134, s0, vcc_lo
	s_add_i32 s0, s0, 1
	s_cmp_lg_u32 s7, s0
	s_cbranch_scc1 .LBB126_507
.LBB126_508:
	s_mov_b32 s0, exec_lo
	s_waitcnt lgkmcnt(0)
	v_cmpx_eq_f64_e32 0, v[0:1]
	s_xor_b32 s0, exec_lo, s0
; %bb.509:
	v_cmp_ne_u32_e32 vcc_lo, 0, v137
	v_cndmask_b32_e32 v137, 31, v137, vcc_lo
; %bb.510:
	s_andn2_saveexec_b32 s0, s0
	s_cbranch_execz .LBB126_512
; %bb.511:
	v_div_scale_f64 v[135:136], null, v[0:1], v[0:1], 1.0
	v_rcp_f64_e32 v[144:145], v[135:136]
	v_fma_f64 v[146:147], -v[135:136], v[144:145], 1.0
	v_fma_f64 v[144:145], v[144:145], v[146:147], v[144:145]
	v_fma_f64 v[146:147], -v[135:136], v[144:145], 1.0
	v_fma_f64 v[144:145], v[144:145], v[146:147], v[144:145]
	v_div_scale_f64 v[146:147], vcc_lo, 1.0, v[0:1], 1.0
	v_mul_f64 v[148:149], v[146:147], v[144:145]
	v_fma_f64 v[135:136], -v[135:136], v[148:149], v[146:147]
	v_div_fmas_f64 v[135:136], v[135:136], v[144:145], v[148:149]
	v_div_fixup_f64 v[0:1], v[135:136], v[0:1], 1.0
.LBB126_512:
	s_or_b32 exec_lo, exec_lo, s0
	s_mov_b32 s0, exec_lo
	v_cmpx_ne_u32_e64 v143, v134
	s_xor_b32 s0, exec_lo, s0
	s_cbranch_execz .LBB126_518
; %bb.513:
	s_mov_b32 s1, exec_lo
	v_cmpx_eq_u32_e32 30, v143
	s_cbranch_execz .LBB126_517
; %bb.514:
	v_cmp_ne_u32_e32 vcc_lo, 30, v134
	s_xor_b32 s2, s6, -1
	s_and_b32 s3, s2, vcc_lo
	s_and_saveexec_b32 s2, s3
	s_cbranch_execz .LBB126_516
; %bb.515:
	v_ashrrev_i32_e32 v135, 31, v134
	v_lshlrev_b64 v[135:136], 2, v[134:135]
	v_add_co_u32 v135, vcc_lo, v4, v135
	v_add_co_ci_u32_e64 v136, null, v5, v136, vcc_lo
	s_clause 0x1
	global_load_dword v142, v[135:136], off
	global_load_dword v143, v[4:5], off offset:120
	s_waitcnt vmcnt(1)
	global_store_dword v[4:5], v142, off offset:120
	s_waitcnt vmcnt(0)
	global_store_dword v[135:136], v143, off
.LBB126_516:
	s_or_b32 exec_lo, exec_lo, s2
	v_mov_b32_e32 v142, v134
	v_mov_b32_e32 v143, v134
.LBB126_517:
	s_or_b32 exec_lo, exec_lo, s1
.LBB126_518:
	s_andn2_saveexec_b32 s0, s0
	s_cbranch_execz .LBB126_520
; %bb.519:
	v_mov_b32_e32 v143, 30
	ds_write2_b64 v140, v[68:69], v[66:67] offset0:31 offset1:32
	ds_write2_b64 v140, v[64:65], v[62:63] offset0:33 offset1:34
	;; [unrolled: 1-line block ×16, first 2 shown]
	ds_write_b64 v140, v[132:133] offset:504
.LBB126_520:
	s_or_b32 exec_lo, exec_lo, s0
	s_mov_b32 s0, exec_lo
	s_waitcnt lgkmcnt(0)
	s_waitcnt_vscnt null, 0x0
	s_barrier
	buffer_gl0_inv
	v_cmpx_lt_i32_e32 30, v143
	s_cbranch_execz .LBB126_522
; %bb.521:
	v_mul_f64 v[70:71], v[0:1], v[70:71]
	ds_read2_b64 v[144:147], v140 offset0:31 offset1:32
	ds_read2_b64 v[148:151], v140 offset0:33 offset1:34
	;; [unrolled: 1-line block ×13, first 2 shown]
	ds_read_b64 v[0:1], v140 offset:504
	s_waitcnt lgkmcnt(13)
	v_fma_f64 v[68:69], -v[70:71], v[144:145], v[68:69]
	v_fma_f64 v[66:67], -v[70:71], v[146:147], v[66:67]
	s_waitcnt lgkmcnt(12)
	v_fma_f64 v[64:65], -v[70:71], v[148:149], v[64:65]
	v_fma_f64 v[62:63], -v[70:71], v[150:151], v[62:63]
	;; [unrolled: 3-line block ×3, first 2 shown]
	ds_read2_b64 v[144:147], v140 offset0:57 offset1:58
	ds_read2_b64 v[148:151], v140 offset0:59 offset1:60
	;; [unrolled: 1-line block ×3, first 2 shown]
	s_waitcnt lgkmcnt(13)
	v_fma_f64 v[54:55], -v[70:71], v[156:157], v[54:55]
	v_fma_f64 v[56:57], -v[70:71], v[158:159], v[56:57]
	s_waitcnt lgkmcnt(12)
	v_fma_f64 v[52:53], -v[70:71], v[160:161], v[52:53]
	v_fma_f64 v[50:51], -v[70:71], v[162:163], v[50:51]
	;; [unrolled: 3-line block ×13, first 2 shown]
	v_fma_f64 v[132:133], -v[70:71], v[0:1], v[132:133]
.LBB126_522:
	s_or_b32 exec_lo, exec_lo, s0
	v_lshl_add_u32 v0, v143, 3, v140
	s_barrier
	buffer_gl0_inv
	v_mov_b32_e32 v134, 31
	ds_write_b64 v0, v[68:69]
	s_waitcnt lgkmcnt(0)
	s_barrier
	buffer_gl0_inv
	ds_read_b64 v[0:1], v140 offset:248
	s_cmp_lt_i32 s7, 33
	s_cbranch_scc1 .LBB126_525
; %bb.523:
	v_add3_u32 v135, v141, 0, 0x100
	v_mov_b32_e32 v134, 31
	s_mov_b32 s0, 32
.LBB126_524:                            ; =>This Inner Loop Header: Depth=1
	ds_read_b64 v[144:145], v135
	v_add_nc_u32_e32 v135, 8, v135
	s_waitcnt lgkmcnt(0)
	v_cmp_lt_f64_e64 vcc_lo, |v[0:1]|, |v[144:145]|
	v_cndmask_b32_e32 v1, v1, v145, vcc_lo
	v_cndmask_b32_e32 v0, v0, v144, vcc_lo
	v_cndmask_b32_e64 v134, v134, s0, vcc_lo
	s_add_i32 s0, s0, 1
	s_cmp_lg_u32 s7, s0
	s_cbranch_scc1 .LBB126_524
.LBB126_525:
	s_mov_b32 s0, exec_lo
	s_waitcnt lgkmcnt(0)
	v_cmpx_eq_f64_e32 0, v[0:1]
	s_xor_b32 s0, exec_lo, s0
; %bb.526:
	v_cmp_ne_u32_e32 vcc_lo, 0, v137
	v_cndmask_b32_e32 v137, 32, v137, vcc_lo
; %bb.527:
	s_andn2_saveexec_b32 s0, s0
	s_cbranch_execz .LBB126_529
; %bb.528:
	v_div_scale_f64 v[135:136], null, v[0:1], v[0:1], 1.0
	v_rcp_f64_e32 v[144:145], v[135:136]
	v_fma_f64 v[146:147], -v[135:136], v[144:145], 1.0
	v_fma_f64 v[144:145], v[144:145], v[146:147], v[144:145]
	v_fma_f64 v[146:147], -v[135:136], v[144:145], 1.0
	v_fma_f64 v[144:145], v[144:145], v[146:147], v[144:145]
	v_div_scale_f64 v[146:147], vcc_lo, 1.0, v[0:1], 1.0
	v_mul_f64 v[148:149], v[146:147], v[144:145]
	v_fma_f64 v[135:136], -v[135:136], v[148:149], v[146:147]
	v_div_fmas_f64 v[135:136], v[135:136], v[144:145], v[148:149]
	v_div_fixup_f64 v[0:1], v[135:136], v[0:1], 1.0
.LBB126_529:
	s_or_b32 exec_lo, exec_lo, s0
	s_mov_b32 s0, exec_lo
	v_cmpx_ne_u32_e64 v143, v134
	s_xor_b32 s0, exec_lo, s0
	s_cbranch_execz .LBB126_535
; %bb.530:
	s_mov_b32 s1, exec_lo
	v_cmpx_eq_u32_e32 31, v143
	s_cbranch_execz .LBB126_534
; %bb.531:
	v_cmp_ne_u32_e32 vcc_lo, 31, v134
	s_xor_b32 s2, s6, -1
	s_and_b32 s3, s2, vcc_lo
	s_and_saveexec_b32 s2, s3
	s_cbranch_execz .LBB126_533
; %bb.532:
	v_ashrrev_i32_e32 v135, 31, v134
	v_lshlrev_b64 v[135:136], 2, v[134:135]
	v_add_co_u32 v135, vcc_lo, v4, v135
	v_add_co_ci_u32_e64 v136, null, v5, v136, vcc_lo
	s_clause 0x1
	global_load_dword v142, v[135:136], off
	global_load_dword v143, v[4:5], off offset:124
	s_waitcnt vmcnt(1)
	global_store_dword v[4:5], v142, off offset:124
	s_waitcnt vmcnt(0)
	global_store_dword v[135:136], v143, off
.LBB126_533:
	s_or_b32 exec_lo, exec_lo, s2
	v_mov_b32_e32 v142, v134
	v_mov_b32_e32 v143, v134
.LBB126_534:
	s_or_b32 exec_lo, exec_lo, s1
.LBB126_535:
	s_andn2_saveexec_b32 s0, s0
	s_cbranch_execz .LBB126_537
; %bb.536:
	v_mov_b32_e32 v134, v66
	v_mov_b32_e32 v135, v67
	;; [unrolled: 1-line block ×8, first 2 shown]
	ds_write2_b64 v140, v[134:135], v[143:144] offset0:32 offset1:33
	ds_write2_b64 v140, v[145:146], v[147:148] offset0:34 offset1:35
	v_mov_b32_e32 v134, v60
	v_mov_b32_e32 v135, v61
	;; [unrolled: 1-line block ×20, first 2 shown]
	ds_write2_b64 v140, v[134:135], v[143:144] offset0:36 offset1:37
	ds_write2_b64 v140, v[145:146], v[147:148] offset0:38 offset1:39
	;; [unrolled: 1-line block ×5, first 2 shown]
	v_mov_b32_e32 v134, v40
	v_mov_b32_e32 v135, v41
	;; [unrolled: 1-line block ×20, first 2 shown]
	ds_write2_b64 v140, v[134:135], v[143:144] offset0:46 offset1:47
	ds_write2_b64 v140, v[145:146], v[147:148] offset0:48 offset1:49
	;; [unrolled: 1-line block ×5, first 2 shown]
	v_mov_b32_e32 v134, v20
	v_mov_b32_e32 v135, v21
	;; [unrolled: 1-line block ×15, first 2 shown]
	ds_write2_b64 v140, v[134:135], v[144:145] offset0:56 offset1:57
	ds_write2_b64 v140, v[146:147], v[148:149] offset0:58 offset1:59
	ds_write2_b64 v140, v[150:151], v[152:153] offset0:60 offset1:61
	ds_write2_b64 v140, v[154:155], v[132:133] offset0:62 offset1:63
.LBB126_537:
	s_or_b32 exec_lo, exec_lo, s0
	s_mov_b32 s0, exec_lo
	s_waitcnt lgkmcnt(0)
	s_waitcnt_vscnt null, 0x0
	s_barrier
	buffer_gl0_inv
	v_cmpx_lt_i32_e32 31, v143
	s_cbranch_execz .LBB126_539
; %bb.538:
	v_mul_f64 v[68:69], v[0:1], v[68:69]
	ds_read2_b64 v[144:147], v140 offset0:32 offset1:33
	ds_read2_b64 v[148:151], v140 offset0:34 offset1:35
	;; [unrolled: 1-line block ×13, first 2 shown]
	s_waitcnt lgkmcnt(12)
	v_fma_f64 v[66:67], -v[68:69], v[144:145], v[66:67]
	v_fma_f64 v[64:65], -v[68:69], v[146:147], v[64:65]
	s_waitcnt lgkmcnt(11)
	v_fma_f64 v[62:63], -v[68:69], v[148:149], v[62:63]
	v_fma_f64 v[58:59], -v[68:69], v[150:151], v[58:59]
	;; [unrolled: 3-line block ×3, first 2 shown]
	ds_read2_b64 v[144:147], v140 offset0:58 offset1:59
	ds_read2_b64 v[148:151], v140 offset0:60 offset1:61
	ds_read2_b64 v[152:155], v140 offset0:62 offset1:63
	s_waitcnt lgkmcnt(12)
	v_fma_f64 v[56:57], -v[68:69], v[156:157], v[56:57]
	v_fma_f64 v[52:53], -v[68:69], v[158:159], v[52:53]
	s_waitcnt lgkmcnt(11)
	v_fma_f64 v[50:51], -v[68:69], v[160:161], v[50:51]
	v_fma_f64 v[48:49], -v[68:69], v[162:163], v[48:49]
	;; [unrolled: 3-line block ×13, first 2 shown]
.LBB126_539:
	s_or_b32 exec_lo, exec_lo, s0
	v_lshl_add_u32 v0, v143, 3, v140
	s_barrier
	buffer_gl0_inv
	v_mov_b32_e32 v134, 32
	ds_write_b64 v0, v[66:67]
	s_waitcnt lgkmcnt(0)
	s_barrier
	buffer_gl0_inv
	ds_read_b64 v[0:1], v140 offset:256
	s_cmp_lt_i32 s7, 34
	s_cbranch_scc1 .LBB126_542
; %bb.540:
	v_add3_u32 v135, v141, 0, 0x108
	v_mov_b32_e32 v134, 32
	s_mov_b32 s0, 33
.LBB126_541:                            ; =>This Inner Loop Header: Depth=1
	ds_read_b64 v[144:145], v135
	v_add_nc_u32_e32 v135, 8, v135
	s_waitcnt lgkmcnt(0)
	v_cmp_lt_f64_e64 vcc_lo, |v[0:1]|, |v[144:145]|
	v_cndmask_b32_e32 v1, v1, v145, vcc_lo
	v_cndmask_b32_e32 v0, v0, v144, vcc_lo
	v_cndmask_b32_e64 v134, v134, s0, vcc_lo
	s_add_i32 s0, s0, 1
	s_cmp_lg_u32 s7, s0
	s_cbranch_scc1 .LBB126_541
.LBB126_542:
	s_mov_b32 s0, exec_lo
	s_waitcnt lgkmcnt(0)
	v_cmpx_eq_f64_e32 0, v[0:1]
	s_xor_b32 s0, exec_lo, s0
; %bb.543:
	v_cmp_ne_u32_e32 vcc_lo, 0, v137
	v_cndmask_b32_e32 v137, 33, v137, vcc_lo
; %bb.544:
	s_andn2_saveexec_b32 s0, s0
	s_cbranch_execz .LBB126_546
; %bb.545:
	v_div_scale_f64 v[135:136], null, v[0:1], v[0:1], 1.0
	v_rcp_f64_e32 v[144:145], v[135:136]
	v_fma_f64 v[146:147], -v[135:136], v[144:145], 1.0
	v_fma_f64 v[144:145], v[144:145], v[146:147], v[144:145]
	v_fma_f64 v[146:147], -v[135:136], v[144:145], 1.0
	v_fma_f64 v[144:145], v[144:145], v[146:147], v[144:145]
	v_div_scale_f64 v[146:147], vcc_lo, 1.0, v[0:1], 1.0
	v_mul_f64 v[148:149], v[146:147], v[144:145]
	v_fma_f64 v[135:136], -v[135:136], v[148:149], v[146:147]
	v_div_fmas_f64 v[135:136], v[135:136], v[144:145], v[148:149]
	v_div_fixup_f64 v[0:1], v[135:136], v[0:1], 1.0
.LBB126_546:
	s_or_b32 exec_lo, exec_lo, s0
	s_mov_b32 s0, exec_lo
	v_cmpx_ne_u32_e64 v143, v134
	s_xor_b32 s0, exec_lo, s0
	s_cbranch_execz .LBB126_552
; %bb.547:
	s_mov_b32 s1, exec_lo
	v_cmpx_eq_u32_e32 32, v143
	s_cbranch_execz .LBB126_551
; %bb.548:
	v_cmp_ne_u32_e32 vcc_lo, 32, v134
	s_xor_b32 s2, s6, -1
	s_and_b32 s3, s2, vcc_lo
	s_and_saveexec_b32 s2, s3
	s_cbranch_execz .LBB126_550
; %bb.549:
	v_ashrrev_i32_e32 v135, 31, v134
	v_lshlrev_b64 v[135:136], 2, v[134:135]
	v_add_co_u32 v135, vcc_lo, v4, v135
	v_add_co_ci_u32_e64 v136, null, v5, v136, vcc_lo
	s_clause 0x1
	global_load_dword v142, v[135:136], off
	global_load_dword v143, v[4:5], off offset:128
	s_waitcnt vmcnt(1)
	global_store_dword v[4:5], v142, off offset:128
	s_waitcnt vmcnt(0)
	global_store_dword v[135:136], v143, off
.LBB126_550:
	s_or_b32 exec_lo, exec_lo, s2
	v_mov_b32_e32 v142, v134
	v_mov_b32_e32 v143, v134
.LBB126_551:
	s_or_b32 exec_lo, exec_lo, s1
.LBB126_552:
	s_andn2_saveexec_b32 s0, s0
	s_cbranch_execz .LBB126_554
; %bb.553:
	v_mov_b32_e32 v143, 32
	ds_write2_b64 v140, v[64:65], v[62:63] offset0:33 offset1:34
	ds_write2_b64 v140, v[58:59], v[60:61] offset0:35 offset1:36
	;; [unrolled: 1-line block ×15, first 2 shown]
	ds_write_b64 v140, v[132:133] offset:504
.LBB126_554:
	s_or_b32 exec_lo, exec_lo, s0
	s_mov_b32 s0, exec_lo
	s_waitcnt lgkmcnt(0)
	s_waitcnt_vscnt null, 0x0
	s_barrier
	buffer_gl0_inv
	v_cmpx_lt_i32_e32 32, v143
	s_cbranch_execz .LBB126_556
; %bb.555:
	v_mul_f64 v[66:67], v[0:1], v[66:67]
	ds_read2_b64 v[144:147], v140 offset0:33 offset1:34
	ds_read2_b64 v[148:151], v140 offset0:35 offset1:36
	;; [unrolled: 1-line block ×13, first 2 shown]
	ds_read_b64 v[0:1], v140 offset:504
	s_waitcnt lgkmcnt(13)
	v_fma_f64 v[64:65], -v[66:67], v[144:145], v[64:65]
	v_fma_f64 v[62:63], -v[66:67], v[146:147], v[62:63]
	s_waitcnt lgkmcnt(12)
	v_fma_f64 v[58:59], -v[66:67], v[148:149], v[58:59]
	v_fma_f64 v[60:61], -v[66:67], v[150:151], v[60:61]
	ds_read2_b64 v[144:147], v140 offset0:59 offset1:60
	ds_read2_b64 v[148:151], v140 offset0:61 offset1:62
	s_waitcnt lgkmcnt(13)
	v_fma_f64 v[54:55], -v[66:67], v[152:153], v[54:55]
	v_fma_f64 v[56:57], -v[66:67], v[154:155], v[56:57]
	s_waitcnt lgkmcnt(12)
	v_fma_f64 v[52:53], -v[66:67], v[156:157], v[52:53]
	v_fma_f64 v[50:51], -v[66:67], v[158:159], v[50:51]
	;; [unrolled: 3-line block ×13, first 2 shown]
	v_fma_f64 v[132:133], -v[66:67], v[0:1], v[132:133]
.LBB126_556:
	s_or_b32 exec_lo, exec_lo, s0
	v_lshl_add_u32 v0, v143, 3, v140
	s_barrier
	buffer_gl0_inv
	v_mov_b32_e32 v134, 33
	ds_write_b64 v0, v[64:65]
	s_waitcnt lgkmcnt(0)
	s_barrier
	buffer_gl0_inv
	ds_read_b64 v[0:1], v140 offset:264
	s_cmp_lt_i32 s7, 35
	s_cbranch_scc1 .LBB126_559
; %bb.557:
	v_add3_u32 v135, v141, 0, 0x110
	v_mov_b32_e32 v134, 33
	s_mov_b32 s0, 34
.LBB126_558:                            ; =>This Inner Loop Header: Depth=1
	ds_read_b64 v[144:145], v135
	v_add_nc_u32_e32 v135, 8, v135
	s_waitcnt lgkmcnt(0)
	v_cmp_lt_f64_e64 vcc_lo, |v[0:1]|, |v[144:145]|
	v_cndmask_b32_e32 v1, v1, v145, vcc_lo
	v_cndmask_b32_e32 v0, v0, v144, vcc_lo
	v_cndmask_b32_e64 v134, v134, s0, vcc_lo
	s_add_i32 s0, s0, 1
	s_cmp_lg_u32 s7, s0
	s_cbranch_scc1 .LBB126_558
.LBB126_559:
	s_mov_b32 s0, exec_lo
	s_waitcnt lgkmcnt(0)
	v_cmpx_eq_f64_e32 0, v[0:1]
	s_xor_b32 s0, exec_lo, s0
; %bb.560:
	v_cmp_ne_u32_e32 vcc_lo, 0, v137
	v_cndmask_b32_e32 v137, 34, v137, vcc_lo
; %bb.561:
	s_andn2_saveexec_b32 s0, s0
	s_cbranch_execz .LBB126_563
; %bb.562:
	v_div_scale_f64 v[135:136], null, v[0:1], v[0:1], 1.0
	v_rcp_f64_e32 v[144:145], v[135:136]
	v_fma_f64 v[146:147], -v[135:136], v[144:145], 1.0
	v_fma_f64 v[144:145], v[144:145], v[146:147], v[144:145]
	v_fma_f64 v[146:147], -v[135:136], v[144:145], 1.0
	v_fma_f64 v[144:145], v[144:145], v[146:147], v[144:145]
	v_div_scale_f64 v[146:147], vcc_lo, 1.0, v[0:1], 1.0
	v_mul_f64 v[148:149], v[146:147], v[144:145]
	v_fma_f64 v[135:136], -v[135:136], v[148:149], v[146:147]
	v_div_fmas_f64 v[135:136], v[135:136], v[144:145], v[148:149]
	v_div_fixup_f64 v[0:1], v[135:136], v[0:1], 1.0
.LBB126_563:
	s_or_b32 exec_lo, exec_lo, s0
	s_mov_b32 s0, exec_lo
	v_cmpx_ne_u32_e64 v143, v134
	s_xor_b32 s0, exec_lo, s0
	s_cbranch_execz .LBB126_569
; %bb.564:
	s_mov_b32 s1, exec_lo
	v_cmpx_eq_u32_e32 33, v143
	s_cbranch_execz .LBB126_568
; %bb.565:
	v_cmp_ne_u32_e32 vcc_lo, 33, v134
	s_xor_b32 s2, s6, -1
	s_and_b32 s3, s2, vcc_lo
	s_and_saveexec_b32 s2, s3
	s_cbranch_execz .LBB126_567
; %bb.566:
	v_ashrrev_i32_e32 v135, 31, v134
	v_lshlrev_b64 v[135:136], 2, v[134:135]
	v_add_co_u32 v135, vcc_lo, v4, v135
	v_add_co_ci_u32_e64 v136, null, v5, v136, vcc_lo
	s_clause 0x1
	global_load_dword v142, v[135:136], off
	global_load_dword v143, v[4:5], off offset:132
	s_waitcnt vmcnt(1)
	global_store_dword v[4:5], v142, off offset:132
	s_waitcnt vmcnt(0)
	global_store_dword v[135:136], v143, off
.LBB126_567:
	s_or_b32 exec_lo, exec_lo, s2
	v_mov_b32_e32 v142, v134
	v_mov_b32_e32 v143, v134
.LBB126_568:
	s_or_b32 exec_lo, exec_lo, s1
.LBB126_569:
	s_andn2_saveexec_b32 s0, s0
	s_cbranch_execz .LBB126_571
; %bb.570:
	v_mov_b32_e32 v134, v62
	v_mov_b32_e32 v135, v63
	;; [unrolled: 1-line block ×8, first 2 shown]
	ds_write2_b64 v140, v[134:135], v[143:144] offset0:34 offset1:35
	v_mov_b32_e32 v134, v54
	v_mov_b32_e32 v135, v55
	;; [unrolled: 1-line block ×16, first 2 shown]
	ds_write2_b64 v140, v[145:146], v[134:135] offset0:36 offset1:37
	ds_write2_b64 v140, v[143:144], v[147:148] offset0:38 offset1:39
	;; [unrolled: 1-line block ×5, first 2 shown]
	v_mov_b32_e32 v134, v40
	v_mov_b32_e32 v135, v41
	;; [unrolled: 1-line block ×20, first 2 shown]
	ds_write2_b64 v140, v[134:135], v[143:144] offset0:46 offset1:47
	ds_write2_b64 v140, v[145:146], v[147:148] offset0:48 offset1:49
	;; [unrolled: 1-line block ×5, first 2 shown]
	v_mov_b32_e32 v134, v20
	v_mov_b32_e32 v135, v21
	;; [unrolled: 1-line block ×15, first 2 shown]
	ds_write2_b64 v140, v[134:135], v[144:145] offset0:56 offset1:57
	ds_write2_b64 v140, v[146:147], v[148:149] offset0:58 offset1:59
	;; [unrolled: 1-line block ×4, first 2 shown]
.LBB126_571:
	s_or_b32 exec_lo, exec_lo, s0
	s_mov_b32 s0, exec_lo
	s_waitcnt lgkmcnt(0)
	s_waitcnt_vscnt null, 0x0
	s_barrier
	buffer_gl0_inv
	v_cmpx_lt_i32_e32 33, v143
	s_cbranch_execz .LBB126_573
; %bb.572:
	v_mul_f64 v[64:65], v[0:1], v[64:65]
	ds_read2_b64 v[144:147], v140 offset0:34 offset1:35
	ds_read2_b64 v[148:151], v140 offset0:36 offset1:37
	;; [unrolled: 1-line block ×14, first 2 shown]
	s_waitcnt lgkmcnt(13)
	v_fma_f64 v[62:63], -v[64:65], v[144:145], v[62:63]
	v_fma_f64 v[58:59], -v[64:65], v[146:147], v[58:59]
	ds_read2_b64 v[144:147], v140 offset0:62 offset1:63
	s_waitcnt lgkmcnt(13)
	v_fma_f64 v[60:61], -v[64:65], v[148:149], v[60:61]
	v_fma_f64 v[54:55], -v[64:65], v[150:151], v[54:55]
	s_waitcnt lgkmcnt(12)
	v_fma_f64 v[56:57], -v[64:65], v[152:153], v[56:57]
	v_fma_f64 v[52:53], -v[64:65], v[154:155], v[52:53]
	;; [unrolled: 3-line block ×14, first 2 shown]
.LBB126_573:
	s_or_b32 exec_lo, exec_lo, s0
	v_lshl_add_u32 v0, v143, 3, v140
	s_barrier
	buffer_gl0_inv
	v_mov_b32_e32 v134, 34
	ds_write_b64 v0, v[62:63]
	s_waitcnt lgkmcnt(0)
	s_barrier
	buffer_gl0_inv
	ds_read_b64 v[0:1], v140 offset:272
	s_cmp_lt_i32 s7, 36
	s_cbranch_scc1 .LBB126_576
; %bb.574:
	v_add3_u32 v135, v141, 0, 0x118
	v_mov_b32_e32 v134, 34
	s_mov_b32 s0, 35
.LBB126_575:                            ; =>This Inner Loop Header: Depth=1
	ds_read_b64 v[144:145], v135
	v_add_nc_u32_e32 v135, 8, v135
	s_waitcnt lgkmcnt(0)
	v_cmp_lt_f64_e64 vcc_lo, |v[0:1]|, |v[144:145]|
	v_cndmask_b32_e32 v1, v1, v145, vcc_lo
	v_cndmask_b32_e32 v0, v0, v144, vcc_lo
	v_cndmask_b32_e64 v134, v134, s0, vcc_lo
	s_add_i32 s0, s0, 1
	s_cmp_lg_u32 s7, s0
	s_cbranch_scc1 .LBB126_575
.LBB126_576:
	s_mov_b32 s0, exec_lo
	s_waitcnt lgkmcnt(0)
	v_cmpx_eq_f64_e32 0, v[0:1]
	s_xor_b32 s0, exec_lo, s0
; %bb.577:
	v_cmp_ne_u32_e32 vcc_lo, 0, v137
	v_cndmask_b32_e32 v137, 35, v137, vcc_lo
; %bb.578:
	s_andn2_saveexec_b32 s0, s0
	s_cbranch_execz .LBB126_580
; %bb.579:
	v_div_scale_f64 v[135:136], null, v[0:1], v[0:1], 1.0
	v_rcp_f64_e32 v[144:145], v[135:136]
	v_fma_f64 v[146:147], -v[135:136], v[144:145], 1.0
	v_fma_f64 v[144:145], v[144:145], v[146:147], v[144:145]
	v_fma_f64 v[146:147], -v[135:136], v[144:145], 1.0
	v_fma_f64 v[144:145], v[144:145], v[146:147], v[144:145]
	v_div_scale_f64 v[146:147], vcc_lo, 1.0, v[0:1], 1.0
	v_mul_f64 v[148:149], v[146:147], v[144:145]
	v_fma_f64 v[135:136], -v[135:136], v[148:149], v[146:147]
	v_div_fmas_f64 v[135:136], v[135:136], v[144:145], v[148:149]
	v_div_fixup_f64 v[0:1], v[135:136], v[0:1], 1.0
.LBB126_580:
	s_or_b32 exec_lo, exec_lo, s0
	s_mov_b32 s0, exec_lo
	v_cmpx_ne_u32_e64 v143, v134
	s_xor_b32 s0, exec_lo, s0
	s_cbranch_execz .LBB126_586
; %bb.581:
	s_mov_b32 s1, exec_lo
	v_cmpx_eq_u32_e32 34, v143
	s_cbranch_execz .LBB126_585
; %bb.582:
	v_cmp_ne_u32_e32 vcc_lo, 34, v134
	s_xor_b32 s2, s6, -1
	s_and_b32 s3, s2, vcc_lo
	s_and_saveexec_b32 s2, s3
	s_cbranch_execz .LBB126_584
; %bb.583:
	v_ashrrev_i32_e32 v135, 31, v134
	v_lshlrev_b64 v[135:136], 2, v[134:135]
	v_add_co_u32 v135, vcc_lo, v4, v135
	v_add_co_ci_u32_e64 v136, null, v5, v136, vcc_lo
	s_clause 0x1
	global_load_dword v142, v[135:136], off
	global_load_dword v143, v[4:5], off offset:136
	s_waitcnt vmcnt(1)
	global_store_dword v[4:5], v142, off offset:136
	s_waitcnt vmcnt(0)
	global_store_dword v[135:136], v143, off
.LBB126_584:
	s_or_b32 exec_lo, exec_lo, s2
	v_mov_b32_e32 v142, v134
	v_mov_b32_e32 v143, v134
.LBB126_585:
	s_or_b32 exec_lo, exec_lo, s1
.LBB126_586:
	s_andn2_saveexec_b32 s0, s0
	s_cbranch_execz .LBB126_588
; %bb.587:
	v_mov_b32_e32 v143, 34
	ds_write2_b64 v140, v[58:59], v[60:61] offset0:35 offset1:36
	ds_write2_b64 v140, v[54:55], v[56:57] offset0:37 offset1:38
	;; [unrolled: 1-line block ×14, first 2 shown]
	ds_write_b64 v140, v[132:133] offset:504
.LBB126_588:
	s_or_b32 exec_lo, exec_lo, s0
	s_mov_b32 s0, exec_lo
	s_waitcnt lgkmcnt(0)
	s_waitcnt_vscnt null, 0x0
	s_barrier
	buffer_gl0_inv
	v_cmpx_lt_i32_e32 34, v143
	s_cbranch_execz .LBB126_590
; %bb.589:
	v_mul_f64 v[62:63], v[0:1], v[62:63]
	ds_read2_b64 v[144:147], v140 offset0:35 offset1:36
	ds_read2_b64 v[148:151], v140 offset0:37 offset1:38
	ds_read2_b64 v[152:155], v140 offset0:39 offset1:40
	ds_read2_b64 v[156:159], v140 offset0:41 offset1:42
	ds_read2_b64 v[160:163], v140 offset0:43 offset1:44
	ds_read2_b64 v[164:167], v140 offset0:45 offset1:46
	ds_read2_b64 v[168:171], v140 offset0:47 offset1:48
	ds_read2_b64 v[172:175], v140 offset0:49 offset1:50
	ds_read2_b64 v[176:179], v140 offset0:51 offset1:52
	ds_read2_b64 v[180:183], v140 offset0:53 offset1:54
	ds_read2_b64 v[184:187], v140 offset0:55 offset1:56
	ds_read2_b64 v[188:191], v140 offset0:57 offset1:58
	ds_read2_b64 v[192:195], v140 offset0:59 offset1:60
	ds_read2_b64 v[196:199], v140 offset0:61 offset1:62
	ds_read_b64 v[0:1], v140 offset:504
	s_waitcnt lgkmcnt(14)
	v_fma_f64 v[58:59], -v[62:63], v[144:145], v[58:59]
	v_fma_f64 v[60:61], -v[62:63], v[146:147], v[60:61]
	s_waitcnt lgkmcnt(13)
	v_fma_f64 v[54:55], -v[62:63], v[148:149], v[54:55]
	v_fma_f64 v[56:57], -v[62:63], v[150:151], v[56:57]
	;; [unrolled: 3-line block ×14, first 2 shown]
	s_waitcnt lgkmcnt(0)
	v_fma_f64 v[132:133], -v[62:63], v[0:1], v[132:133]
.LBB126_590:
	s_or_b32 exec_lo, exec_lo, s0
	v_lshl_add_u32 v0, v143, 3, v140
	s_barrier
	buffer_gl0_inv
	v_mov_b32_e32 v134, 35
	ds_write_b64 v0, v[58:59]
	s_waitcnt lgkmcnt(0)
	s_barrier
	buffer_gl0_inv
	ds_read_b64 v[0:1], v140 offset:280
	s_cmp_lt_i32 s7, 37
	s_cbranch_scc1 .LBB126_593
; %bb.591:
	v_add3_u32 v135, v141, 0, 0x120
	v_mov_b32_e32 v134, 35
	s_mov_b32 s0, 36
.LBB126_592:                            ; =>This Inner Loop Header: Depth=1
	ds_read_b64 v[144:145], v135
	v_add_nc_u32_e32 v135, 8, v135
	s_waitcnt lgkmcnt(0)
	v_cmp_lt_f64_e64 vcc_lo, |v[0:1]|, |v[144:145]|
	v_cndmask_b32_e32 v1, v1, v145, vcc_lo
	v_cndmask_b32_e32 v0, v0, v144, vcc_lo
	v_cndmask_b32_e64 v134, v134, s0, vcc_lo
	s_add_i32 s0, s0, 1
	s_cmp_lg_u32 s7, s0
	s_cbranch_scc1 .LBB126_592
.LBB126_593:
	s_mov_b32 s0, exec_lo
	s_waitcnt lgkmcnt(0)
	v_cmpx_eq_f64_e32 0, v[0:1]
	s_xor_b32 s0, exec_lo, s0
; %bb.594:
	v_cmp_ne_u32_e32 vcc_lo, 0, v137
	v_cndmask_b32_e32 v137, 36, v137, vcc_lo
; %bb.595:
	s_andn2_saveexec_b32 s0, s0
	s_cbranch_execz .LBB126_597
; %bb.596:
	v_div_scale_f64 v[135:136], null, v[0:1], v[0:1], 1.0
	v_rcp_f64_e32 v[144:145], v[135:136]
	v_fma_f64 v[146:147], -v[135:136], v[144:145], 1.0
	v_fma_f64 v[144:145], v[144:145], v[146:147], v[144:145]
	v_fma_f64 v[146:147], -v[135:136], v[144:145], 1.0
	v_fma_f64 v[144:145], v[144:145], v[146:147], v[144:145]
	v_div_scale_f64 v[146:147], vcc_lo, 1.0, v[0:1], 1.0
	v_mul_f64 v[148:149], v[146:147], v[144:145]
	v_fma_f64 v[135:136], -v[135:136], v[148:149], v[146:147]
	v_div_fmas_f64 v[135:136], v[135:136], v[144:145], v[148:149]
	v_div_fixup_f64 v[0:1], v[135:136], v[0:1], 1.0
.LBB126_597:
	s_or_b32 exec_lo, exec_lo, s0
	s_mov_b32 s0, exec_lo
	v_cmpx_ne_u32_e64 v143, v134
	s_xor_b32 s0, exec_lo, s0
	s_cbranch_execz .LBB126_603
; %bb.598:
	s_mov_b32 s1, exec_lo
	v_cmpx_eq_u32_e32 35, v143
	s_cbranch_execz .LBB126_602
; %bb.599:
	v_cmp_ne_u32_e32 vcc_lo, 35, v134
	s_xor_b32 s2, s6, -1
	s_and_b32 s3, s2, vcc_lo
	s_and_saveexec_b32 s2, s3
	s_cbranch_execz .LBB126_601
; %bb.600:
	v_ashrrev_i32_e32 v135, 31, v134
	v_lshlrev_b64 v[135:136], 2, v[134:135]
	v_add_co_u32 v135, vcc_lo, v4, v135
	v_add_co_ci_u32_e64 v136, null, v5, v136, vcc_lo
	s_clause 0x1
	global_load_dword v142, v[135:136], off
	global_load_dword v143, v[4:5], off offset:140
	s_waitcnt vmcnt(1)
	global_store_dword v[4:5], v142, off offset:140
	s_waitcnt vmcnt(0)
	global_store_dword v[135:136], v143, off
.LBB126_601:
	s_or_b32 exec_lo, exec_lo, s2
	v_mov_b32_e32 v142, v134
	v_mov_b32_e32 v143, v134
.LBB126_602:
	s_or_b32 exec_lo, exec_lo, s1
.LBB126_603:
	s_andn2_saveexec_b32 s0, s0
	s_cbranch_execz .LBB126_605
; %bb.604:
	v_mov_b32_e32 v134, v60
	v_mov_b32_e32 v135, v61
	;; [unrolled: 1-line block ×20, first 2 shown]
	ds_write2_b64 v140, v[134:135], v[143:144] offset0:36 offset1:37
	ds_write2_b64 v140, v[145:146], v[147:148] offset0:38 offset1:39
	;; [unrolled: 1-line block ×5, first 2 shown]
	v_mov_b32_e32 v134, v40
	v_mov_b32_e32 v135, v41
	;; [unrolled: 1-line block ×20, first 2 shown]
	ds_write2_b64 v140, v[134:135], v[143:144] offset0:46 offset1:47
	ds_write2_b64 v140, v[145:146], v[147:148] offset0:48 offset1:49
	;; [unrolled: 1-line block ×5, first 2 shown]
	v_mov_b32_e32 v134, v20
	v_mov_b32_e32 v135, v21
	v_mov_b32_e32 v144, v16
	v_mov_b32_e32 v145, v17
	v_mov_b32_e32 v143, 35
	v_mov_b32_e32 v146, v14
	v_mov_b32_e32 v147, v15
	v_mov_b32_e32 v148, v8
	v_mov_b32_e32 v149, v9
	v_mov_b32_e32 v150, v12
	v_mov_b32_e32 v151, v13
	v_mov_b32_e32 v152, v6
	v_mov_b32_e32 v153, v7
	v_mov_b32_e32 v154, v10
	v_mov_b32_e32 v155, v11
	ds_write2_b64 v140, v[134:135], v[144:145] offset0:56 offset1:57
	ds_write2_b64 v140, v[146:147], v[148:149] offset0:58 offset1:59
	;; [unrolled: 1-line block ×4, first 2 shown]
.LBB126_605:
	s_or_b32 exec_lo, exec_lo, s0
	s_mov_b32 s0, exec_lo
	s_waitcnt lgkmcnt(0)
	s_waitcnt_vscnt null, 0x0
	s_barrier
	buffer_gl0_inv
	v_cmpx_lt_i32_e32 35, v143
	s_cbranch_execz .LBB126_607
; %bb.606:
	v_mul_f64 v[58:59], v[0:1], v[58:59]
	ds_read2_b64 v[144:147], v140 offset0:36 offset1:37
	ds_read2_b64 v[148:151], v140 offset0:38 offset1:39
	ds_read2_b64 v[152:155], v140 offset0:40 offset1:41
	ds_read2_b64 v[156:159], v140 offset0:42 offset1:43
	ds_read2_b64 v[160:163], v140 offset0:44 offset1:45
	ds_read2_b64 v[164:167], v140 offset0:46 offset1:47
	ds_read2_b64 v[168:171], v140 offset0:48 offset1:49
	ds_read2_b64 v[172:175], v140 offset0:50 offset1:51
	ds_read2_b64 v[176:179], v140 offset0:52 offset1:53
	ds_read2_b64 v[180:183], v140 offset0:54 offset1:55
	ds_read2_b64 v[184:187], v140 offset0:56 offset1:57
	ds_read2_b64 v[188:191], v140 offset0:58 offset1:59
	ds_read2_b64 v[192:195], v140 offset0:60 offset1:61
	ds_read2_b64 v[196:199], v140 offset0:62 offset1:63
	s_waitcnt lgkmcnt(13)
	v_fma_f64 v[60:61], -v[58:59], v[144:145], v[60:61]
	v_fma_f64 v[54:55], -v[58:59], v[146:147], v[54:55]
	s_waitcnt lgkmcnt(12)
	v_fma_f64 v[56:57], -v[58:59], v[148:149], v[56:57]
	v_fma_f64 v[52:53], -v[58:59], v[150:151], v[52:53]
	s_waitcnt lgkmcnt(11)
	v_fma_f64 v[50:51], -v[58:59], v[152:153], v[50:51]
	v_fma_f64 v[48:49], -v[58:59], v[154:155], v[48:49]
	s_waitcnt lgkmcnt(10)
	v_fma_f64 v[46:47], -v[58:59], v[156:157], v[46:47]
	v_fma_f64 v[44:45], -v[58:59], v[158:159], v[44:45]
	s_waitcnt lgkmcnt(9)
	v_fma_f64 v[42:43], -v[58:59], v[160:161], v[42:43]
	v_fma_f64 v[38:39], -v[58:59], v[162:163], v[38:39]
	s_waitcnt lgkmcnt(8)
	v_fma_f64 v[40:41], -v[58:59], v[164:165], v[40:41]
	v_fma_f64 v[34:35], -v[58:59], v[166:167], v[34:35]
	s_waitcnt lgkmcnt(7)
	v_fma_f64 v[36:37], -v[58:59], v[168:169], v[36:37]
	v_fma_f64 v[32:33], -v[58:59], v[170:171], v[32:33]
	s_waitcnt lgkmcnt(6)
	v_fma_f64 v[30:31], -v[58:59], v[172:173], v[30:31]
	v_fma_f64 v[28:29], -v[58:59], v[174:175], v[28:29]
	s_waitcnt lgkmcnt(5)
	v_fma_f64 v[26:27], -v[58:59], v[176:177], v[26:27]
	v_fma_f64 v[24:25], -v[58:59], v[178:179], v[24:25]
	s_waitcnt lgkmcnt(4)
	v_fma_f64 v[22:23], -v[58:59], v[180:181], v[22:23]
	v_fma_f64 v[18:19], -v[58:59], v[182:183], v[18:19]
	s_waitcnt lgkmcnt(3)
	v_fma_f64 v[20:21], -v[58:59], v[184:185], v[20:21]
	v_fma_f64 v[16:17], -v[58:59], v[186:187], v[16:17]
	s_waitcnt lgkmcnt(2)
	v_fma_f64 v[14:15], -v[58:59], v[188:189], v[14:15]
	v_fma_f64 v[8:9], -v[58:59], v[190:191], v[8:9]
	s_waitcnt lgkmcnt(1)
	v_fma_f64 v[12:13], -v[58:59], v[192:193], v[12:13]
	v_fma_f64 v[6:7], -v[58:59], v[194:195], v[6:7]
	s_waitcnt lgkmcnt(0)
	v_fma_f64 v[10:11], -v[58:59], v[196:197], v[10:11]
	v_fma_f64 v[132:133], -v[58:59], v[198:199], v[132:133]
.LBB126_607:
	s_or_b32 exec_lo, exec_lo, s0
	v_lshl_add_u32 v0, v143, 3, v140
	s_barrier
	buffer_gl0_inv
	v_mov_b32_e32 v134, 36
	ds_write_b64 v0, v[60:61]
	s_waitcnt lgkmcnt(0)
	s_barrier
	buffer_gl0_inv
	ds_read_b64 v[0:1], v140 offset:288
	s_cmp_lt_i32 s7, 38
	s_cbranch_scc1 .LBB126_610
; %bb.608:
	v_add3_u32 v135, v141, 0, 0x128
	v_mov_b32_e32 v134, 36
	s_mov_b32 s0, 37
.LBB126_609:                            ; =>This Inner Loop Header: Depth=1
	ds_read_b64 v[144:145], v135
	v_add_nc_u32_e32 v135, 8, v135
	s_waitcnt lgkmcnt(0)
	v_cmp_lt_f64_e64 vcc_lo, |v[0:1]|, |v[144:145]|
	v_cndmask_b32_e32 v1, v1, v145, vcc_lo
	v_cndmask_b32_e32 v0, v0, v144, vcc_lo
	v_cndmask_b32_e64 v134, v134, s0, vcc_lo
	s_add_i32 s0, s0, 1
	s_cmp_lg_u32 s7, s0
	s_cbranch_scc1 .LBB126_609
.LBB126_610:
	s_mov_b32 s0, exec_lo
	s_waitcnt lgkmcnt(0)
	v_cmpx_eq_f64_e32 0, v[0:1]
	s_xor_b32 s0, exec_lo, s0
; %bb.611:
	v_cmp_ne_u32_e32 vcc_lo, 0, v137
	v_cndmask_b32_e32 v137, 37, v137, vcc_lo
; %bb.612:
	s_andn2_saveexec_b32 s0, s0
	s_cbranch_execz .LBB126_614
; %bb.613:
	v_div_scale_f64 v[135:136], null, v[0:1], v[0:1], 1.0
	v_rcp_f64_e32 v[144:145], v[135:136]
	v_fma_f64 v[146:147], -v[135:136], v[144:145], 1.0
	v_fma_f64 v[144:145], v[144:145], v[146:147], v[144:145]
	v_fma_f64 v[146:147], -v[135:136], v[144:145], 1.0
	v_fma_f64 v[144:145], v[144:145], v[146:147], v[144:145]
	v_div_scale_f64 v[146:147], vcc_lo, 1.0, v[0:1], 1.0
	v_mul_f64 v[148:149], v[146:147], v[144:145]
	v_fma_f64 v[135:136], -v[135:136], v[148:149], v[146:147]
	v_div_fmas_f64 v[135:136], v[135:136], v[144:145], v[148:149]
	v_div_fixup_f64 v[0:1], v[135:136], v[0:1], 1.0
.LBB126_614:
	s_or_b32 exec_lo, exec_lo, s0
	s_mov_b32 s0, exec_lo
	v_cmpx_ne_u32_e64 v143, v134
	s_xor_b32 s0, exec_lo, s0
	s_cbranch_execz .LBB126_620
; %bb.615:
	s_mov_b32 s1, exec_lo
	v_cmpx_eq_u32_e32 36, v143
	s_cbranch_execz .LBB126_619
; %bb.616:
	v_cmp_ne_u32_e32 vcc_lo, 36, v134
	s_xor_b32 s2, s6, -1
	s_and_b32 s3, s2, vcc_lo
	s_and_saveexec_b32 s2, s3
	s_cbranch_execz .LBB126_618
; %bb.617:
	v_ashrrev_i32_e32 v135, 31, v134
	v_lshlrev_b64 v[135:136], 2, v[134:135]
	v_add_co_u32 v135, vcc_lo, v4, v135
	v_add_co_ci_u32_e64 v136, null, v5, v136, vcc_lo
	s_clause 0x1
	global_load_dword v142, v[135:136], off
	global_load_dword v143, v[4:5], off offset:144
	s_waitcnt vmcnt(1)
	global_store_dword v[4:5], v142, off offset:144
	s_waitcnt vmcnt(0)
	global_store_dword v[135:136], v143, off
.LBB126_618:
	s_or_b32 exec_lo, exec_lo, s2
	v_mov_b32_e32 v142, v134
	v_mov_b32_e32 v143, v134
.LBB126_619:
	s_or_b32 exec_lo, exec_lo, s1
.LBB126_620:
	s_andn2_saveexec_b32 s0, s0
	s_cbranch_execz .LBB126_622
; %bb.621:
	v_mov_b32_e32 v143, 36
	ds_write2_b64 v140, v[54:55], v[56:57] offset0:37 offset1:38
	ds_write2_b64 v140, v[52:53], v[50:51] offset0:39 offset1:40
	;; [unrolled: 1-line block ×13, first 2 shown]
	ds_write_b64 v140, v[132:133] offset:504
.LBB126_622:
	s_or_b32 exec_lo, exec_lo, s0
	s_mov_b32 s0, exec_lo
	s_waitcnt lgkmcnt(0)
	s_waitcnt_vscnt null, 0x0
	s_barrier
	buffer_gl0_inv
	v_cmpx_lt_i32_e32 36, v143
	s_cbranch_execz .LBB126_624
; %bb.623:
	v_mul_f64 v[60:61], v[0:1], v[60:61]
	ds_read2_b64 v[144:147], v140 offset0:37 offset1:38
	ds_read2_b64 v[148:151], v140 offset0:39 offset1:40
	;; [unrolled: 1-line block ×13, first 2 shown]
	ds_read_b64 v[0:1], v140 offset:504
	s_waitcnt lgkmcnt(13)
	v_fma_f64 v[54:55], -v[60:61], v[144:145], v[54:55]
	v_fma_f64 v[56:57], -v[60:61], v[146:147], v[56:57]
	s_waitcnt lgkmcnt(12)
	v_fma_f64 v[52:53], -v[60:61], v[148:149], v[52:53]
	v_fma_f64 v[50:51], -v[60:61], v[150:151], v[50:51]
	;; [unrolled: 3-line block ×13, first 2 shown]
	s_waitcnt lgkmcnt(0)
	v_fma_f64 v[132:133], -v[60:61], v[0:1], v[132:133]
.LBB126_624:
	s_or_b32 exec_lo, exec_lo, s0
	v_lshl_add_u32 v0, v143, 3, v140
	s_barrier
	buffer_gl0_inv
	v_mov_b32_e32 v134, 37
	ds_write_b64 v0, v[54:55]
	s_waitcnt lgkmcnt(0)
	s_barrier
	buffer_gl0_inv
	ds_read_b64 v[0:1], v140 offset:296
	s_cmp_lt_i32 s7, 39
	s_cbranch_scc1 .LBB126_627
; %bb.625:
	v_add3_u32 v135, v141, 0, 0x130
	v_mov_b32_e32 v134, 37
	s_mov_b32 s0, 38
.LBB126_626:                            ; =>This Inner Loop Header: Depth=1
	ds_read_b64 v[144:145], v135
	v_add_nc_u32_e32 v135, 8, v135
	s_waitcnt lgkmcnt(0)
	v_cmp_lt_f64_e64 vcc_lo, |v[0:1]|, |v[144:145]|
	v_cndmask_b32_e32 v1, v1, v145, vcc_lo
	v_cndmask_b32_e32 v0, v0, v144, vcc_lo
	v_cndmask_b32_e64 v134, v134, s0, vcc_lo
	s_add_i32 s0, s0, 1
	s_cmp_lg_u32 s7, s0
	s_cbranch_scc1 .LBB126_626
.LBB126_627:
	s_mov_b32 s0, exec_lo
	s_waitcnt lgkmcnt(0)
	v_cmpx_eq_f64_e32 0, v[0:1]
	s_xor_b32 s0, exec_lo, s0
; %bb.628:
	v_cmp_ne_u32_e32 vcc_lo, 0, v137
	v_cndmask_b32_e32 v137, 38, v137, vcc_lo
; %bb.629:
	s_andn2_saveexec_b32 s0, s0
	s_cbranch_execz .LBB126_631
; %bb.630:
	v_div_scale_f64 v[135:136], null, v[0:1], v[0:1], 1.0
	v_rcp_f64_e32 v[144:145], v[135:136]
	v_fma_f64 v[146:147], -v[135:136], v[144:145], 1.0
	v_fma_f64 v[144:145], v[144:145], v[146:147], v[144:145]
	v_fma_f64 v[146:147], -v[135:136], v[144:145], 1.0
	v_fma_f64 v[144:145], v[144:145], v[146:147], v[144:145]
	v_div_scale_f64 v[146:147], vcc_lo, 1.0, v[0:1], 1.0
	v_mul_f64 v[148:149], v[146:147], v[144:145]
	v_fma_f64 v[135:136], -v[135:136], v[148:149], v[146:147]
	v_div_fmas_f64 v[135:136], v[135:136], v[144:145], v[148:149]
	v_div_fixup_f64 v[0:1], v[135:136], v[0:1], 1.0
.LBB126_631:
	s_or_b32 exec_lo, exec_lo, s0
	s_mov_b32 s0, exec_lo
	v_cmpx_ne_u32_e64 v143, v134
	s_xor_b32 s0, exec_lo, s0
	s_cbranch_execz .LBB126_637
; %bb.632:
	s_mov_b32 s1, exec_lo
	v_cmpx_eq_u32_e32 37, v143
	s_cbranch_execz .LBB126_636
; %bb.633:
	v_cmp_ne_u32_e32 vcc_lo, 37, v134
	s_xor_b32 s2, s6, -1
	s_and_b32 s3, s2, vcc_lo
	s_and_saveexec_b32 s2, s3
	s_cbranch_execz .LBB126_635
; %bb.634:
	v_ashrrev_i32_e32 v135, 31, v134
	v_lshlrev_b64 v[135:136], 2, v[134:135]
	v_add_co_u32 v135, vcc_lo, v4, v135
	v_add_co_ci_u32_e64 v136, null, v5, v136, vcc_lo
	s_clause 0x1
	global_load_dword v142, v[135:136], off
	global_load_dword v143, v[4:5], off offset:148
	s_waitcnt vmcnt(1)
	global_store_dword v[4:5], v142, off offset:148
	s_waitcnt vmcnt(0)
	global_store_dword v[135:136], v143, off
.LBB126_635:
	s_or_b32 exec_lo, exec_lo, s2
	v_mov_b32_e32 v142, v134
	v_mov_b32_e32 v143, v134
.LBB126_636:
	s_or_b32 exec_lo, exec_lo, s1
.LBB126_637:
	s_andn2_saveexec_b32 s0, s0
	s_cbranch_execz .LBB126_639
; %bb.638:
	v_mov_b32_e32 v134, v56
	v_mov_b32_e32 v135, v57
	;; [unrolled: 1-line block ×16, first 2 shown]
	ds_write2_b64 v140, v[134:135], v[143:144] offset0:38 offset1:39
	ds_write2_b64 v140, v[145:146], v[147:148] offset0:40 offset1:41
	;; [unrolled: 1-line block ×4, first 2 shown]
	v_mov_b32_e32 v134, v40
	v_mov_b32_e32 v135, v41
	;; [unrolled: 1-line block ×20, first 2 shown]
	ds_write2_b64 v140, v[134:135], v[143:144] offset0:46 offset1:47
	ds_write2_b64 v140, v[145:146], v[147:148] offset0:48 offset1:49
	;; [unrolled: 1-line block ×5, first 2 shown]
	v_mov_b32_e32 v134, v20
	v_mov_b32_e32 v135, v21
	v_mov_b32_e32 v144, v16
	v_mov_b32_e32 v145, v17
	v_mov_b32_e32 v143, 37
	v_mov_b32_e32 v146, v14
	v_mov_b32_e32 v147, v15
	v_mov_b32_e32 v148, v8
	v_mov_b32_e32 v149, v9
	v_mov_b32_e32 v150, v12
	v_mov_b32_e32 v151, v13
	v_mov_b32_e32 v152, v6
	v_mov_b32_e32 v153, v7
	v_mov_b32_e32 v154, v10
	v_mov_b32_e32 v155, v11
	ds_write2_b64 v140, v[134:135], v[144:145] offset0:56 offset1:57
	ds_write2_b64 v140, v[146:147], v[148:149] offset0:58 offset1:59
	;; [unrolled: 1-line block ×4, first 2 shown]
.LBB126_639:
	s_or_b32 exec_lo, exec_lo, s0
	s_mov_b32 s0, exec_lo
	s_waitcnt lgkmcnt(0)
	s_waitcnt_vscnt null, 0x0
	s_barrier
	buffer_gl0_inv
	v_cmpx_lt_i32_e32 37, v143
	s_cbranch_execz .LBB126_641
; %bb.640:
	v_mul_f64 v[54:55], v[0:1], v[54:55]
	ds_read2_b64 v[144:147], v140 offset0:38 offset1:39
	ds_read2_b64 v[148:151], v140 offset0:40 offset1:41
	;; [unrolled: 1-line block ×13, first 2 shown]
	s_waitcnt lgkmcnt(12)
	v_fma_f64 v[56:57], -v[54:55], v[144:145], v[56:57]
	v_fma_f64 v[52:53], -v[54:55], v[146:147], v[52:53]
	s_waitcnt lgkmcnt(11)
	v_fma_f64 v[50:51], -v[54:55], v[148:149], v[50:51]
	v_fma_f64 v[48:49], -v[54:55], v[150:151], v[48:49]
	;; [unrolled: 3-line block ×13, first 2 shown]
.LBB126_641:
	s_or_b32 exec_lo, exec_lo, s0
	v_lshl_add_u32 v0, v143, 3, v140
	s_barrier
	buffer_gl0_inv
	v_mov_b32_e32 v134, 38
	ds_write_b64 v0, v[56:57]
	s_waitcnt lgkmcnt(0)
	s_barrier
	buffer_gl0_inv
	ds_read_b64 v[0:1], v140 offset:304
	s_cmp_lt_i32 s7, 40
	s_cbranch_scc1 .LBB126_644
; %bb.642:
	v_add3_u32 v135, v141, 0, 0x138
	v_mov_b32_e32 v134, 38
	s_mov_b32 s0, 39
.LBB126_643:                            ; =>This Inner Loop Header: Depth=1
	ds_read_b64 v[144:145], v135
	v_add_nc_u32_e32 v135, 8, v135
	s_waitcnt lgkmcnt(0)
	v_cmp_lt_f64_e64 vcc_lo, |v[0:1]|, |v[144:145]|
	v_cndmask_b32_e32 v1, v1, v145, vcc_lo
	v_cndmask_b32_e32 v0, v0, v144, vcc_lo
	v_cndmask_b32_e64 v134, v134, s0, vcc_lo
	s_add_i32 s0, s0, 1
	s_cmp_lg_u32 s7, s0
	s_cbranch_scc1 .LBB126_643
.LBB126_644:
	s_mov_b32 s0, exec_lo
	s_waitcnt lgkmcnt(0)
	v_cmpx_eq_f64_e32 0, v[0:1]
	s_xor_b32 s0, exec_lo, s0
; %bb.645:
	v_cmp_ne_u32_e32 vcc_lo, 0, v137
	v_cndmask_b32_e32 v137, 39, v137, vcc_lo
; %bb.646:
	s_andn2_saveexec_b32 s0, s0
	s_cbranch_execz .LBB126_648
; %bb.647:
	v_div_scale_f64 v[135:136], null, v[0:1], v[0:1], 1.0
	v_rcp_f64_e32 v[144:145], v[135:136]
	v_fma_f64 v[146:147], -v[135:136], v[144:145], 1.0
	v_fma_f64 v[144:145], v[144:145], v[146:147], v[144:145]
	v_fma_f64 v[146:147], -v[135:136], v[144:145], 1.0
	v_fma_f64 v[144:145], v[144:145], v[146:147], v[144:145]
	v_div_scale_f64 v[146:147], vcc_lo, 1.0, v[0:1], 1.0
	v_mul_f64 v[148:149], v[146:147], v[144:145]
	v_fma_f64 v[135:136], -v[135:136], v[148:149], v[146:147]
	v_div_fmas_f64 v[135:136], v[135:136], v[144:145], v[148:149]
	v_div_fixup_f64 v[0:1], v[135:136], v[0:1], 1.0
.LBB126_648:
	s_or_b32 exec_lo, exec_lo, s0
	s_mov_b32 s0, exec_lo
	v_cmpx_ne_u32_e64 v143, v134
	s_xor_b32 s0, exec_lo, s0
	s_cbranch_execz .LBB126_654
; %bb.649:
	s_mov_b32 s1, exec_lo
	v_cmpx_eq_u32_e32 38, v143
	s_cbranch_execz .LBB126_653
; %bb.650:
	v_cmp_ne_u32_e32 vcc_lo, 38, v134
	s_xor_b32 s2, s6, -1
	s_and_b32 s3, s2, vcc_lo
	s_and_saveexec_b32 s2, s3
	s_cbranch_execz .LBB126_652
; %bb.651:
	v_ashrrev_i32_e32 v135, 31, v134
	v_lshlrev_b64 v[135:136], 2, v[134:135]
	v_add_co_u32 v135, vcc_lo, v4, v135
	v_add_co_ci_u32_e64 v136, null, v5, v136, vcc_lo
	s_clause 0x1
	global_load_dword v142, v[135:136], off
	global_load_dword v143, v[4:5], off offset:152
	s_waitcnt vmcnt(1)
	global_store_dword v[4:5], v142, off offset:152
	s_waitcnt vmcnt(0)
	global_store_dword v[135:136], v143, off
.LBB126_652:
	s_or_b32 exec_lo, exec_lo, s2
	v_mov_b32_e32 v142, v134
	v_mov_b32_e32 v143, v134
.LBB126_653:
	s_or_b32 exec_lo, exec_lo, s1
.LBB126_654:
	s_andn2_saveexec_b32 s0, s0
	s_cbranch_execz .LBB126_656
; %bb.655:
	v_mov_b32_e32 v143, 38
	ds_write2_b64 v140, v[52:53], v[50:51] offset0:39 offset1:40
	ds_write2_b64 v140, v[48:49], v[46:47] offset0:41 offset1:42
	;; [unrolled: 1-line block ×12, first 2 shown]
	ds_write_b64 v140, v[132:133] offset:504
.LBB126_656:
	s_or_b32 exec_lo, exec_lo, s0
	s_mov_b32 s0, exec_lo
	s_waitcnt lgkmcnt(0)
	s_waitcnt_vscnt null, 0x0
	s_barrier
	buffer_gl0_inv
	v_cmpx_lt_i32_e32 38, v143
	s_cbranch_execz .LBB126_658
; %bb.657:
	v_mul_f64 v[56:57], v[0:1], v[56:57]
	ds_read2_b64 v[144:147], v140 offset0:39 offset1:40
	ds_read2_b64 v[148:151], v140 offset0:41 offset1:42
	ds_read2_b64 v[152:155], v140 offset0:43 offset1:44
	ds_read2_b64 v[156:159], v140 offset0:45 offset1:46
	ds_read2_b64 v[160:163], v140 offset0:47 offset1:48
	ds_read2_b64 v[164:167], v140 offset0:49 offset1:50
	ds_read2_b64 v[168:171], v140 offset0:51 offset1:52
	ds_read2_b64 v[172:175], v140 offset0:53 offset1:54
	ds_read2_b64 v[176:179], v140 offset0:55 offset1:56
	ds_read2_b64 v[180:183], v140 offset0:57 offset1:58
	ds_read2_b64 v[184:187], v140 offset0:59 offset1:60
	ds_read2_b64 v[188:191], v140 offset0:61 offset1:62
	ds_read_b64 v[0:1], v140 offset:504
	s_waitcnt lgkmcnt(12)
	v_fma_f64 v[52:53], -v[56:57], v[144:145], v[52:53]
	v_fma_f64 v[50:51], -v[56:57], v[146:147], v[50:51]
	s_waitcnt lgkmcnt(11)
	v_fma_f64 v[48:49], -v[56:57], v[148:149], v[48:49]
	v_fma_f64 v[46:47], -v[56:57], v[150:151], v[46:47]
	;; [unrolled: 3-line block ×12, first 2 shown]
	s_waitcnt lgkmcnt(0)
	v_fma_f64 v[132:133], -v[56:57], v[0:1], v[132:133]
.LBB126_658:
	s_or_b32 exec_lo, exec_lo, s0
	v_lshl_add_u32 v0, v143, 3, v140
	s_barrier
	buffer_gl0_inv
	v_mov_b32_e32 v134, 39
	ds_write_b64 v0, v[52:53]
	s_waitcnt lgkmcnt(0)
	s_barrier
	buffer_gl0_inv
	ds_read_b64 v[0:1], v140 offset:312
	s_cmp_lt_i32 s7, 41
	s_cbranch_scc1 .LBB126_661
; %bb.659:
	v_add3_u32 v135, v141, 0, 0x140
	v_mov_b32_e32 v134, 39
	s_mov_b32 s0, 40
.LBB126_660:                            ; =>This Inner Loop Header: Depth=1
	ds_read_b64 v[144:145], v135
	v_add_nc_u32_e32 v135, 8, v135
	s_waitcnt lgkmcnt(0)
	v_cmp_lt_f64_e64 vcc_lo, |v[0:1]|, |v[144:145]|
	v_cndmask_b32_e32 v1, v1, v145, vcc_lo
	v_cndmask_b32_e32 v0, v0, v144, vcc_lo
	v_cndmask_b32_e64 v134, v134, s0, vcc_lo
	s_add_i32 s0, s0, 1
	s_cmp_lg_u32 s7, s0
	s_cbranch_scc1 .LBB126_660
.LBB126_661:
	s_mov_b32 s0, exec_lo
	s_waitcnt lgkmcnt(0)
	v_cmpx_eq_f64_e32 0, v[0:1]
	s_xor_b32 s0, exec_lo, s0
; %bb.662:
	v_cmp_ne_u32_e32 vcc_lo, 0, v137
	v_cndmask_b32_e32 v137, 40, v137, vcc_lo
; %bb.663:
	s_andn2_saveexec_b32 s0, s0
	s_cbranch_execz .LBB126_665
; %bb.664:
	v_div_scale_f64 v[135:136], null, v[0:1], v[0:1], 1.0
	v_rcp_f64_e32 v[144:145], v[135:136]
	v_fma_f64 v[146:147], -v[135:136], v[144:145], 1.0
	v_fma_f64 v[144:145], v[144:145], v[146:147], v[144:145]
	v_fma_f64 v[146:147], -v[135:136], v[144:145], 1.0
	v_fma_f64 v[144:145], v[144:145], v[146:147], v[144:145]
	v_div_scale_f64 v[146:147], vcc_lo, 1.0, v[0:1], 1.0
	v_mul_f64 v[148:149], v[146:147], v[144:145]
	v_fma_f64 v[135:136], -v[135:136], v[148:149], v[146:147]
	v_div_fmas_f64 v[135:136], v[135:136], v[144:145], v[148:149]
	v_div_fixup_f64 v[0:1], v[135:136], v[0:1], 1.0
.LBB126_665:
	s_or_b32 exec_lo, exec_lo, s0
	s_mov_b32 s0, exec_lo
	v_cmpx_ne_u32_e64 v143, v134
	s_xor_b32 s0, exec_lo, s0
	s_cbranch_execz .LBB126_671
; %bb.666:
	s_mov_b32 s1, exec_lo
	v_cmpx_eq_u32_e32 39, v143
	s_cbranch_execz .LBB126_670
; %bb.667:
	v_cmp_ne_u32_e32 vcc_lo, 39, v134
	s_xor_b32 s2, s6, -1
	s_and_b32 s3, s2, vcc_lo
	s_and_saveexec_b32 s2, s3
	s_cbranch_execz .LBB126_669
; %bb.668:
	v_ashrrev_i32_e32 v135, 31, v134
	v_lshlrev_b64 v[135:136], 2, v[134:135]
	v_add_co_u32 v135, vcc_lo, v4, v135
	v_add_co_ci_u32_e64 v136, null, v5, v136, vcc_lo
	s_clause 0x1
	global_load_dword v142, v[135:136], off
	global_load_dword v143, v[4:5], off offset:156
	s_waitcnt vmcnt(1)
	global_store_dword v[4:5], v142, off offset:156
	s_waitcnt vmcnt(0)
	global_store_dword v[135:136], v143, off
.LBB126_669:
	s_or_b32 exec_lo, exec_lo, s2
	v_mov_b32_e32 v142, v134
	v_mov_b32_e32 v143, v134
.LBB126_670:
	s_or_b32 exec_lo, exec_lo, s1
.LBB126_671:
	s_andn2_saveexec_b32 s0, s0
	s_cbranch_execz .LBB126_673
; %bb.672:
	v_mov_b32_e32 v134, v50
	v_mov_b32_e32 v135, v51
	;; [unrolled: 1-line block ×12, first 2 shown]
	ds_write2_b64 v140, v[134:135], v[143:144] offset0:40 offset1:41
	ds_write2_b64 v140, v[145:146], v[147:148] offset0:42 offset1:43
	;; [unrolled: 1-line block ×3, first 2 shown]
	v_mov_b32_e32 v134, v40
	v_mov_b32_e32 v135, v41
	;; [unrolled: 1-line block ×20, first 2 shown]
	ds_write2_b64 v140, v[134:135], v[143:144] offset0:46 offset1:47
	ds_write2_b64 v140, v[145:146], v[147:148] offset0:48 offset1:49
	ds_write2_b64 v140, v[149:150], v[151:152] offset0:50 offset1:51
	ds_write2_b64 v140, v[153:154], v[155:156] offset0:52 offset1:53
	ds_write2_b64 v140, v[157:158], v[159:160] offset0:54 offset1:55
	v_mov_b32_e32 v134, v20
	v_mov_b32_e32 v135, v21
	;; [unrolled: 1-line block ×15, first 2 shown]
	ds_write2_b64 v140, v[134:135], v[144:145] offset0:56 offset1:57
	ds_write2_b64 v140, v[146:147], v[148:149] offset0:58 offset1:59
	;; [unrolled: 1-line block ×4, first 2 shown]
.LBB126_673:
	s_or_b32 exec_lo, exec_lo, s0
	s_mov_b32 s0, exec_lo
	s_waitcnt lgkmcnt(0)
	s_waitcnt_vscnt null, 0x0
	s_barrier
	buffer_gl0_inv
	v_cmpx_lt_i32_e32 39, v143
	s_cbranch_execz .LBB126_675
; %bb.674:
	v_mul_f64 v[52:53], v[0:1], v[52:53]
	ds_read2_b64 v[144:147], v140 offset0:40 offset1:41
	ds_read2_b64 v[148:151], v140 offset0:42 offset1:43
	ds_read2_b64 v[152:155], v140 offset0:44 offset1:45
	ds_read2_b64 v[156:159], v140 offset0:46 offset1:47
	ds_read2_b64 v[160:163], v140 offset0:48 offset1:49
	ds_read2_b64 v[164:167], v140 offset0:50 offset1:51
	ds_read2_b64 v[168:171], v140 offset0:52 offset1:53
	ds_read2_b64 v[172:175], v140 offset0:54 offset1:55
	ds_read2_b64 v[176:179], v140 offset0:56 offset1:57
	ds_read2_b64 v[180:183], v140 offset0:58 offset1:59
	ds_read2_b64 v[184:187], v140 offset0:60 offset1:61
	ds_read2_b64 v[188:191], v140 offset0:62 offset1:63
	s_waitcnt lgkmcnt(11)
	v_fma_f64 v[50:51], -v[52:53], v[144:145], v[50:51]
	v_fma_f64 v[48:49], -v[52:53], v[146:147], v[48:49]
	s_waitcnt lgkmcnt(10)
	v_fma_f64 v[46:47], -v[52:53], v[148:149], v[46:47]
	v_fma_f64 v[44:45], -v[52:53], v[150:151], v[44:45]
	;; [unrolled: 3-line block ×12, first 2 shown]
.LBB126_675:
	s_or_b32 exec_lo, exec_lo, s0
	v_lshl_add_u32 v0, v143, 3, v140
	s_barrier
	buffer_gl0_inv
	v_mov_b32_e32 v134, 40
	ds_write_b64 v0, v[50:51]
	s_waitcnt lgkmcnt(0)
	s_barrier
	buffer_gl0_inv
	ds_read_b64 v[0:1], v140 offset:320
	s_cmp_lt_i32 s7, 42
	s_cbranch_scc1 .LBB126_678
; %bb.676:
	v_add3_u32 v135, v141, 0, 0x148
	v_mov_b32_e32 v134, 40
	s_mov_b32 s0, 41
.LBB126_677:                            ; =>This Inner Loop Header: Depth=1
	ds_read_b64 v[144:145], v135
	v_add_nc_u32_e32 v135, 8, v135
	s_waitcnt lgkmcnt(0)
	v_cmp_lt_f64_e64 vcc_lo, |v[0:1]|, |v[144:145]|
	v_cndmask_b32_e32 v1, v1, v145, vcc_lo
	v_cndmask_b32_e32 v0, v0, v144, vcc_lo
	v_cndmask_b32_e64 v134, v134, s0, vcc_lo
	s_add_i32 s0, s0, 1
	s_cmp_lg_u32 s7, s0
	s_cbranch_scc1 .LBB126_677
.LBB126_678:
	s_mov_b32 s0, exec_lo
	s_waitcnt lgkmcnt(0)
	v_cmpx_eq_f64_e32 0, v[0:1]
	s_xor_b32 s0, exec_lo, s0
; %bb.679:
	v_cmp_ne_u32_e32 vcc_lo, 0, v137
	v_cndmask_b32_e32 v137, 41, v137, vcc_lo
; %bb.680:
	s_andn2_saveexec_b32 s0, s0
	s_cbranch_execz .LBB126_682
; %bb.681:
	v_div_scale_f64 v[135:136], null, v[0:1], v[0:1], 1.0
	v_rcp_f64_e32 v[144:145], v[135:136]
	v_fma_f64 v[146:147], -v[135:136], v[144:145], 1.0
	v_fma_f64 v[144:145], v[144:145], v[146:147], v[144:145]
	v_fma_f64 v[146:147], -v[135:136], v[144:145], 1.0
	v_fma_f64 v[144:145], v[144:145], v[146:147], v[144:145]
	v_div_scale_f64 v[146:147], vcc_lo, 1.0, v[0:1], 1.0
	v_mul_f64 v[148:149], v[146:147], v[144:145]
	v_fma_f64 v[135:136], -v[135:136], v[148:149], v[146:147]
	v_div_fmas_f64 v[135:136], v[135:136], v[144:145], v[148:149]
	v_div_fixup_f64 v[0:1], v[135:136], v[0:1], 1.0
.LBB126_682:
	s_or_b32 exec_lo, exec_lo, s0
	s_mov_b32 s0, exec_lo
	v_cmpx_ne_u32_e64 v143, v134
	s_xor_b32 s0, exec_lo, s0
	s_cbranch_execz .LBB126_688
; %bb.683:
	s_mov_b32 s1, exec_lo
	v_cmpx_eq_u32_e32 40, v143
	s_cbranch_execz .LBB126_687
; %bb.684:
	v_cmp_ne_u32_e32 vcc_lo, 40, v134
	s_xor_b32 s2, s6, -1
	s_and_b32 s3, s2, vcc_lo
	s_and_saveexec_b32 s2, s3
	s_cbranch_execz .LBB126_686
; %bb.685:
	v_ashrrev_i32_e32 v135, 31, v134
	v_lshlrev_b64 v[135:136], 2, v[134:135]
	v_add_co_u32 v135, vcc_lo, v4, v135
	v_add_co_ci_u32_e64 v136, null, v5, v136, vcc_lo
	s_clause 0x1
	global_load_dword v142, v[135:136], off
	global_load_dword v143, v[4:5], off offset:160
	s_waitcnt vmcnt(1)
	global_store_dword v[4:5], v142, off offset:160
	s_waitcnt vmcnt(0)
	global_store_dword v[135:136], v143, off
.LBB126_686:
	s_or_b32 exec_lo, exec_lo, s2
	v_mov_b32_e32 v142, v134
	v_mov_b32_e32 v143, v134
.LBB126_687:
	s_or_b32 exec_lo, exec_lo, s1
.LBB126_688:
	s_andn2_saveexec_b32 s0, s0
	s_cbranch_execz .LBB126_690
; %bb.689:
	v_mov_b32_e32 v143, 40
	ds_write2_b64 v140, v[48:49], v[46:47] offset0:41 offset1:42
	ds_write2_b64 v140, v[44:45], v[42:43] offset0:43 offset1:44
	;; [unrolled: 1-line block ×11, first 2 shown]
	ds_write_b64 v140, v[132:133] offset:504
.LBB126_690:
	s_or_b32 exec_lo, exec_lo, s0
	s_mov_b32 s0, exec_lo
	s_waitcnt lgkmcnt(0)
	s_waitcnt_vscnt null, 0x0
	s_barrier
	buffer_gl0_inv
	v_cmpx_lt_i32_e32 40, v143
	s_cbranch_execz .LBB126_692
; %bb.691:
	v_mul_f64 v[50:51], v[0:1], v[50:51]
	ds_read2_b64 v[144:147], v140 offset0:41 offset1:42
	ds_read2_b64 v[148:151], v140 offset0:43 offset1:44
	;; [unrolled: 1-line block ×11, first 2 shown]
	ds_read_b64 v[0:1], v140 offset:504
	s_waitcnt lgkmcnt(11)
	v_fma_f64 v[48:49], -v[50:51], v[144:145], v[48:49]
	v_fma_f64 v[46:47], -v[50:51], v[146:147], v[46:47]
	s_waitcnt lgkmcnt(10)
	v_fma_f64 v[44:45], -v[50:51], v[148:149], v[44:45]
	v_fma_f64 v[42:43], -v[50:51], v[150:151], v[42:43]
	;; [unrolled: 3-line block ×11, first 2 shown]
	s_waitcnt lgkmcnt(0)
	v_fma_f64 v[132:133], -v[50:51], v[0:1], v[132:133]
.LBB126_692:
	s_or_b32 exec_lo, exec_lo, s0
	v_lshl_add_u32 v0, v143, 3, v140
	s_barrier
	buffer_gl0_inv
	v_mov_b32_e32 v134, 41
	ds_write_b64 v0, v[48:49]
	s_waitcnt lgkmcnt(0)
	s_barrier
	buffer_gl0_inv
	ds_read_b64 v[0:1], v140 offset:328
	s_cmp_lt_i32 s7, 43
	s_cbranch_scc1 .LBB126_695
; %bb.693:
	v_add3_u32 v135, v141, 0, 0x150
	v_mov_b32_e32 v134, 41
	s_mov_b32 s0, 42
.LBB126_694:                            ; =>This Inner Loop Header: Depth=1
	ds_read_b64 v[144:145], v135
	v_add_nc_u32_e32 v135, 8, v135
	s_waitcnt lgkmcnt(0)
	v_cmp_lt_f64_e64 vcc_lo, |v[0:1]|, |v[144:145]|
	v_cndmask_b32_e32 v1, v1, v145, vcc_lo
	v_cndmask_b32_e32 v0, v0, v144, vcc_lo
	v_cndmask_b32_e64 v134, v134, s0, vcc_lo
	s_add_i32 s0, s0, 1
	s_cmp_lg_u32 s7, s0
	s_cbranch_scc1 .LBB126_694
.LBB126_695:
	s_mov_b32 s0, exec_lo
	s_waitcnt lgkmcnt(0)
	v_cmpx_eq_f64_e32 0, v[0:1]
	s_xor_b32 s0, exec_lo, s0
; %bb.696:
	v_cmp_ne_u32_e32 vcc_lo, 0, v137
	v_cndmask_b32_e32 v137, 42, v137, vcc_lo
; %bb.697:
	s_andn2_saveexec_b32 s0, s0
	s_cbranch_execz .LBB126_699
; %bb.698:
	v_div_scale_f64 v[135:136], null, v[0:1], v[0:1], 1.0
	v_rcp_f64_e32 v[144:145], v[135:136]
	v_fma_f64 v[146:147], -v[135:136], v[144:145], 1.0
	v_fma_f64 v[144:145], v[144:145], v[146:147], v[144:145]
	v_fma_f64 v[146:147], -v[135:136], v[144:145], 1.0
	v_fma_f64 v[144:145], v[144:145], v[146:147], v[144:145]
	v_div_scale_f64 v[146:147], vcc_lo, 1.0, v[0:1], 1.0
	v_mul_f64 v[148:149], v[146:147], v[144:145]
	v_fma_f64 v[135:136], -v[135:136], v[148:149], v[146:147]
	v_div_fmas_f64 v[135:136], v[135:136], v[144:145], v[148:149]
	v_div_fixup_f64 v[0:1], v[135:136], v[0:1], 1.0
.LBB126_699:
	s_or_b32 exec_lo, exec_lo, s0
	s_mov_b32 s0, exec_lo
	v_cmpx_ne_u32_e64 v143, v134
	s_xor_b32 s0, exec_lo, s0
	s_cbranch_execz .LBB126_705
; %bb.700:
	s_mov_b32 s1, exec_lo
	v_cmpx_eq_u32_e32 41, v143
	s_cbranch_execz .LBB126_704
; %bb.701:
	v_cmp_ne_u32_e32 vcc_lo, 41, v134
	s_xor_b32 s2, s6, -1
	s_and_b32 s3, s2, vcc_lo
	s_and_saveexec_b32 s2, s3
	s_cbranch_execz .LBB126_703
; %bb.702:
	v_ashrrev_i32_e32 v135, 31, v134
	v_lshlrev_b64 v[135:136], 2, v[134:135]
	v_add_co_u32 v135, vcc_lo, v4, v135
	v_add_co_ci_u32_e64 v136, null, v5, v136, vcc_lo
	s_clause 0x1
	global_load_dword v142, v[135:136], off
	global_load_dword v143, v[4:5], off offset:164
	s_waitcnt vmcnt(1)
	global_store_dword v[4:5], v142, off offset:164
	s_waitcnt vmcnt(0)
	global_store_dword v[135:136], v143, off
.LBB126_703:
	s_or_b32 exec_lo, exec_lo, s2
	v_mov_b32_e32 v142, v134
	v_mov_b32_e32 v143, v134
.LBB126_704:
	s_or_b32 exec_lo, exec_lo, s1
.LBB126_705:
	s_andn2_saveexec_b32 s0, s0
	s_cbranch_execz .LBB126_707
; %bb.706:
	v_mov_b32_e32 v134, v46
	v_mov_b32_e32 v135, v47
	;; [unrolled: 1-line block ×8, first 2 shown]
	ds_write2_b64 v140, v[134:135], v[143:144] offset0:42 offset1:43
	ds_write2_b64 v140, v[145:146], v[147:148] offset0:44 offset1:45
	v_mov_b32_e32 v134, v40
	v_mov_b32_e32 v135, v41
	;; [unrolled: 1-line block ×20, first 2 shown]
	ds_write2_b64 v140, v[134:135], v[143:144] offset0:46 offset1:47
	ds_write2_b64 v140, v[145:146], v[147:148] offset0:48 offset1:49
	ds_write2_b64 v140, v[149:150], v[151:152] offset0:50 offset1:51
	ds_write2_b64 v140, v[153:154], v[155:156] offset0:52 offset1:53
	ds_write2_b64 v140, v[157:158], v[159:160] offset0:54 offset1:55
	v_mov_b32_e32 v134, v20
	v_mov_b32_e32 v135, v21
	;; [unrolled: 1-line block ×15, first 2 shown]
	ds_write2_b64 v140, v[134:135], v[144:145] offset0:56 offset1:57
	ds_write2_b64 v140, v[146:147], v[148:149] offset0:58 offset1:59
	;; [unrolled: 1-line block ×4, first 2 shown]
.LBB126_707:
	s_or_b32 exec_lo, exec_lo, s0
	s_mov_b32 s0, exec_lo
	s_waitcnt lgkmcnt(0)
	s_waitcnt_vscnt null, 0x0
	s_barrier
	buffer_gl0_inv
	v_cmpx_lt_i32_e32 41, v143
	s_cbranch_execz .LBB126_709
; %bb.708:
	v_mul_f64 v[48:49], v[0:1], v[48:49]
	ds_read2_b64 v[144:147], v140 offset0:42 offset1:43
	ds_read2_b64 v[148:151], v140 offset0:44 offset1:45
	;; [unrolled: 1-line block ×11, first 2 shown]
	s_waitcnt lgkmcnt(10)
	v_fma_f64 v[46:47], -v[48:49], v[144:145], v[46:47]
	v_fma_f64 v[44:45], -v[48:49], v[146:147], v[44:45]
	s_waitcnt lgkmcnt(9)
	v_fma_f64 v[42:43], -v[48:49], v[148:149], v[42:43]
	v_fma_f64 v[38:39], -v[48:49], v[150:151], v[38:39]
	;; [unrolled: 3-line block ×11, first 2 shown]
.LBB126_709:
	s_or_b32 exec_lo, exec_lo, s0
	v_lshl_add_u32 v0, v143, 3, v140
	s_barrier
	buffer_gl0_inv
	v_mov_b32_e32 v134, 42
	ds_write_b64 v0, v[46:47]
	s_waitcnt lgkmcnt(0)
	s_barrier
	buffer_gl0_inv
	ds_read_b64 v[0:1], v140 offset:336
	s_cmp_lt_i32 s7, 44
	s_cbranch_scc1 .LBB126_712
; %bb.710:
	v_add3_u32 v135, v141, 0, 0x158
	v_mov_b32_e32 v134, 42
	s_mov_b32 s0, 43
.LBB126_711:                            ; =>This Inner Loop Header: Depth=1
	ds_read_b64 v[144:145], v135
	v_add_nc_u32_e32 v135, 8, v135
	s_waitcnt lgkmcnt(0)
	v_cmp_lt_f64_e64 vcc_lo, |v[0:1]|, |v[144:145]|
	v_cndmask_b32_e32 v1, v1, v145, vcc_lo
	v_cndmask_b32_e32 v0, v0, v144, vcc_lo
	v_cndmask_b32_e64 v134, v134, s0, vcc_lo
	s_add_i32 s0, s0, 1
	s_cmp_lg_u32 s7, s0
	s_cbranch_scc1 .LBB126_711
.LBB126_712:
	s_mov_b32 s0, exec_lo
	s_waitcnt lgkmcnt(0)
	v_cmpx_eq_f64_e32 0, v[0:1]
	s_xor_b32 s0, exec_lo, s0
; %bb.713:
	v_cmp_ne_u32_e32 vcc_lo, 0, v137
	v_cndmask_b32_e32 v137, 43, v137, vcc_lo
; %bb.714:
	s_andn2_saveexec_b32 s0, s0
	s_cbranch_execz .LBB126_716
; %bb.715:
	v_div_scale_f64 v[135:136], null, v[0:1], v[0:1], 1.0
	v_rcp_f64_e32 v[144:145], v[135:136]
	v_fma_f64 v[146:147], -v[135:136], v[144:145], 1.0
	v_fma_f64 v[144:145], v[144:145], v[146:147], v[144:145]
	v_fma_f64 v[146:147], -v[135:136], v[144:145], 1.0
	v_fma_f64 v[144:145], v[144:145], v[146:147], v[144:145]
	v_div_scale_f64 v[146:147], vcc_lo, 1.0, v[0:1], 1.0
	v_mul_f64 v[148:149], v[146:147], v[144:145]
	v_fma_f64 v[135:136], -v[135:136], v[148:149], v[146:147]
	v_div_fmas_f64 v[135:136], v[135:136], v[144:145], v[148:149]
	v_div_fixup_f64 v[0:1], v[135:136], v[0:1], 1.0
.LBB126_716:
	s_or_b32 exec_lo, exec_lo, s0
	s_mov_b32 s0, exec_lo
	v_cmpx_ne_u32_e64 v143, v134
	s_xor_b32 s0, exec_lo, s0
	s_cbranch_execz .LBB126_722
; %bb.717:
	s_mov_b32 s1, exec_lo
	v_cmpx_eq_u32_e32 42, v143
	s_cbranch_execz .LBB126_721
; %bb.718:
	v_cmp_ne_u32_e32 vcc_lo, 42, v134
	s_xor_b32 s2, s6, -1
	s_and_b32 s3, s2, vcc_lo
	s_and_saveexec_b32 s2, s3
	s_cbranch_execz .LBB126_720
; %bb.719:
	v_ashrrev_i32_e32 v135, 31, v134
	v_lshlrev_b64 v[135:136], 2, v[134:135]
	v_add_co_u32 v135, vcc_lo, v4, v135
	v_add_co_ci_u32_e64 v136, null, v5, v136, vcc_lo
	s_clause 0x1
	global_load_dword v142, v[135:136], off
	global_load_dword v143, v[4:5], off offset:168
	s_waitcnt vmcnt(1)
	global_store_dword v[4:5], v142, off offset:168
	s_waitcnt vmcnt(0)
	global_store_dword v[135:136], v143, off
.LBB126_720:
	s_or_b32 exec_lo, exec_lo, s2
	v_mov_b32_e32 v142, v134
	v_mov_b32_e32 v143, v134
.LBB126_721:
	s_or_b32 exec_lo, exec_lo, s1
.LBB126_722:
	s_andn2_saveexec_b32 s0, s0
	s_cbranch_execz .LBB126_724
; %bb.723:
	v_mov_b32_e32 v143, 42
	ds_write2_b64 v140, v[44:45], v[42:43] offset0:43 offset1:44
	ds_write2_b64 v140, v[38:39], v[40:41] offset0:45 offset1:46
	;; [unrolled: 1-line block ×10, first 2 shown]
	ds_write_b64 v140, v[132:133] offset:504
.LBB126_724:
	s_or_b32 exec_lo, exec_lo, s0
	s_mov_b32 s0, exec_lo
	s_waitcnt lgkmcnt(0)
	s_waitcnt_vscnt null, 0x0
	s_barrier
	buffer_gl0_inv
	v_cmpx_lt_i32_e32 42, v143
	s_cbranch_execz .LBB126_726
; %bb.725:
	v_mul_f64 v[46:47], v[0:1], v[46:47]
	ds_read2_b64 v[144:147], v140 offset0:43 offset1:44
	ds_read2_b64 v[148:151], v140 offset0:45 offset1:46
	;; [unrolled: 1-line block ×10, first 2 shown]
	ds_read_b64 v[0:1], v140 offset:504
	s_waitcnt lgkmcnt(10)
	v_fma_f64 v[44:45], -v[46:47], v[144:145], v[44:45]
	v_fma_f64 v[42:43], -v[46:47], v[146:147], v[42:43]
	s_waitcnt lgkmcnt(9)
	v_fma_f64 v[38:39], -v[46:47], v[148:149], v[38:39]
	v_fma_f64 v[40:41], -v[46:47], v[150:151], v[40:41]
	;; [unrolled: 3-line block ×10, first 2 shown]
	s_waitcnt lgkmcnt(0)
	v_fma_f64 v[132:133], -v[46:47], v[0:1], v[132:133]
.LBB126_726:
	s_or_b32 exec_lo, exec_lo, s0
	v_lshl_add_u32 v0, v143, 3, v140
	s_barrier
	buffer_gl0_inv
	v_mov_b32_e32 v134, 43
	ds_write_b64 v0, v[44:45]
	s_waitcnt lgkmcnt(0)
	s_barrier
	buffer_gl0_inv
	ds_read_b64 v[0:1], v140 offset:344
	s_cmp_lt_i32 s7, 45
	s_cbranch_scc1 .LBB126_729
; %bb.727:
	v_add3_u32 v135, v141, 0, 0x160
	v_mov_b32_e32 v134, 43
	s_mov_b32 s0, 44
.LBB126_728:                            ; =>This Inner Loop Header: Depth=1
	ds_read_b64 v[144:145], v135
	v_add_nc_u32_e32 v135, 8, v135
	s_waitcnt lgkmcnt(0)
	v_cmp_lt_f64_e64 vcc_lo, |v[0:1]|, |v[144:145]|
	v_cndmask_b32_e32 v1, v1, v145, vcc_lo
	v_cndmask_b32_e32 v0, v0, v144, vcc_lo
	v_cndmask_b32_e64 v134, v134, s0, vcc_lo
	s_add_i32 s0, s0, 1
	s_cmp_lg_u32 s7, s0
	s_cbranch_scc1 .LBB126_728
.LBB126_729:
	s_mov_b32 s0, exec_lo
	s_waitcnt lgkmcnt(0)
	v_cmpx_eq_f64_e32 0, v[0:1]
	s_xor_b32 s0, exec_lo, s0
; %bb.730:
	v_cmp_ne_u32_e32 vcc_lo, 0, v137
	v_cndmask_b32_e32 v137, 44, v137, vcc_lo
; %bb.731:
	s_andn2_saveexec_b32 s0, s0
	s_cbranch_execz .LBB126_733
; %bb.732:
	v_div_scale_f64 v[135:136], null, v[0:1], v[0:1], 1.0
	v_rcp_f64_e32 v[144:145], v[135:136]
	v_fma_f64 v[146:147], -v[135:136], v[144:145], 1.0
	v_fma_f64 v[144:145], v[144:145], v[146:147], v[144:145]
	v_fma_f64 v[146:147], -v[135:136], v[144:145], 1.0
	v_fma_f64 v[144:145], v[144:145], v[146:147], v[144:145]
	v_div_scale_f64 v[146:147], vcc_lo, 1.0, v[0:1], 1.0
	v_mul_f64 v[148:149], v[146:147], v[144:145]
	v_fma_f64 v[135:136], -v[135:136], v[148:149], v[146:147]
	v_div_fmas_f64 v[135:136], v[135:136], v[144:145], v[148:149]
	v_div_fixup_f64 v[0:1], v[135:136], v[0:1], 1.0
.LBB126_733:
	s_or_b32 exec_lo, exec_lo, s0
	s_mov_b32 s0, exec_lo
	v_cmpx_ne_u32_e64 v143, v134
	s_xor_b32 s0, exec_lo, s0
	s_cbranch_execz .LBB126_739
; %bb.734:
	s_mov_b32 s1, exec_lo
	v_cmpx_eq_u32_e32 43, v143
	s_cbranch_execz .LBB126_738
; %bb.735:
	v_cmp_ne_u32_e32 vcc_lo, 43, v134
	s_xor_b32 s2, s6, -1
	s_and_b32 s3, s2, vcc_lo
	s_and_saveexec_b32 s2, s3
	s_cbranch_execz .LBB126_737
; %bb.736:
	v_ashrrev_i32_e32 v135, 31, v134
	v_lshlrev_b64 v[135:136], 2, v[134:135]
	v_add_co_u32 v135, vcc_lo, v4, v135
	v_add_co_ci_u32_e64 v136, null, v5, v136, vcc_lo
	s_clause 0x1
	global_load_dword v142, v[135:136], off
	global_load_dword v143, v[4:5], off offset:172
	s_waitcnt vmcnt(1)
	global_store_dword v[4:5], v142, off offset:172
	s_waitcnt vmcnt(0)
	global_store_dword v[135:136], v143, off
.LBB126_737:
	s_or_b32 exec_lo, exec_lo, s2
	v_mov_b32_e32 v142, v134
	v_mov_b32_e32 v143, v134
.LBB126_738:
	s_or_b32 exec_lo, exec_lo, s1
.LBB126_739:
	s_andn2_saveexec_b32 s0, s0
	s_cbranch_execz .LBB126_741
; %bb.740:
	v_mov_b32_e32 v134, v42
	v_mov_b32_e32 v135, v43
	v_mov_b32_e32 v143, v38
	v_mov_b32_e32 v144, v39
	v_mov_b32_e32 v145, v40
	v_mov_b32_e32 v146, v41
	v_mov_b32_e32 v147, v32
	v_mov_b32_e32 v148, v33
	ds_write2_b64 v140, v[134:135], v[143:144] offset0:44 offset1:45
	v_mov_b32_e32 v134, v34
	v_mov_b32_e32 v135, v35
	;; [unrolled: 1-line block ×16, first 2 shown]
	ds_write2_b64 v140, v[145:146], v[134:135] offset0:46 offset1:47
	ds_write2_b64 v140, v[143:144], v[147:148] offset0:48 offset1:49
	;; [unrolled: 1-line block ×5, first 2 shown]
	v_mov_b32_e32 v134, v20
	v_mov_b32_e32 v135, v21
	;; [unrolled: 1-line block ×15, first 2 shown]
	ds_write2_b64 v140, v[134:135], v[144:145] offset0:56 offset1:57
	ds_write2_b64 v140, v[146:147], v[148:149] offset0:58 offset1:59
	;; [unrolled: 1-line block ×4, first 2 shown]
.LBB126_741:
	s_or_b32 exec_lo, exec_lo, s0
	s_mov_b32 s0, exec_lo
	s_waitcnt lgkmcnt(0)
	s_waitcnt_vscnt null, 0x0
	s_barrier
	buffer_gl0_inv
	v_cmpx_lt_i32_e32 43, v143
	s_cbranch_execz .LBB126_743
; %bb.742:
	v_mul_f64 v[44:45], v[0:1], v[44:45]
	ds_read2_b64 v[144:147], v140 offset0:44 offset1:45
	ds_read2_b64 v[148:151], v140 offset0:46 offset1:47
	;; [unrolled: 1-line block ×10, first 2 shown]
	s_waitcnt lgkmcnt(9)
	v_fma_f64 v[42:43], -v[44:45], v[144:145], v[42:43]
	v_fma_f64 v[38:39], -v[44:45], v[146:147], v[38:39]
	s_waitcnt lgkmcnt(8)
	v_fma_f64 v[40:41], -v[44:45], v[148:149], v[40:41]
	v_fma_f64 v[34:35], -v[44:45], v[150:151], v[34:35]
	;; [unrolled: 3-line block ×10, first 2 shown]
.LBB126_743:
	s_or_b32 exec_lo, exec_lo, s0
	v_lshl_add_u32 v0, v143, 3, v140
	s_barrier
	buffer_gl0_inv
	v_mov_b32_e32 v134, 44
	ds_write_b64 v0, v[42:43]
	s_waitcnt lgkmcnt(0)
	s_barrier
	buffer_gl0_inv
	ds_read_b64 v[0:1], v140 offset:352
	s_cmp_lt_i32 s7, 46
	s_cbranch_scc1 .LBB126_746
; %bb.744:
	v_add3_u32 v135, v141, 0, 0x168
	v_mov_b32_e32 v134, 44
	s_mov_b32 s0, 45
.LBB126_745:                            ; =>This Inner Loop Header: Depth=1
	ds_read_b64 v[144:145], v135
	v_add_nc_u32_e32 v135, 8, v135
	s_waitcnt lgkmcnt(0)
	v_cmp_lt_f64_e64 vcc_lo, |v[0:1]|, |v[144:145]|
	v_cndmask_b32_e32 v1, v1, v145, vcc_lo
	v_cndmask_b32_e32 v0, v0, v144, vcc_lo
	v_cndmask_b32_e64 v134, v134, s0, vcc_lo
	s_add_i32 s0, s0, 1
	s_cmp_lg_u32 s7, s0
	s_cbranch_scc1 .LBB126_745
.LBB126_746:
	s_mov_b32 s0, exec_lo
	s_waitcnt lgkmcnt(0)
	v_cmpx_eq_f64_e32 0, v[0:1]
	s_xor_b32 s0, exec_lo, s0
; %bb.747:
	v_cmp_ne_u32_e32 vcc_lo, 0, v137
	v_cndmask_b32_e32 v137, 45, v137, vcc_lo
; %bb.748:
	s_andn2_saveexec_b32 s0, s0
	s_cbranch_execz .LBB126_750
; %bb.749:
	v_div_scale_f64 v[135:136], null, v[0:1], v[0:1], 1.0
	v_rcp_f64_e32 v[144:145], v[135:136]
	v_fma_f64 v[146:147], -v[135:136], v[144:145], 1.0
	v_fma_f64 v[144:145], v[144:145], v[146:147], v[144:145]
	v_fma_f64 v[146:147], -v[135:136], v[144:145], 1.0
	v_fma_f64 v[144:145], v[144:145], v[146:147], v[144:145]
	v_div_scale_f64 v[146:147], vcc_lo, 1.0, v[0:1], 1.0
	v_mul_f64 v[148:149], v[146:147], v[144:145]
	v_fma_f64 v[135:136], -v[135:136], v[148:149], v[146:147]
	v_div_fmas_f64 v[135:136], v[135:136], v[144:145], v[148:149]
	v_div_fixup_f64 v[0:1], v[135:136], v[0:1], 1.0
.LBB126_750:
	s_or_b32 exec_lo, exec_lo, s0
	s_mov_b32 s0, exec_lo
	v_cmpx_ne_u32_e64 v143, v134
	s_xor_b32 s0, exec_lo, s0
	s_cbranch_execz .LBB126_756
; %bb.751:
	s_mov_b32 s1, exec_lo
	v_cmpx_eq_u32_e32 44, v143
	s_cbranch_execz .LBB126_755
; %bb.752:
	v_cmp_ne_u32_e32 vcc_lo, 44, v134
	s_xor_b32 s2, s6, -1
	s_and_b32 s3, s2, vcc_lo
	s_and_saveexec_b32 s2, s3
	s_cbranch_execz .LBB126_754
; %bb.753:
	v_ashrrev_i32_e32 v135, 31, v134
	v_lshlrev_b64 v[135:136], 2, v[134:135]
	v_add_co_u32 v135, vcc_lo, v4, v135
	v_add_co_ci_u32_e64 v136, null, v5, v136, vcc_lo
	s_clause 0x1
	global_load_dword v142, v[135:136], off
	global_load_dword v143, v[4:5], off offset:176
	s_waitcnt vmcnt(1)
	global_store_dword v[4:5], v142, off offset:176
	s_waitcnt vmcnt(0)
	global_store_dword v[135:136], v143, off
.LBB126_754:
	s_or_b32 exec_lo, exec_lo, s2
	v_mov_b32_e32 v142, v134
	v_mov_b32_e32 v143, v134
.LBB126_755:
	s_or_b32 exec_lo, exec_lo, s1
.LBB126_756:
	s_andn2_saveexec_b32 s0, s0
	s_cbranch_execz .LBB126_758
; %bb.757:
	v_mov_b32_e32 v143, 44
	ds_write2_b64 v140, v[38:39], v[40:41] offset0:45 offset1:46
	ds_write2_b64 v140, v[34:35], v[36:37] offset0:47 offset1:48
	;; [unrolled: 1-line block ×9, first 2 shown]
	ds_write_b64 v140, v[132:133] offset:504
.LBB126_758:
	s_or_b32 exec_lo, exec_lo, s0
	s_mov_b32 s0, exec_lo
	s_waitcnt lgkmcnt(0)
	s_waitcnt_vscnt null, 0x0
	s_barrier
	buffer_gl0_inv
	v_cmpx_lt_i32_e32 44, v143
	s_cbranch_execz .LBB126_760
; %bb.759:
	v_mul_f64 v[42:43], v[0:1], v[42:43]
	ds_read2_b64 v[144:147], v140 offset0:45 offset1:46
	ds_read2_b64 v[148:151], v140 offset0:47 offset1:48
	;; [unrolled: 1-line block ×9, first 2 shown]
	ds_read_b64 v[0:1], v140 offset:504
	s_waitcnt lgkmcnt(9)
	v_fma_f64 v[38:39], -v[42:43], v[144:145], v[38:39]
	v_fma_f64 v[40:41], -v[42:43], v[146:147], v[40:41]
	s_waitcnt lgkmcnt(8)
	v_fma_f64 v[34:35], -v[42:43], v[148:149], v[34:35]
	v_fma_f64 v[36:37], -v[42:43], v[150:151], v[36:37]
	s_waitcnt lgkmcnt(7)
	v_fma_f64 v[32:33], -v[42:43], v[152:153], v[32:33]
	v_fma_f64 v[30:31], -v[42:43], v[154:155], v[30:31]
	s_waitcnt lgkmcnt(6)
	v_fma_f64 v[28:29], -v[42:43], v[156:157], v[28:29]
	v_fma_f64 v[26:27], -v[42:43], v[158:159], v[26:27]
	s_waitcnt lgkmcnt(5)
	v_fma_f64 v[24:25], -v[42:43], v[160:161], v[24:25]
	v_fma_f64 v[22:23], -v[42:43], v[162:163], v[22:23]
	s_waitcnt lgkmcnt(4)
	v_fma_f64 v[18:19], -v[42:43], v[164:165], v[18:19]
	v_fma_f64 v[20:21], -v[42:43], v[166:167], v[20:21]
	s_waitcnt lgkmcnt(3)
	v_fma_f64 v[16:17], -v[42:43], v[168:169], v[16:17]
	v_fma_f64 v[14:15], -v[42:43], v[170:171], v[14:15]
	s_waitcnt lgkmcnt(2)
	v_fma_f64 v[8:9], -v[42:43], v[172:173], v[8:9]
	v_fma_f64 v[12:13], -v[42:43], v[174:175], v[12:13]
	s_waitcnt lgkmcnt(1)
	v_fma_f64 v[6:7], -v[42:43], v[176:177], v[6:7]
	v_fma_f64 v[10:11], -v[42:43], v[178:179], v[10:11]
	s_waitcnt lgkmcnt(0)
	v_fma_f64 v[132:133], -v[42:43], v[0:1], v[132:133]
.LBB126_760:
	s_or_b32 exec_lo, exec_lo, s0
	v_lshl_add_u32 v0, v143, 3, v140
	s_barrier
	buffer_gl0_inv
	v_mov_b32_e32 v134, 45
	ds_write_b64 v0, v[38:39]
	s_waitcnt lgkmcnt(0)
	s_barrier
	buffer_gl0_inv
	ds_read_b64 v[0:1], v140 offset:360
	s_cmp_lt_i32 s7, 47
	s_cbranch_scc1 .LBB126_763
; %bb.761:
	v_add3_u32 v135, v141, 0, 0x170
	v_mov_b32_e32 v134, 45
	s_mov_b32 s0, 46
.LBB126_762:                            ; =>This Inner Loop Header: Depth=1
	ds_read_b64 v[144:145], v135
	v_add_nc_u32_e32 v135, 8, v135
	s_waitcnt lgkmcnt(0)
	v_cmp_lt_f64_e64 vcc_lo, |v[0:1]|, |v[144:145]|
	v_cndmask_b32_e32 v1, v1, v145, vcc_lo
	v_cndmask_b32_e32 v0, v0, v144, vcc_lo
	v_cndmask_b32_e64 v134, v134, s0, vcc_lo
	s_add_i32 s0, s0, 1
	s_cmp_lg_u32 s7, s0
	s_cbranch_scc1 .LBB126_762
.LBB126_763:
	s_mov_b32 s0, exec_lo
	s_waitcnt lgkmcnt(0)
	v_cmpx_eq_f64_e32 0, v[0:1]
	s_xor_b32 s0, exec_lo, s0
; %bb.764:
	v_cmp_ne_u32_e32 vcc_lo, 0, v137
	v_cndmask_b32_e32 v137, 46, v137, vcc_lo
; %bb.765:
	s_andn2_saveexec_b32 s0, s0
	s_cbranch_execz .LBB126_767
; %bb.766:
	v_div_scale_f64 v[135:136], null, v[0:1], v[0:1], 1.0
	v_rcp_f64_e32 v[144:145], v[135:136]
	v_fma_f64 v[146:147], -v[135:136], v[144:145], 1.0
	v_fma_f64 v[144:145], v[144:145], v[146:147], v[144:145]
	v_fma_f64 v[146:147], -v[135:136], v[144:145], 1.0
	v_fma_f64 v[144:145], v[144:145], v[146:147], v[144:145]
	v_div_scale_f64 v[146:147], vcc_lo, 1.0, v[0:1], 1.0
	v_mul_f64 v[148:149], v[146:147], v[144:145]
	v_fma_f64 v[135:136], -v[135:136], v[148:149], v[146:147]
	v_div_fmas_f64 v[135:136], v[135:136], v[144:145], v[148:149]
	v_div_fixup_f64 v[0:1], v[135:136], v[0:1], 1.0
.LBB126_767:
	s_or_b32 exec_lo, exec_lo, s0
	s_mov_b32 s0, exec_lo
	v_cmpx_ne_u32_e64 v143, v134
	s_xor_b32 s0, exec_lo, s0
	s_cbranch_execz .LBB126_773
; %bb.768:
	s_mov_b32 s1, exec_lo
	v_cmpx_eq_u32_e32 45, v143
	s_cbranch_execz .LBB126_772
; %bb.769:
	v_cmp_ne_u32_e32 vcc_lo, 45, v134
	s_xor_b32 s2, s6, -1
	s_and_b32 s3, s2, vcc_lo
	s_and_saveexec_b32 s2, s3
	s_cbranch_execz .LBB126_771
; %bb.770:
	v_ashrrev_i32_e32 v135, 31, v134
	v_lshlrev_b64 v[135:136], 2, v[134:135]
	v_add_co_u32 v135, vcc_lo, v4, v135
	v_add_co_ci_u32_e64 v136, null, v5, v136, vcc_lo
	s_clause 0x1
	global_load_dword v142, v[135:136], off
	global_load_dword v143, v[4:5], off offset:180
	s_waitcnt vmcnt(1)
	global_store_dword v[4:5], v142, off offset:180
	s_waitcnt vmcnt(0)
	global_store_dword v[135:136], v143, off
.LBB126_771:
	s_or_b32 exec_lo, exec_lo, s2
	v_mov_b32_e32 v142, v134
	v_mov_b32_e32 v143, v134
.LBB126_772:
	s_or_b32 exec_lo, exec_lo, s1
.LBB126_773:
	s_andn2_saveexec_b32 s0, s0
	s_cbranch_execz .LBB126_775
; %bb.774:
	v_mov_b32_e32 v134, v40
	v_mov_b32_e32 v135, v41
	v_mov_b32_e32 v143, v34
	v_mov_b32_e32 v144, v35
	v_mov_b32_e32 v145, v36
	v_mov_b32_e32 v146, v37
	v_mov_b32_e32 v147, v32
	v_mov_b32_e32 v148, v33
	v_mov_b32_e32 v149, v30
	v_mov_b32_e32 v150, v31
	v_mov_b32_e32 v151, v28
	v_mov_b32_e32 v152, v29
	v_mov_b32_e32 v153, v26
	v_mov_b32_e32 v154, v27
	v_mov_b32_e32 v155, v24
	v_mov_b32_e32 v156, v25
	v_mov_b32_e32 v157, v22
	v_mov_b32_e32 v158, v23
	v_mov_b32_e32 v159, v18
	v_mov_b32_e32 v160, v19
	ds_write2_b64 v140, v[134:135], v[143:144] offset0:46 offset1:47
	ds_write2_b64 v140, v[145:146], v[147:148] offset0:48 offset1:49
	;; [unrolled: 1-line block ×5, first 2 shown]
	v_mov_b32_e32 v134, v20
	v_mov_b32_e32 v135, v21
	;; [unrolled: 1-line block ×15, first 2 shown]
	ds_write2_b64 v140, v[134:135], v[144:145] offset0:56 offset1:57
	ds_write2_b64 v140, v[146:147], v[148:149] offset0:58 offset1:59
	ds_write2_b64 v140, v[150:151], v[152:153] offset0:60 offset1:61
	ds_write2_b64 v140, v[154:155], v[132:133] offset0:62 offset1:63
.LBB126_775:
	s_or_b32 exec_lo, exec_lo, s0
	s_mov_b32 s0, exec_lo
	s_waitcnt lgkmcnt(0)
	s_waitcnt_vscnt null, 0x0
	s_barrier
	buffer_gl0_inv
	v_cmpx_lt_i32_e32 45, v143
	s_cbranch_execz .LBB126_777
; %bb.776:
	v_mul_f64 v[38:39], v[0:1], v[38:39]
	ds_read2_b64 v[144:147], v140 offset0:46 offset1:47
	ds_read2_b64 v[148:151], v140 offset0:48 offset1:49
	;; [unrolled: 1-line block ×9, first 2 shown]
	s_waitcnt lgkmcnt(8)
	v_fma_f64 v[40:41], -v[38:39], v[144:145], v[40:41]
	v_fma_f64 v[34:35], -v[38:39], v[146:147], v[34:35]
	s_waitcnt lgkmcnt(7)
	v_fma_f64 v[36:37], -v[38:39], v[148:149], v[36:37]
	v_fma_f64 v[32:33], -v[38:39], v[150:151], v[32:33]
	;; [unrolled: 3-line block ×9, first 2 shown]
.LBB126_777:
	s_or_b32 exec_lo, exec_lo, s0
	v_lshl_add_u32 v0, v143, 3, v140
	s_barrier
	buffer_gl0_inv
	v_mov_b32_e32 v134, 46
	ds_write_b64 v0, v[40:41]
	s_waitcnt lgkmcnt(0)
	s_barrier
	buffer_gl0_inv
	ds_read_b64 v[0:1], v140 offset:368
	s_cmp_lt_i32 s7, 48
	s_cbranch_scc1 .LBB126_780
; %bb.778:
	v_add3_u32 v135, v141, 0, 0x178
	v_mov_b32_e32 v134, 46
	s_mov_b32 s0, 47
.LBB126_779:                            ; =>This Inner Loop Header: Depth=1
	ds_read_b64 v[144:145], v135
	v_add_nc_u32_e32 v135, 8, v135
	s_waitcnt lgkmcnt(0)
	v_cmp_lt_f64_e64 vcc_lo, |v[0:1]|, |v[144:145]|
	v_cndmask_b32_e32 v1, v1, v145, vcc_lo
	v_cndmask_b32_e32 v0, v0, v144, vcc_lo
	v_cndmask_b32_e64 v134, v134, s0, vcc_lo
	s_add_i32 s0, s0, 1
	s_cmp_lg_u32 s7, s0
	s_cbranch_scc1 .LBB126_779
.LBB126_780:
	s_mov_b32 s0, exec_lo
	s_waitcnt lgkmcnt(0)
	v_cmpx_eq_f64_e32 0, v[0:1]
	s_xor_b32 s0, exec_lo, s0
; %bb.781:
	v_cmp_ne_u32_e32 vcc_lo, 0, v137
	v_cndmask_b32_e32 v137, 47, v137, vcc_lo
; %bb.782:
	s_andn2_saveexec_b32 s0, s0
	s_cbranch_execz .LBB126_784
; %bb.783:
	v_div_scale_f64 v[135:136], null, v[0:1], v[0:1], 1.0
	v_rcp_f64_e32 v[144:145], v[135:136]
	v_fma_f64 v[146:147], -v[135:136], v[144:145], 1.0
	v_fma_f64 v[144:145], v[144:145], v[146:147], v[144:145]
	v_fma_f64 v[146:147], -v[135:136], v[144:145], 1.0
	v_fma_f64 v[144:145], v[144:145], v[146:147], v[144:145]
	v_div_scale_f64 v[146:147], vcc_lo, 1.0, v[0:1], 1.0
	v_mul_f64 v[148:149], v[146:147], v[144:145]
	v_fma_f64 v[135:136], -v[135:136], v[148:149], v[146:147]
	v_div_fmas_f64 v[135:136], v[135:136], v[144:145], v[148:149]
	v_div_fixup_f64 v[0:1], v[135:136], v[0:1], 1.0
.LBB126_784:
	s_or_b32 exec_lo, exec_lo, s0
	s_mov_b32 s0, exec_lo
	v_cmpx_ne_u32_e64 v143, v134
	s_xor_b32 s0, exec_lo, s0
	s_cbranch_execz .LBB126_790
; %bb.785:
	s_mov_b32 s1, exec_lo
	v_cmpx_eq_u32_e32 46, v143
	s_cbranch_execz .LBB126_789
; %bb.786:
	v_cmp_ne_u32_e32 vcc_lo, 46, v134
	s_xor_b32 s2, s6, -1
	s_and_b32 s3, s2, vcc_lo
	s_and_saveexec_b32 s2, s3
	s_cbranch_execz .LBB126_788
; %bb.787:
	v_ashrrev_i32_e32 v135, 31, v134
	v_lshlrev_b64 v[135:136], 2, v[134:135]
	v_add_co_u32 v135, vcc_lo, v4, v135
	v_add_co_ci_u32_e64 v136, null, v5, v136, vcc_lo
	s_clause 0x1
	global_load_dword v142, v[135:136], off
	global_load_dword v143, v[4:5], off offset:184
	s_waitcnt vmcnt(1)
	global_store_dword v[4:5], v142, off offset:184
	s_waitcnt vmcnt(0)
	global_store_dword v[135:136], v143, off
.LBB126_788:
	s_or_b32 exec_lo, exec_lo, s2
	v_mov_b32_e32 v142, v134
	v_mov_b32_e32 v143, v134
.LBB126_789:
	s_or_b32 exec_lo, exec_lo, s1
.LBB126_790:
	s_andn2_saveexec_b32 s0, s0
	s_cbranch_execz .LBB126_792
; %bb.791:
	v_mov_b32_e32 v143, 46
	ds_write2_b64 v140, v[34:35], v[36:37] offset0:47 offset1:48
	ds_write2_b64 v140, v[32:33], v[30:31] offset0:49 offset1:50
	ds_write2_b64 v140, v[28:29], v[26:27] offset0:51 offset1:52
	ds_write2_b64 v140, v[24:25], v[22:23] offset0:53 offset1:54
	ds_write2_b64 v140, v[18:19], v[20:21] offset0:55 offset1:56
	ds_write2_b64 v140, v[16:17], v[14:15] offset0:57 offset1:58
	ds_write2_b64 v140, v[8:9], v[12:13] offset0:59 offset1:60
	ds_write2_b64 v140, v[6:7], v[10:11] offset0:61 offset1:62
	ds_write_b64 v140, v[132:133] offset:504
.LBB126_792:
	s_or_b32 exec_lo, exec_lo, s0
	s_mov_b32 s0, exec_lo
	s_waitcnt lgkmcnt(0)
	s_waitcnt_vscnt null, 0x0
	s_barrier
	buffer_gl0_inv
	v_cmpx_lt_i32_e32 46, v143
	s_cbranch_execz .LBB126_794
; %bb.793:
	v_mul_f64 v[40:41], v[0:1], v[40:41]
	ds_read2_b64 v[144:147], v140 offset0:47 offset1:48
	ds_read2_b64 v[148:151], v140 offset0:49 offset1:50
	;; [unrolled: 1-line block ×8, first 2 shown]
	ds_read_b64 v[0:1], v140 offset:504
	s_waitcnt lgkmcnt(8)
	v_fma_f64 v[34:35], -v[40:41], v[144:145], v[34:35]
	v_fma_f64 v[36:37], -v[40:41], v[146:147], v[36:37]
	s_waitcnt lgkmcnt(7)
	v_fma_f64 v[32:33], -v[40:41], v[148:149], v[32:33]
	v_fma_f64 v[30:31], -v[40:41], v[150:151], v[30:31]
	;; [unrolled: 3-line block ×8, first 2 shown]
	s_waitcnt lgkmcnt(0)
	v_fma_f64 v[132:133], -v[40:41], v[0:1], v[132:133]
.LBB126_794:
	s_or_b32 exec_lo, exec_lo, s0
	v_lshl_add_u32 v0, v143, 3, v140
	s_barrier
	buffer_gl0_inv
	v_mov_b32_e32 v134, 47
	ds_write_b64 v0, v[34:35]
	s_waitcnt lgkmcnt(0)
	s_barrier
	buffer_gl0_inv
	ds_read_b64 v[0:1], v140 offset:376
	s_cmp_lt_i32 s7, 49
	s_cbranch_scc1 .LBB126_797
; %bb.795:
	v_add3_u32 v135, v141, 0, 0x180
	v_mov_b32_e32 v134, 47
	s_mov_b32 s0, 48
.LBB126_796:                            ; =>This Inner Loop Header: Depth=1
	ds_read_b64 v[144:145], v135
	v_add_nc_u32_e32 v135, 8, v135
	s_waitcnt lgkmcnt(0)
	v_cmp_lt_f64_e64 vcc_lo, |v[0:1]|, |v[144:145]|
	v_cndmask_b32_e32 v1, v1, v145, vcc_lo
	v_cndmask_b32_e32 v0, v0, v144, vcc_lo
	v_cndmask_b32_e64 v134, v134, s0, vcc_lo
	s_add_i32 s0, s0, 1
	s_cmp_lg_u32 s7, s0
	s_cbranch_scc1 .LBB126_796
.LBB126_797:
	s_mov_b32 s0, exec_lo
	s_waitcnt lgkmcnt(0)
	v_cmpx_eq_f64_e32 0, v[0:1]
	s_xor_b32 s0, exec_lo, s0
; %bb.798:
	v_cmp_ne_u32_e32 vcc_lo, 0, v137
	v_cndmask_b32_e32 v137, 48, v137, vcc_lo
; %bb.799:
	s_andn2_saveexec_b32 s0, s0
	s_cbranch_execz .LBB126_801
; %bb.800:
	v_div_scale_f64 v[135:136], null, v[0:1], v[0:1], 1.0
	v_rcp_f64_e32 v[144:145], v[135:136]
	v_fma_f64 v[146:147], -v[135:136], v[144:145], 1.0
	v_fma_f64 v[144:145], v[144:145], v[146:147], v[144:145]
	v_fma_f64 v[146:147], -v[135:136], v[144:145], 1.0
	v_fma_f64 v[144:145], v[144:145], v[146:147], v[144:145]
	v_div_scale_f64 v[146:147], vcc_lo, 1.0, v[0:1], 1.0
	v_mul_f64 v[148:149], v[146:147], v[144:145]
	v_fma_f64 v[135:136], -v[135:136], v[148:149], v[146:147]
	v_div_fmas_f64 v[135:136], v[135:136], v[144:145], v[148:149]
	v_div_fixup_f64 v[0:1], v[135:136], v[0:1], 1.0
.LBB126_801:
	s_or_b32 exec_lo, exec_lo, s0
	s_mov_b32 s0, exec_lo
	v_cmpx_ne_u32_e64 v143, v134
	s_xor_b32 s0, exec_lo, s0
	s_cbranch_execz .LBB126_807
; %bb.802:
	s_mov_b32 s1, exec_lo
	v_cmpx_eq_u32_e32 47, v143
	s_cbranch_execz .LBB126_806
; %bb.803:
	v_cmp_ne_u32_e32 vcc_lo, 47, v134
	s_xor_b32 s2, s6, -1
	s_and_b32 s3, s2, vcc_lo
	s_and_saveexec_b32 s2, s3
	s_cbranch_execz .LBB126_805
; %bb.804:
	v_ashrrev_i32_e32 v135, 31, v134
	v_lshlrev_b64 v[135:136], 2, v[134:135]
	v_add_co_u32 v135, vcc_lo, v4, v135
	v_add_co_ci_u32_e64 v136, null, v5, v136, vcc_lo
	s_clause 0x1
	global_load_dword v142, v[135:136], off
	global_load_dword v143, v[4:5], off offset:188
	s_waitcnt vmcnt(1)
	global_store_dword v[4:5], v142, off offset:188
	s_waitcnt vmcnt(0)
	global_store_dword v[135:136], v143, off
.LBB126_805:
	s_or_b32 exec_lo, exec_lo, s2
	v_mov_b32_e32 v142, v134
	v_mov_b32_e32 v143, v134
.LBB126_806:
	s_or_b32 exec_lo, exec_lo, s1
.LBB126_807:
	s_andn2_saveexec_b32 s0, s0
	s_cbranch_execz .LBB126_809
; %bb.808:
	v_mov_b32_e32 v134, v36
	v_mov_b32_e32 v135, v37
	;; [unrolled: 1-line block ×16, first 2 shown]
	ds_write2_b64 v140, v[134:135], v[143:144] offset0:48 offset1:49
	ds_write2_b64 v140, v[145:146], v[147:148] offset0:50 offset1:51
	ds_write2_b64 v140, v[149:150], v[151:152] offset0:52 offset1:53
	ds_write2_b64 v140, v[153:154], v[155:156] offset0:54 offset1:55
	v_mov_b32_e32 v134, v20
	v_mov_b32_e32 v135, v21
	;; [unrolled: 1-line block ×15, first 2 shown]
	ds_write2_b64 v140, v[134:135], v[144:145] offset0:56 offset1:57
	ds_write2_b64 v140, v[146:147], v[148:149] offset0:58 offset1:59
	;; [unrolled: 1-line block ×4, first 2 shown]
.LBB126_809:
	s_or_b32 exec_lo, exec_lo, s0
	s_mov_b32 s0, exec_lo
	s_waitcnt lgkmcnt(0)
	s_waitcnt_vscnt null, 0x0
	s_barrier
	buffer_gl0_inv
	v_cmpx_lt_i32_e32 47, v143
	s_cbranch_execz .LBB126_811
; %bb.810:
	v_mul_f64 v[34:35], v[0:1], v[34:35]
	ds_read2_b64 v[144:147], v140 offset0:48 offset1:49
	ds_read2_b64 v[148:151], v140 offset0:50 offset1:51
	;; [unrolled: 1-line block ×8, first 2 shown]
	s_waitcnt lgkmcnt(7)
	v_fma_f64 v[36:37], -v[34:35], v[144:145], v[36:37]
	v_fma_f64 v[32:33], -v[34:35], v[146:147], v[32:33]
	s_waitcnt lgkmcnt(6)
	v_fma_f64 v[30:31], -v[34:35], v[148:149], v[30:31]
	v_fma_f64 v[28:29], -v[34:35], v[150:151], v[28:29]
	;; [unrolled: 3-line block ×8, first 2 shown]
.LBB126_811:
	s_or_b32 exec_lo, exec_lo, s0
	v_lshl_add_u32 v0, v143, 3, v140
	s_barrier
	buffer_gl0_inv
	v_mov_b32_e32 v134, 48
	ds_write_b64 v0, v[36:37]
	s_waitcnt lgkmcnt(0)
	s_barrier
	buffer_gl0_inv
	ds_read_b64 v[0:1], v140 offset:384
	s_cmp_lt_i32 s7, 50
	s_cbranch_scc1 .LBB126_814
; %bb.812:
	v_add3_u32 v135, v141, 0, 0x188
	v_mov_b32_e32 v134, 48
	s_mov_b32 s0, 49
.LBB126_813:                            ; =>This Inner Loop Header: Depth=1
	ds_read_b64 v[144:145], v135
	v_add_nc_u32_e32 v135, 8, v135
	s_waitcnt lgkmcnt(0)
	v_cmp_lt_f64_e64 vcc_lo, |v[0:1]|, |v[144:145]|
	v_cndmask_b32_e32 v1, v1, v145, vcc_lo
	v_cndmask_b32_e32 v0, v0, v144, vcc_lo
	v_cndmask_b32_e64 v134, v134, s0, vcc_lo
	s_add_i32 s0, s0, 1
	s_cmp_lg_u32 s7, s0
	s_cbranch_scc1 .LBB126_813
.LBB126_814:
	s_mov_b32 s0, exec_lo
	s_waitcnt lgkmcnt(0)
	v_cmpx_eq_f64_e32 0, v[0:1]
	s_xor_b32 s0, exec_lo, s0
; %bb.815:
	v_cmp_ne_u32_e32 vcc_lo, 0, v137
	v_cndmask_b32_e32 v137, 49, v137, vcc_lo
; %bb.816:
	s_andn2_saveexec_b32 s0, s0
	s_cbranch_execz .LBB126_818
; %bb.817:
	v_div_scale_f64 v[135:136], null, v[0:1], v[0:1], 1.0
	v_rcp_f64_e32 v[144:145], v[135:136]
	v_fma_f64 v[146:147], -v[135:136], v[144:145], 1.0
	v_fma_f64 v[144:145], v[144:145], v[146:147], v[144:145]
	v_fma_f64 v[146:147], -v[135:136], v[144:145], 1.0
	v_fma_f64 v[144:145], v[144:145], v[146:147], v[144:145]
	v_div_scale_f64 v[146:147], vcc_lo, 1.0, v[0:1], 1.0
	v_mul_f64 v[148:149], v[146:147], v[144:145]
	v_fma_f64 v[135:136], -v[135:136], v[148:149], v[146:147]
	v_div_fmas_f64 v[135:136], v[135:136], v[144:145], v[148:149]
	v_div_fixup_f64 v[0:1], v[135:136], v[0:1], 1.0
.LBB126_818:
	s_or_b32 exec_lo, exec_lo, s0
	s_mov_b32 s0, exec_lo
	v_cmpx_ne_u32_e64 v143, v134
	s_xor_b32 s0, exec_lo, s0
	s_cbranch_execz .LBB126_824
; %bb.819:
	s_mov_b32 s1, exec_lo
	v_cmpx_eq_u32_e32 48, v143
	s_cbranch_execz .LBB126_823
; %bb.820:
	v_cmp_ne_u32_e32 vcc_lo, 48, v134
	s_xor_b32 s2, s6, -1
	s_and_b32 s3, s2, vcc_lo
	s_and_saveexec_b32 s2, s3
	s_cbranch_execz .LBB126_822
; %bb.821:
	v_ashrrev_i32_e32 v135, 31, v134
	v_lshlrev_b64 v[135:136], 2, v[134:135]
	v_add_co_u32 v135, vcc_lo, v4, v135
	v_add_co_ci_u32_e64 v136, null, v5, v136, vcc_lo
	s_clause 0x1
	global_load_dword v142, v[135:136], off
	global_load_dword v143, v[4:5], off offset:192
	s_waitcnt vmcnt(1)
	global_store_dword v[4:5], v142, off offset:192
	s_waitcnt vmcnt(0)
	global_store_dword v[135:136], v143, off
.LBB126_822:
	s_or_b32 exec_lo, exec_lo, s2
	v_mov_b32_e32 v142, v134
	v_mov_b32_e32 v143, v134
.LBB126_823:
	s_or_b32 exec_lo, exec_lo, s1
.LBB126_824:
	s_andn2_saveexec_b32 s0, s0
	s_cbranch_execz .LBB126_826
; %bb.825:
	v_mov_b32_e32 v143, 48
	ds_write2_b64 v140, v[32:33], v[30:31] offset0:49 offset1:50
	ds_write2_b64 v140, v[28:29], v[26:27] offset0:51 offset1:52
	;; [unrolled: 1-line block ×7, first 2 shown]
	ds_write_b64 v140, v[132:133] offset:504
.LBB126_826:
	s_or_b32 exec_lo, exec_lo, s0
	s_mov_b32 s0, exec_lo
	s_waitcnt lgkmcnt(0)
	s_waitcnt_vscnt null, 0x0
	s_barrier
	buffer_gl0_inv
	v_cmpx_lt_i32_e32 48, v143
	s_cbranch_execz .LBB126_828
; %bb.827:
	v_mul_f64 v[36:37], v[0:1], v[36:37]
	ds_read2_b64 v[144:147], v140 offset0:49 offset1:50
	ds_read2_b64 v[148:151], v140 offset0:51 offset1:52
	;; [unrolled: 1-line block ×7, first 2 shown]
	ds_read_b64 v[0:1], v140 offset:504
	s_waitcnt lgkmcnt(7)
	v_fma_f64 v[32:33], -v[36:37], v[144:145], v[32:33]
	v_fma_f64 v[30:31], -v[36:37], v[146:147], v[30:31]
	s_waitcnt lgkmcnt(6)
	v_fma_f64 v[28:29], -v[36:37], v[148:149], v[28:29]
	v_fma_f64 v[26:27], -v[36:37], v[150:151], v[26:27]
	;; [unrolled: 3-line block ×7, first 2 shown]
	s_waitcnt lgkmcnt(0)
	v_fma_f64 v[132:133], -v[36:37], v[0:1], v[132:133]
.LBB126_828:
	s_or_b32 exec_lo, exec_lo, s0
	v_lshl_add_u32 v0, v143, 3, v140
	s_barrier
	buffer_gl0_inv
	v_mov_b32_e32 v134, 49
	ds_write_b64 v0, v[32:33]
	s_waitcnt lgkmcnt(0)
	s_barrier
	buffer_gl0_inv
	ds_read_b64 v[0:1], v140 offset:392
	s_cmp_lt_i32 s7, 51
	s_cbranch_scc1 .LBB126_831
; %bb.829:
	v_add3_u32 v135, v141, 0, 0x190
	v_mov_b32_e32 v134, 49
	s_mov_b32 s0, 50
.LBB126_830:                            ; =>This Inner Loop Header: Depth=1
	ds_read_b64 v[144:145], v135
	v_add_nc_u32_e32 v135, 8, v135
	s_waitcnt lgkmcnt(0)
	v_cmp_lt_f64_e64 vcc_lo, |v[0:1]|, |v[144:145]|
	v_cndmask_b32_e32 v1, v1, v145, vcc_lo
	v_cndmask_b32_e32 v0, v0, v144, vcc_lo
	v_cndmask_b32_e64 v134, v134, s0, vcc_lo
	s_add_i32 s0, s0, 1
	s_cmp_lg_u32 s7, s0
	s_cbranch_scc1 .LBB126_830
.LBB126_831:
	s_mov_b32 s0, exec_lo
	s_waitcnt lgkmcnt(0)
	v_cmpx_eq_f64_e32 0, v[0:1]
	s_xor_b32 s0, exec_lo, s0
; %bb.832:
	v_cmp_ne_u32_e32 vcc_lo, 0, v137
	v_cndmask_b32_e32 v137, 50, v137, vcc_lo
; %bb.833:
	s_andn2_saveexec_b32 s0, s0
	s_cbranch_execz .LBB126_835
; %bb.834:
	v_div_scale_f64 v[135:136], null, v[0:1], v[0:1], 1.0
	v_rcp_f64_e32 v[144:145], v[135:136]
	v_fma_f64 v[146:147], -v[135:136], v[144:145], 1.0
	v_fma_f64 v[144:145], v[144:145], v[146:147], v[144:145]
	v_fma_f64 v[146:147], -v[135:136], v[144:145], 1.0
	v_fma_f64 v[144:145], v[144:145], v[146:147], v[144:145]
	v_div_scale_f64 v[146:147], vcc_lo, 1.0, v[0:1], 1.0
	v_mul_f64 v[148:149], v[146:147], v[144:145]
	v_fma_f64 v[135:136], -v[135:136], v[148:149], v[146:147]
	v_div_fmas_f64 v[135:136], v[135:136], v[144:145], v[148:149]
	v_div_fixup_f64 v[0:1], v[135:136], v[0:1], 1.0
.LBB126_835:
	s_or_b32 exec_lo, exec_lo, s0
	s_mov_b32 s0, exec_lo
	v_cmpx_ne_u32_e64 v143, v134
	s_xor_b32 s0, exec_lo, s0
	s_cbranch_execz .LBB126_841
; %bb.836:
	s_mov_b32 s1, exec_lo
	v_cmpx_eq_u32_e32 49, v143
	s_cbranch_execz .LBB126_840
; %bb.837:
	v_cmp_ne_u32_e32 vcc_lo, 49, v134
	s_xor_b32 s2, s6, -1
	s_and_b32 s3, s2, vcc_lo
	s_and_saveexec_b32 s2, s3
	s_cbranch_execz .LBB126_839
; %bb.838:
	v_ashrrev_i32_e32 v135, 31, v134
	v_lshlrev_b64 v[135:136], 2, v[134:135]
	v_add_co_u32 v135, vcc_lo, v4, v135
	v_add_co_ci_u32_e64 v136, null, v5, v136, vcc_lo
	s_clause 0x1
	global_load_dword v142, v[135:136], off
	global_load_dword v143, v[4:5], off offset:196
	s_waitcnt vmcnt(1)
	global_store_dword v[4:5], v142, off offset:196
	s_waitcnt vmcnt(0)
	global_store_dword v[135:136], v143, off
.LBB126_839:
	s_or_b32 exec_lo, exec_lo, s2
	v_mov_b32_e32 v142, v134
	v_mov_b32_e32 v143, v134
.LBB126_840:
	s_or_b32 exec_lo, exec_lo, s1
.LBB126_841:
	s_andn2_saveexec_b32 s0, s0
	s_cbranch_execz .LBB126_843
; %bb.842:
	v_mov_b32_e32 v134, v30
	v_mov_b32_e32 v135, v31
	;; [unrolled: 1-line block ×12, first 2 shown]
	ds_write2_b64 v140, v[134:135], v[143:144] offset0:50 offset1:51
	ds_write2_b64 v140, v[145:146], v[147:148] offset0:52 offset1:53
	;; [unrolled: 1-line block ×3, first 2 shown]
	v_mov_b32_e32 v134, v20
	v_mov_b32_e32 v135, v21
	;; [unrolled: 1-line block ×15, first 2 shown]
	ds_write2_b64 v140, v[134:135], v[144:145] offset0:56 offset1:57
	ds_write2_b64 v140, v[146:147], v[148:149] offset0:58 offset1:59
	;; [unrolled: 1-line block ×4, first 2 shown]
.LBB126_843:
	s_or_b32 exec_lo, exec_lo, s0
	s_mov_b32 s0, exec_lo
	s_waitcnt lgkmcnt(0)
	s_waitcnt_vscnt null, 0x0
	s_barrier
	buffer_gl0_inv
	v_cmpx_lt_i32_e32 49, v143
	s_cbranch_execz .LBB126_845
; %bb.844:
	v_mul_f64 v[32:33], v[0:1], v[32:33]
	ds_read2_b64 v[144:147], v140 offset0:50 offset1:51
	ds_read2_b64 v[148:151], v140 offset0:52 offset1:53
	;; [unrolled: 1-line block ×7, first 2 shown]
	s_waitcnt lgkmcnt(6)
	v_fma_f64 v[30:31], -v[32:33], v[144:145], v[30:31]
	v_fma_f64 v[28:29], -v[32:33], v[146:147], v[28:29]
	s_waitcnt lgkmcnt(5)
	v_fma_f64 v[26:27], -v[32:33], v[148:149], v[26:27]
	v_fma_f64 v[24:25], -v[32:33], v[150:151], v[24:25]
	;; [unrolled: 3-line block ×7, first 2 shown]
.LBB126_845:
	s_or_b32 exec_lo, exec_lo, s0
	v_lshl_add_u32 v0, v143, 3, v140
	s_barrier
	buffer_gl0_inv
	v_mov_b32_e32 v134, 50
	ds_write_b64 v0, v[30:31]
	s_waitcnt lgkmcnt(0)
	s_barrier
	buffer_gl0_inv
	ds_read_b64 v[0:1], v140 offset:400
	s_cmp_lt_i32 s7, 52
	s_cbranch_scc1 .LBB126_848
; %bb.846:
	v_add3_u32 v135, v141, 0, 0x198
	v_mov_b32_e32 v134, 50
	s_mov_b32 s0, 51
.LBB126_847:                            ; =>This Inner Loop Header: Depth=1
	ds_read_b64 v[144:145], v135
	v_add_nc_u32_e32 v135, 8, v135
	s_waitcnt lgkmcnt(0)
	v_cmp_lt_f64_e64 vcc_lo, |v[0:1]|, |v[144:145]|
	v_cndmask_b32_e32 v1, v1, v145, vcc_lo
	v_cndmask_b32_e32 v0, v0, v144, vcc_lo
	v_cndmask_b32_e64 v134, v134, s0, vcc_lo
	s_add_i32 s0, s0, 1
	s_cmp_lg_u32 s7, s0
	s_cbranch_scc1 .LBB126_847
.LBB126_848:
	s_mov_b32 s0, exec_lo
	s_waitcnt lgkmcnt(0)
	v_cmpx_eq_f64_e32 0, v[0:1]
	s_xor_b32 s0, exec_lo, s0
; %bb.849:
	v_cmp_ne_u32_e32 vcc_lo, 0, v137
	v_cndmask_b32_e32 v137, 51, v137, vcc_lo
; %bb.850:
	s_andn2_saveexec_b32 s0, s0
	s_cbranch_execz .LBB126_852
; %bb.851:
	v_div_scale_f64 v[135:136], null, v[0:1], v[0:1], 1.0
	v_rcp_f64_e32 v[144:145], v[135:136]
	v_fma_f64 v[146:147], -v[135:136], v[144:145], 1.0
	v_fma_f64 v[144:145], v[144:145], v[146:147], v[144:145]
	v_fma_f64 v[146:147], -v[135:136], v[144:145], 1.0
	v_fma_f64 v[144:145], v[144:145], v[146:147], v[144:145]
	v_div_scale_f64 v[146:147], vcc_lo, 1.0, v[0:1], 1.0
	v_mul_f64 v[148:149], v[146:147], v[144:145]
	v_fma_f64 v[135:136], -v[135:136], v[148:149], v[146:147]
	v_div_fmas_f64 v[135:136], v[135:136], v[144:145], v[148:149]
	v_div_fixup_f64 v[0:1], v[135:136], v[0:1], 1.0
.LBB126_852:
	s_or_b32 exec_lo, exec_lo, s0
	s_mov_b32 s0, exec_lo
	v_cmpx_ne_u32_e64 v143, v134
	s_xor_b32 s0, exec_lo, s0
	s_cbranch_execz .LBB126_858
; %bb.853:
	s_mov_b32 s1, exec_lo
	v_cmpx_eq_u32_e32 50, v143
	s_cbranch_execz .LBB126_857
; %bb.854:
	v_cmp_ne_u32_e32 vcc_lo, 50, v134
	s_xor_b32 s2, s6, -1
	s_and_b32 s3, s2, vcc_lo
	s_and_saveexec_b32 s2, s3
	s_cbranch_execz .LBB126_856
; %bb.855:
	v_ashrrev_i32_e32 v135, 31, v134
	v_lshlrev_b64 v[135:136], 2, v[134:135]
	v_add_co_u32 v135, vcc_lo, v4, v135
	v_add_co_ci_u32_e64 v136, null, v5, v136, vcc_lo
	s_clause 0x1
	global_load_dword v142, v[135:136], off
	global_load_dword v143, v[4:5], off offset:200
	s_waitcnt vmcnt(1)
	global_store_dword v[4:5], v142, off offset:200
	s_waitcnt vmcnt(0)
	global_store_dword v[135:136], v143, off
.LBB126_856:
	s_or_b32 exec_lo, exec_lo, s2
	v_mov_b32_e32 v142, v134
	v_mov_b32_e32 v143, v134
.LBB126_857:
	s_or_b32 exec_lo, exec_lo, s1
.LBB126_858:
	s_andn2_saveexec_b32 s0, s0
	s_cbranch_execz .LBB126_860
; %bb.859:
	v_mov_b32_e32 v143, 50
	ds_write2_b64 v140, v[28:29], v[26:27] offset0:51 offset1:52
	ds_write2_b64 v140, v[24:25], v[22:23] offset0:53 offset1:54
	;; [unrolled: 1-line block ×6, first 2 shown]
	ds_write_b64 v140, v[132:133] offset:504
.LBB126_860:
	s_or_b32 exec_lo, exec_lo, s0
	s_mov_b32 s0, exec_lo
	s_waitcnt lgkmcnt(0)
	s_waitcnt_vscnt null, 0x0
	s_barrier
	buffer_gl0_inv
	v_cmpx_lt_i32_e32 50, v143
	s_cbranch_execz .LBB126_862
; %bb.861:
	v_mul_f64 v[30:31], v[0:1], v[30:31]
	ds_read2_b64 v[144:147], v140 offset0:51 offset1:52
	ds_read2_b64 v[148:151], v140 offset0:53 offset1:54
	;; [unrolled: 1-line block ×6, first 2 shown]
	ds_read_b64 v[0:1], v140 offset:504
	s_waitcnt lgkmcnt(6)
	v_fma_f64 v[28:29], -v[30:31], v[144:145], v[28:29]
	v_fma_f64 v[26:27], -v[30:31], v[146:147], v[26:27]
	s_waitcnt lgkmcnt(5)
	v_fma_f64 v[24:25], -v[30:31], v[148:149], v[24:25]
	v_fma_f64 v[22:23], -v[30:31], v[150:151], v[22:23]
	;; [unrolled: 3-line block ×6, first 2 shown]
	s_waitcnt lgkmcnt(0)
	v_fma_f64 v[132:133], -v[30:31], v[0:1], v[132:133]
.LBB126_862:
	s_or_b32 exec_lo, exec_lo, s0
	v_lshl_add_u32 v0, v143, 3, v140
	s_barrier
	buffer_gl0_inv
	v_mov_b32_e32 v134, 51
	ds_write_b64 v0, v[28:29]
	s_waitcnt lgkmcnt(0)
	s_barrier
	buffer_gl0_inv
	ds_read_b64 v[0:1], v140 offset:408
	s_cmp_lt_i32 s7, 53
	s_cbranch_scc1 .LBB126_865
; %bb.863:
	v_add3_u32 v135, v141, 0, 0x1a0
	v_mov_b32_e32 v134, 51
	s_mov_b32 s0, 52
.LBB126_864:                            ; =>This Inner Loop Header: Depth=1
	ds_read_b64 v[144:145], v135
	v_add_nc_u32_e32 v135, 8, v135
	s_waitcnt lgkmcnt(0)
	v_cmp_lt_f64_e64 vcc_lo, |v[0:1]|, |v[144:145]|
	v_cndmask_b32_e32 v1, v1, v145, vcc_lo
	v_cndmask_b32_e32 v0, v0, v144, vcc_lo
	v_cndmask_b32_e64 v134, v134, s0, vcc_lo
	s_add_i32 s0, s0, 1
	s_cmp_lg_u32 s7, s0
	s_cbranch_scc1 .LBB126_864
.LBB126_865:
	s_mov_b32 s0, exec_lo
	s_waitcnt lgkmcnt(0)
	v_cmpx_eq_f64_e32 0, v[0:1]
	s_xor_b32 s0, exec_lo, s0
; %bb.866:
	v_cmp_ne_u32_e32 vcc_lo, 0, v137
	v_cndmask_b32_e32 v137, 52, v137, vcc_lo
; %bb.867:
	s_andn2_saveexec_b32 s0, s0
	s_cbranch_execz .LBB126_869
; %bb.868:
	v_div_scale_f64 v[135:136], null, v[0:1], v[0:1], 1.0
	v_rcp_f64_e32 v[144:145], v[135:136]
	v_fma_f64 v[146:147], -v[135:136], v[144:145], 1.0
	v_fma_f64 v[144:145], v[144:145], v[146:147], v[144:145]
	v_fma_f64 v[146:147], -v[135:136], v[144:145], 1.0
	v_fma_f64 v[144:145], v[144:145], v[146:147], v[144:145]
	v_div_scale_f64 v[146:147], vcc_lo, 1.0, v[0:1], 1.0
	v_mul_f64 v[148:149], v[146:147], v[144:145]
	v_fma_f64 v[135:136], -v[135:136], v[148:149], v[146:147]
	v_div_fmas_f64 v[135:136], v[135:136], v[144:145], v[148:149]
	v_div_fixup_f64 v[0:1], v[135:136], v[0:1], 1.0
.LBB126_869:
	s_or_b32 exec_lo, exec_lo, s0
	s_mov_b32 s0, exec_lo
	v_cmpx_ne_u32_e64 v143, v134
	s_xor_b32 s0, exec_lo, s0
	s_cbranch_execz .LBB126_875
; %bb.870:
	s_mov_b32 s1, exec_lo
	v_cmpx_eq_u32_e32 51, v143
	s_cbranch_execz .LBB126_874
; %bb.871:
	v_cmp_ne_u32_e32 vcc_lo, 51, v134
	s_xor_b32 s2, s6, -1
	s_and_b32 s3, s2, vcc_lo
	s_and_saveexec_b32 s2, s3
	s_cbranch_execz .LBB126_873
; %bb.872:
	v_ashrrev_i32_e32 v135, 31, v134
	v_lshlrev_b64 v[135:136], 2, v[134:135]
	v_add_co_u32 v135, vcc_lo, v4, v135
	v_add_co_ci_u32_e64 v136, null, v5, v136, vcc_lo
	s_clause 0x1
	global_load_dword v142, v[135:136], off
	global_load_dword v143, v[4:5], off offset:204
	s_waitcnt vmcnt(1)
	global_store_dword v[4:5], v142, off offset:204
	s_waitcnt vmcnt(0)
	global_store_dword v[135:136], v143, off
.LBB126_873:
	s_or_b32 exec_lo, exec_lo, s2
	v_mov_b32_e32 v142, v134
	v_mov_b32_e32 v143, v134
.LBB126_874:
	s_or_b32 exec_lo, exec_lo, s1
.LBB126_875:
	s_andn2_saveexec_b32 s0, s0
	s_cbranch_execz .LBB126_877
; %bb.876:
	v_mov_b32_e32 v134, v26
	v_mov_b32_e32 v135, v27
	;; [unrolled: 1-line block ×8, first 2 shown]
	ds_write2_b64 v140, v[134:135], v[143:144] offset0:52 offset1:53
	ds_write2_b64 v140, v[145:146], v[147:148] offset0:54 offset1:55
	v_mov_b32_e32 v134, v20
	v_mov_b32_e32 v135, v21
	;; [unrolled: 1-line block ×15, first 2 shown]
	ds_write2_b64 v140, v[134:135], v[144:145] offset0:56 offset1:57
	ds_write2_b64 v140, v[146:147], v[148:149] offset0:58 offset1:59
	;; [unrolled: 1-line block ×4, first 2 shown]
.LBB126_877:
	s_or_b32 exec_lo, exec_lo, s0
	s_mov_b32 s0, exec_lo
	s_waitcnt lgkmcnt(0)
	s_waitcnt_vscnt null, 0x0
	s_barrier
	buffer_gl0_inv
	v_cmpx_lt_i32_e32 51, v143
	s_cbranch_execz .LBB126_879
; %bb.878:
	v_mul_f64 v[28:29], v[0:1], v[28:29]
	ds_read2_b64 v[144:147], v140 offset0:52 offset1:53
	ds_read2_b64 v[148:151], v140 offset0:54 offset1:55
	;; [unrolled: 1-line block ×6, first 2 shown]
	s_waitcnt lgkmcnt(5)
	v_fma_f64 v[26:27], -v[28:29], v[144:145], v[26:27]
	v_fma_f64 v[24:25], -v[28:29], v[146:147], v[24:25]
	s_waitcnt lgkmcnt(4)
	v_fma_f64 v[22:23], -v[28:29], v[148:149], v[22:23]
	v_fma_f64 v[18:19], -v[28:29], v[150:151], v[18:19]
	;; [unrolled: 3-line block ×6, first 2 shown]
.LBB126_879:
	s_or_b32 exec_lo, exec_lo, s0
	v_lshl_add_u32 v0, v143, 3, v140
	s_barrier
	buffer_gl0_inv
	v_mov_b32_e32 v134, 52
	ds_write_b64 v0, v[26:27]
	s_waitcnt lgkmcnt(0)
	s_barrier
	buffer_gl0_inv
	ds_read_b64 v[0:1], v140 offset:416
	s_cmp_lt_i32 s7, 54
	s_cbranch_scc1 .LBB126_882
; %bb.880:
	v_add3_u32 v135, v141, 0, 0x1a8
	v_mov_b32_e32 v134, 52
	s_mov_b32 s0, 53
.LBB126_881:                            ; =>This Inner Loop Header: Depth=1
	ds_read_b64 v[144:145], v135
	v_add_nc_u32_e32 v135, 8, v135
	s_waitcnt lgkmcnt(0)
	v_cmp_lt_f64_e64 vcc_lo, |v[0:1]|, |v[144:145]|
	v_cndmask_b32_e32 v1, v1, v145, vcc_lo
	v_cndmask_b32_e32 v0, v0, v144, vcc_lo
	v_cndmask_b32_e64 v134, v134, s0, vcc_lo
	s_add_i32 s0, s0, 1
	s_cmp_lg_u32 s7, s0
	s_cbranch_scc1 .LBB126_881
.LBB126_882:
	s_mov_b32 s0, exec_lo
	s_waitcnt lgkmcnt(0)
	v_cmpx_eq_f64_e32 0, v[0:1]
	s_xor_b32 s0, exec_lo, s0
; %bb.883:
	v_cmp_ne_u32_e32 vcc_lo, 0, v137
	v_cndmask_b32_e32 v137, 53, v137, vcc_lo
; %bb.884:
	s_andn2_saveexec_b32 s0, s0
	s_cbranch_execz .LBB126_886
; %bb.885:
	v_div_scale_f64 v[135:136], null, v[0:1], v[0:1], 1.0
	v_rcp_f64_e32 v[144:145], v[135:136]
	v_fma_f64 v[146:147], -v[135:136], v[144:145], 1.0
	v_fma_f64 v[144:145], v[144:145], v[146:147], v[144:145]
	v_fma_f64 v[146:147], -v[135:136], v[144:145], 1.0
	v_fma_f64 v[144:145], v[144:145], v[146:147], v[144:145]
	v_div_scale_f64 v[146:147], vcc_lo, 1.0, v[0:1], 1.0
	v_mul_f64 v[148:149], v[146:147], v[144:145]
	v_fma_f64 v[135:136], -v[135:136], v[148:149], v[146:147]
	v_div_fmas_f64 v[135:136], v[135:136], v[144:145], v[148:149]
	v_div_fixup_f64 v[0:1], v[135:136], v[0:1], 1.0
.LBB126_886:
	s_or_b32 exec_lo, exec_lo, s0
	s_mov_b32 s0, exec_lo
	v_cmpx_ne_u32_e64 v143, v134
	s_xor_b32 s0, exec_lo, s0
	s_cbranch_execz .LBB126_892
; %bb.887:
	s_mov_b32 s1, exec_lo
	v_cmpx_eq_u32_e32 52, v143
	s_cbranch_execz .LBB126_891
; %bb.888:
	v_cmp_ne_u32_e32 vcc_lo, 52, v134
	s_xor_b32 s2, s6, -1
	s_and_b32 s3, s2, vcc_lo
	s_and_saveexec_b32 s2, s3
	s_cbranch_execz .LBB126_890
; %bb.889:
	v_ashrrev_i32_e32 v135, 31, v134
	v_lshlrev_b64 v[135:136], 2, v[134:135]
	v_add_co_u32 v135, vcc_lo, v4, v135
	v_add_co_ci_u32_e64 v136, null, v5, v136, vcc_lo
	s_clause 0x1
	global_load_dword v142, v[135:136], off
	global_load_dword v143, v[4:5], off offset:208
	s_waitcnt vmcnt(1)
	global_store_dword v[4:5], v142, off offset:208
	s_waitcnt vmcnt(0)
	global_store_dword v[135:136], v143, off
.LBB126_890:
	s_or_b32 exec_lo, exec_lo, s2
	v_mov_b32_e32 v142, v134
	v_mov_b32_e32 v143, v134
.LBB126_891:
	s_or_b32 exec_lo, exec_lo, s1
.LBB126_892:
	s_andn2_saveexec_b32 s0, s0
	s_cbranch_execz .LBB126_894
; %bb.893:
	v_mov_b32_e32 v143, 52
	ds_write2_b64 v140, v[24:25], v[22:23] offset0:53 offset1:54
	ds_write2_b64 v140, v[18:19], v[20:21] offset0:55 offset1:56
	;; [unrolled: 1-line block ×5, first 2 shown]
	ds_write_b64 v140, v[132:133] offset:504
.LBB126_894:
	s_or_b32 exec_lo, exec_lo, s0
	s_mov_b32 s0, exec_lo
	s_waitcnt lgkmcnt(0)
	s_waitcnt_vscnt null, 0x0
	s_barrier
	buffer_gl0_inv
	v_cmpx_lt_i32_e32 52, v143
	s_cbranch_execz .LBB126_896
; %bb.895:
	v_mul_f64 v[26:27], v[0:1], v[26:27]
	ds_read2_b64 v[144:147], v140 offset0:53 offset1:54
	ds_read2_b64 v[148:151], v140 offset0:55 offset1:56
	;; [unrolled: 1-line block ×5, first 2 shown]
	ds_read_b64 v[0:1], v140 offset:504
	s_waitcnt lgkmcnt(5)
	v_fma_f64 v[24:25], -v[26:27], v[144:145], v[24:25]
	v_fma_f64 v[22:23], -v[26:27], v[146:147], v[22:23]
	s_waitcnt lgkmcnt(4)
	v_fma_f64 v[18:19], -v[26:27], v[148:149], v[18:19]
	v_fma_f64 v[20:21], -v[26:27], v[150:151], v[20:21]
	;; [unrolled: 3-line block ×5, first 2 shown]
	s_waitcnt lgkmcnt(0)
	v_fma_f64 v[132:133], -v[26:27], v[0:1], v[132:133]
.LBB126_896:
	s_or_b32 exec_lo, exec_lo, s0
	v_lshl_add_u32 v0, v143, 3, v140
	s_barrier
	buffer_gl0_inv
	v_mov_b32_e32 v134, 53
	ds_write_b64 v0, v[24:25]
	s_waitcnt lgkmcnt(0)
	s_barrier
	buffer_gl0_inv
	ds_read_b64 v[0:1], v140 offset:424
	s_cmp_lt_i32 s7, 55
	s_cbranch_scc1 .LBB126_899
; %bb.897:
	v_add3_u32 v135, v141, 0, 0x1b0
	v_mov_b32_e32 v134, 53
	s_mov_b32 s0, 54
.LBB126_898:                            ; =>This Inner Loop Header: Depth=1
	ds_read_b64 v[144:145], v135
	v_add_nc_u32_e32 v135, 8, v135
	s_waitcnt lgkmcnt(0)
	v_cmp_lt_f64_e64 vcc_lo, |v[0:1]|, |v[144:145]|
	v_cndmask_b32_e32 v1, v1, v145, vcc_lo
	v_cndmask_b32_e32 v0, v0, v144, vcc_lo
	v_cndmask_b32_e64 v134, v134, s0, vcc_lo
	s_add_i32 s0, s0, 1
	s_cmp_lg_u32 s7, s0
	s_cbranch_scc1 .LBB126_898
.LBB126_899:
	s_mov_b32 s0, exec_lo
	s_waitcnt lgkmcnt(0)
	v_cmpx_eq_f64_e32 0, v[0:1]
	s_xor_b32 s0, exec_lo, s0
; %bb.900:
	v_cmp_ne_u32_e32 vcc_lo, 0, v137
	v_cndmask_b32_e32 v137, 54, v137, vcc_lo
; %bb.901:
	s_andn2_saveexec_b32 s0, s0
	s_cbranch_execz .LBB126_903
; %bb.902:
	v_div_scale_f64 v[135:136], null, v[0:1], v[0:1], 1.0
	v_rcp_f64_e32 v[144:145], v[135:136]
	v_fma_f64 v[146:147], -v[135:136], v[144:145], 1.0
	v_fma_f64 v[144:145], v[144:145], v[146:147], v[144:145]
	v_fma_f64 v[146:147], -v[135:136], v[144:145], 1.0
	v_fma_f64 v[144:145], v[144:145], v[146:147], v[144:145]
	v_div_scale_f64 v[146:147], vcc_lo, 1.0, v[0:1], 1.0
	v_mul_f64 v[148:149], v[146:147], v[144:145]
	v_fma_f64 v[135:136], -v[135:136], v[148:149], v[146:147]
	v_div_fmas_f64 v[135:136], v[135:136], v[144:145], v[148:149]
	v_div_fixup_f64 v[0:1], v[135:136], v[0:1], 1.0
.LBB126_903:
	s_or_b32 exec_lo, exec_lo, s0
	s_mov_b32 s0, exec_lo
	v_cmpx_ne_u32_e64 v143, v134
	s_xor_b32 s0, exec_lo, s0
	s_cbranch_execz .LBB126_909
; %bb.904:
	s_mov_b32 s1, exec_lo
	v_cmpx_eq_u32_e32 53, v143
	s_cbranch_execz .LBB126_908
; %bb.905:
	v_cmp_ne_u32_e32 vcc_lo, 53, v134
	s_xor_b32 s2, s6, -1
	s_and_b32 s3, s2, vcc_lo
	s_and_saveexec_b32 s2, s3
	s_cbranch_execz .LBB126_907
; %bb.906:
	v_ashrrev_i32_e32 v135, 31, v134
	v_lshlrev_b64 v[135:136], 2, v[134:135]
	v_add_co_u32 v135, vcc_lo, v4, v135
	v_add_co_ci_u32_e64 v136, null, v5, v136, vcc_lo
	s_clause 0x1
	global_load_dword v142, v[135:136], off
	global_load_dword v143, v[4:5], off offset:212
	s_waitcnt vmcnt(1)
	global_store_dword v[4:5], v142, off offset:212
	s_waitcnt vmcnt(0)
	global_store_dword v[135:136], v143, off
.LBB126_907:
	s_or_b32 exec_lo, exec_lo, s2
	v_mov_b32_e32 v142, v134
	v_mov_b32_e32 v143, v134
.LBB126_908:
	s_or_b32 exec_lo, exec_lo, s1
.LBB126_909:
	s_andn2_saveexec_b32 s0, s0
	s_cbranch_execz .LBB126_911
; %bb.910:
	v_mov_b32_e32 v134, v22
	v_mov_b32_e32 v135, v23
	;; [unrolled: 1-line block ×8, first 2 shown]
	ds_write2_b64 v140, v[134:135], v[143:144] offset0:54 offset1:55
	v_mov_b32_e32 v134, v16
	v_mov_b32_e32 v135, v17
	;; [unrolled: 1-line block ×11, first 2 shown]
	ds_write2_b64 v140, v[145:146], v[134:135] offset0:56 offset1:57
	ds_write2_b64 v140, v[147:148], v[149:150] offset0:58 offset1:59
	;; [unrolled: 1-line block ×4, first 2 shown]
.LBB126_911:
	s_or_b32 exec_lo, exec_lo, s0
	s_mov_b32 s0, exec_lo
	s_waitcnt lgkmcnt(0)
	s_waitcnt_vscnt null, 0x0
	s_barrier
	buffer_gl0_inv
	v_cmpx_lt_i32_e32 53, v143
	s_cbranch_execz .LBB126_913
; %bb.912:
	v_mul_f64 v[24:25], v[0:1], v[24:25]
	ds_read2_b64 v[144:147], v140 offset0:54 offset1:55
	ds_read2_b64 v[148:151], v140 offset0:56 offset1:57
	;; [unrolled: 1-line block ×5, first 2 shown]
	s_waitcnt lgkmcnt(4)
	v_fma_f64 v[22:23], -v[24:25], v[144:145], v[22:23]
	v_fma_f64 v[18:19], -v[24:25], v[146:147], v[18:19]
	s_waitcnt lgkmcnt(3)
	v_fma_f64 v[20:21], -v[24:25], v[148:149], v[20:21]
	v_fma_f64 v[16:17], -v[24:25], v[150:151], v[16:17]
	;; [unrolled: 3-line block ×5, first 2 shown]
.LBB126_913:
	s_or_b32 exec_lo, exec_lo, s0
	v_lshl_add_u32 v0, v143, 3, v140
	s_barrier
	buffer_gl0_inv
	v_mov_b32_e32 v134, 54
	ds_write_b64 v0, v[22:23]
	s_waitcnt lgkmcnt(0)
	s_barrier
	buffer_gl0_inv
	ds_read_b64 v[0:1], v140 offset:432
	s_cmp_lt_i32 s7, 56
	s_cbranch_scc1 .LBB126_916
; %bb.914:
	v_add3_u32 v135, v141, 0, 0x1b8
	v_mov_b32_e32 v134, 54
	s_mov_b32 s0, 55
.LBB126_915:                            ; =>This Inner Loop Header: Depth=1
	ds_read_b64 v[144:145], v135
	v_add_nc_u32_e32 v135, 8, v135
	s_waitcnt lgkmcnt(0)
	v_cmp_lt_f64_e64 vcc_lo, |v[0:1]|, |v[144:145]|
	v_cndmask_b32_e32 v1, v1, v145, vcc_lo
	v_cndmask_b32_e32 v0, v0, v144, vcc_lo
	v_cndmask_b32_e64 v134, v134, s0, vcc_lo
	s_add_i32 s0, s0, 1
	s_cmp_lg_u32 s7, s0
	s_cbranch_scc1 .LBB126_915
.LBB126_916:
	s_mov_b32 s0, exec_lo
	s_waitcnt lgkmcnt(0)
	v_cmpx_eq_f64_e32 0, v[0:1]
	s_xor_b32 s0, exec_lo, s0
; %bb.917:
	v_cmp_ne_u32_e32 vcc_lo, 0, v137
	v_cndmask_b32_e32 v137, 55, v137, vcc_lo
; %bb.918:
	s_andn2_saveexec_b32 s0, s0
	s_cbranch_execz .LBB126_920
; %bb.919:
	v_div_scale_f64 v[135:136], null, v[0:1], v[0:1], 1.0
	v_rcp_f64_e32 v[144:145], v[135:136]
	v_fma_f64 v[146:147], -v[135:136], v[144:145], 1.0
	v_fma_f64 v[144:145], v[144:145], v[146:147], v[144:145]
	v_fma_f64 v[146:147], -v[135:136], v[144:145], 1.0
	v_fma_f64 v[144:145], v[144:145], v[146:147], v[144:145]
	v_div_scale_f64 v[146:147], vcc_lo, 1.0, v[0:1], 1.0
	v_mul_f64 v[148:149], v[146:147], v[144:145]
	v_fma_f64 v[135:136], -v[135:136], v[148:149], v[146:147]
	v_div_fmas_f64 v[135:136], v[135:136], v[144:145], v[148:149]
	v_div_fixup_f64 v[0:1], v[135:136], v[0:1], 1.0
.LBB126_920:
	s_or_b32 exec_lo, exec_lo, s0
	s_mov_b32 s0, exec_lo
	v_cmpx_ne_u32_e64 v143, v134
	s_xor_b32 s0, exec_lo, s0
	s_cbranch_execz .LBB126_926
; %bb.921:
	s_mov_b32 s1, exec_lo
	v_cmpx_eq_u32_e32 54, v143
	s_cbranch_execz .LBB126_925
; %bb.922:
	v_cmp_ne_u32_e32 vcc_lo, 54, v134
	s_xor_b32 s2, s6, -1
	s_and_b32 s3, s2, vcc_lo
	s_and_saveexec_b32 s2, s3
	s_cbranch_execz .LBB126_924
; %bb.923:
	v_ashrrev_i32_e32 v135, 31, v134
	v_lshlrev_b64 v[135:136], 2, v[134:135]
	v_add_co_u32 v135, vcc_lo, v4, v135
	v_add_co_ci_u32_e64 v136, null, v5, v136, vcc_lo
	s_clause 0x1
	global_load_dword v142, v[135:136], off
	global_load_dword v143, v[4:5], off offset:216
	s_waitcnt vmcnt(1)
	global_store_dword v[4:5], v142, off offset:216
	s_waitcnt vmcnt(0)
	global_store_dword v[135:136], v143, off
.LBB126_924:
	s_or_b32 exec_lo, exec_lo, s2
	v_mov_b32_e32 v142, v134
	v_mov_b32_e32 v143, v134
.LBB126_925:
	s_or_b32 exec_lo, exec_lo, s1
.LBB126_926:
	s_andn2_saveexec_b32 s0, s0
	s_cbranch_execz .LBB126_928
; %bb.927:
	v_mov_b32_e32 v143, 54
	ds_write2_b64 v140, v[18:19], v[20:21] offset0:55 offset1:56
	ds_write2_b64 v140, v[16:17], v[14:15] offset0:57 offset1:58
	;; [unrolled: 1-line block ×4, first 2 shown]
	ds_write_b64 v140, v[132:133] offset:504
.LBB126_928:
	s_or_b32 exec_lo, exec_lo, s0
	s_mov_b32 s0, exec_lo
	s_waitcnt lgkmcnt(0)
	s_waitcnt_vscnt null, 0x0
	s_barrier
	buffer_gl0_inv
	v_cmpx_lt_i32_e32 54, v143
	s_cbranch_execz .LBB126_930
; %bb.929:
	v_mul_f64 v[22:23], v[0:1], v[22:23]
	ds_read2_b64 v[144:147], v140 offset0:55 offset1:56
	ds_read2_b64 v[148:151], v140 offset0:57 offset1:58
	;; [unrolled: 1-line block ×4, first 2 shown]
	ds_read_b64 v[0:1], v140 offset:504
	s_waitcnt lgkmcnt(4)
	v_fma_f64 v[18:19], -v[22:23], v[144:145], v[18:19]
	v_fma_f64 v[20:21], -v[22:23], v[146:147], v[20:21]
	s_waitcnt lgkmcnt(3)
	v_fma_f64 v[16:17], -v[22:23], v[148:149], v[16:17]
	v_fma_f64 v[14:15], -v[22:23], v[150:151], v[14:15]
	;; [unrolled: 3-line block ×4, first 2 shown]
	s_waitcnt lgkmcnt(0)
	v_fma_f64 v[132:133], -v[22:23], v[0:1], v[132:133]
.LBB126_930:
	s_or_b32 exec_lo, exec_lo, s0
	v_lshl_add_u32 v0, v143, 3, v140
	s_barrier
	buffer_gl0_inv
	v_mov_b32_e32 v134, 55
	ds_write_b64 v0, v[18:19]
	s_waitcnt lgkmcnt(0)
	s_barrier
	buffer_gl0_inv
	ds_read_b64 v[0:1], v140 offset:440
	s_cmp_lt_i32 s7, 57
	s_cbranch_scc1 .LBB126_933
; %bb.931:
	v_add3_u32 v135, v141, 0, 0x1c0
	v_mov_b32_e32 v134, 55
	s_mov_b32 s0, 56
.LBB126_932:                            ; =>This Inner Loop Header: Depth=1
	ds_read_b64 v[144:145], v135
	v_add_nc_u32_e32 v135, 8, v135
	s_waitcnt lgkmcnt(0)
	v_cmp_lt_f64_e64 vcc_lo, |v[0:1]|, |v[144:145]|
	v_cndmask_b32_e32 v1, v1, v145, vcc_lo
	v_cndmask_b32_e32 v0, v0, v144, vcc_lo
	v_cndmask_b32_e64 v134, v134, s0, vcc_lo
	s_add_i32 s0, s0, 1
	s_cmp_lg_u32 s7, s0
	s_cbranch_scc1 .LBB126_932
.LBB126_933:
	s_mov_b32 s0, exec_lo
	s_waitcnt lgkmcnt(0)
	v_cmpx_eq_f64_e32 0, v[0:1]
	s_xor_b32 s0, exec_lo, s0
; %bb.934:
	v_cmp_ne_u32_e32 vcc_lo, 0, v137
	v_cndmask_b32_e32 v137, 56, v137, vcc_lo
; %bb.935:
	s_andn2_saveexec_b32 s0, s0
	s_cbranch_execz .LBB126_937
; %bb.936:
	v_div_scale_f64 v[135:136], null, v[0:1], v[0:1], 1.0
	v_rcp_f64_e32 v[144:145], v[135:136]
	v_fma_f64 v[146:147], -v[135:136], v[144:145], 1.0
	v_fma_f64 v[144:145], v[144:145], v[146:147], v[144:145]
	v_fma_f64 v[146:147], -v[135:136], v[144:145], 1.0
	v_fma_f64 v[144:145], v[144:145], v[146:147], v[144:145]
	v_div_scale_f64 v[146:147], vcc_lo, 1.0, v[0:1], 1.0
	v_mul_f64 v[148:149], v[146:147], v[144:145]
	v_fma_f64 v[135:136], -v[135:136], v[148:149], v[146:147]
	v_div_fmas_f64 v[135:136], v[135:136], v[144:145], v[148:149]
	v_div_fixup_f64 v[0:1], v[135:136], v[0:1], 1.0
.LBB126_937:
	s_or_b32 exec_lo, exec_lo, s0
	s_mov_b32 s0, exec_lo
	v_cmpx_ne_u32_e64 v143, v134
	s_xor_b32 s0, exec_lo, s0
	s_cbranch_execz .LBB126_943
; %bb.938:
	s_mov_b32 s1, exec_lo
	v_cmpx_eq_u32_e32 55, v143
	s_cbranch_execz .LBB126_942
; %bb.939:
	v_cmp_ne_u32_e32 vcc_lo, 55, v134
	s_xor_b32 s2, s6, -1
	s_and_b32 s3, s2, vcc_lo
	s_and_saveexec_b32 s2, s3
	s_cbranch_execz .LBB126_941
; %bb.940:
	v_ashrrev_i32_e32 v135, 31, v134
	v_lshlrev_b64 v[135:136], 2, v[134:135]
	v_add_co_u32 v135, vcc_lo, v4, v135
	v_add_co_ci_u32_e64 v136, null, v5, v136, vcc_lo
	s_clause 0x1
	global_load_dword v142, v[135:136], off
	global_load_dword v143, v[4:5], off offset:220
	s_waitcnt vmcnt(1)
	global_store_dword v[4:5], v142, off offset:220
	s_waitcnt vmcnt(0)
	global_store_dword v[135:136], v143, off
.LBB126_941:
	s_or_b32 exec_lo, exec_lo, s2
	v_mov_b32_e32 v142, v134
	v_mov_b32_e32 v143, v134
.LBB126_942:
	s_or_b32 exec_lo, exec_lo, s1
.LBB126_943:
	s_andn2_saveexec_b32 s0, s0
	s_cbranch_execz .LBB126_945
; %bb.944:
	v_mov_b32_e32 v134, v20
	v_mov_b32_e32 v135, v21
	;; [unrolled: 1-line block ×15, first 2 shown]
	ds_write2_b64 v140, v[134:135], v[144:145] offset0:56 offset1:57
	ds_write2_b64 v140, v[146:147], v[148:149] offset0:58 offset1:59
	;; [unrolled: 1-line block ×4, first 2 shown]
.LBB126_945:
	s_or_b32 exec_lo, exec_lo, s0
	s_mov_b32 s0, exec_lo
	s_waitcnt lgkmcnt(0)
	s_waitcnt_vscnt null, 0x0
	s_barrier
	buffer_gl0_inv
	v_cmpx_lt_i32_e32 55, v143
	s_cbranch_execz .LBB126_947
; %bb.946:
	v_mul_f64 v[18:19], v[0:1], v[18:19]
	ds_read2_b64 v[144:147], v140 offset0:56 offset1:57
	ds_read2_b64 v[148:151], v140 offset0:58 offset1:59
	;; [unrolled: 1-line block ×4, first 2 shown]
	s_waitcnt lgkmcnt(3)
	v_fma_f64 v[20:21], -v[18:19], v[144:145], v[20:21]
	v_fma_f64 v[16:17], -v[18:19], v[146:147], v[16:17]
	s_waitcnt lgkmcnt(2)
	v_fma_f64 v[14:15], -v[18:19], v[148:149], v[14:15]
	v_fma_f64 v[8:9], -v[18:19], v[150:151], v[8:9]
	s_waitcnt lgkmcnt(1)
	v_fma_f64 v[12:13], -v[18:19], v[152:153], v[12:13]
	v_fma_f64 v[6:7], -v[18:19], v[154:155], v[6:7]
	s_waitcnt lgkmcnt(0)
	v_fma_f64 v[10:11], -v[18:19], v[156:157], v[10:11]
	v_fma_f64 v[132:133], -v[18:19], v[158:159], v[132:133]
.LBB126_947:
	s_or_b32 exec_lo, exec_lo, s0
	v_lshl_add_u32 v0, v143, 3, v140
	s_barrier
	buffer_gl0_inv
	v_mov_b32_e32 v134, 56
	ds_write_b64 v0, v[20:21]
	s_waitcnt lgkmcnt(0)
	s_barrier
	buffer_gl0_inv
	ds_read_b64 v[0:1], v140 offset:448
	s_cmp_lt_i32 s7, 58
	s_cbranch_scc1 .LBB126_950
; %bb.948:
	v_add3_u32 v135, v141, 0, 0x1c8
	v_mov_b32_e32 v134, 56
	s_mov_b32 s0, 57
.LBB126_949:                            ; =>This Inner Loop Header: Depth=1
	ds_read_b64 v[144:145], v135
	v_add_nc_u32_e32 v135, 8, v135
	s_waitcnt lgkmcnt(0)
	v_cmp_lt_f64_e64 vcc_lo, |v[0:1]|, |v[144:145]|
	v_cndmask_b32_e32 v1, v1, v145, vcc_lo
	v_cndmask_b32_e32 v0, v0, v144, vcc_lo
	v_cndmask_b32_e64 v134, v134, s0, vcc_lo
	s_add_i32 s0, s0, 1
	s_cmp_lg_u32 s7, s0
	s_cbranch_scc1 .LBB126_949
.LBB126_950:
	s_mov_b32 s0, exec_lo
	s_waitcnt lgkmcnt(0)
	v_cmpx_eq_f64_e32 0, v[0:1]
	s_xor_b32 s0, exec_lo, s0
; %bb.951:
	v_cmp_ne_u32_e32 vcc_lo, 0, v137
	v_cndmask_b32_e32 v137, 57, v137, vcc_lo
; %bb.952:
	s_andn2_saveexec_b32 s0, s0
	s_cbranch_execz .LBB126_954
; %bb.953:
	v_div_scale_f64 v[135:136], null, v[0:1], v[0:1], 1.0
	v_rcp_f64_e32 v[144:145], v[135:136]
	v_fma_f64 v[146:147], -v[135:136], v[144:145], 1.0
	v_fma_f64 v[144:145], v[144:145], v[146:147], v[144:145]
	v_fma_f64 v[146:147], -v[135:136], v[144:145], 1.0
	v_fma_f64 v[144:145], v[144:145], v[146:147], v[144:145]
	v_div_scale_f64 v[146:147], vcc_lo, 1.0, v[0:1], 1.0
	v_mul_f64 v[148:149], v[146:147], v[144:145]
	v_fma_f64 v[135:136], -v[135:136], v[148:149], v[146:147]
	v_div_fmas_f64 v[135:136], v[135:136], v[144:145], v[148:149]
	v_div_fixup_f64 v[0:1], v[135:136], v[0:1], 1.0
.LBB126_954:
	s_or_b32 exec_lo, exec_lo, s0
	s_mov_b32 s0, exec_lo
	v_cmpx_ne_u32_e64 v143, v134
	s_xor_b32 s0, exec_lo, s0
	s_cbranch_execz .LBB126_960
; %bb.955:
	s_mov_b32 s1, exec_lo
	v_cmpx_eq_u32_e32 56, v143
	s_cbranch_execz .LBB126_959
; %bb.956:
	v_cmp_ne_u32_e32 vcc_lo, 56, v134
	s_xor_b32 s2, s6, -1
	s_and_b32 s3, s2, vcc_lo
	s_and_saveexec_b32 s2, s3
	s_cbranch_execz .LBB126_958
; %bb.957:
	v_ashrrev_i32_e32 v135, 31, v134
	v_lshlrev_b64 v[135:136], 2, v[134:135]
	v_add_co_u32 v135, vcc_lo, v4, v135
	v_add_co_ci_u32_e64 v136, null, v5, v136, vcc_lo
	s_clause 0x1
	global_load_dword v142, v[135:136], off
	global_load_dword v143, v[4:5], off offset:224
	s_waitcnt vmcnt(1)
	global_store_dword v[4:5], v142, off offset:224
	s_waitcnt vmcnt(0)
	global_store_dword v[135:136], v143, off
.LBB126_958:
	s_or_b32 exec_lo, exec_lo, s2
	v_mov_b32_e32 v142, v134
	v_mov_b32_e32 v143, v134
.LBB126_959:
	s_or_b32 exec_lo, exec_lo, s1
.LBB126_960:
	s_andn2_saveexec_b32 s0, s0
	s_cbranch_execz .LBB126_962
; %bb.961:
	v_mov_b32_e32 v143, 56
	ds_write2_b64 v140, v[16:17], v[14:15] offset0:57 offset1:58
	ds_write2_b64 v140, v[8:9], v[12:13] offset0:59 offset1:60
	;; [unrolled: 1-line block ×3, first 2 shown]
	ds_write_b64 v140, v[132:133] offset:504
.LBB126_962:
	s_or_b32 exec_lo, exec_lo, s0
	s_mov_b32 s0, exec_lo
	s_waitcnt lgkmcnt(0)
	s_waitcnt_vscnt null, 0x0
	s_barrier
	buffer_gl0_inv
	v_cmpx_lt_i32_e32 56, v143
	s_cbranch_execz .LBB126_964
; %bb.963:
	v_mul_f64 v[20:21], v[0:1], v[20:21]
	ds_read2_b64 v[144:147], v140 offset0:57 offset1:58
	ds_read2_b64 v[148:151], v140 offset0:59 offset1:60
	;; [unrolled: 1-line block ×3, first 2 shown]
	ds_read_b64 v[0:1], v140 offset:504
	s_waitcnt lgkmcnt(3)
	v_fma_f64 v[16:17], -v[20:21], v[144:145], v[16:17]
	v_fma_f64 v[14:15], -v[20:21], v[146:147], v[14:15]
	s_waitcnt lgkmcnt(2)
	v_fma_f64 v[8:9], -v[20:21], v[148:149], v[8:9]
	v_fma_f64 v[12:13], -v[20:21], v[150:151], v[12:13]
	;; [unrolled: 3-line block ×3, first 2 shown]
	s_waitcnt lgkmcnt(0)
	v_fma_f64 v[132:133], -v[20:21], v[0:1], v[132:133]
.LBB126_964:
	s_or_b32 exec_lo, exec_lo, s0
	v_lshl_add_u32 v0, v143, 3, v140
	s_barrier
	buffer_gl0_inv
	v_mov_b32_e32 v134, 57
	ds_write_b64 v0, v[16:17]
	s_waitcnt lgkmcnt(0)
	s_barrier
	buffer_gl0_inv
	ds_read_b64 v[0:1], v140 offset:456
	s_cmp_lt_i32 s7, 59
	s_cbranch_scc1 .LBB126_967
; %bb.965:
	v_add3_u32 v135, v141, 0, 0x1d0
	v_mov_b32_e32 v134, 57
	s_mov_b32 s0, 58
.LBB126_966:                            ; =>This Inner Loop Header: Depth=1
	ds_read_b64 v[144:145], v135
	v_add_nc_u32_e32 v135, 8, v135
	s_waitcnt lgkmcnt(0)
	v_cmp_lt_f64_e64 vcc_lo, |v[0:1]|, |v[144:145]|
	v_cndmask_b32_e32 v1, v1, v145, vcc_lo
	v_cndmask_b32_e32 v0, v0, v144, vcc_lo
	v_cndmask_b32_e64 v134, v134, s0, vcc_lo
	s_add_i32 s0, s0, 1
	s_cmp_lg_u32 s7, s0
	s_cbranch_scc1 .LBB126_966
.LBB126_967:
	s_mov_b32 s0, exec_lo
	s_waitcnt lgkmcnt(0)
	v_cmpx_eq_f64_e32 0, v[0:1]
	s_xor_b32 s0, exec_lo, s0
; %bb.968:
	v_cmp_ne_u32_e32 vcc_lo, 0, v137
	v_cndmask_b32_e32 v137, 58, v137, vcc_lo
; %bb.969:
	s_andn2_saveexec_b32 s0, s0
	s_cbranch_execz .LBB126_971
; %bb.970:
	v_div_scale_f64 v[135:136], null, v[0:1], v[0:1], 1.0
	v_rcp_f64_e32 v[144:145], v[135:136]
	v_fma_f64 v[146:147], -v[135:136], v[144:145], 1.0
	v_fma_f64 v[144:145], v[144:145], v[146:147], v[144:145]
	v_fma_f64 v[146:147], -v[135:136], v[144:145], 1.0
	v_fma_f64 v[144:145], v[144:145], v[146:147], v[144:145]
	v_div_scale_f64 v[146:147], vcc_lo, 1.0, v[0:1], 1.0
	v_mul_f64 v[148:149], v[146:147], v[144:145]
	v_fma_f64 v[135:136], -v[135:136], v[148:149], v[146:147]
	v_div_fmas_f64 v[135:136], v[135:136], v[144:145], v[148:149]
	v_div_fixup_f64 v[0:1], v[135:136], v[0:1], 1.0
.LBB126_971:
	s_or_b32 exec_lo, exec_lo, s0
	s_mov_b32 s0, exec_lo
	v_cmpx_ne_u32_e64 v143, v134
	s_xor_b32 s0, exec_lo, s0
	s_cbranch_execz .LBB126_977
; %bb.972:
	s_mov_b32 s1, exec_lo
	v_cmpx_eq_u32_e32 57, v143
	s_cbranch_execz .LBB126_976
; %bb.973:
	v_cmp_ne_u32_e32 vcc_lo, 57, v134
	s_xor_b32 s2, s6, -1
	s_and_b32 s3, s2, vcc_lo
	s_and_saveexec_b32 s2, s3
	s_cbranch_execz .LBB126_975
; %bb.974:
	v_ashrrev_i32_e32 v135, 31, v134
	v_lshlrev_b64 v[135:136], 2, v[134:135]
	v_add_co_u32 v135, vcc_lo, v4, v135
	v_add_co_ci_u32_e64 v136, null, v5, v136, vcc_lo
	s_clause 0x1
	global_load_dword v142, v[135:136], off
	global_load_dword v143, v[4:5], off offset:228
	s_waitcnt vmcnt(1)
	global_store_dword v[4:5], v142, off offset:228
	s_waitcnt vmcnt(0)
	global_store_dword v[135:136], v143, off
.LBB126_975:
	s_or_b32 exec_lo, exec_lo, s2
	v_mov_b32_e32 v142, v134
	v_mov_b32_e32 v143, v134
.LBB126_976:
	s_or_b32 exec_lo, exec_lo, s1
.LBB126_977:
	s_andn2_saveexec_b32 s0, s0
	s_cbranch_execz .LBB126_979
; %bb.978:
	v_mov_b32_e32 v134, v14
	v_mov_b32_e32 v135, v15
	;; [unrolled: 1-line block ×11, first 2 shown]
	ds_write2_b64 v140, v[134:135], v[144:145] offset0:58 offset1:59
	ds_write2_b64 v140, v[146:147], v[148:149] offset0:60 offset1:61
	;; [unrolled: 1-line block ×3, first 2 shown]
.LBB126_979:
	s_or_b32 exec_lo, exec_lo, s0
	s_mov_b32 s0, exec_lo
	s_waitcnt lgkmcnt(0)
	s_waitcnt_vscnt null, 0x0
	s_barrier
	buffer_gl0_inv
	v_cmpx_lt_i32_e32 57, v143
	s_cbranch_execz .LBB126_981
; %bb.980:
	v_mul_f64 v[16:17], v[0:1], v[16:17]
	ds_read2_b64 v[144:147], v140 offset0:58 offset1:59
	ds_read2_b64 v[148:151], v140 offset0:60 offset1:61
	;; [unrolled: 1-line block ×3, first 2 shown]
	s_waitcnt lgkmcnt(2)
	v_fma_f64 v[14:15], -v[16:17], v[144:145], v[14:15]
	v_fma_f64 v[8:9], -v[16:17], v[146:147], v[8:9]
	s_waitcnt lgkmcnt(1)
	v_fma_f64 v[12:13], -v[16:17], v[148:149], v[12:13]
	v_fma_f64 v[6:7], -v[16:17], v[150:151], v[6:7]
	;; [unrolled: 3-line block ×3, first 2 shown]
.LBB126_981:
	s_or_b32 exec_lo, exec_lo, s0
	v_lshl_add_u32 v0, v143, 3, v140
	s_barrier
	buffer_gl0_inv
	v_mov_b32_e32 v134, 58
	ds_write_b64 v0, v[14:15]
	s_waitcnt lgkmcnt(0)
	s_barrier
	buffer_gl0_inv
	ds_read_b64 v[0:1], v140 offset:464
	s_cmp_lt_i32 s7, 60
	s_cbranch_scc1 .LBB126_984
; %bb.982:
	v_add3_u32 v135, v141, 0, 0x1d8
	v_mov_b32_e32 v134, 58
	s_mov_b32 s0, 59
.LBB126_983:                            ; =>This Inner Loop Header: Depth=1
	ds_read_b64 v[144:145], v135
	v_add_nc_u32_e32 v135, 8, v135
	s_waitcnt lgkmcnt(0)
	v_cmp_lt_f64_e64 vcc_lo, |v[0:1]|, |v[144:145]|
	v_cndmask_b32_e32 v1, v1, v145, vcc_lo
	v_cndmask_b32_e32 v0, v0, v144, vcc_lo
	v_cndmask_b32_e64 v134, v134, s0, vcc_lo
	s_add_i32 s0, s0, 1
	s_cmp_lg_u32 s7, s0
	s_cbranch_scc1 .LBB126_983
.LBB126_984:
	s_mov_b32 s0, exec_lo
	s_waitcnt lgkmcnt(0)
	v_cmpx_eq_f64_e32 0, v[0:1]
	s_xor_b32 s0, exec_lo, s0
; %bb.985:
	v_cmp_ne_u32_e32 vcc_lo, 0, v137
	v_cndmask_b32_e32 v137, 59, v137, vcc_lo
; %bb.986:
	s_andn2_saveexec_b32 s0, s0
	s_cbranch_execz .LBB126_988
; %bb.987:
	v_div_scale_f64 v[135:136], null, v[0:1], v[0:1], 1.0
	v_rcp_f64_e32 v[144:145], v[135:136]
	v_fma_f64 v[146:147], -v[135:136], v[144:145], 1.0
	v_fma_f64 v[144:145], v[144:145], v[146:147], v[144:145]
	v_fma_f64 v[146:147], -v[135:136], v[144:145], 1.0
	v_fma_f64 v[144:145], v[144:145], v[146:147], v[144:145]
	v_div_scale_f64 v[146:147], vcc_lo, 1.0, v[0:1], 1.0
	v_mul_f64 v[148:149], v[146:147], v[144:145]
	v_fma_f64 v[135:136], -v[135:136], v[148:149], v[146:147]
	v_div_fmas_f64 v[135:136], v[135:136], v[144:145], v[148:149]
	v_div_fixup_f64 v[0:1], v[135:136], v[0:1], 1.0
.LBB126_988:
	s_or_b32 exec_lo, exec_lo, s0
	s_mov_b32 s0, exec_lo
	v_cmpx_ne_u32_e64 v143, v134
	s_xor_b32 s0, exec_lo, s0
	s_cbranch_execz .LBB126_994
; %bb.989:
	s_mov_b32 s1, exec_lo
	v_cmpx_eq_u32_e32 58, v143
	s_cbranch_execz .LBB126_993
; %bb.990:
	v_cmp_ne_u32_e32 vcc_lo, 58, v134
	s_xor_b32 s2, s6, -1
	s_and_b32 s3, s2, vcc_lo
	s_and_saveexec_b32 s2, s3
	s_cbranch_execz .LBB126_992
; %bb.991:
	v_ashrrev_i32_e32 v135, 31, v134
	v_lshlrev_b64 v[135:136], 2, v[134:135]
	v_add_co_u32 v135, vcc_lo, v4, v135
	v_add_co_ci_u32_e64 v136, null, v5, v136, vcc_lo
	s_clause 0x1
	global_load_dword v142, v[135:136], off
	global_load_dword v143, v[4:5], off offset:232
	s_waitcnt vmcnt(1)
	global_store_dword v[4:5], v142, off offset:232
	s_waitcnt vmcnt(0)
	global_store_dword v[135:136], v143, off
.LBB126_992:
	s_or_b32 exec_lo, exec_lo, s2
	v_mov_b32_e32 v142, v134
	v_mov_b32_e32 v143, v134
.LBB126_993:
	s_or_b32 exec_lo, exec_lo, s1
.LBB126_994:
	s_andn2_saveexec_b32 s0, s0
	s_cbranch_execz .LBB126_996
; %bb.995:
	v_mov_b32_e32 v143, 58
	ds_write2_b64 v140, v[8:9], v[12:13] offset0:59 offset1:60
	ds_write2_b64 v140, v[6:7], v[10:11] offset0:61 offset1:62
	ds_write_b64 v140, v[132:133] offset:504
.LBB126_996:
	s_or_b32 exec_lo, exec_lo, s0
	s_mov_b32 s0, exec_lo
	s_waitcnt lgkmcnt(0)
	s_waitcnt_vscnt null, 0x0
	s_barrier
	buffer_gl0_inv
	v_cmpx_lt_i32_e32 58, v143
	s_cbranch_execz .LBB126_998
; %bb.997:
	v_mul_f64 v[14:15], v[0:1], v[14:15]
	ds_read2_b64 v[144:147], v140 offset0:59 offset1:60
	ds_read2_b64 v[148:151], v140 offset0:61 offset1:62
	ds_read_b64 v[0:1], v140 offset:504
	s_waitcnt lgkmcnt(2)
	v_fma_f64 v[8:9], -v[14:15], v[144:145], v[8:9]
	v_fma_f64 v[12:13], -v[14:15], v[146:147], v[12:13]
	s_waitcnt lgkmcnt(1)
	v_fma_f64 v[6:7], -v[14:15], v[148:149], v[6:7]
	v_fma_f64 v[10:11], -v[14:15], v[150:151], v[10:11]
	s_waitcnt lgkmcnt(0)
	v_fma_f64 v[132:133], -v[14:15], v[0:1], v[132:133]
.LBB126_998:
	s_or_b32 exec_lo, exec_lo, s0
	v_lshl_add_u32 v0, v143, 3, v140
	s_barrier
	buffer_gl0_inv
	v_mov_b32_e32 v134, 59
	ds_write_b64 v0, v[8:9]
	s_waitcnt lgkmcnt(0)
	s_barrier
	buffer_gl0_inv
	ds_read_b64 v[0:1], v140 offset:472
	s_cmp_lt_i32 s7, 61
	s_cbranch_scc1 .LBB126_1001
; %bb.999:
	v_add3_u32 v135, v141, 0, 0x1e0
	v_mov_b32_e32 v134, 59
	s_mov_b32 s0, 60
.LBB126_1000:                           ; =>This Inner Loop Header: Depth=1
	ds_read_b64 v[144:145], v135
	v_add_nc_u32_e32 v135, 8, v135
	s_waitcnt lgkmcnt(0)
	v_cmp_lt_f64_e64 vcc_lo, |v[0:1]|, |v[144:145]|
	v_cndmask_b32_e32 v1, v1, v145, vcc_lo
	v_cndmask_b32_e32 v0, v0, v144, vcc_lo
	v_cndmask_b32_e64 v134, v134, s0, vcc_lo
	s_add_i32 s0, s0, 1
	s_cmp_lg_u32 s7, s0
	s_cbranch_scc1 .LBB126_1000
.LBB126_1001:
	s_mov_b32 s0, exec_lo
	s_waitcnt lgkmcnt(0)
	v_cmpx_eq_f64_e32 0, v[0:1]
	s_xor_b32 s0, exec_lo, s0
; %bb.1002:
	v_cmp_ne_u32_e32 vcc_lo, 0, v137
	v_cndmask_b32_e32 v137, 60, v137, vcc_lo
; %bb.1003:
	s_andn2_saveexec_b32 s0, s0
	s_cbranch_execz .LBB126_1005
; %bb.1004:
	v_div_scale_f64 v[135:136], null, v[0:1], v[0:1], 1.0
	v_rcp_f64_e32 v[144:145], v[135:136]
	v_fma_f64 v[146:147], -v[135:136], v[144:145], 1.0
	v_fma_f64 v[144:145], v[144:145], v[146:147], v[144:145]
	v_fma_f64 v[146:147], -v[135:136], v[144:145], 1.0
	v_fma_f64 v[144:145], v[144:145], v[146:147], v[144:145]
	v_div_scale_f64 v[146:147], vcc_lo, 1.0, v[0:1], 1.0
	v_mul_f64 v[148:149], v[146:147], v[144:145]
	v_fma_f64 v[135:136], -v[135:136], v[148:149], v[146:147]
	v_div_fmas_f64 v[135:136], v[135:136], v[144:145], v[148:149]
	v_div_fixup_f64 v[0:1], v[135:136], v[0:1], 1.0
.LBB126_1005:
	s_or_b32 exec_lo, exec_lo, s0
	s_mov_b32 s0, exec_lo
	v_cmpx_ne_u32_e64 v143, v134
	s_xor_b32 s0, exec_lo, s0
	s_cbranch_execz .LBB126_1011
; %bb.1006:
	s_mov_b32 s1, exec_lo
	v_cmpx_eq_u32_e32 59, v143
	s_cbranch_execz .LBB126_1010
; %bb.1007:
	v_cmp_ne_u32_e32 vcc_lo, 59, v134
	s_xor_b32 s2, s6, -1
	s_and_b32 s3, s2, vcc_lo
	s_and_saveexec_b32 s2, s3
	s_cbranch_execz .LBB126_1009
; %bb.1008:
	v_ashrrev_i32_e32 v135, 31, v134
	v_lshlrev_b64 v[135:136], 2, v[134:135]
	v_add_co_u32 v135, vcc_lo, v4, v135
	v_add_co_ci_u32_e64 v136, null, v5, v136, vcc_lo
	s_clause 0x1
	global_load_dword v142, v[135:136], off
	global_load_dword v143, v[4:5], off offset:236
	s_waitcnt vmcnt(1)
	global_store_dword v[4:5], v142, off offset:236
	s_waitcnt vmcnt(0)
	global_store_dword v[135:136], v143, off
.LBB126_1009:
	s_or_b32 exec_lo, exec_lo, s2
	v_mov_b32_e32 v142, v134
	v_mov_b32_e32 v143, v134
.LBB126_1010:
	s_or_b32 exec_lo, exec_lo, s1
.LBB126_1011:
	s_andn2_saveexec_b32 s0, s0
	s_cbranch_execz .LBB126_1013
; %bb.1012:
	v_mov_b32_e32 v134, v12
	v_mov_b32_e32 v135, v13
	;; [unrolled: 1-line block ×7, first 2 shown]
	ds_write2_b64 v140, v[134:135], v[144:145] offset0:60 offset1:61
	ds_write2_b64 v140, v[146:147], v[132:133] offset0:62 offset1:63
.LBB126_1013:
	s_or_b32 exec_lo, exec_lo, s0
	s_mov_b32 s0, exec_lo
	s_waitcnt lgkmcnt(0)
	s_waitcnt_vscnt null, 0x0
	s_barrier
	buffer_gl0_inv
	v_cmpx_lt_i32_e32 59, v143
	s_cbranch_execz .LBB126_1015
; %bb.1014:
	v_mul_f64 v[8:9], v[0:1], v[8:9]
	ds_read2_b64 v[144:147], v140 offset0:60 offset1:61
	ds_read2_b64 v[148:151], v140 offset0:62 offset1:63
	s_waitcnt lgkmcnt(1)
	v_fma_f64 v[12:13], -v[8:9], v[144:145], v[12:13]
	v_fma_f64 v[6:7], -v[8:9], v[146:147], v[6:7]
	s_waitcnt lgkmcnt(0)
	v_fma_f64 v[10:11], -v[8:9], v[148:149], v[10:11]
	v_fma_f64 v[132:133], -v[8:9], v[150:151], v[132:133]
.LBB126_1015:
	s_or_b32 exec_lo, exec_lo, s0
	v_lshl_add_u32 v0, v143, 3, v140
	s_barrier
	buffer_gl0_inv
	v_mov_b32_e32 v134, 60
	ds_write_b64 v0, v[12:13]
	s_waitcnt lgkmcnt(0)
	s_barrier
	buffer_gl0_inv
	ds_read_b64 v[0:1], v140 offset:480
	s_cmp_lt_i32 s7, 62
	s_cbranch_scc1 .LBB126_1018
; %bb.1016:
	v_add3_u32 v135, v141, 0, 0x1e8
	v_mov_b32_e32 v134, 60
	s_mov_b32 s0, 61
.LBB126_1017:                           ; =>This Inner Loop Header: Depth=1
	ds_read_b64 v[144:145], v135
	v_add_nc_u32_e32 v135, 8, v135
	s_waitcnt lgkmcnt(0)
	v_cmp_lt_f64_e64 vcc_lo, |v[0:1]|, |v[144:145]|
	v_cndmask_b32_e32 v1, v1, v145, vcc_lo
	v_cndmask_b32_e32 v0, v0, v144, vcc_lo
	v_cndmask_b32_e64 v134, v134, s0, vcc_lo
	s_add_i32 s0, s0, 1
	s_cmp_lg_u32 s7, s0
	s_cbranch_scc1 .LBB126_1017
.LBB126_1018:
	s_mov_b32 s0, exec_lo
	s_waitcnt lgkmcnt(0)
	v_cmpx_eq_f64_e32 0, v[0:1]
	s_xor_b32 s0, exec_lo, s0
; %bb.1019:
	v_cmp_ne_u32_e32 vcc_lo, 0, v137
	v_cndmask_b32_e32 v137, 61, v137, vcc_lo
; %bb.1020:
	s_andn2_saveexec_b32 s0, s0
	s_cbranch_execz .LBB126_1022
; %bb.1021:
	v_div_scale_f64 v[135:136], null, v[0:1], v[0:1], 1.0
	v_rcp_f64_e32 v[144:145], v[135:136]
	v_fma_f64 v[146:147], -v[135:136], v[144:145], 1.0
	v_fma_f64 v[144:145], v[144:145], v[146:147], v[144:145]
	v_fma_f64 v[146:147], -v[135:136], v[144:145], 1.0
	v_fma_f64 v[144:145], v[144:145], v[146:147], v[144:145]
	v_div_scale_f64 v[146:147], vcc_lo, 1.0, v[0:1], 1.0
	v_mul_f64 v[148:149], v[146:147], v[144:145]
	v_fma_f64 v[135:136], -v[135:136], v[148:149], v[146:147]
	v_div_fmas_f64 v[135:136], v[135:136], v[144:145], v[148:149]
	v_div_fixup_f64 v[0:1], v[135:136], v[0:1], 1.0
.LBB126_1022:
	s_or_b32 exec_lo, exec_lo, s0
	s_mov_b32 s0, exec_lo
	v_cmpx_ne_u32_e64 v143, v134
	s_xor_b32 s0, exec_lo, s0
	s_cbranch_execz .LBB126_1028
; %bb.1023:
	s_mov_b32 s1, exec_lo
	v_cmpx_eq_u32_e32 60, v143
	s_cbranch_execz .LBB126_1027
; %bb.1024:
	v_cmp_ne_u32_e32 vcc_lo, 60, v134
	s_xor_b32 s2, s6, -1
	s_and_b32 s3, s2, vcc_lo
	s_and_saveexec_b32 s2, s3
	s_cbranch_execz .LBB126_1026
; %bb.1025:
	v_ashrrev_i32_e32 v135, 31, v134
	v_lshlrev_b64 v[135:136], 2, v[134:135]
	v_add_co_u32 v135, vcc_lo, v4, v135
	v_add_co_ci_u32_e64 v136, null, v5, v136, vcc_lo
	s_clause 0x1
	global_load_dword v142, v[135:136], off
	global_load_dword v143, v[4:5], off offset:240
	s_waitcnt vmcnt(1)
	global_store_dword v[4:5], v142, off offset:240
	s_waitcnt vmcnt(0)
	global_store_dword v[135:136], v143, off
.LBB126_1026:
	s_or_b32 exec_lo, exec_lo, s2
	v_mov_b32_e32 v142, v134
	v_mov_b32_e32 v143, v134
.LBB126_1027:
	s_or_b32 exec_lo, exec_lo, s1
.LBB126_1028:
	s_andn2_saveexec_b32 s0, s0
	s_cbranch_execz .LBB126_1030
; %bb.1029:
	v_mov_b32_e32 v143, 60
	ds_write2_b64 v140, v[6:7], v[10:11] offset0:61 offset1:62
	ds_write_b64 v140, v[132:133] offset:504
.LBB126_1030:
	s_or_b32 exec_lo, exec_lo, s0
	s_mov_b32 s0, exec_lo
	s_waitcnt lgkmcnt(0)
	s_waitcnt_vscnt null, 0x0
	s_barrier
	buffer_gl0_inv
	v_cmpx_lt_i32_e32 60, v143
	s_cbranch_execz .LBB126_1032
; %bb.1031:
	v_mul_f64 v[12:13], v[0:1], v[12:13]
	ds_read2_b64 v[144:147], v140 offset0:61 offset1:62
	ds_read_b64 v[0:1], v140 offset:504
	s_waitcnt lgkmcnt(1)
	v_fma_f64 v[6:7], -v[12:13], v[144:145], v[6:7]
	v_fma_f64 v[10:11], -v[12:13], v[146:147], v[10:11]
	s_waitcnt lgkmcnt(0)
	v_fma_f64 v[132:133], -v[12:13], v[0:1], v[132:133]
.LBB126_1032:
	s_or_b32 exec_lo, exec_lo, s0
	v_lshl_add_u32 v0, v143, 3, v140
	s_barrier
	buffer_gl0_inv
	v_mov_b32_e32 v134, 61
	ds_write_b64 v0, v[6:7]
	s_waitcnt lgkmcnt(0)
	s_barrier
	buffer_gl0_inv
	ds_read_b64 v[0:1], v140 offset:488
	s_cmp_lt_i32 s7, 63
	s_cbranch_scc1 .LBB126_1035
; %bb.1033:
	v_add3_u32 v135, v141, 0, 0x1f0
	v_mov_b32_e32 v134, 61
	s_mov_b32 s0, 62
.LBB126_1034:                           ; =>This Inner Loop Header: Depth=1
	ds_read_b64 v[144:145], v135
	v_add_nc_u32_e32 v135, 8, v135
	s_waitcnt lgkmcnt(0)
	v_cmp_lt_f64_e64 vcc_lo, |v[0:1]|, |v[144:145]|
	v_cndmask_b32_e32 v1, v1, v145, vcc_lo
	v_cndmask_b32_e32 v0, v0, v144, vcc_lo
	v_cndmask_b32_e64 v134, v134, s0, vcc_lo
	s_add_i32 s0, s0, 1
	s_cmp_lg_u32 s7, s0
	s_cbranch_scc1 .LBB126_1034
.LBB126_1035:
	s_mov_b32 s0, exec_lo
	s_waitcnt lgkmcnt(0)
	v_cmpx_eq_f64_e32 0, v[0:1]
	s_xor_b32 s0, exec_lo, s0
; %bb.1036:
	v_cmp_ne_u32_e32 vcc_lo, 0, v137
	v_cndmask_b32_e32 v137, 62, v137, vcc_lo
; %bb.1037:
	s_andn2_saveexec_b32 s0, s0
	s_cbranch_execz .LBB126_1039
; %bb.1038:
	v_div_scale_f64 v[135:136], null, v[0:1], v[0:1], 1.0
	v_rcp_f64_e32 v[144:145], v[135:136]
	v_fma_f64 v[146:147], -v[135:136], v[144:145], 1.0
	v_fma_f64 v[144:145], v[144:145], v[146:147], v[144:145]
	v_fma_f64 v[146:147], -v[135:136], v[144:145], 1.0
	v_fma_f64 v[144:145], v[144:145], v[146:147], v[144:145]
	v_div_scale_f64 v[146:147], vcc_lo, 1.0, v[0:1], 1.0
	v_mul_f64 v[148:149], v[146:147], v[144:145]
	v_fma_f64 v[135:136], -v[135:136], v[148:149], v[146:147]
	v_div_fmas_f64 v[135:136], v[135:136], v[144:145], v[148:149]
	v_div_fixup_f64 v[0:1], v[135:136], v[0:1], 1.0
.LBB126_1039:
	s_or_b32 exec_lo, exec_lo, s0
	s_mov_b32 s0, exec_lo
	v_cmpx_ne_u32_e64 v143, v134
	s_xor_b32 s0, exec_lo, s0
	s_cbranch_execz .LBB126_1045
; %bb.1040:
	s_mov_b32 s1, exec_lo
	v_cmpx_eq_u32_e32 61, v143
	s_cbranch_execz .LBB126_1044
; %bb.1041:
	v_cmp_ne_u32_e32 vcc_lo, 61, v134
	s_xor_b32 s2, s6, -1
	s_and_b32 s3, s2, vcc_lo
	s_and_saveexec_b32 s2, s3
	s_cbranch_execz .LBB126_1043
; %bb.1042:
	v_ashrrev_i32_e32 v135, 31, v134
	v_lshlrev_b64 v[135:136], 2, v[134:135]
	v_add_co_u32 v135, vcc_lo, v4, v135
	v_add_co_ci_u32_e64 v136, null, v5, v136, vcc_lo
	s_clause 0x1
	global_load_dword v142, v[135:136], off
	global_load_dword v143, v[4:5], off offset:244
	s_waitcnt vmcnt(1)
	global_store_dword v[4:5], v142, off offset:244
	s_waitcnt vmcnt(0)
	global_store_dword v[135:136], v143, off
.LBB126_1043:
	s_or_b32 exec_lo, exec_lo, s2
	v_mov_b32_e32 v142, v134
	v_mov_b32_e32 v143, v134
.LBB126_1044:
	s_or_b32 exec_lo, exec_lo, s1
.LBB126_1045:
	s_andn2_saveexec_b32 s0, s0
	s_cbranch_execz .LBB126_1047
; %bb.1046:
	v_mov_b32_e32 v134, v10
	v_mov_b32_e32 v135, v11
	;; [unrolled: 1-line block ×3, first 2 shown]
	ds_write2_b64 v140, v[134:135], v[132:133] offset0:62 offset1:63
.LBB126_1047:
	s_or_b32 exec_lo, exec_lo, s0
	s_mov_b32 s0, exec_lo
	s_waitcnt lgkmcnt(0)
	s_waitcnt_vscnt null, 0x0
	s_barrier
	buffer_gl0_inv
	v_cmpx_lt_i32_e32 61, v143
	s_cbranch_execz .LBB126_1049
; %bb.1048:
	v_mul_f64 v[6:7], v[0:1], v[6:7]
	ds_read2_b64 v[144:147], v140 offset0:62 offset1:63
	s_waitcnt lgkmcnt(0)
	v_fma_f64 v[10:11], -v[6:7], v[144:145], v[10:11]
	v_fma_f64 v[132:133], -v[6:7], v[146:147], v[132:133]
.LBB126_1049:
	s_or_b32 exec_lo, exec_lo, s0
	v_lshl_add_u32 v0, v143, 3, v140
	s_barrier
	buffer_gl0_inv
	v_mov_b32_e32 v134, 62
	ds_write_b64 v0, v[10:11]
	s_waitcnt lgkmcnt(0)
	s_barrier
	buffer_gl0_inv
	ds_read_b64 v[0:1], v140 offset:496
	s_cmp_lt_i32 s7, 64
	s_cbranch_scc1 .LBB126_1052
; %bb.1050:
	v_add3_u32 v135, v141, 0, 0x1f8
	v_mov_b32_e32 v134, 62
	s_mov_b32 s0, 63
.LBB126_1051:                           ; =>This Inner Loop Header: Depth=1
	ds_read_b64 v[144:145], v135
	v_add_nc_u32_e32 v135, 8, v135
	s_waitcnt lgkmcnt(0)
	v_cmp_lt_f64_e64 vcc_lo, |v[0:1]|, |v[144:145]|
	v_cndmask_b32_e32 v1, v1, v145, vcc_lo
	v_cndmask_b32_e32 v0, v0, v144, vcc_lo
	v_cndmask_b32_e64 v134, v134, s0, vcc_lo
	s_add_i32 s0, s0, 1
	s_cmp_lg_u32 s7, s0
	s_cbranch_scc1 .LBB126_1051
.LBB126_1052:
	s_mov_b32 s0, exec_lo
	s_waitcnt lgkmcnt(0)
	v_cmpx_eq_f64_e32 0, v[0:1]
	s_xor_b32 s0, exec_lo, s0
; %bb.1053:
	v_cmp_ne_u32_e32 vcc_lo, 0, v137
	v_cndmask_b32_e32 v137, 63, v137, vcc_lo
; %bb.1054:
	s_andn2_saveexec_b32 s0, s0
	s_cbranch_execz .LBB126_1056
; %bb.1055:
	v_div_scale_f64 v[135:136], null, v[0:1], v[0:1], 1.0
	v_rcp_f64_e32 v[144:145], v[135:136]
	v_fma_f64 v[146:147], -v[135:136], v[144:145], 1.0
	v_fma_f64 v[144:145], v[144:145], v[146:147], v[144:145]
	v_fma_f64 v[146:147], -v[135:136], v[144:145], 1.0
	v_fma_f64 v[144:145], v[144:145], v[146:147], v[144:145]
	v_div_scale_f64 v[146:147], vcc_lo, 1.0, v[0:1], 1.0
	v_mul_f64 v[148:149], v[146:147], v[144:145]
	v_fma_f64 v[135:136], -v[135:136], v[148:149], v[146:147]
	v_div_fmas_f64 v[135:136], v[135:136], v[144:145], v[148:149]
	v_div_fixup_f64 v[0:1], v[135:136], v[0:1], 1.0
.LBB126_1056:
	s_or_b32 exec_lo, exec_lo, s0
	s_mov_b32 s0, exec_lo
	v_cmpx_ne_u32_e64 v143, v134
	s_xor_b32 s0, exec_lo, s0
	s_cbranch_execz .LBB126_1062
; %bb.1057:
	s_mov_b32 s1, exec_lo
	v_cmpx_eq_u32_e32 62, v143
	s_cbranch_execz .LBB126_1061
; %bb.1058:
	v_cmp_ne_u32_e32 vcc_lo, 62, v134
	s_xor_b32 s2, s6, -1
	s_and_b32 s3, s2, vcc_lo
	s_and_saveexec_b32 s2, s3
	s_cbranch_execz .LBB126_1060
; %bb.1059:
	v_ashrrev_i32_e32 v135, 31, v134
	v_lshlrev_b64 v[135:136], 2, v[134:135]
	v_add_co_u32 v135, vcc_lo, v4, v135
	v_add_co_ci_u32_e64 v136, null, v5, v136, vcc_lo
	s_clause 0x1
	global_load_dword v142, v[135:136], off
	global_load_dword v143, v[4:5], off offset:248
	s_waitcnt vmcnt(1)
	global_store_dword v[4:5], v142, off offset:248
	s_waitcnt vmcnt(0)
	global_store_dword v[135:136], v143, off
.LBB126_1060:
	s_or_b32 exec_lo, exec_lo, s2
	v_mov_b32_e32 v142, v134
	v_mov_b32_e32 v143, v134
.LBB126_1061:
	s_or_b32 exec_lo, exec_lo, s1
.LBB126_1062:
	s_andn2_saveexec_b32 s0, s0
; %bb.1063:
	v_mov_b32_e32 v143, 62
	ds_write_b64 v140, v[132:133] offset:504
; %bb.1064:
	s_or_b32 exec_lo, exec_lo, s0
	s_mov_b32 s0, exec_lo
	s_waitcnt lgkmcnt(0)
	s_waitcnt_vscnt null, 0x0
	s_barrier
	buffer_gl0_inv
	v_cmpx_lt_i32_e32 62, v143
	s_cbranch_execz .LBB126_1066
; %bb.1065:
	v_mul_f64 v[10:11], v[0:1], v[10:11]
	ds_read_b64 v[0:1], v140 offset:504
	s_waitcnt lgkmcnt(0)
	v_fma_f64 v[132:133], -v[10:11], v[0:1], v[132:133]
.LBB126_1066:
	s_or_b32 exec_lo, exec_lo, s0
	v_lshl_add_u32 v0, v143, 3, v140
	s_barrier
	buffer_gl0_inv
	v_mov_b32_e32 v134, 63
	ds_write_b64 v0, v[132:133]
	s_waitcnt lgkmcnt(0)
	s_barrier
	buffer_gl0_inv
	ds_read_b64 v[0:1], v140 offset:504
	s_cmpk_lt_i32 s7, 0x41
	s_cbranch_scc1 .LBB126_1069
; %bb.1067:
	v_add3_u32 v135, v141, 0, 0x200
	v_mov_b32_e32 v134, 63
	s_mov_b32 s0, 64
.LBB126_1068:                           ; =>This Inner Loop Header: Depth=1
	ds_read_b64 v[140:141], v135
	v_add_nc_u32_e32 v135, 8, v135
	s_waitcnt lgkmcnt(0)
	v_cmp_lt_f64_e64 vcc_lo, |v[0:1]|, |v[140:141]|
	v_cndmask_b32_e32 v1, v1, v141, vcc_lo
	v_cndmask_b32_e32 v0, v0, v140, vcc_lo
	v_cndmask_b32_e64 v134, v134, s0, vcc_lo
	s_add_i32 s0, s0, 1
	s_cmp_lg_u32 s7, s0
	s_cbranch_scc1 .LBB126_1068
.LBB126_1069:
	s_mov_b32 s0, exec_lo
	s_waitcnt lgkmcnt(0)
	v_cmpx_eq_f64_e32 0, v[0:1]
	s_xor_b32 s0, exec_lo, s0
; %bb.1070:
	v_cmp_ne_u32_e32 vcc_lo, 0, v137
	v_cndmask_b32_e32 v137, 64, v137, vcc_lo
; %bb.1071:
	s_andn2_saveexec_b32 s0, s0
	s_cbranch_execz .LBB126_1073
; %bb.1072:
	v_div_scale_f64 v[135:136], null, v[0:1], v[0:1], 1.0
	v_rcp_f64_e32 v[140:141], v[135:136]
	v_fma_f64 v[144:145], -v[135:136], v[140:141], 1.0
	v_fma_f64 v[140:141], v[140:141], v[144:145], v[140:141]
	v_fma_f64 v[144:145], -v[135:136], v[140:141], 1.0
	v_fma_f64 v[140:141], v[140:141], v[144:145], v[140:141]
	v_div_scale_f64 v[144:145], vcc_lo, 1.0, v[0:1], 1.0
	v_mul_f64 v[146:147], v[144:145], v[140:141]
	v_fma_f64 v[135:136], -v[135:136], v[146:147], v[144:145]
	v_div_fmas_f64 v[135:136], v[135:136], v[140:141], v[146:147]
	v_div_fixup_f64 v[0:1], v[135:136], v[0:1], 1.0
.LBB126_1073:
	s_or_b32 exec_lo, exec_lo, s0
	v_mov_b32_e32 v135, 63
	s_mov_b32 s0, exec_lo
	v_cmpx_ne_u32_e64 v143, v134
	s_cbranch_execz .LBB126_1079
; %bb.1074:
	s_mov_b32 s1, exec_lo
	v_cmpx_eq_u32_e32 63, v143
	s_cbranch_execz .LBB126_1078
; %bb.1075:
	v_cmp_ne_u32_e32 vcc_lo, 63, v134
	s_xor_b32 s2, s6, -1
	s_and_b32 s3, s2, vcc_lo
	s_and_saveexec_b32 s2, s3
	s_cbranch_execz .LBB126_1077
; %bb.1076:
	v_ashrrev_i32_e32 v135, 31, v134
	v_lshlrev_b64 v[135:136], 2, v[134:135]
	v_add_co_u32 v135, vcc_lo, v4, v135
	v_add_co_ci_u32_e64 v136, null, v5, v136, vcc_lo
	s_clause 0x1
	global_load_dword v140, v[135:136], off
	global_load_dword v141, v[4:5], off offset:252
	s_waitcnt vmcnt(1)
	global_store_dword v[4:5], v140, off offset:252
	s_waitcnt vmcnt(0)
	global_store_dword v[135:136], v141, off
.LBB126_1077:
	s_or_b32 exec_lo, exec_lo, s2
	v_mov_b32_e32 v142, v134
	v_mov_b32_e32 v143, v134
.LBB126_1078:
	s_or_b32 exec_lo, exec_lo, s1
	v_mov_b32_e32 v135, v143
.LBB126_1079:
	s_or_b32 exec_lo, exec_lo, s0
	s_load_dwordx8 s[0:7], s[4:5], 0x28
	v_ashrrev_i32_e32 v136, 31, v135
	s_mov_b32 s9, exec_lo
	s_waitcnt lgkmcnt(0)
	s_waitcnt_vscnt null, 0x0
	s_barrier
	buffer_gl0_inv
	s_barrier
	buffer_gl0_inv
	v_cmpx_gt_i32_e32 64, v135
	s_cbranch_execz .LBB126_1081
; %bb.1080:
	v_mul_lo_u32 v134, s5, v2
	v_mul_lo_u32 v140, s4, v3
	v_mad_u64_u32 v[4:5], null, s4, v2, 0
	s_lshl_b64 s[2:3], s[2:3], 2
	v_add3_u32 v5, v5, v140, v134
	v_lshlrev_b64 v[4:5], 2, v[4:5]
	v_add_co_u32 v134, vcc_lo, s0, v4
	v_add_co_ci_u32_e64 v140, null, s1, v5, vcc_lo
	v_lshlrev_b64 v[4:5], 2, v[135:136]
	v_add_co_u32 v134, vcc_lo, v134, s2
	v_add_co_ci_u32_e64 v140, null, s3, v140, vcc_lo
	v_add_co_u32 v4, vcc_lo, v134, v4
	v_add_co_ci_u32_e64 v5, null, v140, v5, vcc_lo
	v_add3_u32 v134, v142, s13, 1
	global_store_dword v[4:5], v134, off
.LBB126_1081:
	s_or_b32 exec_lo, exec_lo, s9
	s_mov_b32 s1, exec_lo
	v_cmpx_eq_u32_e32 0, v135
	s_cbranch_execz .LBB126_1084
; %bb.1082:
	v_lshlrev_b64 v[2:3], 2, v[2:3]
	v_cmp_ne_u32_e64 s0, 0, v137
	v_add_co_u32 v2, vcc_lo, s6, v2
	v_add_co_ci_u32_e64 v3, null, s7, v3, vcc_lo
	global_load_dword v4, v[2:3], off
	s_waitcnt vmcnt(0)
	v_cmp_eq_u32_e32 vcc_lo, 0, v4
	s_and_b32 s0, vcc_lo, s0
	s_and_b32 exec_lo, exec_lo, s0
	s_cbranch_execz .LBB126_1084
; %bb.1083:
	v_add_nc_u32_e32 v4, s13, v137
	global_store_dword v[2:3], v4, off
.LBB126_1084:
	s_or_b32 exec_lo, exec_lo, s1
	v_lshlrev_b64 v[4:5], 3, v[135:136]
	v_mul_f64 v[0:1], v[0:1], v[132:133]
	v_add3_u32 v2, s8, s8, v135
	v_cmp_lt_i32_e32 vcc_lo, 63, v135
	v_add_co_u32 v4, s0, v138, v4
	v_add_nc_u32_e32 v134, s8, v2
	v_add_co_ci_u32_e64 v5, null, v139, v5, s0
	v_add_co_u32 v136, s0, v4, s10
	v_ashrrev_i32_e32 v3, 31, v2
	v_add_co_ci_u32_e64 v137, null, s11, v5, s0
	v_add_nc_u32_e32 v140, s8, v134
	v_ashrrev_i32_e32 v135, 31, v134
	v_lshlrev_b64 v[2:3], 3, v[2:3]
	flat_store_dwordx2 v[4:5], v[130:131]
	flat_store_dwordx2 v[136:137], v[128:129]
	v_add_nc_u32_e32 v128, s8, v140
	v_lshlrev_b64 v[4:5], 3, v[134:135]
	v_cndmask_b32_e32 v1, v133, v1, vcc_lo
	v_cndmask_b32_e32 v0, v132, v0, vcc_lo
	v_add_co_u32 v2, vcc_lo, v138, v2
	v_add_nc_u32_e32 v130, s8, v128
	v_ashrrev_i32_e32 v141, 31, v140
	v_add_co_ci_u32_e64 v3, null, v139, v3, vcc_lo
	v_add_co_u32 v4, vcc_lo, v138, v4
	v_ashrrev_i32_e32 v129, 31, v128
	v_add_co_ci_u32_e64 v5, null, v139, v5, vcc_lo
	v_ashrrev_i32_e32 v131, 31, v130
	v_lshlrev_b64 v[132:133], 3, v[140:141]
	flat_store_dwordx2 v[2:3], v[126:127]
	flat_store_dwordx2 v[4:5], v[124:125]
	v_lshlrev_b64 v[2:3], 3, v[128:129]
	v_add_nc_u32_e32 v126, s8, v130
	v_lshlrev_b64 v[124:125], 3, v[130:131]
	v_add_co_u32 v4, vcc_lo, v138, v132
	v_add_co_ci_u32_e64 v5, null, v139, v133, vcc_lo
	v_add_co_u32 v2, vcc_lo, v138, v2
	v_add_co_ci_u32_e64 v3, null, v139, v3, vcc_lo
	v_add_co_u32 v124, vcc_lo, v138, v124
	v_add_nc_u32_e32 v128, s8, v126
	v_add_co_ci_u32_e64 v125, null, v139, v125, vcc_lo
	v_ashrrev_i32_e32 v127, 31, v126
	flat_store_dwordx2 v[4:5], v[122:123]
	flat_store_dwordx2 v[2:3], v[118:119]
	flat_store_dwordx2 v[124:125], v[120:121]
	v_add_nc_u32_e32 v118, s8, v128
	v_ashrrev_i32_e32 v129, 31, v128
	v_lshlrev_b64 v[4:5], 3, v[126:127]
	v_add_nc_u32_e32 v120, s8, v118
	v_lshlrev_b64 v[2:3], 3, v[128:129]
	v_ashrrev_i32_e32 v119, 31, v118
	v_add_co_u32 v4, vcc_lo, v138, v4
	v_add_nc_u32_e32 v122, s8, v120
	v_add_co_ci_u32_e64 v5, null, v139, v5, vcc_lo
	v_add_co_u32 v2, vcc_lo, v138, v2
	v_ashrrev_i32_e32 v121, 31, v120
	v_add_co_ci_u32_e64 v3, null, v139, v3, vcc_lo
	v_ashrrev_i32_e32 v123, 31, v122
	v_lshlrev_b64 v[118:119], 3, v[118:119]
	flat_store_dwordx2 v[4:5], v[114:115]
	flat_store_dwordx2 v[2:3], v[116:117]
	v_lshlrev_b64 v[2:3], 3, v[120:121]
	v_add_nc_u32_e32 v116, s8, v122
	v_lshlrev_b64 v[114:115], 3, v[122:123]
	v_add_co_u32 v4, vcc_lo, v138, v118
	v_add_co_ci_u32_e64 v5, null, v139, v119, vcc_lo
	v_add_co_u32 v2, vcc_lo, v138, v2
	v_add_co_ci_u32_e64 v3, null, v139, v3, vcc_lo
	v_add_co_u32 v114, vcc_lo, v138, v114
	v_add_nc_u32_e32 v118, s8, v116
	v_add_co_ci_u32_e64 v115, null, v139, v115, vcc_lo
	v_ashrrev_i32_e32 v117, 31, v116
	flat_store_dwordx2 v[4:5], v[112:113]
	flat_store_dwordx2 v[2:3], v[110:111]
	flat_store_dwordx2 v[114:115], v[108:109]
	v_add_nc_u32_e32 v108, s8, v118
	v_ashrrev_i32_e32 v119, 31, v118
	v_lshlrev_b64 v[4:5], 3, v[116:117]
	v_add_nc_u32_e32 v110, s8, v108
	v_lshlrev_b64 v[2:3], 3, v[118:119]
	v_ashrrev_i32_e32 v109, 31, v108
	v_add_co_u32 v4, vcc_lo, v138, v4
	v_add_nc_u32_e32 v112, s8, v110
	;; [unrolled: 30-line block ×10, first 2 shown]
	v_add_co_ci_u32_e64 v5, null, v139, v5, vcc_lo
	v_add_co_u32 v2, vcc_lo, v138, v2
	v_ashrrev_i32_e32 v31, 31, v30
	v_add_co_ci_u32_e64 v3, null, v139, v3, vcc_lo
	v_ashrrev_i32_e32 v33, 31, v32
	v_lshlrev_b64 v[28:29], 3, v[28:29]
	flat_store_dwordx2 v[4:5], v[26:27]
	flat_store_dwordx2 v[2:3], v[24:25]
	v_lshlrev_b64 v[2:3], 3, v[30:31]
	v_add_nc_u32_e32 v26, s8, v32
	v_lshlrev_b64 v[24:25], 3, v[32:33]
	v_add_co_u32 v4, vcc_lo, v138, v28
	v_add_co_ci_u32_e64 v5, null, v139, v29, vcc_lo
	v_add_co_u32 v2, vcc_lo, v138, v2
	v_add_nc_u32_e32 v28, s8, v26
	v_add_co_ci_u32_e64 v3, null, v139, v3, vcc_lo
	v_add_co_u32 v24, vcc_lo, v138, v24
	v_ashrrev_i32_e32 v27, 31, v26
	v_add_co_ci_u32_e64 v25, null, v139, v25, vcc_lo
	v_ashrrev_i32_e32 v29, 31, v28
	flat_store_dwordx2 v[4:5], v[22:23]
	v_lshlrev_b64 v[4:5], 3, v[26:27]
	flat_store_dwordx2 v[2:3], v[18:19]
	flat_store_dwordx2 v[24:25], v[20:21]
	v_add_nc_u32_e32 v18, s8, v28
	v_lshlrev_b64 v[2:3], 3, v[28:29]
	v_add_co_u32 v4, vcc_lo, v138, v4
	v_add_nc_u32_e32 v20, s8, v18
	v_add_co_ci_u32_e64 v5, null, v139, v5, vcc_lo
	v_add_co_u32 v2, vcc_lo, v138, v2
	v_add_co_ci_u32_e64 v3, null, v139, v3, vcc_lo
	v_add_nc_u32_e32 v22, s8, v20
	v_ashrrev_i32_e32 v19, 31, v18
	flat_store_dwordx2 v[4:5], v[16:17]
	flat_store_dwordx2 v[2:3], v[14:15]
	v_ashrrev_i32_e32 v21, 31, v20
	v_add_nc_u32_e32 v14, s8, v22
	v_lshlrev_b64 v[4:5], 3, v[18:19]
	v_ashrrev_i32_e32 v23, 31, v22
	v_lshlrev_b64 v[2:3], 3, v[20:21]
	v_add_nc_u32_e32 v18, s8, v14
	v_ashrrev_i32_e32 v15, 31, v14
	v_lshlrev_b64 v[16:17], 3, v[22:23]
	v_add_co_u32 v4, vcc_lo, v138, v4
	v_ashrrev_i32_e32 v19, 31, v18
	v_lshlrev_b64 v[14:15], 3, v[14:15]
	v_add_co_ci_u32_e64 v5, null, v139, v5, vcc_lo
	v_add_co_u32 v2, vcc_lo, v138, v2
	v_lshlrev_b64 v[18:19], 3, v[18:19]
	v_add_co_ci_u32_e64 v3, null, v139, v3, vcc_lo
	v_add_co_u32 v16, vcc_lo, v138, v16
	v_add_co_ci_u32_e64 v17, null, v139, v17, vcc_lo
	v_add_co_u32 v14, vcc_lo, v138, v14
	;; [unrolled: 2-line block ×3, first 2 shown]
	v_add_co_ci_u32_e64 v19, null, v139, v19, vcc_lo
	flat_store_dwordx2 v[4:5], v[8:9]
	flat_store_dwordx2 v[2:3], v[12:13]
	;; [unrolled: 1-line block ×5, first 2 shown]
.LBB126_1085:
	s_endpgm
	.section	.rodata,"a",@progbits
	.p2align	6, 0x0
	.amdhsa_kernel _ZN9rocsolver6v33100L18getf2_small_kernelILi64EdiiPKPdEEvT1_T3_lS5_lPS5_llPT2_S5_S5_S7_l
		.amdhsa_group_segment_fixed_size 0
		.amdhsa_private_segment_fixed_size 0
		.amdhsa_kernarg_size 352
		.amdhsa_user_sgpr_count 6
		.amdhsa_user_sgpr_private_segment_buffer 1
		.amdhsa_user_sgpr_dispatch_ptr 0
		.amdhsa_user_sgpr_queue_ptr 0
		.amdhsa_user_sgpr_kernarg_segment_ptr 1
		.amdhsa_user_sgpr_dispatch_id 0
		.amdhsa_user_sgpr_flat_scratch_init 0
		.amdhsa_user_sgpr_private_segment_size 0
		.amdhsa_wavefront_size32 1
		.amdhsa_uses_dynamic_stack 0
		.amdhsa_system_sgpr_private_segment_wavefront_offset 0
		.amdhsa_system_sgpr_workgroup_id_x 1
		.amdhsa_system_sgpr_workgroup_id_y 1
		.amdhsa_system_sgpr_workgroup_id_z 0
		.amdhsa_system_sgpr_workgroup_info 0
		.amdhsa_system_vgpr_workitem_id 1
		.amdhsa_next_free_vgpr 200
		.amdhsa_next_free_sgpr 14
		.amdhsa_reserve_vcc 1
		.amdhsa_reserve_flat_scratch 1
		.amdhsa_float_round_mode_32 0
		.amdhsa_float_round_mode_16_64 0
		.amdhsa_float_denorm_mode_32 3
		.amdhsa_float_denorm_mode_16_64 3
		.amdhsa_dx10_clamp 1
		.amdhsa_ieee_mode 1
		.amdhsa_fp16_overflow 0
		.amdhsa_workgroup_processor_mode 1
		.amdhsa_memory_ordered 1
		.amdhsa_forward_progress 1
		.amdhsa_shared_vgpr_count 0
		.amdhsa_exception_fp_ieee_invalid_op 0
		.amdhsa_exception_fp_denorm_src 0
		.amdhsa_exception_fp_ieee_div_zero 0
		.amdhsa_exception_fp_ieee_overflow 0
		.amdhsa_exception_fp_ieee_underflow 0
		.amdhsa_exception_fp_ieee_inexact 0
		.amdhsa_exception_int_div_zero 0
	.end_amdhsa_kernel
	.section	.text._ZN9rocsolver6v33100L18getf2_small_kernelILi64EdiiPKPdEEvT1_T3_lS5_lPS5_llPT2_S5_S5_S7_l,"axG",@progbits,_ZN9rocsolver6v33100L18getf2_small_kernelILi64EdiiPKPdEEvT1_T3_lS5_lPS5_llPT2_S5_S5_S7_l,comdat
.Lfunc_end126:
	.size	_ZN9rocsolver6v33100L18getf2_small_kernelILi64EdiiPKPdEEvT1_T3_lS5_lPS5_llPT2_S5_S5_S7_l, .Lfunc_end126-_ZN9rocsolver6v33100L18getf2_small_kernelILi64EdiiPKPdEEvT1_T3_lS5_lPS5_llPT2_S5_S5_S7_l
                                        ; -- End function
	.set _ZN9rocsolver6v33100L18getf2_small_kernelILi64EdiiPKPdEEvT1_T3_lS5_lPS5_llPT2_S5_S5_S7_l.num_vgpr, 200
	.set _ZN9rocsolver6v33100L18getf2_small_kernelILi64EdiiPKPdEEvT1_T3_lS5_lPS5_llPT2_S5_S5_S7_l.num_agpr, 0
	.set _ZN9rocsolver6v33100L18getf2_small_kernelILi64EdiiPKPdEEvT1_T3_lS5_lPS5_llPT2_S5_S5_S7_l.numbered_sgpr, 14
	.set _ZN9rocsolver6v33100L18getf2_small_kernelILi64EdiiPKPdEEvT1_T3_lS5_lPS5_llPT2_S5_S5_S7_l.num_named_barrier, 0
	.set _ZN9rocsolver6v33100L18getf2_small_kernelILi64EdiiPKPdEEvT1_T3_lS5_lPS5_llPT2_S5_S5_S7_l.private_seg_size, 0
	.set _ZN9rocsolver6v33100L18getf2_small_kernelILi64EdiiPKPdEEvT1_T3_lS5_lPS5_llPT2_S5_S5_S7_l.uses_vcc, 1
	.set _ZN9rocsolver6v33100L18getf2_small_kernelILi64EdiiPKPdEEvT1_T3_lS5_lPS5_llPT2_S5_S5_S7_l.uses_flat_scratch, 1
	.set _ZN9rocsolver6v33100L18getf2_small_kernelILi64EdiiPKPdEEvT1_T3_lS5_lPS5_llPT2_S5_S5_S7_l.has_dyn_sized_stack, 0
	.set _ZN9rocsolver6v33100L18getf2_small_kernelILi64EdiiPKPdEEvT1_T3_lS5_lPS5_llPT2_S5_S5_S7_l.has_recursion, 0
	.set _ZN9rocsolver6v33100L18getf2_small_kernelILi64EdiiPKPdEEvT1_T3_lS5_lPS5_llPT2_S5_S5_S7_l.has_indirect_call, 0
	.section	.AMDGPU.csdata,"",@progbits
; Kernel info:
; codeLenInByte = 78804
; TotalNumSgprs: 16
; NumVgprs: 200
; ScratchSize: 0
; MemoryBound: 0
; FloatMode: 240
; IeeeMode: 1
; LDSByteSize: 0 bytes/workgroup (compile time only)
; SGPRBlocks: 0
; VGPRBlocks: 24
; NumSGPRsForWavesPerEU: 16
; NumVGPRsForWavesPerEU: 200
; Occupancy: 4
; WaveLimiterHint : 1
; COMPUTE_PGM_RSRC2:SCRATCH_EN: 0
; COMPUTE_PGM_RSRC2:USER_SGPR: 6
; COMPUTE_PGM_RSRC2:TRAP_HANDLER: 0
; COMPUTE_PGM_RSRC2:TGID_X_EN: 1
; COMPUTE_PGM_RSRC2:TGID_Y_EN: 1
; COMPUTE_PGM_RSRC2:TGID_Z_EN: 0
; COMPUTE_PGM_RSRC2:TIDIG_COMP_CNT: 1
	.section	.text._ZN9rocsolver6v33100L23getf2_npvt_small_kernelILi64EdiiPKPdEEvT1_T3_lS5_lPT2_S5_S5_,"axG",@progbits,_ZN9rocsolver6v33100L23getf2_npvt_small_kernelILi64EdiiPKPdEEvT1_T3_lS5_lPT2_S5_S5_,comdat
	.globl	_ZN9rocsolver6v33100L23getf2_npvt_small_kernelILi64EdiiPKPdEEvT1_T3_lS5_lPT2_S5_S5_ ; -- Begin function _ZN9rocsolver6v33100L23getf2_npvt_small_kernelILi64EdiiPKPdEEvT1_T3_lS5_lPT2_S5_S5_
	.p2align	8
	.type	_ZN9rocsolver6v33100L23getf2_npvt_small_kernelILi64EdiiPKPdEEvT1_T3_lS5_lPT2_S5_S5_,@function
_ZN9rocsolver6v33100L23getf2_npvt_small_kernelILi64EdiiPKPdEEvT1_T3_lS5_lPT2_S5_S5_: ; @_ZN9rocsolver6v33100L23getf2_npvt_small_kernelILi64EdiiPKPdEEvT1_T3_lS5_lPT2_S5_S5_
; %bb.0:
	s_mov_b64 s[14:15], s[2:3]
	s_mov_b64 s[12:13], s[0:1]
	s_add_u32 s12, s12, s8
	s_clause 0x1
	s_load_dword s0, s[4:5], 0x44
	s_load_dwordx2 s[8:9], s[4:5], 0x30
	s_addc_u32 s13, s13, 0
	s_waitcnt lgkmcnt(0)
	s_lshr_b32 s10, s0, 16
	s_mov_b32 s0, exec_lo
	v_mad_u64_u32 v[2:3], null, s7, s10, v[1:2]
	v_cmpx_gt_i32_e64 s8, v2
	s_cbranch_execz .LBB127_323
; %bb.1:
	s_clause 0x1
	s_load_dwordx4 s[0:3], s[4:5], 0x8
	s_load_dword s6, s[4:5], 0x18
	v_ashrrev_i32_e32 v3, 31, v2
	v_lshlrev_b64 v[4:5], 3, v[2:3]
	s_waitcnt lgkmcnt(0)
	v_add_co_u32 v4, vcc_lo, s0, v4
	v_add_co_ci_u32_e64 v5, null, s1, v5, vcc_lo
	v_add3_u32 v33, s6, s6, v0
	s_lshl_b64 s[0:1], s[2:3], 3
	s_ashr_i32 s7, s6, 31
	global_load_dwordx2 v[4:5], v[4:5], off
	s_lshl_b32 s2, s10, 9
	v_add_nc_u32_e32 v24, s6, v33
	v_ashrrev_i32_e32 v34, 31, v33
	v_add_nc_u32_e32 v31, s6, v24
	v_ashrrev_i32_e32 v25, 31, v24
	v_lshlrev_b64 v[33:34], 3, v[33:34]
	v_add_nc_u32_e32 v36, s6, v31
	v_lshlrev_b64 v[58:59], 3, v[24:25]
	v_ashrrev_i32_e32 v32, 31, v31
	v_add_nc_u32_e32 v28, s6, v36
	v_ashrrev_i32_e32 v37, 31, v36
	v_lshlrev_b64 v[60:61], 3, v[31:32]
	v_add_nc_u32_e32 v21, s6, v28
	v_lshlrev_b64 v[62:63], 3, v[36:37]
	;; [unrolled: 6-line block ×3, first 2 shown]
	v_ashrrev_i32_e32 v27, 31, v26
	v_add_nc_u32_e32 v8, s6, v35
	v_ashrrev_i32_e32 v36, 31, v35
	v_lshlrev_b64 v[66:67], 3, v[26:27]
	v_add_nc_u32_e32 v6, s6, v8
	v_ashrrev_i32_e32 v9, 31, v8
	v_lshlrev_b64 v[35:36], 3, v[35:36]
	v_add_nc_u32_e32 v10, s6, v6
	v_ashrrev_i32_e32 v7, 31, v6
	v_lshlrev_b64 v[8:9], 3, v[8:9]
	v_add_nc_u32_e32 v16, s6, v10
	v_ashrrev_i32_e32 v11, 31, v10
	v_lshlrev_b64 v[6:7], 3, v[6:7]
	v_add_nc_u32_e32 v14, s6, v16
	v_ashrrev_i32_e32 v17, 31, v16
	v_lshlrev_b64 v[10:11], 3, v[10:11]
	v_add_nc_u32_e32 v12, s6, v14
	v_ashrrev_i32_e32 v15, 31, v14
	v_lshlrev_b64 v[16:17], 3, v[16:17]
	v_add_nc_u32_e32 v18, s6, v12
	v_ashrrev_i32_e32 v13, 31, v12
	v_lshlrev_b64 v[14:15], 3, v[14:15]
	v_add_nc_u32_e32 v20, s6, v18
	v_ashrrev_i32_e32 v19, 31, v18
	v_lshlrev_b64 v[12:13], 3, v[12:13]
	v_add_nc_u32_e32 v23, s6, v20
	v_ashrrev_i32_e32 v21, 31, v20
	v_lshlrev_b64 v[18:19], 3, v[18:19]
	v_add_nc_u32_e32 v30, s6, v23
	v_ashrrev_i32_e32 v24, 31, v23
	v_lshlrev_b64 v[20:21], 3, v[20:21]
	v_add_nc_u32_e32 v38, s6, v30
	v_lshlrev_b64 v[76:77], 3, v[23:24]
	v_ashrrev_i32_e32 v31, 31, v30
	v_add_nc_u32_e32 v40, s6, v38
	v_ashrrev_i32_e32 v39, 31, v38
	v_lshlrev_b64 v[30:31], 3, v[30:31]
	v_add_nc_u32_e32 v42, s6, v40
	v_ashrrev_i32_e32 v41, 31, v40
	v_lshlrev_b64 v[78:79], 3, v[38:39]
	;; [unrolled: 3-line block ×6, first 2 shown]
	v_add_nc_u32_e32 v52, s6, v50
	v_lshlrev_b64 v[47:48], 3, v[48:49]
	v_ashrrev_i32_e32 v51, 31, v50
	v_add_nc_u32_e32 v54, s6, v52
	v_ashrrev_i32_e32 v53, 31, v52
	v_lshlrev_b64 v[84:85], 3, v[50:51]
	v_add_nc_u32_e32 v56, s6, v54
	v_ashrrev_i32_e32 v55, 31, v54
	v_lshlrev_b64 v[86:87], 3, v[52:53]
	;; [unrolled: 3-line block ×3, first 2 shown]
	v_add_nc_u32_e32 v37, s6, v25
	v_lshlrev_b64 v[55:56], 3, v[56:57]
	v_ashrrev_i32_e32 v26, 31, v25
	v_add_nc_u32_e32 v22, s6, v37
	v_ashrrev_i32_e32 v38, 31, v37
	v_lshlrev_b64 v[26:27], 3, v[25:26]
	v_add_nc_u32_e32 v68, s6, v22
	v_ashrrev_i32_e32 v23, 31, v22
	v_lshlrev_b64 v[37:38], 3, v[37:38]
	;; [unrolled: 3-line block ×20, first 2 shown]
	v_ashrrev_i32_e32 v107, 31, v106
	v_lshlrev_b64 v[104:105], 3, v[104:105]
	s_waitcnt vmcnt(0)
	v_add_co_u32 v32, vcc_lo, v4, s0
	v_add_co_ci_u32_e64 v57, null, s1, v5, vcc_lo
	s_lshl_b64 s[0:1], s[6:7], 3
	v_add_co_u32 v4, vcc_lo, v32, v33
	v_add_co_ci_u32_e64 v5, null, v57, v34, vcc_lo
	v_add_co_u32 v33, vcc_lo, v32, v58
	v_add_co_ci_u32_e64 v34, null, v57, v59, vcc_lo
	v_add_co_u32 v58, vcc_lo, v32, v60
	v_add_co_ci_u32_e64 v59, null, v57, v61, vcc_lo
	v_add_co_u32 v60, vcc_lo, v32, v62
	v_add_co_ci_u32_e64 v61, null, v57, v63, vcc_lo
	v_add_co_u32 v28, vcc_lo, v32, v28
	v_add_co_ci_u32_e64 v29, null, v57, v29, vcc_lo
	v_add_co_u32 v62, vcc_lo, v32, v64
	v_add_co_ci_u32_e64 v63, null, v57, v65, vcc_lo
	v_add_co_u32 v64, vcc_lo, v32, v66
	v_add_co_ci_u32_e64 v65, null, v57, v67, vcc_lo
	v_add_co_u32 v35, vcc_lo, v32, v35
	v_add_co_ci_u32_e64 v36, null, v57, v36, vcc_lo
	v_add_co_u32 v8, vcc_lo, v32, v8
	v_add_co_ci_u32_e64 v9, null, v57, v9, vcc_lo
	v_add_co_u32 v126, vcc_lo, v32, v6
	v_add_co_ci_u32_e64 v127, null, v57, v7, vcc_lo
	v_add_co_u32 v108, vcc_lo, v32, v10
	v_add_co_ci_u32_e64 v109, null, v57, v11, vcc_lo
	v_add_co_u32 v134, vcc_lo, v32, v16
	v_add_co_ci_u32_e64 v135, null, v57, v17, vcc_lo
	v_add_co_u32 v116, vcc_lo, v32, v14
	v_add_co_ci_u32_e64 v117, null, v57, v15, vcc_lo
	v_add_co_u32 v120, vcc_lo, v32, v12
	v_add_co_ci_u32_e64 v121, null, v57, v13, vcc_lo
	v_add_co_u32 v124, vcc_lo, v32, v18
	v_add_co_ci_u32_e64 v125, null, v57, v19, vcc_lo
	v_add_co_u32 v218, vcc_lo, v32, v20
	v_add_co_ci_u32_e64 v219, null, v57, v21, vcc_lo
	v_add_co_u32 v14, vcc_lo, v32, v76
	v_add_co_ci_u32_e64 v15, null, v57, v77, vcc_lo
	v_add_co_u32 v114, vcc_lo, v32, v30
	v_add_co_ci_u32_e64 v115, null, v57, v31, vcc_lo
	v_add_co_u32 v118, vcc_lo, v32, v78
	v_add_co_ci_u32_e64 v119, null, v57, v79, vcc_lo
	v_add_co_u32 v122, vcc_lo, v32, v39
	v_add_co_ci_u32_e64 v123, null, v57, v40, vcc_lo
	v_add_co_u32 v111, vcc_lo, v32, v80
	v_add_co_ci_u32_e64 v112, null, v57, v81, vcc_lo
	v_add_co_u32 v12, vcc_lo, v32, v82
	v_add_co_ci_u32_e64 v13, null, v57, v83, vcc_lo
	v_add_co_u32 v16, vcc_lo, v32, v45
	v_add_co_ci_u32_e64 v17, null, v57, v46, vcc_lo
	v_add_co_u32 v18, vcc_lo, v32, v47
	v_add_co_ci_u32_e64 v19, null, v57, v48, vcc_lo
	v_add_co_u32 v20, vcc_lo, v32, v84
	v_add_co_ci_u32_e64 v21, null, v57, v85, vcc_lo
	v_add_co_u32 v30, vcc_lo, v32, v86
	v_add_co_ci_u32_e64 v31, null, v57, v87, vcc_lo
	v_add_co_u32 v39, vcc_lo, v32, v53
	v_add_co_ci_u32_e64 v40, null, v57, v54, vcc_lo
	v_add_co_u32 v45, vcc_lo, v32, v55
	v_add_co_ci_u32_e64 v46, null, v57, v56, vcc_lo
	v_add_co_u32 v26, vcc_lo, v32, v26
	v_add_co_ci_u32_e64 v27, null, v57, v27, vcc_lo
	v_add_co_u32 v37, vcc_lo, v32, v37
	v_add_co_ci_u32_e64 v38, null, v57, v38, vcc_lo
	v_add_co_u32 v22, vcc_lo, v32, v22
	v_add_co_ci_u32_e64 v23, null, v57, v23, vcc_lo
	v_add_co_u32 v47, vcc_lo, v32, v68
	v_add_co_ci_u32_e64 v48, null, v57, v69, vcc_lo
	v_add_co_u32 v53, vcc_lo, v32, v70
	v_add_co_ci_u32_e64 v54, null, v57, v71, vcc_lo
	v_add_co_u32 v55, vcc_lo, v32, v72
	v_add_co_ci_u32_e64 v56, null, v57, v73, vcc_lo
	v_add_co_u32 v66, vcc_lo, v32, v74
	v_add_co_ci_u32_e64 v67, null, v57, v75, vcc_lo
	v_add_co_u32 v24, vcc_lo, v32, v24
	v_add_co_ci_u32_e64 v25, null, v57, v25, vcc_lo
	v_add_co_u32 v41, vcc_lo, v32, v41
	v_add_co_ci_u32_e64 v42, null, v57, v42, vcc_lo
	v_add_co_u32 v43, vcc_lo, v32, v43
	v_add_co_ci_u32_e64 v44, null, v57, v44, vcc_lo
	v_add_co_u32 v49, vcc_lo, v32, v49
	v_add_co_ci_u32_e64 v50, null, v57, v50, vcc_lo
	v_add_co_u32 v51, vcc_lo, v32, v51
	v_add_co_ci_u32_e64 v52, null, v57, v52, vcc_lo
	v_add_co_u32 v68, vcc_lo, v32, v88
	v_add_co_ci_u32_e64 v69, null, v57, v89, vcc_lo
	v_add_co_u32 v70, vcc_lo, v32, v90
	v_add_co_ci_u32_e64 v71, null, v57, v91, vcc_lo
	v_add_co_u32 v72, vcc_lo, v32, v92
	v_add_co_ci_u32_e64 v73, null, v57, v93, vcc_lo
	v_mov_b32_e32 v93, v34
	v_mov_b32_e32 v92, v33
	v_add_co_u32 v33, vcc_lo, v32, v94
	v_add_co_ci_u32_e64 v34, null, v57, v95, vcc_lo
	v_mov_b32_e32 v95, v59
	v_mov_b32_e32 v94, v58
	v_add_co_u32 v58, vcc_lo, v32, v96
	v_mov_b32_e32 v133, v5
	v_mov_b32_e32 v132, v4
	v_add_co_ci_u32_e64 v59, null, v57, v97, vcc_lo
	v_mov_b32_e32 v97, v61
	v_add_nc_u32_e32 v4, s6, v106
	v_mov_b32_e32 v96, v60
	v_add_co_u32 v60, vcc_lo, v32, v98
	v_add_co_ci_u32_e64 v61, null, v57, v99, vcc_lo
	v_mov_b32_e32 v99, v29
	v_mov_b32_e32 v98, v28
	v_add_co_u32 v28, vcc_lo, v32, v100
	v_lshlrev_b64 v[6:7], 3, v[106:107]
	v_mov_b32_e32 v107, v9
	v_mov_b32_e32 v106, v8
	v_add_nc_u32_e32 v8, s6, v4
	v_add_co_ci_u32_e64 v29, null, v57, v101, vcc_lo
	v_mov_b32_e32 v101, v63
	v_mov_b32_e32 v100, v62
	v_add_co_u32 v62, vcc_lo, v32, v102
	v_ashrrev_i32_e32 v5, 31, v4
	v_add_co_ci_u32_e64 v63, null, v57, v103, vcc_lo
	v_mov_b32_e32 v103, v65
	v_mov_b32_e32 v102, v64
	v_add_co_u32 v64, vcc_lo, v32, v104
	v_ashrrev_i32_e32 v9, 31, v8
	v_add_nc_u32_e32 v10, s6, v8
	v_add_co_ci_u32_e64 v65, null, v57, v105, vcc_lo
	v_mov_b32_e32 v105, v36
	v_lshlrev_b64 v[4:5], 3, v[4:5]
	v_mov_b32_e32 v104, v35
	v_add_co_u32 v35, vcc_lo, v32, v6
	v_add_co_ci_u32_e64 v36, null, v57, v7, vcc_lo
	v_lshlrev_b64 v[6:7], 3, v[8:9]
	v_ashrrev_i32_e32 v11, 31, v10
	v_add_nc_u32_e32 v8, s6, v10
	v_add_co_u32 v74, vcc_lo, v32, v4
	v_add_co_ci_u32_e64 v75, null, v57, v5, vcc_lo
	v_lshlrev_b64 v[4:5], 3, v[10:11]
	v_ashrrev_i32_e32 v9, 31, v8
	v_add_nc_u32_e32 v10, s6, v8
	v_add_co_u32 v76, vcc_lo, v32, v6
	v_add_co_ci_u32_e64 v77, null, v57, v7, vcc_lo
	v_lshlrev_b64 v[6:7], 3, v[8:9]
	v_add_nc_u32_e32 v8, s6, v10
	v_ashrrev_i32_e32 v11, 31, v10
	v_add_co_u32 v78, vcc_lo, v32, v4
	v_add_co_ci_u32_e64 v79, null, v57, v5, vcc_lo
	v_ashrrev_i32_e32 v9, 31, v8
	v_lshlrev_b64 v[4:5], 3, v[10:11]
	v_add_co_u32 v10, vcc_lo, v32, v6
	v_add_co_ci_u32_e64 v11, null, v57, v7, vcc_lo
	v_lshlrev_b64 v[6:7], 3, v[8:9]
	v_add_nc_u32_e32 v8, s6, v8
	v_add_co_u32 v80, vcc_lo, v32, v4
	v_add_co_ci_u32_e64 v81, null, v57, v5, vcc_lo
	v_ashrrev_i32_e32 v9, 31, v8
	v_add_co_u32 v82, vcc_lo, v32, v6
	v_add_co_ci_u32_e64 v83, null, v57, v7, vcc_lo
	v_lshlrev_b64 v[4:5], 3, v[8:9]
	v_lshl_add_u32 v84, v1, 9, 0
	v_lshlrev_b32_e32 v1, 3, v1
	v_add_co_u32 v85, vcc_lo, v32, v4
	v_add_nc_u32_e32 v4, s6, v8
	v_add_co_ci_u32_e64 v86, null, v57, v5, vcc_lo
	v_add3_u32 v1, 0, s2, v1
	v_ashrrev_i32_e32 v5, 31, v4
	v_lshlrev_b64 v[5:6], 3, v[4:5]
	v_add_nc_u32_e32 v4, s6, v4
	v_add_co_u32 v7, vcc_lo, v32, v5
	v_ashrrev_i32_e32 v5, 31, v4
	v_add_co_ci_u32_e64 v8, null, v57, v6, vcc_lo
	v_lshlrev_b64 v[5:6], 3, v[4:5]
	v_add_nc_u32_e32 v4, s6, v4
	v_add_co_u32 v87, vcc_lo, v32, v5
	v_ashrrev_i32_e32 v5, 31, v4
	v_add_co_ci_u32_e64 v88, null, v57, v6, vcc_lo
	;; [unrolled: 5-line block ×4, first 2 shown]
	v_lshlrev_b64 v[4:5], 3, v[4:5]
	v_add_co_u32 v89, vcc_lo, v32, v4
	v_lshlrev_b32_e32 v4, 3, v0
	v_add_co_ci_u32_e64 v90, null, v57, v5, vcc_lo
	v_add_co_u32 v128, vcc_lo, v32, v4
	v_add_co_ci_u32_e64 v129, null, 0, v57, vcc_lo
	v_add_co_u32 v4, vcc_lo, v128, s0
	v_add_co_ci_u32_e64 v5, null, s1, v129, vcc_lo
	flat_load_dwordx2 v[254:255], v[128:129]
	buffer_store_dword v4, off, s[12:15], 0 offset:344 ; 4-byte Folded Spill
	buffer_store_dword v5, off, s[12:15], 0 offset:348 ; 4-byte Folded Spill
	v_cmp_ne_u32_e64 s1, 0, v0
	v_cmp_eq_u32_e64 s0, 0, v0
	flat_load_dwordx2 v[4:5], v[4:5]
	buffer_store_dword v132, off, s[12:15], 0 offset:336 ; 4-byte Folded Spill
	buffer_store_dword v133, off, s[12:15], 0 offset:340 ; 4-byte Folded Spill
	s_clause 0x8
	flat_load_dwordx2 v[252:253], v[132:133]
	flat_load_dwordx2 v[234:235], v[92:93]
	;; [unrolled: 1-line block ×9, first 2 shown]
	buffer_store_dword v126, off, s[12:15], 0 offset:552 ; 4-byte Folded Spill
	buffer_store_dword v127, off, s[12:15], 0 offset:556 ; 4-byte Folded Spill
	flat_load_dwordx2 v[226:227], v[126:127]
	buffer_store_dword v108, off, s[12:15], 0 offset:560 ; 4-byte Folded Spill
	buffer_store_dword v109, off, s[12:15], 0 offset:564 ; 4-byte Folded Spill
	flat_load_dwordx2 v[242:243], v[108:109]
	buffer_store_dword v134, off, s[12:15], 0 offset:568 ; 4-byte Folded Spill
	buffer_store_dword v135, off, s[12:15], 0 offset:572 ; 4-byte Folded Spill
	s_clause 0x4
	flat_load_dwordx2 v[224:225], v[134:135]
	flat_load_dwordx2 v[240:241], v[116:117]
	;; [unrolled: 1-line block ×5, first 2 shown]
	buffer_store_dword v14, off, s[12:15], 0 offset:8 ; 4-byte Folded Spill
	buffer_store_dword v15, off, s[12:15], 0 offset:12 ; 4-byte Folded Spill
	s_clause 0x4
	flat_load_dwordx2 v[236:237], v[14:15]
	flat_load_dwordx2 v[172:173], v[114:115]
	;; [unrolled: 1-line block ×5, first 2 shown]
	buffer_store_dword v12, off, s[12:15], 0 ; 4-byte Folded Spill
	buffer_store_dword v13, off, s[12:15], 0 offset:4 ; 4-byte Folded Spill
	flat_load_dwordx2 v[168:169], v[12:13]
	buffer_store_dword v16, off, s[12:15], 0 offset:16 ; 4-byte Folded Spill
	buffer_store_dword v17, off, s[12:15], 0 offset:20 ; 4-byte Folded Spill
	flat_load_dwordx2 v[212:213], v[16:17]
	buffer_store_dword v18, off, s[12:15], 0 offset:24 ; 4-byte Folded Spill
	;; [unrolled: 3-line block ×40, first 2 shown]
	buffer_store_dword v90, off, s[12:15], 0 offset:332 ; 4-byte Folded Spill
	flat_load_dwordx2 v[6:7], v[89:90]
	s_and_saveexec_b32 s2, s0
	s_cbranch_execz .LBB127_4
; %bb.2:
	s_waitcnt vmcnt(62) lgkmcnt(62)
	ds_write_b64 v1, v[254:255]
	s_waitcnt vmcnt(61) lgkmcnt(62)
	ds_write2_b64 v84, v[4:5], v[252:253] offset0:1 offset1:2
	s_waitcnt vmcnt(59) lgkmcnt(61)
	ds_write2_b64 v84, v[234:235], v[250:251] offset0:3 offset1:4
	;; [unrolled: 2-line block ×31, first 2 shown]
	s_waitcnt vmcnt(0) lgkmcnt(32)
	ds_write_b64 v84, v[6:7] offset:504
	ds_read_b64 v[8:9], v1
	s_waitcnt lgkmcnt(0)
	v_cmp_neq_f64_e32 vcc_lo, 0, v[8:9]
	s_and_b32 exec_lo, exec_lo, vcc_lo
	s_cbranch_execz .LBB127_4
; %bb.3:
	v_div_scale_f64 v[10:11], null, v[8:9], v[8:9], 1.0
	v_rcp_f64_e32 v[12:13], v[10:11]
	v_fma_f64 v[14:15], -v[10:11], v[12:13], 1.0
	v_fma_f64 v[12:13], v[12:13], v[14:15], v[12:13]
	v_fma_f64 v[14:15], -v[10:11], v[12:13], 1.0
	v_fma_f64 v[12:13], v[12:13], v[14:15], v[12:13]
	v_div_scale_f64 v[14:15], vcc_lo, 1.0, v[8:9], 1.0
	v_mul_f64 v[16:17], v[14:15], v[12:13]
	v_fma_f64 v[10:11], -v[10:11], v[16:17], v[14:15]
	v_div_fmas_f64 v[10:11], v[10:11], v[12:13], v[16:17]
	v_div_fixup_f64 v[8:9], v[10:11], v[8:9], 1.0
	ds_write_b64 v1, v[8:9]
.LBB127_4:
	s_or_b32 exec_lo, exec_lo, s2
	s_waitcnt vmcnt(0) lgkmcnt(0)
	s_waitcnt_vscnt null, 0x0
	s_barrier
	buffer_gl0_inv
	ds_read_b64 v[90:91], v1
	s_and_saveexec_b32 s2, s1
	s_cbranch_execz .LBB127_6
; %bb.5:
	s_waitcnt lgkmcnt(0)
	v_mul_f64 v[254:255], v[90:91], v[254:255]
	ds_read2_b64 v[8:11], v84 offset0:1 offset1:2
	s_waitcnt lgkmcnt(0)
	v_fma_f64 v[4:5], -v[254:255], v[8:9], v[4:5]
	v_fma_f64 v[252:253], -v[254:255], v[10:11], v[252:253]
	ds_read2_b64 v[8:11], v84 offset0:3 offset1:4
	s_waitcnt lgkmcnt(0)
	v_fma_f64 v[234:235], -v[254:255], v[8:9], v[234:235]
	v_fma_f64 v[250:251], -v[254:255], v[10:11], v[250:251]
	;; [unrolled: 4-line block ×30, first 2 shown]
	ds_read2_b64 v[8:11], v84 offset0:61 offset1:62
	s_waitcnt lgkmcnt(0)
	v_fma_f64 v[130:131], -v[254:255], v[8:9], v[130:131]
	ds_read_b64 v[8:9], v84 offset:504
	v_fma_f64 v[174:175], -v[254:255], v[10:11], v[174:175]
	s_waitcnt lgkmcnt(0)
	v_fma_f64 v[6:7], -v[254:255], v[8:9], v[6:7]
.LBB127_6:
	s_or_b32 exec_lo, exec_lo, s2
	s_mov_b32 s1, exec_lo
	s_waitcnt lgkmcnt(0)
	s_barrier
	buffer_gl0_inv
	v_cmpx_eq_u32_e32 1, v0
	s_cbranch_execz .LBB127_9
; %bb.7:
	v_mov_b32_e32 v8, v252
	v_mov_b32_e32 v9, v253
	;; [unrolled: 1-line block ×4, first 2 shown]
	ds_write_b64 v1, v[4:5]
	ds_write2_b64 v84, v[8:9], v[10:11] offset0:2 offset1:3
	v_mov_b32_e32 v8, v250
	v_mov_b32_e32 v9, v251
	v_mov_b32_e32 v10, v232
	v_mov_b32_e32 v11, v233
	ds_write2_b64 v84, v[8:9], v[10:11] offset0:4 offset1:5
	v_mov_b32_e32 v8, v248
	v_mov_b32_e32 v9, v249
	v_mov_b32_e32 v10, v230
	v_mov_b32_e32 v11, v231
	;; [unrolled: 5-line block ×29, first 2 shown]
	ds_write2_b64 v84, v[8:9], v[10:11] offset0:60 offset1:61
	v_mov_b32_e32 v8, v174
	v_mov_b32_e32 v9, v175
	ds_write2_b64 v84, v[8:9], v[6:7] offset0:62 offset1:63
	ds_read_b64 v[8:9], v1
	s_waitcnt lgkmcnt(0)
	v_cmp_neq_f64_e32 vcc_lo, 0, v[8:9]
	s_and_b32 exec_lo, exec_lo, vcc_lo
	s_cbranch_execz .LBB127_9
; %bb.8:
	v_div_scale_f64 v[10:11], null, v[8:9], v[8:9], 1.0
	v_rcp_f64_e32 v[12:13], v[10:11]
	v_fma_f64 v[14:15], -v[10:11], v[12:13], 1.0
	v_fma_f64 v[12:13], v[12:13], v[14:15], v[12:13]
	v_fma_f64 v[14:15], -v[10:11], v[12:13], 1.0
	v_fma_f64 v[12:13], v[12:13], v[14:15], v[12:13]
	v_div_scale_f64 v[14:15], vcc_lo, 1.0, v[8:9], 1.0
	v_mul_f64 v[16:17], v[14:15], v[12:13]
	v_fma_f64 v[10:11], -v[10:11], v[16:17], v[14:15]
	v_div_fmas_f64 v[10:11], v[10:11], v[12:13], v[16:17]
	v_div_fixup_f64 v[8:9], v[10:11], v[8:9], 1.0
	ds_write_b64 v1, v[8:9]
.LBB127_9:
	s_or_b32 exec_lo, exec_lo, s1
	s_waitcnt lgkmcnt(0)
	s_barrier
	buffer_gl0_inv
	ds_read_b64 v[8:9], v1
	s_mov_b32 s1, exec_lo
	s_waitcnt lgkmcnt(0)
	buffer_store_dword v8, off, s[12:15], 0 offset:352 ; 4-byte Folded Spill
	buffer_store_dword v9, off, s[12:15], 0 offset:356 ; 4-byte Folded Spill
	v_cmpx_lt_u32_e32 1, v0
	s_cbranch_execz .LBB127_11
; %bb.10:
	s_clause 0x1
	buffer_load_dword v8, off, s[12:15], 0 offset:352
	buffer_load_dword v9, off, s[12:15], 0 offset:356
	s_waitcnt vmcnt(0)
	v_mul_f64 v[4:5], v[8:9], v[4:5]
	ds_read2_b64 v[8:11], v84 offset0:2 offset1:3
	s_waitcnt lgkmcnt(0)
	v_fma_f64 v[252:253], -v[4:5], v[8:9], v[252:253]
	v_fma_f64 v[234:235], -v[4:5], v[10:11], v[234:235]
	ds_read2_b64 v[8:11], v84 offset0:4 offset1:5
	s_waitcnt lgkmcnt(0)
	v_fma_f64 v[250:251], -v[4:5], v[8:9], v[250:251]
	v_fma_f64 v[232:233], -v[4:5], v[10:11], v[232:233]
	;; [unrolled: 4-line block ×31, first 2 shown]
.LBB127_11:
	s_or_b32 exec_lo, exec_lo, s1
	s_mov_b32 s1, exec_lo
	s_waitcnt_vscnt null, 0x0
	s_barrier
	buffer_gl0_inv
	v_cmpx_eq_u32_e32 2, v0
	s_cbranch_execz .LBB127_14
; %bb.12:
	ds_write_b64 v1, v[252:253]
	ds_write2_b64 v84, v[234:235], v[250:251] offset0:3 offset1:4
	ds_write2_b64 v84, v[232:233], v[248:249] offset0:5 offset1:6
	;; [unrolled: 1-line block ×30, first 2 shown]
	ds_write_b64 v84, v[6:7] offset:504
	ds_read_b64 v[8:9], v1
	s_waitcnt lgkmcnt(0)
	v_cmp_neq_f64_e32 vcc_lo, 0, v[8:9]
	s_and_b32 exec_lo, exec_lo, vcc_lo
	s_cbranch_execz .LBB127_14
; %bb.13:
	v_div_scale_f64 v[10:11], null, v[8:9], v[8:9], 1.0
	v_rcp_f64_e32 v[12:13], v[10:11]
	v_fma_f64 v[14:15], -v[10:11], v[12:13], 1.0
	v_fma_f64 v[12:13], v[12:13], v[14:15], v[12:13]
	v_fma_f64 v[14:15], -v[10:11], v[12:13], 1.0
	v_fma_f64 v[12:13], v[12:13], v[14:15], v[12:13]
	v_div_scale_f64 v[14:15], vcc_lo, 1.0, v[8:9], 1.0
	v_mul_f64 v[16:17], v[14:15], v[12:13]
	v_fma_f64 v[10:11], -v[10:11], v[16:17], v[14:15]
	v_div_fmas_f64 v[10:11], v[10:11], v[12:13], v[16:17]
	v_div_fixup_f64 v[8:9], v[10:11], v[8:9], 1.0
	ds_write_b64 v1, v[8:9]
.LBB127_14:
	s_or_b32 exec_lo, exec_lo, s1
	s_waitcnt lgkmcnt(0)
	s_barrier
	buffer_gl0_inv
	ds_read_b64 v[8:9], v1
	s_mov_b32 s1, exec_lo
	s_waitcnt lgkmcnt(0)
	buffer_store_dword v8, off, s[12:15], 0 offset:360 ; 4-byte Folded Spill
	buffer_store_dword v9, off, s[12:15], 0 offset:364 ; 4-byte Folded Spill
	v_cmpx_lt_u32_e32 2, v0
	s_cbranch_execz .LBB127_16
; %bb.15:
	s_clause 0x1
	buffer_load_dword v8, off, s[12:15], 0 offset:360
	buffer_load_dword v9, off, s[12:15], 0 offset:364
	s_waitcnt vmcnt(0)
	v_mul_f64 v[252:253], v[8:9], v[252:253]
	ds_read2_b64 v[8:11], v84 offset0:3 offset1:4
	s_waitcnt lgkmcnt(0)
	v_fma_f64 v[234:235], -v[252:253], v[8:9], v[234:235]
	v_fma_f64 v[250:251], -v[252:253], v[10:11], v[250:251]
	ds_read2_b64 v[8:11], v84 offset0:5 offset1:6
	s_waitcnt lgkmcnt(0)
	v_fma_f64 v[232:233], -v[252:253], v[8:9], v[232:233]
	v_fma_f64 v[248:249], -v[252:253], v[10:11], v[248:249]
	;; [unrolled: 4-line block ×29, first 2 shown]
	ds_read2_b64 v[8:11], v84 offset0:61 offset1:62
	s_waitcnt lgkmcnt(0)
	v_fma_f64 v[130:131], -v[252:253], v[8:9], v[130:131]
	ds_read_b64 v[8:9], v84 offset:504
	v_fma_f64 v[174:175], -v[252:253], v[10:11], v[174:175]
	s_waitcnt lgkmcnt(0)
	v_fma_f64 v[6:7], -v[252:253], v[8:9], v[6:7]
.LBB127_16:
	s_or_b32 exec_lo, exec_lo, s1
	s_mov_b32 s1, exec_lo
	s_waitcnt_vscnt null, 0x0
	s_barrier
	buffer_gl0_inv
	v_cmpx_eq_u32_e32 3, v0
	s_cbranch_execz .LBB127_19
; %bb.17:
	v_mov_b32_e32 v8, v250
	v_mov_b32_e32 v9, v251
	;; [unrolled: 1-line block ×4, first 2 shown]
	ds_write_b64 v1, v[234:235]
	ds_write2_b64 v84, v[8:9], v[10:11] offset0:4 offset1:5
	v_mov_b32_e32 v8, v248
	v_mov_b32_e32 v9, v249
	v_mov_b32_e32 v10, v230
	v_mov_b32_e32 v11, v231
	ds_write2_b64 v84, v[8:9], v[10:11] offset0:6 offset1:7
	v_mov_b32_e32 v8, v246
	v_mov_b32_e32 v9, v247
	v_mov_b32_e32 v10, v228
	v_mov_b32_e32 v11, v229
	;; [unrolled: 5-line block ×28, first 2 shown]
	ds_write2_b64 v84, v[8:9], v[10:11] offset0:60 offset1:61
	v_mov_b32_e32 v8, v174
	v_mov_b32_e32 v9, v175
	ds_write2_b64 v84, v[8:9], v[6:7] offset0:62 offset1:63
	ds_read_b64 v[8:9], v1
	s_waitcnt lgkmcnt(0)
	v_cmp_neq_f64_e32 vcc_lo, 0, v[8:9]
	s_and_b32 exec_lo, exec_lo, vcc_lo
	s_cbranch_execz .LBB127_19
; %bb.18:
	v_div_scale_f64 v[10:11], null, v[8:9], v[8:9], 1.0
	v_rcp_f64_e32 v[12:13], v[10:11]
	v_fma_f64 v[14:15], -v[10:11], v[12:13], 1.0
	v_fma_f64 v[12:13], v[12:13], v[14:15], v[12:13]
	v_fma_f64 v[14:15], -v[10:11], v[12:13], 1.0
	v_fma_f64 v[12:13], v[12:13], v[14:15], v[12:13]
	v_div_scale_f64 v[14:15], vcc_lo, 1.0, v[8:9], 1.0
	v_mul_f64 v[16:17], v[14:15], v[12:13]
	v_fma_f64 v[10:11], -v[10:11], v[16:17], v[14:15]
	v_div_fmas_f64 v[10:11], v[10:11], v[12:13], v[16:17]
	v_div_fixup_f64 v[8:9], v[10:11], v[8:9], 1.0
	ds_write_b64 v1, v[8:9]
.LBB127_19:
	s_or_b32 exec_lo, exec_lo, s1
	s_waitcnt lgkmcnt(0)
	s_barrier
	buffer_gl0_inv
	ds_read_b64 v[8:9], v1
	s_mov_b32 s1, exec_lo
	s_waitcnt lgkmcnt(0)
	buffer_store_dword v8, off, s[12:15], 0 offset:368 ; 4-byte Folded Spill
	buffer_store_dword v9, off, s[12:15], 0 offset:372 ; 4-byte Folded Spill
	v_cmpx_lt_u32_e32 3, v0
	s_cbranch_execz .LBB127_21
; %bb.20:
	s_clause 0x1
	buffer_load_dword v8, off, s[12:15], 0 offset:368
	buffer_load_dword v9, off, s[12:15], 0 offset:372
	s_waitcnt vmcnt(0)
	v_mul_f64 v[234:235], v[8:9], v[234:235]
	ds_read2_b64 v[8:11], v84 offset0:4 offset1:5
	s_waitcnt lgkmcnt(0)
	v_fma_f64 v[250:251], -v[234:235], v[8:9], v[250:251]
	v_fma_f64 v[232:233], -v[234:235], v[10:11], v[232:233]
	ds_read2_b64 v[8:11], v84 offset0:6 offset1:7
	s_waitcnt lgkmcnt(0)
	v_fma_f64 v[248:249], -v[234:235], v[8:9], v[248:249]
	v_fma_f64 v[230:231], -v[234:235], v[10:11], v[230:231]
	;; [unrolled: 4-line block ×30, first 2 shown]
.LBB127_21:
	s_or_b32 exec_lo, exec_lo, s1
	s_mov_b32 s1, exec_lo
	s_waitcnt_vscnt null, 0x0
	s_barrier
	buffer_gl0_inv
	v_cmpx_eq_u32_e32 4, v0
	s_cbranch_execz .LBB127_24
; %bb.22:
	ds_write_b64 v1, v[250:251]
	ds_write2_b64 v84, v[232:233], v[248:249] offset0:5 offset1:6
	ds_write2_b64 v84, v[230:231], v[246:247] offset0:7 offset1:8
	;; [unrolled: 1-line block ×29, first 2 shown]
	ds_write_b64 v84, v[6:7] offset:504
	ds_read_b64 v[8:9], v1
	s_waitcnt lgkmcnt(0)
	v_cmp_neq_f64_e32 vcc_lo, 0, v[8:9]
	s_and_b32 exec_lo, exec_lo, vcc_lo
	s_cbranch_execz .LBB127_24
; %bb.23:
	v_div_scale_f64 v[10:11], null, v[8:9], v[8:9], 1.0
	v_rcp_f64_e32 v[12:13], v[10:11]
	v_fma_f64 v[14:15], -v[10:11], v[12:13], 1.0
	v_fma_f64 v[12:13], v[12:13], v[14:15], v[12:13]
	v_fma_f64 v[14:15], -v[10:11], v[12:13], 1.0
	v_fma_f64 v[12:13], v[12:13], v[14:15], v[12:13]
	v_div_scale_f64 v[14:15], vcc_lo, 1.0, v[8:9], 1.0
	v_mul_f64 v[16:17], v[14:15], v[12:13]
	v_fma_f64 v[10:11], -v[10:11], v[16:17], v[14:15]
	v_div_fmas_f64 v[10:11], v[10:11], v[12:13], v[16:17]
	v_div_fixup_f64 v[8:9], v[10:11], v[8:9], 1.0
	ds_write_b64 v1, v[8:9]
.LBB127_24:
	s_or_b32 exec_lo, exec_lo, s1
	s_waitcnt lgkmcnt(0)
	s_barrier
	buffer_gl0_inv
	ds_read_b64 v[8:9], v1
	s_mov_b32 s1, exec_lo
	s_waitcnt lgkmcnt(0)
	buffer_store_dword v8, off, s[12:15], 0 offset:376 ; 4-byte Folded Spill
	buffer_store_dword v9, off, s[12:15], 0 offset:380 ; 4-byte Folded Spill
	v_cmpx_lt_u32_e32 4, v0
	s_cbranch_execz .LBB127_26
; %bb.25:
	s_clause 0x1
	buffer_load_dword v8, off, s[12:15], 0 offset:376
	buffer_load_dword v9, off, s[12:15], 0 offset:380
	s_waitcnt vmcnt(0)
	v_mul_f64 v[250:251], v[8:9], v[250:251]
	ds_read2_b64 v[8:11], v84 offset0:5 offset1:6
	s_waitcnt lgkmcnt(0)
	v_fma_f64 v[232:233], -v[250:251], v[8:9], v[232:233]
	v_fma_f64 v[248:249], -v[250:251], v[10:11], v[248:249]
	ds_read2_b64 v[8:11], v84 offset0:7 offset1:8
	s_waitcnt lgkmcnt(0)
	v_fma_f64 v[230:231], -v[250:251], v[8:9], v[230:231]
	v_fma_f64 v[246:247], -v[250:251], v[10:11], v[246:247]
	ds_read2_b64 v[8:11], v84 offset0:9 offset1:10
	s_waitcnt lgkmcnt(0)
	v_fma_f64 v[228:229], -v[250:251], v[8:9], v[228:229]
	v_fma_f64 v[244:245], -v[250:251], v[10:11], v[244:245]
	ds_read2_b64 v[8:11], v84 offset0:11 offset1:12
	s_waitcnt lgkmcnt(0)
	v_fma_f64 v[226:227], -v[250:251], v[8:9], v[226:227]
	v_fma_f64 v[242:243], -v[250:251], v[10:11], v[242:243]
	ds_read2_b64 v[8:11], v84 offset0:13 offset1:14
	s_waitcnt lgkmcnt(0)
	v_fma_f64 v[224:225], -v[250:251], v[8:9], v[224:225]
	v_fma_f64 v[240:241], -v[250:251], v[10:11], v[240:241]
	ds_read2_b64 v[8:11], v84 offset0:15 offset1:16
	s_waitcnt lgkmcnt(0)
	v_fma_f64 v[222:223], -v[250:251], v[8:9], v[222:223]
	v_fma_f64 v[238:239], -v[250:251], v[10:11], v[238:239]
	ds_read2_b64 v[8:11], v84 offset0:17 offset1:18
	s_waitcnt lgkmcnt(0)
	v_fma_f64 v[220:221], -v[250:251], v[8:9], v[220:221]
	v_fma_f64 v[236:237], -v[250:251], v[10:11], v[236:237]
	ds_read2_b64 v[8:11], v84 offset0:19 offset1:20
	s_waitcnt lgkmcnt(0)
	v_fma_f64 v[172:173], -v[250:251], v[8:9], v[172:173]
	v_fma_f64 v[216:217], -v[250:251], v[10:11], v[216:217]
	ds_read2_b64 v[8:11], v84 offset0:21 offset1:22
	s_waitcnt lgkmcnt(0)
	v_fma_f64 v[170:171], -v[250:251], v[8:9], v[170:171]
	v_fma_f64 v[214:215], -v[250:251], v[10:11], v[214:215]
	ds_read2_b64 v[8:11], v84 offset0:23 offset1:24
	s_waitcnt lgkmcnt(0)
	v_fma_f64 v[168:169], -v[250:251], v[8:9], v[168:169]
	v_fma_f64 v[212:213], -v[250:251], v[10:11], v[212:213]
	ds_read2_b64 v[8:11], v84 offset0:25 offset1:26
	s_waitcnt lgkmcnt(0)
	v_fma_f64 v[166:167], -v[250:251], v[8:9], v[166:167]
	v_fma_f64 v[210:211], -v[250:251], v[10:11], v[210:211]
	ds_read2_b64 v[8:11], v84 offset0:27 offset1:28
	s_waitcnt lgkmcnt(0)
	v_fma_f64 v[164:165], -v[250:251], v[8:9], v[164:165]
	v_fma_f64 v[208:209], -v[250:251], v[10:11], v[208:209]
	ds_read2_b64 v[8:11], v84 offset0:29 offset1:30
	s_waitcnt lgkmcnt(0)
	v_fma_f64 v[162:163], -v[250:251], v[8:9], v[162:163]
	v_fma_f64 v[206:207], -v[250:251], v[10:11], v[206:207]
	ds_read2_b64 v[8:11], v84 offset0:31 offset1:32
	s_waitcnt lgkmcnt(0)
	v_fma_f64 v[160:161], -v[250:251], v[8:9], v[160:161]
	v_fma_f64 v[204:205], -v[250:251], v[10:11], v[204:205]
	ds_read2_b64 v[8:11], v84 offset0:33 offset1:34
	s_waitcnt lgkmcnt(0)
	v_fma_f64 v[158:159], -v[250:251], v[8:9], v[158:159]
	v_fma_f64 v[202:203], -v[250:251], v[10:11], v[202:203]
	ds_read2_b64 v[8:11], v84 offset0:35 offset1:36
	s_waitcnt lgkmcnt(0)
	v_fma_f64 v[156:157], -v[250:251], v[8:9], v[156:157]
	v_fma_f64 v[200:201], -v[250:251], v[10:11], v[200:201]
	ds_read2_b64 v[8:11], v84 offset0:37 offset1:38
	s_waitcnt lgkmcnt(0)
	v_fma_f64 v[154:155], -v[250:251], v[8:9], v[154:155]
	v_fma_f64 v[198:199], -v[250:251], v[10:11], v[198:199]
	ds_read2_b64 v[8:11], v84 offset0:39 offset1:40
	s_waitcnt lgkmcnt(0)
	v_fma_f64 v[152:153], -v[250:251], v[8:9], v[152:153]
	v_fma_f64 v[196:197], -v[250:251], v[10:11], v[196:197]
	ds_read2_b64 v[8:11], v84 offset0:41 offset1:42
	s_waitcnt lgkmcnt(0)
	v_fma_f64 v[150:151], -v[250:251], v[8:9], v[150:151]
	v_fma_f64 v[194:195], -v[250:251], v[10:11], v[194:195]
	ds_read2_b64 v[8:11], v84 offset0:43 offset1:44
	s_waitcnt lgkmcnt(0)
	v_fma_f64 v[148:149], -v[250:251], v[8:9], v[148:149]
	v_fma_f64 v[192:193], -v[250:251], v[10:11], v[192:193]
	ds_read2_b64 v[8:11], v84 offset0:45 offset1:46
	s_waitcnt lgkmcnt(0)
	v_fma_f64 v[146:147], -v[250:251], v[8:9], v[146:147]
	v_fma_f64 v[190:191], -v[250:251], v[10:11], v[190:191]
	ds_read2_b64 v[8:11], v84 offset0:47 offset1:48
	s_waitcnt lgkmcnt(0)
	v_fma_f64 v[144:145], -v[250:251], v[8:9], v[144:145]
	v_fma_f64 v[188:189], -v[250:251], v[10:11], v[188:189]
	ds_read2_b64 v[8:11], v84 offset0:49 offset1:50
	s_waitcnt lgkmcnt(0)
	v_fma_f64 v[142:143], -v[250:251], v[8:9], v[142:143]
	v_fma_f64 v[186:187], -v[250:251], v[10:11], v[186:187]
	ds_read2_b64 v[8:11], v84 offset0:51 offset1:52
	s_waitcnt lgkmcnt(0)
	v_fma_f64 v[140:141], -v[250:251], v[8:9], v[140:141]
	v_fma_f64 v[184:185], -v[250:251], v[10:11], v[184:185]
	ds_read2_b64 v[8:11], v84 offset0:53 offset1:54
	s_waitcnt lgkmcnt(0)
	v_fma_f64 v[138:139], -v[250:251], v[8:9], v[138:139]
	v_fma_f64 v[182:183], -v[250:251], v[10:11], v[182:183]
	ds_read2_b64 v[8:11], v84 offset0:55 offset1:56
	s_waitcnt lgkmcnt(0)
	v_fma_f64 v[136:137], -v[250:251], v[8:9], v[136:137]
	v_fma_f64 v[180:181], -v[250:251], v[10:11], v[180:181]
	ds_read2_b64 v[8:11], v84 offset0:57 offset1:58
	s_waitcnt lgkmcnt(0)
	v_fma_f64 v[134:135], -v[250:251], v[8:9], v[134:135]
	v_fma_f64 v[178:179], -v[250:251], v[10:11], v[178:179]
	ds_read2_b64 v[8:11], v84 offset0:59 offset1:60
	s_waitcnt lgkmcnt(0)
	v_fma_f64 v[132:133], -v[250:251], v[8:9], v[132:133]
	v_fma_f64 v[176:177], -v[250:251], v[10:11], v[176:177]
	ds_read2_b64 v[8:11], v84 offset0:61 offset1:62
	s_waitcnt lgkmcnt(0)
	v_fma_f64 v[130:131], -v[250:251], v[8:9], v[130:131]
	ds_read_b64 v[8:9], v84 offset:504
	v_fma_f64 v[174:175], -v[250:251], v[10:11], v[174:175]
	s_waitcnt lgkmcnt(0)
	v_fma_f64 v[6:7], -v[250:251], v[8:9], v[6:7]
.LBB127_26:
	s_or_b32 exec_lo, exec_lo, s1
	s_mov_b32 s1, exec_lo
	s_waitcnt_vscnt null, 0x0
	s_barrier
	buffer_gl0_inv
	v_cmpx_eq_u32_e32 5, v0
	s_cbranch_execz .LBB127_29
; %bb.27:
	v_mov_b32_e32 v8, v248
	v_mov_b32_e32 v9, v249
	;; [unrolled: 1-line block ×4, first 2 shown]
	ds_write_b64 v1, v[232:233]
	ds_write2_b64 v84, v[8:9], v[10:11] offset0:6 offset1:7
	v_mov_b32_e32 v8, v246
	v_mov_b32_e32 v9, v247
	v_mov_b32_e32 v10, v228
	v_mov_b32_e32 v11, v229
	ds_write2_b64 v84, v[8:9], v[10:11] offset0:8 offset1:9
	v_mov_b32_e32 v8, v244
	v_mov_b32_e32 v9, v245
	v_mov_b32_e32 v10, v226
	v_mov_b32_e32 v11, v227
	;; [unrolled: 5-line block ×27, first 2 shown]
	ds_write2_b64 v84, v[8:9], v[10:11] offset0:60 offset1:61
	v_mov_b32_e32 v8, v174
	v_mov_b32_e32 v9, v175
	ds_write2_b64 v84, v[8:9], v[6:7] offset0:62 offset1:63
	ds_read_b64 v[8:9], v1
	s_waitcnt lgkmcnt(0)
	v_cmp_neq_f64_e32 vcc_lo, 0, v[8:9]
	s_and_b32 exec_lo, exec_lo, vcc_lo
	s_cbranch_execz .LBB127_29
; %bb.28:
	v_div_scale_f64 v[10:11], null, v[8:9], v[8:9], 1.0
	v_rcp_f64_e32 v[12:13], v[10:11]
	v_fma_f64 v[14:15], -v[10:11], v[12:13], 1.0
	v_fma_f64 v[12:13], v[12:13], v[14:15], v[12:13]
	v_fma_f64 v[14:15], -v[10:11], v[12:13], 1.0
	v_fma_f64 v[12:13], v[12:13], v[14:15], v[12:13]
	v_div_scale_f64 v[14:15], vcc_lo, 1.0, v[8:9], 1.0
	v_mul_f64 v[16:17], v[14:15], v[12:13]
	v_fma_f64 v[10:11], -v[10:11], v[16:17], v[14:15]
	v_div_fmas_f64 v[10:11], v[10:11], v[12:13], v[16:17]
	v_div_fixup_f64 v[8:9], v[10:11], v[8:9], 1.0
	ds_write_b64 v1, v[8:9]
.LBB127_29:
	s_or_b32 exec_lo, exec_lo, s1
	s_waitcnt lgkmcnt(0)
	s_barrier
	buffer_gl0_inv
	ds_read_b64 v[8:9], v1
	s_mov_b32 s1, exec_lo
	s_waitcnt lgkmcnt(0)
	buffer_store_dword v8, off, s[12:15], 0 offset:384 ; 4-byte Folded Spill
	buffer_store_dword v9, off, s[12:15], 0 offset:388 ; 4-byte Folded Spill
	v_cmpx_lt_u32_e32 5, v0
	s_cbranch_execz .LBB127_31
; %bb.30:
	s_clause 0x1
	buffer_load_dword v8, off, s[12:15], 0 offset:384
	buffer_load_dword v9, off, s[12:15], 0 offset:388
	s_waitcnt vmcnt(0)
	v_mul_f64 v[232:233], v[8:9], v[232:233]
	ds_read2_b64 v[8:11], v84 offset0:6 offset1:7
	s_waitcnt lgkmcnt(0)
	v_fma_f64 v[248:249], -v[232:233], v[8:9], v[248:249]
	v_fma_f64 v[230:231], -v[232:233], v[10:11], v[230:231]
	ds_read2_b64 v[8:11], v84 offset0:8 offset1:9
	s_waitcnt lgkmcnt(0)
	v_fma_f64 v[246:247], -v[232:233], v[8:9], v[246:247]
	v_fma_f64 v[228:229], -v[232:233], v[10:11], v[228:229]
	;; [unrolled: 4-line block ×29, first 2 shown]
.LBB127_31:
	s_or_b32 exec_lo, exec_lo, s1
	s_mov_b32 s1, exec_lo
	s_waitcnt_vscnt null, 0x0
	s_barrier
	buffer_gl0_inv
	v_cmpx_eq_u32_e32 6, v0
	s_cbranch_execz .LBB127_34
; %bb.32:
	ds_write_b64 v1, v[248:249]
	ds_write2_b64 v84, v[230:231], v[246:247] offset0:7 offset1:8
	ds_write2_b64 v84, v[228:229], v[244:245] offset0:9 offset1:10
	;; [unrolled: 1-line block ×28, first 2 shown]
	ds_write_b64 v84, v[6:7] offset:504
	ds_read_b64 v[8:9], v1
	s_waitcnt lgkmcnt(0)
	v_cmp_neq_f64_e32 vcc_lo, 0, v[8:9]
	s_and_b32 exec_lo, exec_lo, vcc_lo
	s_cbranch_execz .LBB127_34
; %bb.33:
	v_div_scale_f64 v[10:11], null, v[8:9], v[8:9], 1.0
	v_rcp_f64_e32 v[12:13], v[10:11]
	v_fma_f64 v[14:15], -v[10:11], v[12:13], 1.0
	v_fma_f64 v[12:13], v[12:13], v[14:15], v[12:13]
	v_fma_f64 v[14:15], -v[10:11], v[12:13], 1.0
	v_fma_f64 v[12:13], v[12:13], v[14:15], v[12:13]
	v_div_scale_f64 v[14:15], vcc_lo, 1.0, v[8:9], 1.0
	v_mul_f64 v[16:17], v[14:15], v[12:13]
	v_fma_f64 v[10:11], -v[10:11], v[16:17], v[14:15]
	v_div_fmas_f64 v[10:11], v[10:11], v[12:13], v[16:17]
	v_div_fixup_f64 v[8:9], v[10:11], v[8:9], 1.0
	ds_write_b64 v1, v[8:9]
.LBB127_34:
	s_or_b32 exec_lo, exec_lo, s1
	s_waitcnt lgkmcnt(0)
	s_barrier
	buffer_gl0_inv
	ds_read_b64 v[8:9], v1
	s_mov_b32 s1, exec_lo
	s_waitcnt lgkmcnt(0)
	buffer_store_dword v8, off, s[12:15], 0 offset:392 ; 4-byte Folded Spill
	buffer_store_dword v9, off, s[12:15], 0 offset:396 ; 4-byte Folded Spill
	v_cmpx_lt_u32_e32 6, v0
	s_cbranch_execz .LBB127_36
; %bb.35:
	s_clause 0x1
	buffer_load_dword v8, off, s[12:15], 0 offset:392
	buffer_load_dword v9, off, s[12:15], 0 offset:396
	s_waitcnt vmcnt(0)
	v_mul_f64 v[248:249], v[8:9], v[248:249]
	ds_read2_b64 v[8:11], v84 offset0:7 offset1:8
	s_waitcnt lgkmcnt(0)
	v_fma_f64 v[230:231], -v[248:249], v[8:9], v[230:231]
	v_fma_f64 v[246:247], -v[248:249], v[10:11], v[246:247]
	ds_read2_b64 v[8:11], v84 offset0:9 offset1:10
	s_waitcnt lgkmcnt(0)
	v_fma_f64 v[228:229], -v[248:249], v[8:9], v[228:229]
	v_fma_f64 v[244:245], -v[248:249], v[10:11], v[244:245]
	;; [unrolled: 4-line block ×27, first 2 shown]
	ds_read2_b64 v[8:11], v84 offset0:61 offset1:62
	s_waitcnt lgkmcnt(0)
	v_fma_f64 v[130:131], -v[248:249], v[8:9], v[130:131]
	ds_read_b64 v[8:9], v84 offset:504
	v_fma_f64 v[174:175], -v[248:249], v[10:11], v[174:175]
	s_waitcnt lgkmcnt(0)
	v_fma_f64 v[6:7], -v[248:249], v[8:9], v[6:7]
.LBB127_36:
	s_or_b32 exec_lo, exec_lo, s1
	s_mov_b32 s1, exec_lo
	s_waitcnt_vscnt null, 0x0
	s_barrier
	buffer_gl0_inv
	v_cmpx_eq_u32_e32 7, v0
	s_cbranch_execz .LBB127_39
; %bb.37:
	v_mov_b32_e32 v8, v246
	v_mov_b32_e32 v9, v247
	;; [unrolled: 1-line block ×4, first 2 shown]
	ds_write_b64 v1, v[230:231]
	ds_write2_b64 v84, v[8:9], v[10:11] offset0:8 offset1:9
	v_mov_b32_e32 v8, v244
	v_mov_b32_e32 v9, v245
	v_mov_b32_e32 v10, v226
	v_mov_b32_e32 v11, v227
	ds_write2_b64 v84, v[8:9], v[10:11] offset0:10 offset1:11
	v_mov_b32_e32 v8, v242
	v_mov_b32_e32 v9, v243
	v_mov_b32_e32 v10, v224
	v_mov_b32_e32 v11, v225
	;; [unrolled: 5-line block ×26, first 2 shown]
	ds_write2_b64 v84, v[8:9], v[10:11] offset0:60 offset1:61
	v_mov_b32_e32 v8, v174
	v_mov_b32_e32 v9, v175
	ds_write2_b64 v84, v[8:9], v[6:7] offset0:62 offset1:63
	ds_read_b64 v[8:9], v1
	s_waitcnt lgkmcnt(0)
	v_cmp_neq_f64_e32 vcc_lo, 0, v[8:9]
	s_and_b32 exec_lo, exec_lo, vcc_lo
	s_cbranch_execz .LBB127_39
; %bb.38:
	v_div_scale_f64 v[10:11], null, v[8:9], v[8:9], 1.0
	v_rcp_f64_e32 v[12:13], v[10:11]
	v_fma_f64 v[14:15], -v[10:11], v[12:13], 1.0
	v_fma_f64 v[12:13], v[12:13], v[14:15], v[12:13]
	v_fma_f64 v[14:15], -v[10:11], v[12:13], 1.0
	v_fma_f64 v[12:13], v[12:13], v[14:15], v[12:13]
	v_div_scale_f64 v[14:15], vcc_lo, 1.0, v[8:9], 1.0
	v_mul_f64 v[16:17], v[14:15], v[12:13]
	v_fma_f64 v[10:11], -v[10:11], v[16:17], v[14:15]
	v_div_fmas_f64 v[10:11], v[10:11], v[12:13], v[16:17]
	v_div_fixup_f64 v[8:9], v[10:11], v[8:9], 1.0
	ds_write_b64 v1, v[8:9]
.LBB127_39:
	s_or_b32 exec_lo, exec_lo, s1
	s_waitcnt lgkmcnt(0)
	s_barrier
	buffer_gl0_inv
	ds_read_b64 v[8:9], v1
	s_mov_b32 s1, exec_lo
	s_waitcnt lgkmcnt(0)
	buffer_store_dword v8, off, s[12:15], 0 offset:400 ; 4-byte Folded Spill
	buffer_store_dword v9, off, s[12:15], 0 offset:404 ; 4-byte Folded Spill
	v_cmpx_lt_u32_e32 7, v0
	s_cbranch_execz .LBB127_41
; %bb.40:
	s_clause 0x1
	buffer_load_dword v8, off, s[12:15], 0 offset:400
	buffer_load_dword v9, off, s[12:15], 0 offset:404
	s_waitcnt vmcnt(0)
	v_mul_f64 v[230:231], v[8:9], v[230:231]
	ds_read2_b64 v[8:11], v84 offset0:8 offset1:9
	s_waitcnt lgkmcnt(0)
	v_fma_f64 v[246:247], -v[230:231], v[8:9], v[246:247]
	v_fma_f64 v[228:229], -v[230:231], v[10:11], v[228:229]
	ds_read2_b64 v[8:11], v84 offset0:10 offset1:11
	s_waitcnt lgkmcnt(0)
	v_fma_f64 v[244:245], -v[230:231], v[8:9], v[244:245]
	v_fma_f64 v[226:227], -v[230:231], v[10:11], v[226:227]
	;; [unrolled: 4-line block ×28, first 2 shown]
.LBB127_41:
	s_or_b32 exec_lo, exec_lo, s1
	s_mov_b32 s1, exec_lo
	s_waitcnt_vscnt null, 0x0
	s_barrier
	buffer_gl0_inv
	v_cmpx_eq_u32_e32 8, v0
	s_cbranch_execz .LBB127_44
; %bb.42:
	ds_write_b64 v1, v[246:247]
	ds_write2_b64 v84, v[228:229], v[244:245] offset0:9 offset1:10
	ds_write2_b64 v84, v[226:227], v[242:243] offset0:11 offset1:12
	;; [unrolled: 1-line block ×27, first 2 shown]
	ds_write_b64 v84, v[6:7] offset:504
	ds_read_b64 v[8:9], v1
	s_waitcnt lgkmcnt(0)
	v_cmp_neq_f64_e32 vcc_lo, 0, v[8:9]
	s_and_b32 exec_lo, exec_lo, vcc_lo
	s_cbranch_execz .LBB127_44
; %bb.43:
	v_div_scale_f64 v[10:11], null, v[8:9], v[8:9], 1.0
	v_rcp_f64_e32 v[12:13], v[10:11]
	v_fma_f64 v[14:15], -v[10:11], v[12:13], 1.0
	v_fma_f64 v[12:13], v[12:13], v[14:15], v[12:13]
	v_fma_f64 v[14:15], -v[10:11], v[12:13], 1.0
	v_fma_f64 v[12:13], v[12:13], v[14:15], v[12:13]
	v_div_scale_f64 v[14:15], vcc_lo, 1.0, v[8:9], 1.0
	v_mul_f64 v[16:17], v[14:15], v[12:13]
	v_fma_f64 v[10:11], -v[10:11], v[16:17], v[14:15]
	v_div_fmas_f64 v[10:11], v[10:11], v[12:13], v[16:17]
	v_div_fixup_f64 v[8:9], v[10:11], v[8:9], 1.0
	ds_write_b64 v1, v[8:9]
.LBB127_44:
	s_or_b32 exec_lo, exec_lo, s1
	s_waitcnt lgkmcnt(0)
	s_barrier
	buffer_gl0_inv
	ds_read_b64 v[8:9], v1
	s_mov_b32 s1, exec_lo
	s_waitcnt lgkmcnt(0)
	buffer_store_dword v8, off, s[12:15], 0 offset:408 ; 4-byte Folded Spill
	buffer_store_dword v9, off, s[12:15], 0 offset:412 ; 4-byte Folded Spill
	v_cmpx_lt_u32_e32 8, v0
	s_cbranch_execz .LBB127_46
; %bb.45:
	s_clause 0x1
	buffer_load_dword v8, off, s[12:15], 0 offset:408
	buffer_load_dword v9, off, s[12:15], 0 offset:412
	s_waitcnt vmcnt(0)
	v_mul_f64 v[246:247], v[8:9], v[246:247]
	ds_read2_b64 v[8:11], v84 offset0:9 offset1:10
	s_waitcnt lgkmcnt(0)
	v_fma_f64 v[228:229], -v[246:247], v[8:9], v[228:229]
	v_fma_f64 v[244:245], -v[246:247], v[10:11], v[244:245]
	ds_read2_b64 v[8:11], v84 offset0:11 offset1:12
	s_waitcnt lgkmcnt(0)
	v_fma_f64 v[226:227], -v[246:247], v[8:9], v[226:227]
	v_fma_f64 v[242:243], -v[246:247], v[10:11], v[242:243]
	;; [unrolled: 4-line block ×26, first 2 shown]
	ds_read2_b64 v[8:11], v84 offset0:61 offset1:62
	s_waitcnt lgkmcnt(0)
	v_fma_f64 v[130:131], -v[246:247], v[8:9], v[130:131]
	ds_read_b64 v[8:9], v84 offset:504
	v_fma_f64 v[174:175], -v[246:247], v[10:11], v[174:175]
	s_waitcnt lgkmcnt(0)
	v_fma_f64 v[6:7], -v[246:247], v[8:9], v[6:7]
.LBB127_46:
	s_or_b32 exec_lo, exec_lo, s1
	s_mov_b32 s1, exec_lo
	s_waitcnt_vscnt null, 0x0
	s_barrier
	buffer_gl0_inv
	v_cmpx_eq_u32_e32 9, v0
	s_cbranch_execz .LBB127_49
; %bb.47:
	v_mov_b32_e32 v8, v244
	v_mov_b32_e32 v9, v245
	;; [unrolled: 1-line block ×4, first 2 shown]
	ds_write_b64 v1, v[228:229]
	ds_write2_b64 v84, v[8:9], v[10:11] offset0:10 offset1:11
	v_mov_b32_e32 v8, v242
	v_mov_b32_e32 v9, v243
	v_mov_b32_e32 v10, v224
	v_mov_b32_e32 v11, v225
	ds_write2_b64 v84, v[8:9], v[10:11] offset0:12 offset1:13
	v_mov_b32_e32 v8, v240
	v_mov_b32_e32 v9, v241
	v_mov_b32_e32 v10, v222
	v_mov_b32_e32 v11, v223
	;; [unrolled: 5-line block ×25, first 2 shown]
	ds_write2_b64 v84, v[8:9], v[10:11] offset0:60 offset1:61
	v_mov_b32_e32 v8, v174
	v_mov_b32_e32 v9, v175
	ds_write2_b64 v84, v[8:9], v[6:7] offset0:62 offset1:63
	ds_read_b64 v[8:9], v1
	s_waitcnt lgkmcnt(0)
	v_cmp_neq_f64_e32 vcc_lo, 0, v[8:9]
	s_and_b32 exec_lo, exec_lo, vcc_lo
	s_cbranch_execz .LBB127_49
; %bb.48:
	v_div_scale_f64 v[10:11], null, v[8:9], v[8:9], 1.0
	v_rcp_f64_e32 v[12:13], v[10:11]
	v_fma_f64 v[14:15], -v[10:11], v[12:13], 1.0
	v_fma_f64 v[12:13], v[12:13], v[14:15], v[12:13]
	v_fma_f64 v[14:15], -v[10:11], v[12:13], 1.0
	v_fma_f64 v[12:13], v[12:13], v[14:15], v[12:13]
	v_div_scale_f64 v[14:15], vcc_lo, 1.0, v[8:9], 1.0
	v_mul_f64 v[16:17], v[14:15], v[12:13]
	v_fma_f64 v[10:11], -v[10:11], v[16:17], v[14:15]
	v_div_fmas_f64 v[10:11], v[10:11], v[12:13], v[16:17]
	v_div_fixup_f64 v[8:9], v[10:11], v[8:9], 1.0
	ds_write_b64 v1, v[8:9]
.LBB127_49:
	s_or_b32 exec_lo, exec_lo, s1
	s_waitcnt lgkmcnt(0)
	s_barrier
	buffer_gl0_inv
	ds_read_b64 v[8:9], v1
	s_mov_b32 s1, exec_lo
	s_waitcnt lgkmcnt(0)
	buffer_store_dword v8, off, s[12:15], 0 offset:416 ; 4-byte Folded Spill
	buffer_store_dword v9, off, s[12:15], 0 offset:420 ; 4-byte Folded Spill
	v_cmpx_lt_u32_e32 9, v0
	s_cbranch_execz .LBB127_51
; %bb.50:
	s_clause 0x1
	buffer_load_dword v8, off, s[12:15], 0 offset:416
	buffer_load_dword v9, off, s[12:15], 0 offset:420
	s_waitcnt vmcnt(0)
	v_mul_f64 v[228:229], v[8:9], v[228:229]
	ds_read2_b64 v[8:11], v84 offset0:10 offset1:11
	s_waitcnt lgkmcnt(0)
	v_fma_f64 v[244:245], -v[228:229], v[8:9], v[244:245]
	v_fma_f64 v[226:227], -v[228:229], v[10:11], v[226:227]
	ds_read2_b64 v[8:11], v84 offset0:12 offset1:13
	s_waitcnt lgkmcnt(0)
	v_fma_f64 v[242:243], -v[228:229], v[8:9], v[242:243]
	v_fma_f64 v[224:225], -v[228:229], v[10:11], v[224:225]
	;; [unrolled: 4-line block ×27, first 2 shown]
.LBB127_51:
	s_or_b32 exec_lo, exec_lo, s1
	s_mov_b32 s1, exec_lo
	s_waitcnt_vscnt null, 0x0
	s_barrier
	buffer_gl0_inv
	v_cmpx_eq_u32_e32 10, v0
	s_cbranch_execz .LBB127_54
; %bb.52:
	ds_write_b64 v1, v[244:245]
	ds_write2_b64 v84, v[226:227], v[242:243] offset0:11 offset1:12
	ds_write2_b64 v84, v[224:225], v[240:241] offset0:13 offset1:14
	;; [unrolled: 1-line block ×26, first 2 shown]
	ds_write_b64 v84, v[6:7] offset:504
	ds_read_b64 v[8:9], v1
	s_waitcnt lgkmcnt(0)
	v_cmp_neq_f64_e32 vcc_lo, 0, v[8:9]
	s_and_b32 exec_lo, exec_lo, vcc_lo
	s_cbranch_execz .LBB127_54
; %bb.53:
	v_div_scale_f64 v[10:11], null, v[8:9], v[8:9], 1.0
	v_rcp_f64_e32 v[12:13], v[10:11]
	v_fma_f64 v[14:15], -v[10:11], v[12:13], 1.0
	v_fma_f64 v[12:13], v[12:13], v[14:15], v[12:13]
	v_fma_f64 v[14:15], -v[10:11], v[12:13], 1.0
	v_fma_f64 v[12:13], v[12:13], v[14:15], v[12:13]
	v_div_scale_f64 v[14:15], vcc_lo, 1.0, v[8:9], 1.0
	v_mul_f64 v[16:17], v[14:15], v[12:13]
	v_fma_f64 v[10:11], -v[10:11], v[16:17], v[14:15]
	v_div_fmas_f64 v[10:11], v[10:11], v[12:13], v[16:17]
	v_div_fixup_f64 v[8:9], v[10:11], v[8:9], 1.0
	ds_write_b64 v1, v[8:9]
.LBB127_54:
	s_or_b32 exec_lo, exec_lo, s1
	s_waitcnt lgkmcnt(0)
	s_barrier
	buffer_gl0_inv
	ds_read_b64 v[8:9], v1
	s_mov_b32 s1, exec_lo
	s_waitcnt lgkmcnt(0)
	buffer_store_dword v8, off, s[12:15], 0 offset:424 ; 4-byte Folded Spill
	buffer_store_dword v9, off, s[12:15], 0 offset:428 ; 4-byte Folded Spill
	v_cmpx_lt_u32_e32 10, v0
	s_cbranch_execz .LBB127_56
; %bb.55:
	s_clause 0x1
	buffer_load_dword v8, off, s[12:15], 0 offset:424
	buffer_load_dword v9, off, s[12:15], 0 offset:428
	s_waitcnt vmcnt(0)
	v_mul_f64 v[244:245], v[8:9], v[244:245]
	ds_read2_b64 v[8:11], v84 offset0:11 offset1:12
	s_waitcnt lgkmcnt(0)
	v_fma_f64 v[226:227], -v[244:245], v[8:9], v[226:227]
	v_fma_f64 v[242:243], -v[244:245], v[10:11], v[242:243]
	ds_read2_b64 v[8:11], v84 offset0:13 offset1:14
	s_waitcnt lgkmcnt(0)
	v_fma_f64 v[224:225], -v[244:245], v[8:9], v[224:225]
	v_fma_f64 v[240:241], -v[244:245], v[10:11], v[240:241]
	ds_read2_b64 v[8:11], v84 offset0:15 offset1:16
	s_waitcnt lgkmcnt(0)
	v_fma_f64 v[222:223], -v[244:245], v[8:9], v[222:223]
	v_fma_f64 v[238:239], -v[244:245], v[10:11], v[238:239]
	ds_read2_b64 v[8:11], v84 offset0:17 offset1:18
	s_waitcnt lgkmcnt(0)
	v_fma_f64 v[220:221], -v[244:245], v[8:9], v[220:221]
	v_fma_f64 v[236:237], -v[244:245], v[10:11], v[236:237]
	ds_read2_b64 v[8:11], v84 offset0:19 offset1:20
	s_waitcnt lgkmcnt(0)
	v_fma_f64 v[172:173], -v[244:245], v[8:9], v[172:173]
	v_fma_f64 v[216:217], -v[244:245], v[10:11], v[216:217]
	ds_read2_b64 v[8:11], v84 offset0:21 offset1:22
	s_waitcnt lgkmcnt(0)
	v_fma_f64 v[170:171], -v[244:245], v[8:9], v[170:171]
	v_fma_f64 v[214:215], -v[244:245], v[10:11], v[214:215]
	ds_read2_b64 v[8:11], v84 offset0:23 offset1:24
	s_waitcnt lgkmcnt(0)
	v_fma_f64 v[168:169], -v[244:245], v[8:9], v[168:169]
	v_fma_f64 v[212:213], -v[244:245], v[10:11], v[212:213]
	ds_read2_b64 v[8:11], v84 offset0:25 offset1:26
	s_waitcnt lgkmcnt(0)
	v_fma_f64 v[166:167], -v[244:245], v[8:9], v[166:167]
	v_fma_f64 v[210:211], -v[244:245], v[10:11], v[210:211]
	ds_read2_b64 v[8:11], v84 offset0:27 offset1:28
	s_waitcnt lgkmcnt(0)
	v_fma_f64 v[164:165], -v[244:245], v[8:9], v[164:165]
	v_fma_f64 v[208:209], -v[244:245], v[10:11], v[208:209]
	ds_read2_b64 v[8:11], v84 offset0:29 offset1:30
	s_waitcnt lgkmcnt(0)
	v_fma_f64 v[162:163], -v[244:245], v[8:9], v[162:163]
	v_fma_f64 v[206:207], -v[244:245], v[10:11], v[206:207]
	ds_read2_b64 v[8:11], v84 offset0:31 offset1:32
	s_waitcnt lgkmcnt(0)
	v_fma_f64 v[160:161], -v[244:245], v[8:9], v[160:161]
	v_fma_f64 v[204:205], -v[244:245], v[10:11], v[204:205]
	ds_read2_b64 v[8:11], v84 offset0:33 offset1:34
	s_waitcnt lgkmcnt(0)
	v_fma_f64 v[158:159], -v[244:245], v[8:9], v[158:159]
	v_fma_f64 v[202:203], -v[244:245], v[10:11], v[202:203]
	ds_read2_b64 v[8:11], v84 offset0:35 offset1:36
	s_waitcnt lgkmcnt(0)
	v_fma_f64 v[156:157], -v[244:245], v[8:9], v[156:157]
	v_fma_f64 v[200:201], -v[244:245], v[10:11], v[200:201]
	ds_read2_b64 v[8:11], v84 offset0:37 offset1:38
	s_waitcnt lgkmcnt(0)
	v_fma_f64 v[154:155], -v[244:245], v[8:9], v[154:155]
	v_fma_f64 v[198:199], -v[244:245], v[10:11], v[198:199]
	ds_read2_b64 v[8:11], v84 offset0:39 offset1:40
	s_waitcnt lgkmcnt(0)
	v_fma_f64 v[152:153], -v[244:245], v[8:9], v[152:153]
	v_fma_f64 v[196:197], -v[244:245], v[10:11], v[196:197]
	ds_read2_b64 v[8:11], v84 offset0:41 offset1:42
	s_waitcnt lgkmcnt(0)
	v_fma_f64 v[150:151], -v[244:245], v[8:9], v[150:151]
	v_fma_f64 v[194:195], -v[244:245], v[10:11], v[194:195]
	ds_read2_b64 v[8:11], v84 offset0:43 offset1:44
	s_waitcnt lgkmcnt(0)
	v_fma_f64 v[148:149], -v[244:245], v[8:9], v[148:149]
	v_fma_f64 v[192:193], -v[244:245], v[10:11], v[192:193]
	ds_read2_b64 v[8:11], v84 offset0:45 offset1:46
	s_waitcnt lgkmcnt(0)
	v_fma_f64 v[146:147], -v[244:245], v[8:9], v[146:147]
	v_fma_f64 v[190:191], -v[244:245], v[10:11], v[190:191]
	ds_read2_b64 v[8:11], v84 offset0:47 offset1:48
	s_waitcnt lgkmcnt(0)
	v_fma_f64 v[144:145], -v[244:245], v[8:9], v[144:145]
	v_fma_f64 v[188:189], -v[244:245], v[10:11], v[188:189]
	ds_read2_b64 v[8:11], v84 offset0:49 offset1:50
	s_waitcnt lgkmcnt(0)
	v_fma_f64 v[142:143], -v[244:245], v[8:9], v[142:143]
	v_fma_f64 v[186:187], -v[244:245], v[10:11], v[186:187]
	ds_read2_b64 v[8:11], v84 offset0:51 offset1:52
	s_waitcnt lgkmcnt(0)
	v_fma_f64 v[140:141], -v[244:245], v[8:9], v[140:141]
	v_fma_f64 v[184:185], -v[244:245], v[10:11], v[184:185]
	ds_read2_b64 v[8:11], v84 offset0:53 offset1:54
	s_waitcnt lgkmcnt(0)
	v_fma_f64 v[138:139], -v[244:245], v[8:9], v[138:139]
	v_fma_f64 v[182:183], -v[244:245], v[10:11], v[182:183]
	ds_read2_b64 v[8:11], v84 offset0:55 offset1:56
	s_waitcnt lgkmcnt(0)
	v_fma_f64 v[136:137], -v[244:245], v[8:9], v[136:137]
	v_fma_f64 v[180:181], -v[244:245], v[10:11], v[180:181]
	ds_read2_b64 v[8:11], v84 offset0:57 offset1:58
	s_waitcnt lgkmcnt(0)
	v_fma_f64 v[134:135], -v[244:245], v[8:9], v[134:135]
	v_fma_f64 v[178:179], -v[244:245], v[10:11], v[178:179]
	ds_read2_b64 v[8:11], v84 offset0:59 offset1:60
	s_waitcnt lgkmcnt(0)
	v_fma_f64 v[132:133], -v[244:245], v[8:9], v[132:133]
	v_fma_f64 v[176:177], -v[244:245], v[10:11], v[176:177]
	ds_read2_b64 v[8:11], v84 offset0:61 offset1:62
	s_waitcnt lgkmcnt(0)
	v_fma_f64 v[130:131], -v[244:245], v[8:9], v[130:131]
	ds_read_b64 v[8:9], v84 offset:504
	v_fma_f64 v[174:175], -v[244:245], v[10:11], v[174:175]
	s_waitcnt lgkmcnt(0)
	v_fma_f64 v[6:7], -v[244:245], v[8:9], v[6:7]
.LBB127_56:
	s_or_b32 exec_lo, exec_lo, s1
	s_mov_b32 s1, exec_lo
	s_waitcnt_vscnt null, 0x0
	s_barrier
	buffer_gl0_inv
	v_cmpx_eq_u32_e32 11, v0
	s_cbranch_execz .LBB127_59
; %bb.57:
	v_mov_b32_e32 v8, v242
	v_mov_b32_e32 v9, v243
	;; [unrolled: 1-line block ×4, first 2 shown]
	ds_write_b64 v1, v[226:227]
	ds_write2_b64 v84, v[8:9], v[10:11] offset0:12 offset1:13
	v_mov_b32_e32 v8, v240
	v_mov_b32_e32 v9, v241
	v_mov_b32_e32 v10, v222
	v_mov_b32_e32 v11, v223
	ds_write2_b64 v84, v[8:9], v[10:11] offset0:14 offset1:15
	v_mov_b32_e32 v8, v238
	v_mov_b32_e32 v9, v239
	v_mov_b32_e32 v10, v220
	v_mov_b32_e32 v11, v221
	;; [unrolled: 5-line block ×24, first 2 shown]
	ds_write2_b64 v84, v[8:9], v[10:11] offset0:60 offset1:61
	v_mov_b32_e32 v8, v174
	v_mov_b32_e32 v9, v175
	ds_write2_b64 v84, v[8:9], v[6:7] offset0:62 offset1:63
	ds_read_b64 v[8:9], v1
	s_waitcnt lgkmcnt(0)
	v_cmp_neq_f64_e32 vcc_lo, 0, v[8:9]
	s_and_b32 exec_lo, exec_lo, vcc_lo
	s_cbranch_execz .LBB127_59
; %bb.58:
	v_div_scale_f64 v[10:11], null, v[8:9], v[8:9], 1.0
	v_rcp_f64_e32 v[12:13], v[10:11]
	v_fma_f64 v[14:15], -v[10:11], v[12:13], 1.0
	v_fma_f64 v[12:13], v[12:13], v[14:15], v[12:13]
	v_fma_f64 v[14:15], -v[10:11], v[12:13], 1.0
	v_fma_f64 v[12:13], v[12:13], v[14:15], v[12:13]
	v_div_scale_f64 v[14:15], vcc_lo, 1.0, v[8:9], 1.0
	v_mul_f64 v[16:17], v[14:15], v[12:13]
	v_fma_f64 v[10:11], -v[10:11], v[16:17], v[14:15]
	v_div_fmas_f64 v[10:11], v[10:11], v[12:13], v[16:17]
	v_div_fixup_f64 v[8:9], v[10:11], v[8:9], 1.0
	ds_write_b64 v1, v[8:9]
.LBB127_59:
	s_or_b32 exec_lo, exec_lo, s1
	s_waitcnt lgkmcnt(0)
	s_barrier
	buffer_gl0_inv
	ds_read_b64 v[8:9], v1
	s_mov_b32 s1, exec_lo
	s_waitcnt lgkmcnt(0)
	buffer_store_dword v8, off, s[12:15], 0 offset:432 ; 4-byte Folded Spill
	buffer_store_dword v9, off, s[12:15], 0 offset:436 ; 4-byte Folded Spill
	v_cmpx_lt_u32_e32 11, v0
	s_cbranch_execz .LBB127_61
; %bb.60:
	s_clause 0x1
	buffer_load_dword v8, off, s[12:15], 0 offset:432
	buffer_load_dword v9, off, s[12:15], 0 offset:436
	s_waitcnt vmcnt(0)
	v_mul_f64 v[226:227], v[8:9], v[226:227]
	ds_read2_b64 v[8:11], v84 offset0:12 offset1:13
	s_waitcnt lgkmcnt(0)
	v_fma_f64 v[242:243], -v[226:227], v[8:9], v[242:243]
	v_fma_f64 v[224:225], -v[226:227], v[10:11], v[224:225]
	ds_read2_b64 v[8:11], v84 offset0:14 offset1:15
	s_waitcnt lgkmcnt(0)
	v_fma_f64 v[240:241], -v[226:227], v[8:9], v[240:241]
	v_fma_f64 v[222:223], -v[226:227], v[10:11], v[222:223]
	;; [unrolled: 4-line block ×26, first 2 shown]
.LBB127_61:
	s_or_b32 exec_lo, exec_lo, s1
	s_mov_b32 s1, exec_lo
	s_waitcnt_vscnt null, 0x0
	s_barrier
	buffer_gl0_inv
	v_cmpx_eq_u32_e32 12, v0
	s_cbranch_execz .LBB127_64
; %bb.62:
	ds_write_b64 v1, v[242:243]
	ds_write2_b64 v84, v[224:225], v[240:241] offset0:13 offset1:14
	ds_write2_b64 v84, v[222:223], v[238:239] offset0:15 offset1:16
	;; [unrolled: 1-line block ×25, first 2 shown]
	ds_write_b64 v84, v[6:7] offset:504
	ds_read_b64 v[8:9], v1
	s_waitcnt lgkmcnt(0)
	v_cmp_neq_f64_e32 vcc_lo, 0, v[8:9]
	s_and_b32 exec_lo, exec_lo, vcc_lo
	s_cbranch_execz .LBB127_64
; %bb.63:
	v_div_scale_f64 v[10:11], null, v[8:9], v[8:9], 1.0
	v_rcp_f64_e32 v[12:13], v[10:11]
	v_fma_f64 v[14:15], -v[10:11], v[12:13], 1.0
	v_fma_f64 v[12:13], v[12:13], v[14:15], v[12:13]
	v_fma_f64 v[14:15], -v[10:11], v[12:13], 1.0
	v_fma_f64 v[12:13], v[12:13], v[14:15], v[12:13]
	v_div_scale_f64 v[14:15], vcc_lo, 1.0, v[8:9], 1.0
	v_mul_f64 v[16:17], v[14:15], v[12:13]
	v_fma_f64 v[10:11], -v[10:11], v[16:17], v[14:15]
	v_div_fmas_f64 v[10:11], v[10:11], v[12:13], v[16:17]
	v_div_fixup_f64 v[8:9], v[10:11], v[8:9], 1.0
	ds_write_b64 v1, v[8:9]
.LBB127_64:
	s_or_b32 exec_lo, exec_lo, s1
	s_waitcnt lgkmcnt(0)
	s_barrier
	buffer_gl0_inv
	ds_read_b64 v[8:9], v1
	s_mov_b32 s1, exec_lo
	s_waitcnt lgkmcnt(0)
	buffer_store_dword v8, off, s[12:15], 0 offset:440 ; 4-byte Folded Spill
	buffer_store_dword v9, off, s[12:15], 0 offset:444 ; 4-byte Folded Spill
	v_cmpx_lt_u32_e32 12, v0
	s_cbranch_execz .LBB127_66
; %bb.65:
	s_clause 0x1
	buffer_load_dword v8, off, s[12:15], 0 offset:440
	buffer_load_dword v9, off, s[12:15], 0 offset:444
	s_waitcnt vmcnt(0)
	v_mul_f64 v[242:243], v[8:9], v[242:243]
	ds_read2_b64 v[8:11], v84 offset0:13 offset1:14
	s_waitcnt lgkmcnt(0)
	v_fma_f64 v[224:225], -v[242:243], v[8:9], v[224:225]
	v_fma_f64 v[240:241], -v[242:243], v[10:11], v[240:241]
	ds_read2_b64 v[8:11], v84 offset0:15 offset1:16
	s_waitcnt lgkmcnt(0)
	v_fma_f64 v[222:223], -v[242:243], v[8:9], v[222:223]
	v_fma_f64 v[238:239], -v[242:243], v[10:11], v[238:239]
	;; [unrolled: 4-line block ×24, first 2 shown]
	ds_read2_b64 v[8:11], v84 offset0:61 offset1:62
	s_waitcnt lgkmcnt(0)
	v_fma_f64 v[130:131], -v[242:243], v[8:9], v[130:131]
	ds_read_b64 v[8:9], v84 offset:504
	v_fma_f64 v[174:175], -v[242:243], v[10:11], v[174:175]
	s_waitcnt lgkmcnt(0)
	v_fma_f64 v[6:7], -v[242:243], v[8:9], v[6:7]
.LBB127_66:
	s_or_b32 exec_lo, exec_lo, s1
	s_mov_b32 s1, exec_lo
	s_waitcnt_vscnt null, 0x0
	s_barrier
	buffer_gl0_inv
	v_cmpx_eq_u32_e32 13, v0
	s_cbranch_execz .LBB127_69
; %bb.67:
	v_mov_b32_e32 v8, v240
	v_mov_b32_e32 v9, v241
	;; [unrolled: 1-line block ×4, first 2 shown]
	ds_write_b64 v1, v[224:225]
	ds_write2_b64 v84, v[8:9], v[10:11] offset0:14 offset1:15
	v_mov_b32_e32 v8, v238
	v_mov_b32_e32 v9, v239
	v_mov_b32_e32 v10, v220
	v_mov_b32_e32 v11, v221
	ds_write2_b64 v84, v[8:9], v[10:11] offset0:16 offset1:17
	v_mov_b32_e32 v8, v236
	v_mov_b32_e32 v9, v237
	v_mov_b32_e32 v10, v172
	v_mov_b32_e32 v11, v173
	;; [unrolled: 5-line block ×23, first 2 shown]
	ds_write2_b64 v84, v[8:9], v[10:11] offset0:60 offset1:61
	v_mov_b32_e32 v8, v174
	v_mov_b32_e32 v9, v175
	ds_write2_b64 v84, v[8:9], v[6:7] offset0:62 offset1:63
	ds_read_b64 v[8:9], v1
	s_waitcnt lgkmcnt(0)
	v_cmp_neq_f64_e32 vcc_lo, 0, v[8:9]
	s_and_b32 exec_lo, exec_lo, vcc_lo
	s_cbranch_execz .LBB127_69
; %bb.68:
	v_div_scale_f64 v[10:11], null, v[8:9], v[8:9], 1.0
	v_rcp_f64_e32 v[12:13], v[10:11]
	v_fma_f64 v[14:15], -v[10:11], v[12:13], 1.0
	v_fma_f64 v[12:13], v[12:13], v[14:15], v[12:13]
	v_fma_f64 v[14:15], -v[10:11], v[12:13], 1.0
	v_fma_f64 v[12:13], v[12:13], v[14:15], v[12:13]
	v_div_scale_f64 v[14:15], vcc_lo, 1.0, v[8:9], 1.0
	v_mul_f64 v[16:17], v[14:15], v[12:13]
	v_fma_f64 v[10:11], -v[10:11], v[16:17], v[14:15]
	v_div_fmas_f64 v[10:11], v[10:11], v[12:13], v[16:17]
	v_div_fixup_f64 v[8:9], v[10:11], v[8:9], 1.0
	ds_write_b64 v1, v[8:9]
.LBB127_69:
	s_or_b32 exec_lo, exec_lo, s1
	s_waitcnt lgkmcnt(0)
	s_barrier
	buffer_gl0_inv
	ds_read_b64 v[8:9], v1
	s_mov_b32 s1, exec_lo
	s_waitcnt lgkmcnt(0)
	buffer_store_dword v8, off, s[12:15], 0 offset:448 ; 4-byte Folded Spill
	buffer_store_dword v9, off, s[12:15], 0 offset:452 ; 4-byte Folded Spill
	v_cmpx_lt_u32_e32 13, v0
	s_cbranch_execz .LBB127_71
; %bb.70:
	s_clause 0x1
	buffer_load_dword v8, off, s[12:15], 0 offset:448
	buffer_load_dword v9, off, s[12:15], 0 offset:452
	s_waitcnt vmcnt(0)
	v_mul_f64 v[224:225], v[8:9], v[224:225]
	ds_read2_b64 v[8:11], v84 offset0:14 offset1:15
	s_waitcnt lgkmcnt(0)
	v_fma_f64 v[240:241], -v[224:225], v[8:9], v[240:241]
	v_fma_f64 v[222:223], -v[224:225], v[10:11], v[222:223]
	ds_read2_b64 v[8:11], v84 offset0:16 offset1:17
	s_waitcnt lgkmcnt(0)
	v_fma_f64 v[238:239], -v[224:225], v[8:9], v[238:239]
	v_fma_f64 v[220:221], -v[224:225], v[10:11], v[220:221]
	;; [unrolled: 4-line block ×25, first 2 shown]
.LBB127_71:
	s_or_b32 exec_lo, exec_lo, s1
	s_mov_b32 s1, exec_lo
	s_waitcnt_vscnt null, 0x0
	s_barrier
	buffer_gl0_inv
	v_cmpx_eq_u32_e32 14, v0
	s_cbranch_execz .LBB127_74
; %bb.72:
	ds_write_b64 v1, v[240:241]
	ds_write2_b64 v84, v[222:223], v[238:239] offset0:15 offset1:16
	ds_write2_b64 v84, v[220:221], v[236:237] offset0:17 offset1:18
	ds_write2_b64 v84, v[172:173], v[216:217] offset0:19 offset1:20
	ds_write2_b64 v84, v[170:171], v[214:215] offset0:21 offset1:22
	ds_write2_b64 v84, v[168:169], v[212:213] offset0:23 offset1:24
	ds_write2_b64 v84, v[166:167], v[210:211] offset0:25 offset1:26
	ds_write2_b64 v84, v[164:165], v[208:209] offset0:27 offset1:28
	ds_write2_b64 v84, v[162:163], v[206:207] offset0:29 offset1:30
	ds_write2_b64 v84, v[160:161], v[204:205] offset0:31 offset1:32
	ds_write2_b64 v84, v[158:159], v[202:203] offset0:33 offset1:34
	ds_write2_b64 v84, v[156:157], v[200:201] offset0:35 offset1:36
	ds_write2_b64 v84, v[154:155], v[198:199] offset0:37 offset1:38
	ds_write2_b64 v84, v[152:153], v[196:197] offset0:39 offset1:40
	ds_write2_b64 v84, v[150:151], v[194:195] offset0:41 offset1:42
	ds_write2_b64 v84, v[148:149], v[192:193] offset0:43 offset1:44
	ds_write2_b64 v84, v[146:147], v[190:191] offset0:45 offset1:46
	ds_write2_b64 v84, v[144:145], v[188:189] offset0:47 offset1:48
	ds_write2_b64 v84, v[142:143], v[186:187] offset0:49 offset1:50
	ds_write2_b64 v84, v[140:141], v[184:185] offset0:51 offset1:52
	ds_write2_b64 v84, v[138:139], v[182:183] offset0:53 offset1:54
	ds_write2_b64 v84, v[136:137], v[180:181] offset0:55 offset1:56
	ds_write2_b64 v84, v[134:135], v[178:179] offset0:57 offset1:58
	ds_write2_b64 v84, v[132:133], v[176:177] offset0:59 offset1:60
	ds_write2_b64 v84, v[130:131], v[174:175] offset0:61 offset1:62
	ds_write_b64 v84, v[6:7] offset:504
	ds_read_b64 v[8:9], v1
	s_waitcnt lgkmcnt(0)
	v_cmp_neq_f64_e32 vcc_lo, 0, v[8:9]
	s_and_b32 exec_lo, exec_lo, vcc_lo
	s_cbranch_execz .LBB127_74
; %bb.73:
	v_div_scale_f64 v[10:11], null, v[8:9], v[8:9], 1.0
	v_rcp_f64_e32 v[12:13], v[10:11]
	v_fma_f64 v[14:15], -v[10:11], v[12:13], 1.0
	v_fma_f64 v[12:13], v[12:13], v[14:15], v[12:13]
	v_fma_f64 v[14:15], -v[10:11], v[12:13], 1.0
	v_fma_f64 v[12:13], v[12:13], v[14:15], v[12:13]
	v_div_scale_f64 v[14:15], vcc_lo, 1.0, v[8:9], 1.0
	v_mul_f64 v[16:17], v[14:15], v[12:13]
	v_fma_f64 v[10:11], -v[10:11], v[16:17], v[14:15]
	v_div_fmas_f64 v[10:11], v[10:11], v[12:13], v[16:17]
	v_div_fixup_f64 v[8:9], v[10:11], v[8:9], 1.0
	ds_write_b64 v1, v[8:9]
.LBB127_74:
	s_or_b32 exec_lo, exec_lo, s1
	s_waitcnt lgkmcnt(0)
	s_barrier
	buffer_gl0_inv
	ds_read_b64 v[8:9], v1
	s_mov_b32 s1, exec_lo
	s_waitcnt lgkmcnt(0)
	buffer_store_dword v8, off, s[12:15], 0 offset:456 ; 4-byte Folded Spill
	buffer_store_dword v9, off, s[12:15], 0 offset:460 ; 4-byte Folded Spill
	v_cmpx_lt_u32_e32 14, v0
	s_cbranch_execz .LBB127_76
; %bb.75:
	s_clause 0x1
	buffer_load_dword v8, off, s[12:15], 0 offset:456
	buffer_load_dword v9, off, s[12:15], 0 offset:460
	s_waitcnt vmcnt(0)
	v_mul_f64 v[240:241], v[8:9], v[240:241]
	ds_read2_b64 v[8:11], v84 offset0:15 offset1:16
	s_waitcnt lgkmcnt(0)
	v_fma_f64 v[222:223], -v[240:241], v[8:9], v[222:223]
	v_fma_f64 v[238:239], -v[240:241], v[10:11], v[238:239]
	ds_read2_b64 v[8:11], v84 offset0:17 offset1:18
	s_waitcnt lgkmcnt(0)
	v_fma_f64 v[220:221], -v[240:241], v[8:9], v[220:221]
	v_fma_f64 v[236:237], -v[240:241], v[10:11], v[236:237]
	;; [unrolled: 4-line block ×23, first 2 shown]
	ds_read2_b64 v[8:11], v84 offset0:61 offset1:62
	s_waitcnt lgkmcnt(0)
	v_fma_f64 v[130:131], -v[240:241], v[8:9], v[130:131]
	ds_read_b64 v[8:9], v84 offset:504
	v_fma_f64 v[174:175], -v[240:241], v[10:11], v[174:175]
	s_waitcnt lgkmcnt(0)
	v_fma_f64 v[6:7], -v[240:241], v[8:9], v[6:7]
.LBB127_76:
	s_or_b32 exec_lo, exec_lo, s1
	s_mov_b32 s1, exec_lo
	s_waitcnt_vscnt null, 0x0
	s_barrier
	buffer_gl0_inv
	v_cmpx_eq_u32_e32 15, v0
	s_cbranch_execz .LBB127_79
; %bb.77:
	v_mov_b32_e32 v8, v238
	v_mov_b32_e32 v9, v239
	;; [unrolled: 1-line block ×4, first 2 shown]
	ds_write_b64 v1, v[222:223]
	ds_write2_b64 v84, v[8:9], v[10:11] offset0:16 offset1:17
	v_mov_b32_e32 v8, v236
	v_mov_b32_e32 v9, v237
	v_mov_b32_e32 v10, v172
	v_mov_b32_e32 v11, v173
	ds_write2_b64 v84, v[8:9], v[10:11] offset0:18 offset1:19
	v_mov_b32_e32 v8, v216
	v_mov_b32_e32 v9, v217
	v_mov_b32_e32 v10, v170
	v_mov_b32_e32 v11, v171
	;; [unrolled: 5-line block ×22, first 2 shown]
	ds_write2_b64 v84, v[8:9], v[10:11] offset0:60 offset1:61
	v_mov_b32_e32 v8, v174
	v_mov_b32_e32 v9, v175
	ds_write2_b64 v84, v[8:9], v[6:7] offset0:62 offset1:63
	ds_read_b64 v[8:9], v1
	s_waitcnt lgkmcnt(0)
	v_cmp_neq_f64_e32 vcc_lo, 0, v[8:9]
	s_and_b32 exec_lo, exec_lo, vcc_lo
	s_cbranch_execz .LBB127_79
; %bb.78:
	v_div_scale_f64 v[10:11], null, v[8:9], v[8:9], 1.0
	v_rcp_f64_e32 v[12:13], v[10:11]
	v_fma_f64 v[14:15], -v[10:11], v[12:13], 1.0
	v_fma_f64 v[12:13], v[12:13], v[14:15], v[12:13]
	v_fma_f64 v[14:15], -v[10:11], v[12:13], 1.0
	v_fma_f64 v[12:13], v[12:13], v[14:15], v[12:13]
	v_div_scale_f64 v[14:15], vcc_lo, 1.0, v[8:9], 1.0
	v_mul_f64 v[16:17], v[14:15], v[12:13]
	v_fma_f64 v[10:11], -v[10:11], v[16:17], v[14:15]
	v_div_fmas_f64 v[10:11], v[10:11], v[12:13], v[16:17]
	v_div_fixup_f64 v[8:9], v[10:11], v[8:9], 1.0
	ds_write_b64 v1, v[8:9]
.LBB127_79:
	s_or_b32 exec_lo, exec_lo, s1
	s_waitcnt lgkmcnt(0)
	s_barrier
	buffer_gl0_inv
	ds_read_b64 v[8:9], v1
	s_mov_b32 s1, exec_lo
	s_waitcnt lgkmcnt(0)
	buffer_store_dword v8, off, s[12:15], 0 offset:464 ; 4-byte Folded Spill
	buffer_store_dword v9, off, s[12:15], 0 offset:468 ; 4-byte Folded Spill
	v_cmpx_lt_u32_e32 15, v0
	s_cbranch_execz .LBB127_81
; %bb.80:
	s_clause 0x1
	buffer_load_dword v8, off, s[12:15], 0 offset:464
	buffer_load_dword v9, off, s[12:15], 0 offset:468
	s_waitcnt vmcnt(0)
	v_mul_f64 v[222:223], v[8:9], v[222:223]
	ds_read2_b64 v[8:11], v84 offset0:16 offset1:17
	s_waitcnt lgkmcnt(0)
	v_fma_f64 v[238:239], -v[222:223], v[8:9], v[238:239]
	v_fma_f64 v[220:221], -v[222:223], v[10:11], v[220:221]
	ds_read2_b64 v[8:11], v84 offset0:18 offset1:19
	s_waitcnt lgkmcnt(0)
	v_fma_f64 v[236:237], -v[222:223], v[8:9], v[236:237]
	v_fma_f64 v[172:173], -v[222:223], v[10:11], v[172:173]
	;; [unrolled: 4-line block ×24, first 2 shown]
.LBB127_81:
	s_or_b32 exec_lo, exec_lo, s1
	s_mov_b32 s1, exec_lo
	s_waitcnt_vscnt null, 0x0
	s_barrier
	buffer_gl0_inv
	v_cmpx_eq_u32_e32 16, v0
	s_cbranch_execz .LBB127_84
; %bb.82:
	ds_write_b64 v1, v[238:239]
	ds_write2_b64 v84, v[220:221], v[236:237] offset0:17 offset1:18
	ds_write2_b64 v84, v[172:173], v[216:217] offset0:19 offset1:20
	;; [unrolled: 1-line block ×23, first 2 shown]
	ds_write_b64 v84, v[6:7] offset:504
	ds_read_b64 v[8:9], v1
	s_waitcnt lgkmcnt(0)
	v_cmp_neq_f64_e32 vcc_lo, 0, v[8:9]
	s_and_b32 exec_lo, exec_lo, vcc_lo
	s_cbranch_execz .LBB127_84
; %bb.83:
	v_div_scale_f64 v[10:11], null, v[8:9], v[8:9], 1.0
	v_rcp_f64_e32 v[12:13], v[10:11]
	v_fma_f64 v[14:15], -v[10:11], v[12:13], 1.0
	v_fma_f64 v[12:13], v[12:13], v[14:15], v[12:13]
	v_fma_f64 v[14:15], -v[10:11], v[12:13], 1.0
	v_fma_f64 v[12:13], v[12:13], v[14:15], v[12:13]
	v_div_scale_f64 v[14:15], vcc_lo, 1.0, v[8:9], 1.0
	v_mul_f64 v[16:17], v[14:15], v[12:13]
	v_fma_f64 v[10:11], -v[10:11], v[16:17], v[14:15]
	v_div_fmas_f64 v[10:11], v[10:11], v[12:13], v[16:17]
	v_div_fixup_f64 v[8:9], v[10:11], v[8:9], 1.0
	ds_write_b64 v1, v[8:9]
.LBB127_84:
	s_or_b32 exec_lo, exec_lo, s1
	s_waitcnt lgkmcnt(0)
	s_barrier
	buffer_gl0_inv
	ds_read_b64 v[8:9], v1
	s_mov_b32 s1, exec_lo
	s_waitcnt lgkmcnt(0)
	buffer_store_dword v8, off, s[12:15], 0 offset:472 ; 4-byte Folded Spill
	buffer_store_dword v9, off, s[12:15], 0 offset:476 ; 4-byte Folded Spill
	v_cmpx_lt_u32_e32 16, v0
	s_cbranch_execz .LBB127_86
; %bb.85:
	s_clause 0x1
	buffer_load_dword v8, off, s[12:15], 0 offset:472
	buffer_load_dword v9, off, s[12:15], 0 offset:476
	s_waitcnt vmcnt(0)
	v_mul_f64 v[238:239], v[8:9], v[238:239]
	ds_read2_b64 v[8:11], v84 offset0:17 offset1:18
	s_waitcnt lgkmcnt(0)
	v_fma_f64 v[220:221], -v[238:239], v[8:9], v[220:221]
	v_fma_f64 v[236:237], -v[238:239], v[10:11], v[236:237]
	ds_read2_b64 v[8:11], v84 offset0:19 offset1:20
	s_waitcnt lgkmcnt(0)
	v_fma_f64 v[172:173], -v[238:239], v[8:9], v[172:173]
	v_fma_f64 v[216:217], -v[238:239], v[10:11], v[216:217]
	;; [unrolled: 4-line block ×22, first 2 shown]
	ds_read2_b64 v[8:11], v84 offset0:61 offset1:62
	s_waitcnt lgkmcnt(0)
	v_fma_f64 v[130:131], -v[238:239], v[8:9], v[130:131]
	ds_read_b64 v[8:9], v84 offset:504
	v_fma_f64 v[174:175], -v[238:239], v[10:11], v[174:175]
	s_waitcnt lgkmcnt(0)
	v_fma_f64 v[6:7], -v[238:239], v[8:9], v[6:7]
.LBB127_86:
	s_or_b32 exec_lo, exec_lo, s1
	s_mov_b32 s1, exec_lo
	s_waitcnt_vscnt null, 0x0
	s_barrier
	buffer_gl0_inv
	v_cmpx_eq_u32_e32 17, v0
	s_cbranch_execz .LBB127_89
; %bb.87:
	v_mov_b32_e32 v8, v236
	v_mov_b32_e32 v9, v237
	;; [unrolled: 1-line block ×4, first 2 shown]
	ds_write_b64 v1, v[220:221]
	ds_write2_b64 v84, v[8:9], v[10:11] offset0:18 offset1:19
	v_mov_b32_e32 v8, v216
	v_mov_b32_e32 v9, v217
	v_mov_b32_e32 v10, v170
	v_mov_b32_e32 v11, v171
	ds_write2_b64 v84, v[8:9], v[10:11] offset0:20 offset1:21
	v_mov_b32_e32 v8, v214
	v_mov_b32_e32 v9, v215
	v_mov_b32_e32 v10, v168
	v_mov_b32_e32 v11, v169
	;; [unrolled: 5-line block ×21, first 2 shown]
	ds_write2_b64 v84, v[8:9], v[10:11] offset0:60 offset1:61
	v_mov_b32_e32 v8, v174
	v_mov_b32_e32 v9, v175
	ds_write2_b64 v84, v[8:9], v[6:7] offset0:62 offset1:63
	ds_read_b64 v[8:9], v1
	s_waitcnt lgkmcnt(0)
	v_cmp_neq_f64_e32 vcc_lo, 0, v[8:9]
	s_and_b32 exec_lo, exec_lo, vcc_lo
	s_cbranch_execz .LBB127_89
; %bb.88:
	v_div_scale_f64 v[10:11], null, v[8:9], v[8:9], 1.0
	v_rcp_f64_e32 v[12:13], v[10:11]
	v_fma_f64 v[14:15], -v[10:11], v[12:13], 1.0
	v_fma_f64 v[12:13], v[12:13], v[14:15], v[12:13]
	v_fma_f64 v[14:15], -v[10:11], v[12:13], 1.0
	v_fma_f64 v[12:13], v[12:13], v[14:15], v[12:13]
	v_div_scale_f64 v[14:15], vcc_lo, 1.0, v[8:9], 1.0
	v_mul_f64 v[16:17], v[14:15], v[12:13]
	v_fma_f64 v[10:11], -v[10:11], v[16:17], v[14:15]
	v_div_fmas_f64 v[10:11], v[10:11], v[12:13], v[16:17]
	v_div_fixup_f64 v[8:9], v[10:11], v[8:9], 1.0
	ds_write_b64 v1, v[8:9]
.LBB127_89:
	s_or_b32 exec_lo, exec_lo, s1
	s_waitcnt lgkmcnt(0)
	s_barrier
	buffer_gl0_inv
	ds_read_b64 v[8:9], v1
	s_mov_b32 s1, exec_lo
	s_waitcnt lgkmcnt(0)
	buffer_store_dword v8, off, s[12:15], 0 offset:480 ; 4-byte Folded Spill
	buffer_store_dword v9, off, s[12:15], 0 offset:484 ; 4-byte Folded Spill
	v_cmpx_lt_u32_e32 17, v0
	s_cbranch_execz .LBB127_91
; %bb.90:
	s_clause 0x1
	buffer_load_dword v8, off, s[12:15], 0 offset:480
	buffer_load_dword v9, off, s[12:15], 0 offset:484
	s_waitcnt vmcnt(0)
	v_mul_f64 v[220:221], v[8:9], v[220:221]
	ds_read2_b64 v[8:11], v84 offset0:18 offset1:19
	s_waitcnt lgkmcnt(0)
	v_fma_f64 v[236:237], -v[220:221], v[8:9], v[236:237]
	v_fma_f64 v[172:173], -v[220:221], v[10:11], v[172:173]
	ds_read2_b64 v[8:11], v84 offset0:20 offset1:21
	s_waitcnt lgkmcnt(0)
	v_fma_f64 v[216:217], -v[220:221], v[8:9], v[216:217]
	v_fma_f64 v[170:171], -v[220:221], v[10:11], v[170:171]
	ds_read2_b64 v[8:11], v84 offset0:22 offset1:23
	s_waitcnt lgkmcnt(0)
	v_fma_f64 v[214:215], -v[220:221], v[8:9], v[214:215]
	v_fma_f64 v[168:169], -v[220:221], v[10:11], v[168:169]
	ds_read2_b64 v[8:11], v84 offset0:24 offset1:25
	s_waitcnt lgkmcnt(0)
	v_fma_f64 v[212:213], -v[220:221], v[8:9], v[212:213]
	v_fma_f64 v[166:167], -v[220:221], v[10:11], v[166:167]
	ds_read2_b64 v[8:11], v84 offset0:26 offset1:27
	s_waitcnt lgkmcnt(0)
	v_fma_f64 v[210:211], -v[220:221], v[8:9], v[210:211]
	v_fma_f64 v[164:165], -v[220:221], v[10:11], v[164:165]
	ds_read2_b64 v[8:11], v84 offset0:28 offset1:29
	s_waitcnt lgkmcnt(0)
	v_fma_f64 v[208:209], -v[220:221], v[8:9], v[208:209]
	v_fma_f64 v[162:163], -v[220:221], v[10:11], v[162:163]
	ds_read2_b64 v[8:11], v84 offset0:30 offset1:31
	s_waitcnt lgkmcnt(0)
	v_fma_f64 v[206:207], -v[220:221], v[8:9], v[206:207]
	v_fma_f64 v[160:161], -v[220:221], v[10:11], v[160:161]
	ds_read2_b64 v[8:11], v84 offset0:32 offset1:33
	s_waitcnt lgkmcnt(0)
	v_fma_f64 v[204:205], -v[220:221], v[8:9], v[204:205]
	v_fma_f64 v[158:159], -v[220:221], v[10:11], v[158:159]
	ds_read2_b64 v[8:11], v84 offset0:34 offset1:35
	s_waitcnt lgkmcnt(0)
	v_fma_f64 v[202:203], -v[220:221], v[8:9], v[202:203]
	v_fma_f64 v[156:157], -v[220:221], v[10:11], v[156:157]
	ds_read2_b64 v[8:11], v84 offset0:36 offset1:37
	s_waitcnt lgkmcnt(0)
	v_fma_f64 v[200:201], -v[220:221], v[8:9], v[200:201]
	v_fma_f64 v[154:155], -v[220:221], v[10:11], v[154:155]
	ds_read2_b64 v[8:11], v84 offset0:38 offset1:39
	s_waitcnt lgkmcnt(0)
	v_fma_f64 v[198:199], -v[220:221], v[8:9], v[198:199]
	v_fma_f64 v[152:153], -v[220:221], v[10:11], v[152:153]
	ds_read2_b64 v[8:11], v84 offset0:40 offset1:41
	s_waitcnt lgkmcnt(0)
	v_fma_f64 v[196:197], -v[220:221], v[8:9], v[196:197]
	v_fma_f64 v[150:151], -v[220:221], v[10:11], v[150:151]
	ds_read2_b64 v[8:11], v84 offset0:42 offset1:43
	s_waitcnt lgkmcnt(0)
	v_fma_f64 v[194:195], -v[220:221], v[8:9], v[194:195]
	v_fma_f64 v[148:149], -v[220:221], v[10:11], v[148:149]
	ds_read2_b64 v[8:11], v84 offset0:44 offset1:45
	s_waitcnt lgkmcnt(0)
	v_fma_f64 v[192:193], -v[220:221], v[8:9], v[192:193]
	v_fma_f64 v[146:147], -v[220:221], v[10:11], v[146:147]
	ds_read2_b64 v[8:11], v84 offset0:46 offset1:47
	s_waitcnt lgkmcnt(0)
	v_fma_f64 v[190:191], -v[220:221], v[8:9], v[190:191]
	v_fma_f64 v[144:145], -v[220:221], v[10:11], v[144:145]
	ds_read2_b64 v[8:11], v84 offset0:48 offset1:49
	s_waitcnt lgkmcnt(0)
	v_fma_f64 v[188:189], -v[220:221], v[8:9], v[188:189]
	v_fma_f64 v[142:143], -v[220:221], v[10:11], v[142:143]
	ds_read2_b64 v[8:11], v84 offset0:50 offset1:51
	s_waitcnt lgkmcnt(0)
	v_fma_f64 v[186:187], -v[220:221], v[8:9], v[186:187]
	v_fma_f64 v[140:141], -v[220:221], v[10:11], v[140:141]
	ds_read2_b64 v[8:11], v84 offset0:52 offset1:53
	s_waitcnt lgkmcnt(0)
	v_fma_f64 v[184:185], -v[220:221], v[8:9], v[184:185]
	v_fma_f64 v[138:139], -v[220:221], v[10:11], v[138:139]
	ds_read2_b64 v[8:11], v84 offset0:54 offset1:55
	s_waitcnt lgkmcnt(0)
	v_fma_f64 v[182:183], -v[220:221], v[8:9], v[182:183]
	v_fma_f64 v[136:137], -v[220:221], v[10:11], v[136:137]
	ds_read2_b64 v[8:11], v84 offset0:56 offset1:57
	s_waitcnt lgkmcnt(0)
	v_fma_f64 v[180:181], -v[220:221], v[8:9], v[180:181]
	v_fma_f64 v[134:135], -v[220:221], v[10:11], v[134:135]
	ds_read2_b64 v[8:11], v84 offset0:58 offset1:59
	s_waitcnt lgkmcnt(0)
	v_fma_f64 v[178:179], -v[220:221], v[8:9], v[178:179]
	v_fma_f64 v[132:133], -v[220:221], v[10:11], v[132:133]
	ds_read2_b64 v[8:11], v84 offset0:60 offset1:61
	s_waitcnt lgkmcnt(0)
	v_fma_f64 v[176:177], -v[220:221], v[8:9], v[176:177]
	v_fma_f64 v[130:131], -v[220:221], v[10:11], v[130:131]
	ds_read2_b64 v[8:11], v84 offset0:62 offset1:63
	s_waitcnt lgkmcnt(0)
	v_fma_f64 v[174:175], -v[220:221], v[8:9], v[174:175]
	v_fma_f64 v[6:7], -v[220:221], v[10:11], v[6:7]
.LBB127_91:
	s_or_b32 exec_lo, exec_lo, s1
	s_mov_b32 s1, exec_lo
	s_waitcnt_vscnt null, 0x0
	s_barrier
	buffer_gl0_inv
	v_cmpx_eq_u32_e32 18, v0
	s_cbranch_execz .LBB127_94
; %bb.92:
	ds_write_b64 v1, v[236:237]
	ds_write2_b64 v84, v[172:173], v[216:217] offset0:19 offset1:20
	ds_write2_b64 v84, v[170:171], v[214:215] offset0:21 offset1:22
	;; [unrolled: 1-line block ×22, first 2 shown]
	ds_write_b64 v84, v[6:7] offset:504
	ds_read_b64 v[8:9], v1
	s_waitcnt lgkmcnt(0)
	v_cmp_neq_f64_e32 vcc_lo, 0, v[8:9]
	s_and_b32 exec_lo, exec_lo, vcc_lo
	s_cbranch_execz .LBB127_94
; %bb.93:
	v_div_scale_f64 v[10:11], null, v[8:9], v[8:9], 1.0
	v_rcp_f64_e32 v[12:13], v[10:11]
	v_fma_f64 v[14:15], -v[10:11], v[12:13], 1.0
	v_fma_f64 v[12:13], v[12:13], v[14:15], v[12:13]
	v_fma_f64 v[14:15], -v[10:11], v[12:13], 1.0
	v_fma_f64 v[12:13], v[12:13], v[14:15], v[12:13]
	v_div_scale_f64 v[14:15], vcc_lo, 1.0, v[8:9], 1.0
	v_mul_f64 v[16:17], v[14:15], v[12:13]
	v_fma_f64 v[10:11], -v[10:11], v[16:17], v[14:15]
	v_div_fmas_f64 v[10:11], v[10:11], v[12:13], v[16:17]
	v_div_fixup_f64 v[8:9], v[10:11], v[8:9], 1.0
	ds_write_b64 v1, v[8:9]
.LBB127_94:
	s_or_b32 exec_lo, exec_lo, s1
	s_waitcnt lgkmcnt(0)
	s_barrier
	buffer_gl0_inv
	ds_read_b64 v[8:9], v1
	s_mov_b32 s1, exec_lo
	s_waitcnt lgkmcnt(0)
	buffer_store_dword v8, off, s[12:15], 0 offset:488 ; 4-byte Folded Spill
	buffer_store_dword v9, off, s[12:15], 0 offset:492 ; 4-byte Folded Spill
	v_cmpx_lt_u32_e32 18, v0
	s_cbranch_execz .LBB127_96
; %bb.95:
	s_clause 0x1
	buffer_load_dword v8, off, s[12:15], 0 offset:488
	buffer_load_dword v9, off, s[12:15], 0 offset:492
	s_waitcnt vmcnt(0)
	v_mul_f64 v[236:237], v[8:9], v[236:237]
	ds_read2_b64 v[8:11], v84 offset0:19 offset1:20
	s_waitcnt lgkmcnt(0)
	v_fma_f64 v[172:173], -v[236:237], v[8:9], v[172:173]
	v_fma_f64 v[216:217], -v[236:237], v[10:11], v[216:217]
	ds_read2_b64 v[8:11], v84 offset0:21 offset1:22
	s_waitcnt lgkmcnt(0)
	v_fma_f64 v[170:171], -v[236:237], v[8:9], v[170:171]
	v_fma_f64 v[214:215], -v[236:237], v[10:11], v[214:215]
	;; [unrolled: 4-line block ×21, first 2 shown]
	ds_read2_b64 v[8:11], v84 offset0:61 offset1:62
	s_waitcnt lgkmcnt(0)
	v_fma_f64 v[130:131], -v[236:237], v[8:9], v[130:131]
	ds_read_b64 v[8:9], v84 offset:504
	v_fma_f64 v[174:175], -v[236:237], v[10:11], v[174:175]
	s_waitcnt lgkmcnt(0)
	v_fma_f64 v[6:7], -v[236:237], v[8:9], v[6:7]
.LBB127_96:
	s_or_b32 exec_lo, exec_lo, s1
	s_mov_b32 s1, exec_lo
	s_waitcnt_vscnt null, 0x0
	s_barrier
	buffer_gl0_inv
	v_cmpx_eq_u32_e32 19, v0
	s_cbranch_execz .LBB127_99
; %bb.97:
	v_mov_b32_e32 v8, v216
	v_mov_b32_e32 v9, v217
	;; [unrolled: 1-line block ×4, first 2 shown]
	ds_write_b64 v1, v[172:173]
	ds_write2_b64 v84, v[8:9], v[10:11] offset0:20 offset1:21
	v_mov_b32_e32 v8, v214
	v_mov_b32_e32 v9, v215
	v_mov_b32_e32 v10, v168
	v_mov_b32_e32 v11, v169
	ds_write2_b64 v84, v[8:9], v[10:11] offset0:22 offset1:23
	v_mov_b32_e32 v8, v212
	v_mov_b32_e32 v9, v213
	v_mov_b32_e32 v10, v166
	v_mov_b32_e32 v11, v167
	;; [unrolled: 5-line block ×20, first 2 shown]
	ds_write2_b64 v84, v[8:9], v[10:11] offset0:60 offset1:61
	v_mov_b32_e32 v8, v174
	v_mov_b32_e32 v9, v175
	ds_write2_b64 v84, v[8:9], v[6:7] offset0:62 offset1:63
	ds_read_b64 v[8:9], v1
	s_waitcnt lgkmcnt(0)
	v_cmp_neq_f64_e32 vcc_lo, 0, v[8:9]
	s_and_b32 exec_lo, exec_lo, vcc_lo
	s_cbranch_execz .LBB127_99
; %bb.98:
	v_div_scale_f64 v[10:11], null, v[8:9], v[8:9], 1.0
	v_rcp_f64_e32 v[12:13], v[10:11]
	v_fma_f64 v[14:15], -v[10:11], v[12:13], 1.0
	v_fma_f64 v[12:13], v[12:13], v[14:15], v[12:13]
	v_fma_f64 v[14:15], -v[10:11], v[12:13], 1.0
	v_fma_f64 v[12:13], v[12:13], v[14:15], v[12:13]
	v_div_scale_f64 v[14:15], vcc_lo, 1.0, v[8:9], 1.0
	v_mul_f64 v[16:17], v[14:15], v[12:13]
	v_fma_f64 v[10:11], -v[10:11], v[16:17], v[14:15]
	v_div_fmas_f64 v[10:11], v[10:11], v[12:13], v[16:17]
	v_div_fixup_f64 v[8:9], v[10:11], v[8:9], 1.0
	ds_write_b64 v1, v[8:9]
.LBB127_99:
	s_or_b32 exec_lo, exec_lo, s1
	s_waitcnt lgkmcnt(0)
	s_barrier
	buffer_gl0_inv
	ds_read_b64 v[8:9], v1
	s_mov_b32 s1, exec_lo
	s_waitcnt lgkmcnt(0)
	buffer_store_dword v8, off, s[12:15], 0 offset:496 ; 4-byte Folded Spill
	buffer_store_dword v9, off, s[12:15], 0 offset:500 ; 4-byte Folded Spill
	v_cmpx_lt_u32_e32 19, v0
	s_cbranch_execz .LBB127_101
; %bb.100:
	s_clause 0x1
	buffer_load_dword v8, off, s[12:15], 0 offset:496
	buffer_load_dword v9, off, s[12:15], 0 offset:500
	s_waitcnt vmcnt(0)
	v_mul_f64 v[172:173], v[8:9], v[172:173]
	ds_read2_b64 v[8:11], v84 offset0:20 offset1:21
	s_waitcnt lgkmcnt(0)
	v_fma_f64 v[216:217], -v[172:173], v[8:9], v[216:217]
	v_fma_f64 v[170:171], -v[172:173], v[10:11], v[170:171]
	ds_read2_b64 v[8:11], v84 offset0:22 offset1:23
	s_waitcnt lgkmcnt(0)
	v_fma_f64 v[214:215], -v[172:173], v[8:9], v[214:215]
	v_fma_f64 v[168:169], -v[172:173], v[10:11], v[168:169]
	;; [unrolled: 4-line block ×22, first 2 shown]
.LBB127_101:
	s_or_b32 exec_lo, exec_lo, s1
	s_mov_b32 s1, exec_lo
	s_waitcnt_vscnt null, 0x0
	s_barrier
	buffer_gl0_inv
	v_cmpx_eq_u32_e32 20, v0
	s_cbranch_execz .LBB127_104
; %bb.102:
	ds_write_b64 v1, v[216:217]
	ds_write2_b64 v84, v[170:171], v[214:215] offset0:21 offset1:22
	ds_write2_b64 v84, v[168:169], v[212:213] offset0:23 offset1:24
	ds_write2_b64 v84, v[166:167], v[210:211] offset0:25 offset1:26
	ds_write2_b64 v84, v[164:165], v[208:209] offset0:27 offset1:28
	ds_write2_b64 v84, v[162:163], v[206:207] offset0:29 offset1:30
	ds_write2_b64 v84, v[160:161], v[204:205] offset0:31 offset1:32
	ds_write2_b64 v84, v[158:159], v[202:203] offset0:33 offset1:34
	ds_write2_b64 v84, v[156:157], v[200:201] offset0:35 offset1:36
	ds_write2_b64 v84, v[154:155], v[198:199] offset0:37 offset1:38
	ds_write2_b64 v84, v[152:153], v[196:197] offset0:39 offset1:40
	ds_write2_b64 v84, v[150:151], v[194:195] offset0:41 offset1:42
	ds_write2_b64 v84, v[148:149], v[192:193] offset0:43 offset1:44
	ds_write2_b64 v84, v[146:147], v[190:191] offset0:45 offset1:46
	ds_write2_b64 v84, v[144:145], v[188:189] offset0:47 offset1:48
	ds_write2_b64 v84, v[142:143], v[186:187] offset0:49 offset1:50
	ds_write2_b64 v84, v[140:141], v[184:185] offset0:51 offset1:52
	ds_write2_b64 v84, v[138:139], v[182:183] offset0:53 offset1:54
	ds_write2_b64 v84, v[136:137], v[180:181] offset0:55 offset1:56
	ds_write2_b64 v84, v[134:135], v[178:179] offset0:57 offset1:58
	ds_write2_b64 v84, v[132:133], v[176:177] offset0:59 offset1:60
	ds_write2_b64 v84, v[130:131], v[174:175] offset0:61 offset1:62
	ds_write_b64 v84, v[6:7] offset:504
	ds_read_b64 v[8:9], v1
	s_waitcnt lgkmcnt(0)
	v_cmp_neq_f64_e32 vcc_lo, 0, v[8:9]
	s_and_b32 exec_lo, exec_lo, vcc_lo
	s_cbranch_execz .LBB127_104
; %bb.103:
	v_div_scale_f64 v[10:11], null, v[8:9], v[8:9], 1.0
	v_rcp_f64_e32 v[12:13], v[10:11]
	v_fma_f64 v[14:15], -v[10:11], v[12:13], 1.0
	v_fma_f64 v[12:13], v[12:13], v[14:15], v[12:13]
	v_fma_f64 v[14:15], -v[10:11], v[12:13], 1.0
	v_fma_f64 v[12:13], v[12:13], v[14:15], v[12:13]
	v_div_scale_f64 v[14:15], vcc_lo, 1.0, v[8:9], 1.0
	v_mul_f64 v[16:17], v[14:15], v[12:13]
	v_fma_f64 v[10:11], -v[10:11], v[16:17], v[14:15]
	v_div_fmas_f64 v[10:11], v[10:11], v[12:13], v[16:17]
	v_div_fixup_f64 v[8:9], v[10:11], v[8:9], 1.0
	ds_write_b64 v1, v[8:9]
.LBB127_104:
	s_or_b32 exec_lo, exec_lo, s1
	s_waitcnt lgkmcnt(0)
	s_barrier
	buffer_gl0_inv
	ds_read_b64 v[8:9], v1
	s_mov_b32 s1, exec_lo
	s_waitcnt lgkmcnt(0)
	buffer_store_dword v8, off, s[12:15], 0 offset:504 ; 4-byte Folded Spill
	buffer_store_dword v9, off, s[12:15], 0 offset:508 ; 4-byte Folded Spill
	v_cmpx_lt_u32_e32 20, v0
	s_cbranch_execz .LBB127_106
; %bb.105:
	s_clause 0x1
	buffer_load_dword v8, off, s[12:15], 0 offset:504
	buffer_load_dword v9, off, s[12:15], 0 offset:508
	s_waitcnt vmcnt(0)
	v_mul_f64 v[216:217], v[8:9], v[216:217]
	ds_read2_b64 v[8:11], v84 offset0:21 offset1:22
	s_waitcnt lgkmcnt(0)
	v_fma_f64 v[170:171], -v[216:217], v[8:9], v[170:171]
	v_fma_f64 v[214:215], -v[216:217], v[10:11], v[214:215]
	ds_read2_b64 v[8:11], v84 offset0:23 offset1:24
	s_waitcnt lgkmcnt(0)
	v_fma_f64 v[168:169], -v[216:217], v[8:9], v[168:169]
	v_fma_f64 v[212:213], -v[216:217], v[10:11], v[212:213]
	;; [unrolled: 4-line block ×20, first 2 shown]
	ds_read2_b64 v[8:11], v84 offset0:61 offset1:62
	s_waitcnt lgkmcnt(0)
	v_fma_f64 v[130:131], -v[216:217], v[8:9], v[130:131]
	ds_read_b64 v[8:9], v84 offset:504
	v_fma_f64 v[174:175], -v[216:217], v[10:11], v[174:175]
	s_waitcnt lgkmcnt(0)
	v_fma_f64 v[6:7], -v[216:217], v[8:9], v[6:7]
.LBB127_106:
	s_or_b32 exec_lo, exec_lo, s1
	s_mov_b32 s1, exec_lo
	s_waitcnt_vscnt null, 0x0
	s_barrier
	buffer_gl0_inv
	v_cmpx_eq_u32_e32 21, v0
	s_cbranch_execz .LBB127_109
; %bb.107:
	v_mov_b32_e32 v8, v214
	v_mov_b32_e32 v9, v215
	;; [unrolled: 1-line block ×4, first 2 shown]
	ds_write_b64 v1, v[170:171]
	ds_write2_b64 v84, v[8:9], v[10:11] offset0:22 offset1:23
	v_mov_b32_e32 v8, v212
	v_mov_b32_e32 v9, v213
	v_mov_b32_e32 v10, v166
	v_mov_b32_e32 v11, v167
	ds_write2_b64 v84, v[8:9], v[10:11] offset0:24 offset1:25
	v_mov_b32_e32 v8, v210
	v_mov_b32_e32 v9, v211
	v_mov_b32_e32 v10, v164
	v_mov_b32_e32 v11, v165
	;; [unrolled: 5-line block ×19, first 2 shown]
	ds_write2_b64 v84, v[8:9], v[10:11] offset0:60 offset1:61
	v_mov_b32_e32 v8, v174
	v_mov_b32_e32 v9, v175
	ds_write2_b64 v84, v[8:9], v[6:7] offset0:62 offset1:63
	ds_read_b64 v[8:9], v1
	s_waitcnt lgkmcnt(0)
	v_cmp_neq_f64_e32 vcc_lo, 0, v[8:9]
	s_and_b32 exec_lo, exec_lo, vcc_lo
	s_cbranch_execz .LBB127_109
; %bb.108:
	v_div_scale_f64 v[10:11], null, v[8:9], v[8:9], 1.0
	v_rcp_f64_e32 v[12:13], v[10:11]
	v_fma_f64 v[14:15], -v[10:11], v[12:13], 1.0
	v_fma_f64 v[12:13], v[12:13], v[14:15], v[12:13]
	v_fma_f64 v[14:15], -v[10:11], v[12:13], 1.0
	v_fma_f64 v[12:13], v[12:13], v[14:15], v[12:13]
	v_div_scale_f64 v[14:15], vcc_lo, 1.0, v[8:9], 1.0
	v_mul_f64 v[16:17], v[14:15], v[12:13]
	v_fma_f64 v[10:11], -v[10:11], v[16:17], v[14:15]
	v_div_fmas_f64 v[10:11], v[10:11], v[12:13], v[16:17]
	v_div_fixup_f64 v[8:9], v[10:11], v[8:9], 1.0
	ds_write_b64 v1, v[8:9]
.LBB127_109:
	s_or_b32 exec_lo, exec_lo, s1
	s_waitcnt lgkmcnt(0)
	s_barrier
	buffer_gl0_inv
	ds_read_b64 v[8:9], v1
	s_mov_b32 s1, exec_lo
	s_waitcnt lgkmcnt(0)
	buffer_store_dword v8, off, s[12:15], 0 offset:512 ; 4-byte Folded Spill
	buffer_store_dword v9, off, s[12:15], 0 offset:516 ; 4-byte Folded Spill
	v_cmpx_lt_u32_e32 21, v0
	s_cbranch_execz .LBB127_111
; %bb.110:
	s_clause 0x1
	buffer_load_dword v8, off, s[12:15], 0 offset:512
	buffer_load_dword v9, off, s[12:15], 0 offset:516
	s_waitcnt vmcnt(0)
	v_mul_f64 v[170:171], v[8:9], v[170:171]
	ds_read2_b64 v[8:11], v84 offset0:22 offset1:23
	s_waitcnt lgkmcnt(0)
	v_fma_f64 v[214:215], -v[170:171], v[8:9], v[214:215]
	v_fma_f64 v[168:169], -v[170:171], v[10:11], v[168:169]
	ds_read2_b64 v[8:11], v84 offset0:24 offset1:25
	s_waitcnt lgkmcnt(0)
	v_fma_f64 v[212:213], -v[170:171], v[8:9], v[212:213]
	v_fma_f64 v[166:167], -v[170:171], v[10:11], v[166:167]
	;; [unrolled: 4-line block ×21, first 2 shown]
.LBB127_111:
	s_or_b32 exec_lo, exec_lo, s1
	s_mov_b32 s1, exec_lo
	s_waitcnt_vscnt null, 0x0
	s_barrier
	buffer_gl0_inv
	v_cmpx_eq_u32_e32 22, v0
	s_cbranch_execz .LBB127_114
; %bb.112:
	ds_write_b64 v1, v[214:215]
	ds_write2_b64 v84, v[168:169], v[212:213] offset0:23 offset1:24
	ds_write2_b64 v84, v[166:167], v[210:211] offset0:25 offset1:26
	;; [unrolled: 1-line block ×20, first 2 shown]
	ds_write_b64 v84, v[6:7] offset:504
	ds_read_b64 v[8:9], v1
	s_waitcnt lgkmcnt(0)
	v_cmp_neq_f64_e32 vcc_lo, 0, v[8:9]
	s_and_b32 exec_lo, exec_lo, vcc_lo
	s_cbranch_execz .LBB127_114
; %bb.113:
	v_div_scale_f64 v[10:11], null, v[8:9], v[8:9], 1.0
	v_rcp_f64_e32 v[12:13], v[10:11]
	v_fma_f64 v[14:15], -v[10:11], v[12:13], 1.0
	v_fma_f64 v[12:13], v[12:13], v[14:15], v[12:13]
	v_fma_f64 v[14:15], -v[10:11], v[12:13], 1.0
	v_fma_f64 v[12:13], v[12:13], v[14:15], v[12:13]
	v_div_scale_f64 v[14:15], vcc_lo, 1.0, v[8:9], 1.0
	v_mul_f64 v[16:17], v[14:15], v[12:13]
	v_fma_f64 v[10:11], -v[10:11], v[16:17], v[14:15]
	v_div_fmas_f64 v[10:11], v[10:11], v[12:13], v[16:17]
	v_div_fixup_f64 v[8:9], v[10:11], v[8:9], 1.0
	ds_write_b64 v1, v[8:9]
.LBB127_114:
	s_or_b32 exec_lo, exec_lo, s1
	s_waitcnt lgkmcnt(0)
	s_barrier
	buffer_gl0_inv
	ds_read_b64 v[8:9], v1
	s_mov_b32 s1, exec_lo
	s_waitcnt lgkmcnt(0)
	buffer_store_dword v8, off, s[12:15], 0 offset:520 ; 4-byte Folded Spill
	buffer_store_dword v9, off, s[12:15], 0 offset:524 ; 4-byte Folded Spill
	v_cmpx_lt_u32_e32 22, v0
	s_cbranch_execz .LBB127_116
; %bb.115:
	s_clause 0x1
	buffer_load_dword v8, off, s[12:15], 0 offset:520
	buffer_load_dword v9, off, s[12:15], 0 offset:524
	s_waitcnt vmcnt(0)
	v_mul_f64 v[214:215], v[8:9], v[214:215]
	ds_read2_b64 v[8:11], v84 offset0:23 offset1:24
	s_waitcnt lgkmcnt(0)
	v_fma_f64 v[168:169], -v[214:215], v[8:9], v[168:169]
	v_fma_f64 v[212:213], -v[214:215], v[10:11], v[212:213]
	ds_read2_b64 v[8:11], v84 offset0:25 offset1:26
	s_waitcnt lgkmcnt(0)
	v_fma_f64 v[166:167], -v[214:215], v[8:9], v[166:167]
	v_fma_f64 v[210:211], -v[214:215], v[10:11], v[210:211]
	;; [unrolled: 4-line block ×19, first 2 shown]
	ds_read2_b64 v[8:11], v84 offset0:61 offset1:62
	s_waitcnt lgkmcnt(0)
	v_fma_f64 v[130:131], -v[214:215], v[8:9], v[130:131]
	ds_read_b64 v[8:9], v84 offset:504
	v_fma_f64 v[174:175], -v[214:215], v[10:11], v[174:175]
	s_waitcnt lgkmcnt(0)
	v_fma_f64 v[6:7], -v[214:215], v[8:9], v[6:7]
.LBB127_116:
	s_or_b32 exec_lo, exec_lo, s1
	s_mov_b32 s1, exec_lo
	s_waitcnt_vscnt null, 0x0
	s_barrier
	buffer_gl0_inv
	v_cmpx_eq_u32_e32 23, v0
	s_cbranch_execz .LBB127_119
; %bb.117:
	v_mov_b32_e32 v8, v212
	v_mov_b32_e32 v9, v213
	;; [unrolled: 1-line block ×4, first 2 shown]
	ds_write_b64 v1, v[168:169]
	ds_write2_b64 v84, v[8:9], v[10:11] offset0:24 offset1:25
	v_mov_b32_e32 v8, v210
	v_mov_b32_e32 v9, v211
	v_mov_b32_e32 v10, v164
	v_mov_b32_e32 v11, v165
	ds_write2_b64 v84, v[8:9], v[10:11] offset0:26 offset1:27
	v_mov_b32_e32 v8, v208
	v_mov_b32_e32 v9, v209
	v_mov_b32_e32 v10, v162
	v_mov_b32_e32 v11, v163
	;; [unrolled: 5-line block ×18, first 2 shown]
	ds_write2_b64 v84, v[8:9], v[10:11] offset0:60 offset1:61
	v_mov_b32_e32 v8, v174
	v_mov_b32_e32 v9, v175
	ds_write2_b64 v84, v[8:9], v[6:7] offset0:62 offset1:63
	ds_read_b64 v[8:9], v1
	s_waitcnt lgkmcnt(0)
	v_cmp_neq_f64_e32 vcc_lo, 0, v[8:9]
	s_and_b32 exec_lo, exec_lo, vcc_lo
	s_cbranch_execz .LBB127_119
; %bb.118:
	v_div_scale_f64 v[10:11], null, v[8:9], v[8:9], 1.0
	v_rcp_f64_e32 v[12:13], v[10:11]
	v_fma_f64 v[14:15], -v[10:11], v[12:13], 1.0
	v_fma_f64 v[12:13], v[12:13], v[14:15], v[12:13]
	v_fma_f64 v[14:15], -v[10:11], v[12:13], 1.0
	v_fma_f64 v[12:13], v[12:13], v[14:15], v[12:13]
	v_div_scale_f64 v[14:15], vcc_lo, 1.0, v[8:9], 1.0
	v_mul_f64 v[16:17], v[14:15], v[12:13]
	v_fma_f64 v[10:11], -v[10:11], v[16:17], v[14:15]
	v_div_fmas_f64 v[10:11], v[10:11], v[12:13], v[16:17]
	v_div_fixup_f64 v[8:9], v[10:11], v[8:9], 1.0
	ds_write_b64 v1, v[8:9]
.LBB127_119:
	s_or_b32 exec_lo, exec_lo, s1
	s_waitcnt lgkmcnt(0)
	s_barrier
	buffer_gl0_inv
	ds_read_b64 v[8:9], v1
	s_mov_b32 s1, exec_lo
	s_waitcnt lgkmcnt(0)
	buffer_store_dword v8, off, s[12:15], 0 offset:528 ; 4-byte Folded Spill
	buffer_store_dword v9, off, s[12:15], 0 offset:532 ; 4-byte Folded Spill
	v_cmpx_lt_u32_e32 23, v0
	s_cbranch_execz .LBB127_121
; %bb.120:
	s_clause 0x1
	buffer_load_dword v8, off, s[12:15], 0 offset:528
	buffer_load_dword v9, off, s[12:15], 0 offset:532
	s_waitcnt vmcnt(0)
	v_mul_f64 v[168:169], v[8:9], v[168:169]
	ds_read2_b64 v[8:11], v84 offset0:24 offset1:25
	s_waitcnt lgkmcnt(0)
	v_fma_f64 v[212:213], -v[168:169], v[8:9], v[212:213]
	v_fma_f64 v[166:167], -v[168:169], v[10:11], v[166:167]
	ds_read2_b64 v[8:11], v84 offset0:26 offset1:27
	s_waitcnt lgkmcnt(0)
	v_fma_f64 v[210:211], -v[168:169], v[8:9], v[210:211]
	v_fma_f64 v[164:165], -v[168:169], v[10:11], v[164:165]
	;; [unrolled: 4-line block ×20, first 2 shown]
.LBB127_121:
	s_or_b32 exec_lo, exec_lo, s1
	s_mov_b32 s1, exec_lo
	s_waitcnt_vscnt null, 0x0
	s_barrier
	buffer_gl0_inv
	v_cmpx_eq_u32_e32 24, v0
	s_cbranch_execz .LBB127_124
; %bb.122:
	ds_write_b64 v1, v[212:213]
	ds_write2_b64 v84, v[166:167], v[210:211] offset0:25 offset1:26
	ds_write2_b64 v84, v[164:165], v[208:209] offset0:27 offset1:28
	;; [unrolled: 1-line block ×19, first 2 shown]
	ds_write_b64 v84, v[6:7] offset:504
	ds_read_b64 v[8:9], v1
	s_waitcnt lgkmcnt(0)
	v_cmp_neq_f64_e32 vcc_lo, 0, v[8:9]
	s_and_b32 exec_lo, exec_lo, vcc_lo
	s_cbranch_execz .LBB127_124
; %bb.123:
	v_div_scale_f64 v[10:11], null, v[8:9], v[8:9], 1.0
	v_rcp_f64_e32 v[12:13], v[10:11]
	v_fma_f64 v[14:15], -v[10:11], v[12:13], 1.0
	v_fma_f64 v[12:13], v[12:13], v[14:15], v[12:13]
	v_fma_f64 v[14:15], -v[10:11], v[12:13], 1.0
	v_fma_f64 v[12:13], v[12:13], v[14:15], v[12:13]
	v_div_scale_f64 v[14:15], vcc_lo, 1.0, v[8:9], 1.0
	v_mul_f64 v[16:17], v[14:15], v[12:13]
	v_fma_f64 v[10:11], -v[10:11], v[16:17], v[14:15]
	v_div_fmas_f64 v[10:11], v[10:11], v[12:13], v[16:17]
	v_div_fixup_f64 v[8:9], v[10:11], v[8:9], 1.0
	ds_write_b64 v1, v[8:9]
.LBB127_124:
	s_or_b32 exec_lo, exec_lo, s1
	s_waitcnt lgkmcnt(0)
	s_barrier
	buffer_gl0_inv
	ds_read_b64 v[8:9], v1
	s_mov_b32 s1, exec_lo
	s_waitcnt lgkmcnt(0)
	buffer_store_dword v8, off, s[12:15], 0 offset:536 ; 4-byte Folded Spill
	buffer_store_dword v9, off, s[12:15], 0 offset:540 ; 4-byte Folded Spill
	v_cmpx_lt_u32_e32 24, v0
	s_cbranch_execz .LBB127_126
; %bb.125:
	s_clause 0x1
	buffer_load_dword v8, off, s[12:15], 0 offset:536
	buffer_load_dword v9, off, s[12:15], 0 offset:540
	s_waitcnt vmcnt(0)
	v_mul_f64 v[212:213], v[8:9], v[212:213]
	ds_read2_b64 v[8:11], v84 offset0:25 offset1:26
	s_waitcnt lgkmcnt(0)
	v_fma_f64 v[166:167], -v[212:213], v[8:9], v[166:167]
	v_fma_f64 v[210:211], -v[212:213], v[10:11], v[210:211]
	ds_read2_b64 v[8:11], v84 offset0:27 offset1:28
	s_waitcnt lgkmcnt(0)
	v_fma_f64 v[164:165], -v[212:213], v[8:9], v[164:165]
	v_fma_f64 v[208:209], -v[212:213], v[10:11], v[208:209]
	;; [unrolled: 4-line block ×18, first 2 shown]
	ds_read2_b64 v[8:11], v84 offset0:61 offset1:62
	s_waitcnt lgkmcnt(0)
	v_fma_f64 v[130:131], -v[212:213], v[8:9], v[130:131]
	ds_read_b64 v[8:9], v84 offset:504
	v_fma_f64 v[174:175], -v[212:213], v[10:11], v[174:175]
	s_waitcnt lgkmcnt(0)
	v_fma_f64 v[6:7], -v[212:213], v[8:9], v[6:7]
.LBB127_126:
	s_or_b32 exec_lo, exec_lo, s1
	s_mov_b32 s1, exec_lo
	s_waitcnt_vscnt null, 0x0
	s_barrier
	buffer_gl0_inv
	v_cmpx_eq_u32_e32 25, v0
	s_cbranch_execz .LBB127_129
; %bb.127:
	v_mov_b32_e32 v8, v210
	v_mov_b32_e32 v9, v211
	;; [unrolled: 1-line block ×4, first 2 shown]
	ds_write_b64 v1, v[166:167]
	ds_write2_b64 v84, v[8:9], v[10:11] offset0:26 offset1:27
	v_mov_b32_e32 v8, v208
	v_mov_b32_e32 v9, v209
	v_mov_b32_e32 v10, v162
	v_mov_b32_e32 v11, v163
	ds_write2_b64 v84, v[8:9], v[10:11] offset0:28 offset1:29
	v_mov_b32_e32 v8, v206
	v_mov_b32_e32 v9, v207
	v_mov_b32_e32 v10, v160
	v_mov_b32_e32 v11, v161
	;; [unrolled: 5-line block ×17, first 2 shown]
	ds_write2_b64 v84, v[8:9], v[10:11] offset0:60 offset1:61
	v_mov_b32_e32 v8, v174
	v_mov_b32_e32 v9, v175
	ds_write2_b64 v84, v[8:9], v[6:7] offset0:62 offset1:63
	ds_read_b64 v[8:9], v1
	s_waitcnt lgkmcnt(0)
	v_cmp_neq_f64_e32 vcc_lo, 0, v[8:9]
	s_and_b32 exec_lo, exec_lo, vcc_lo
	s_cbranch_execz .LBB127_129
; %bb.128:
	v_div_scale_f64 v[10:11], null, v[8:9], v[8:9], 1.0
	v_rcp_f64_e32 v[12:13], v[10:11]
	v_fma_f64 v[14:15], -v[10:11], v[12:13], 1.0
	v_fma_f64 v[12:13], v[12:13], v[14:15], v[12:13]
	v_fma_f64 v[14:15], -v[10:11], v[12:13], 1.0
	v_fma_f64 v[12:13], v[12:13], v[14:15], v[12:13]
	v_div_scale_f64 v[14:15], vcc_lo, 1.0, v[8:9], 1.0
	v_mul_f64 v[16:17], v[14:15], v[12:13]
	v_fma_f64 v[10:11], -v[10:11], v[16:17], v[14:15]
	v_div_fmas_f64 v[10:11], v[10:11], v[12:13], v[16:17]
	v_div_fixup_f64 v[8:9], v[10:11], v[8:9], 1.0
	ds_write_b64 v1, v[8:9]
.LBB127_129:
	s_or_b32 exec_lo, exec_lo, s1
	s_waitcnt lgkmcnt(0)
	s_barrier
	buffer_gl0_inv
	ds_read_b64 v[8:9], v1
	s_mov_b32 s1, exec_lo
	s_waitcnt lgkmcnt(0)
	buffer_store_dword v8, off, s[12:15], 0 offset:544 ; 4-byte Folded Spill
	buffer_store_dword v9, off, s[12:15], 0 offset:548 ; 4-byte Folded Spill
	v_cmpx_lt_u32_e32 25, v0
	s_cbranch_execz .LBB127_131
; %bb.130:
	s_clause 0x1
	buffer_load_dword v8, off, s[12:15], 0 offset:544
	buffer_load_dword v9, off, s[12:15], 0 offset:548
	s_waitcnt vmcnt(0)
	v_mul_f64 v[166:167], v[8:9], v[166:167]
	ds_read2_b64 v[8:11], v84 offset0:26 offset1:27
	s_waitcnt lgkmcnt(0)
	v_fma_f64 v[210:211], -v[166:167], v[8:9], v[210:211]
	v_fma_f64 v[164:165], -v[166:167], v[10:11], v[164:165]
	ds_read2_b64 v[8:11], v84 offset0:28 offset1:29
	s_waitcnt lgkmcnt(0)
	v_fma_f64 v[208:209], -v[166:167], v[8:9], v[208:209]
	v_fma_f64 v[162:163], -v[166:167], v[10:11], v[162:163]
	;; [unrolled: 4-line block ×19, first 2 shown]
.LBB127_131:
	s_or_b32 exec_lo, exec_lo, s1
	s_mov_b32 s1, exec_lo
	s_waitcnt_vscnt null, 0x0
	s_barrier
	buffer_gl0_inv
	v_cmpx_eq_u32_e32 26, v0
	s_cbranch_execz .LBB127_134
; %bb.132:
	ds_write_b64 v1, v[210:211]
	ds_write2_b64 v84, v[164:165], v[208:209] offset0:27 offset1:28
	ds_write2_b64 v84, v[162:163], v[206:207] offset0:29 offset1:30
	;; [unrolled: 1-line block ×18, first 2 shown]
	ds_write_b64 v84, v[6:7] offset:504
	ds_read_b64 v[8:9], v1
	s_waitcnt lgkmcnt(0)
	v_cmp_neq_f64_e32 vcc_lo, 0, v[8:9]
	s_and_b32 exec_lo, exec_lo, vcc_lo
	s_cbranch_execz .LBB127_134
; %bb.133:
	v_div_scale_f64 v[10:11], null, v[8:9], v[8:9], 1.0
	v_rcp_f64_e32 v[12:13], v[10:11]
	v_fma_f64 v[14:15], -v[10:11], v[12:13], 1.0
	v_fma_f64 v[12:13], v[12:13], v[14:15], v[12:13]
	v_fma_f64 v[14:15], -v[10:11], v[12:13], 1.0
	v_fma_f64 v[12:13], v[12:13], v[14:15], v[12:13]
	v_div_scale_f64 v[14:15], vcc_lo, 1.0, v[8:9], 1.0
	v_mul_f64 v[16:17], v[14:15], v[12:13]
	v_fma_f64 v[10:11], -v[10:11], v[16:17], v[14:15]
	v_div_fmas_f64 v[10:11], v[10:11], v[12:13], v[16:17]
	v_div_fixup_f64 v[8:9], v[10:11], v[8:9], 1.0
	ds_write_b64 v1, v[8:9]
.LBB127_134:
	s_or_b32 exec_lo, exec_lo, s1
	s_waitcnt lgkmcnt(0)
	s_barrier
	buffer_gl0_inv
	ds_read_b64 v[8:9], v1
	s_mov_b32 s1, exec_lo
	v_cmpx_lt_u32_e32 26, v0
	s_cbranch_execz .LBB127_136
; %bb.135:
	s_waitcnt lgkmcnt(0)
	v_mul_f64 v[210:211], v[8:9], v[210:211]
	ds_read2_b64 v[10:13], v84 offset0:27 offset1:28
	s_waitcnt lgkmcnt(0)
	v_fma_f64 v[164:165], -v[210:211], v[10:11], v[164:165]
	v_fma_f64 v[208:209], -v[210:211], v[12:13], v[208:209]
	ds_read2_b64 v[10:13], v84 offset0:29 offset1:30
	s_waitcnt lgkmcnt(0)
	v_fma_f64 v[162:163], -v[210:211], v[10:11], v[162:163]
	v_fma_f64 v[206:207], -v[210:211], v[12:13], v[206:207]
	;; [unrolled: 4-line block ×17, first 2 shown]
	ds_read2_b64 v[10:13], v84 offset0:61 offset1:62
	s_waitcnt lgkmcnt(0)
	v_fma_f64 v[130:131], -v[210:211], v[10:11], v[130:131]
	ds_read_b64 v[10:11], v84 offset:504
	v_fma_f64 v[174:175], -v[210:211], v[12:13], v[174:175]
	s_waitcnt lgkmcnt(0)
	v_fma_f64 v[6:7], -v[210:211], v[10:11], v[6:7]
.LBB127_136:
	s_or_b32 exec_lo, exec_lo, s1
	s_mov_b32 s1, exec_lo
	s_waitcnt lgkmcnt(0)
	s_barrier
	buffer_gl0_inv
	v_cmpx_eq_u32_e32 27, v0
	s_cbranch_execz .LBB127_139
; %bb.137:
	v_mov_b32_e32 v10, v208
	v_mov_b32_e32 v11, v209
	;; [unrolled: 1-line block ×4, first 2 shown]
	ds_write_b64 v1, v[164:165]
	ds_write2_b64 v84, v[10:11], v[12:13] offset0:28 offset1:29
	v_mov_b32_e32 v10, v206
	v_mov_b32_e32 v11, v207
	v_mov_b32_e32 v12, v160
	v_mov_b32_e32 v13, v161
	ds_write2_b64 v84, v[10:11], v[12:13] offset0:30 offset1:31
	v_mov_b32_e32 v10, v204
	v_mov_b32_e32 v11, v205
	v_mov_b32_e32 v12, v158
	v_mov_b32_e32 v13, v159
	;; [unrolled: 5-line block ×16, first 2 shown]
	ds_write2_b64 v84, v[10:11], v[12:13] offset0:60 offset1:61
	v_mov_b32_e32 v10, v174
	v_mov_b32_e32 v11, v175
	ds_write2_b64 v84, v[10:11], v[6:7] offset0:62 offset1:63
	ds_read_b64 v[10:11], v1
	s_waitcnt lgkmcnt(0)
	v_cmp_neq_f64_e32 vcc_lo, 0, v[10:11]
	s_and_b32 exec_lo, exec_lo, vcc_lo
	s_cbranch_execz .LBB127_139
; %bb.138:
	v_div_scale_f64 v[12:13], null, v[10:11], v[10:11], 1.0
	v_rcp_f64_e32 v[14:15], v[12:13]
	v_fma_f64 v[16:17], -v[12:13], v[14:15], 1.0
	v_fma_f64 v[14:15], v[14:15], v[16:17], v[14:15]
	v_fma_f64 v[16:17], -v[12:13], v[14:15], 1.0
	v_fma_f64 v[14:15], v[14:15], v[16:17], v[14:15]
	v_div_scale_f64 v[16:17], vcc_lo, 1.0, v[10:11], 1.0
	v_mul_f64 v[18:19], v[16:17], v[14:15]
	v_fma_f64 v[12:13], -v[12:13], v[18:19], v[16:17]
	v_div_fmas_f64 v[12:13], v[12:13], v[14:15], v[18:19]
	v_div_fixup_f64 v[10:11], v[12:13], v[10:11], 1.0
	ds_write_b64 v1, v[10:11]
.LBB127_139:
	s_or_b32 exec_lo, exec_lo, s1
	s_waitcnt lgkmcnt(0)
	s_barrier
	buffer_gl0_inv
	ds_read_b64 v[10:11], v1
	s_mov_b32 s1, exec_lo
	v_cmpx_lt_u32_e32 27, v0
	s_cbranch_execz .LBB127_141
; %bb.140:
	s_waitcnt lgkmcnt(0)
	v_mul_f64 v[164:165], v[10:11], v[164:165]
	ds_read2_b64 v[12:15], v84 offset0:28 offset1:29
	s_waitcnt lgkmcnt(0)
	v_fma_f64 v[208:209], -v[164:165], v[12:13], v[208:209]
	v_fma_f64 v[162:163], -v[164:165], v[14:15], v[162:163]
	ds_read2_b64 v[12:15], v84 offset0:30 offset1:31
	s_waitcnt lgkmcnt(0)
	v_fma_f64 v[206:207], -v[164:165], v[12:13], v[206:207]
	v_fma_f64 v[160:161], -v[164:165], v[14:15], v[160:161]
	;; [unrolled: 4-line block ×18, first 2 shown]
.LBB127_141:
	s_or_b32 exec_lo, exec_lo, s1
	s_mov_b32 s1, exec_lo
	s_waitcnt lgkmcnt(0)
	s_barrier
	buffer_gl0_inv
	v_cmpx_eq_u32_e32 28, v0
	s_cbranch_execz .LBB127_144
; %bb.142:
	ds_write_b64 v1, v[208:209]
	ds_write2_b64 v84, v[162:163], v[206:207] offset0:29 offset1:30
	ds_write2_b64 v84, v[160:161], v[204:205] offset0:31 offset1:32
	;; [unrolled: 1-line block ×17, first 2 shown]
	ds_write_b64 v84, v[6:7] offset:504
	ds_read_b64 v[12:13], v1
	s_waitcnt lgkmcnt(0)
	v_cmp_neq_f64_e32 vcc_lo, 0, v[12:13]
	s_and_b32 exec_lo, exec_lo, vcc_lo
	s_cbranch_execz .LBB127_144
; %bb.143:
	v_div_scale_f64 v[14:15], null, v[12:13], v[12:13], 1.0
	v_rcp_f64_e32 v[16:17], v[14:15]
	v_fma_f64 v[18:19], -v[14:15], v[16:17], 1.0
	v_fma_f64 v[16:17], v[16:17], v[18:19], v[16:17]
	v_fma_f64 v[18:19], -v[14:15], v[16:17], 1.0
	v_fma_f64 v[16:17], v[16:17], v[18:19], v[16:17]
	v_div_scale_f64 v[18:19], vcc_lo, 1.0, v[12:13], 1.0
	v_mul_f64 v[20:21], v[18:19], v[16:17]
	v_fma_f64 v[14:15], -v[14:15], v[20:21], v[18:19]
	v_div_fmas_f64 v[14:15], v[14:15], v[16:17], v[20:21]
	v_div_fixup_f64 v[12:13], v[14:15], v[12:13], 1.0
	ds_write_b64 v1, v[12:13]
.LBB127_144:
	s_or_b32 exec_lo, exec_lo, s1
	s_waitcnt lgkmcnt(0)
	s_barrier
	buffer_gl0_inv
	ds_read_b64 v[12:13], v1
	s_mov_b32 s1, exec_lo
	v_cmpx_lt_u32_e32 28, v0
	s_cbranch_execz .LBB127_146
; %bb.145:
	s_waitcnt lgkmcnt(0)
	v_mul_f64 v[208:209], v[12:13], v[208:209]
	ds_read2_b64 v[14:17], v84 offset0:29 offset1:30
	s_waitcnt lgkmcnt(0)
	v_fma_f64 v[162:163], -v[208:209], v[14:15], v[162:163]
	v_fma_f64 v[206:207], -v[208:209], v[16:17], v[206:207]
	ds_read2_b64 v[14:17], v84 offset0:31 offset1:32
	s_waitcnt lgkmcnt(0)
	v_fma_f64 v[160:161], -v[208:209], v[14:15], v[160:161]
	v_fma_f64 v[204:205], -v[208:209], v[16:17], v[204:205]
	;; [unrolled: 4-line block ×16, first 2 shown]
	ds_read2_b64 v[14:17], v84 offset0:61 offset1:62
	s_waitcnt lgkmcnt(0)
	v_fma_f64 v[130:131], -v[208:209], v[14:15], v[130:131]
	ds_read_b64 v[14:15], v84 offset:504
	v_fma_f64 v[174:175], -v[208:209], v[16:17], v[174:175]
	s_waitcnt lgkmcnt(0)
	v_fma_f64 v[6:7], -v[208:209], v[14:15], v[6:7]
.LBB127_146:
	s_or_b32 exec_lo, exec_lo, s1
	s_mov_b32 s1, exec_lo
	s_waitcnt lgkmcnt(0)
	s_barrier
	buffer_gl0_inv
	v_cmpx_eq_u32_e32 29, v0
	s_cbranch_execz .LBB127_149
; %bb.147:
	v_mov_b32_e32 v14, v206
	v_mov_b32_e32 v15, v207
	;; [unrolled: 1-line block ×4, first 2 shown]
	ds_write_b64 v1, v[162:163]
	ds_write2_b64 v84, v[14:15], v[16:17] offset0:30 offset1:31
	v_mov_b32_e32 v14, v204
	v_mov_b32_e32 v15, v205
	v_mov_b32_e32 v16, v158
	v_mov_b32_e32 v17, v159
	ds_write2_b64 v84, v[14:15], v[16:17] offset0:32 offset1:33
	v_mov_b32_e32 v14, v202
	v_mov_b32_e32 v15, v203
	v_mov_b32_e32 v16, v156
	v_mov_b32_e32 v17, v157
	ds_write2_b64 v84, v[14:15], v[16:17] offset0:34 offset1:35
	v_mov_b32_e32 v14, v200
	v_mov_b32_e32 v15, v201
	v_mov_b32_e32 v16, v154
	v_mov_b32_e32 v17, v155
	ds_write2_b64 v84, v[14:15], v[16:17] offset0:36 offset1:37
	v_mov_b32_e32 v14, v198
	v_mov_b32_e32 v15, v199
	v_mov_b32_e32 v16, v152
	v_mov_b32_e32 v17, v153
	ds_write2_b64 v84, v[14:15], v[16:17] offset0:38 offset1:39
	v_mov_b32_e32 v14, v196
	v_mov_b32_e32 v15, v197
	v_mov_b32_e32 v16, v150
	v_mov_b32_e32 v17, v151
	ds_write2_b64 v84, v[14:15], v[16:17] offset0:40 offset1:41
	v_mov_b32_e32 v14, v194
	v_mov_b32_e32 v15, v195
	v_mov_b32_e32 v16, v148
	v_mov_b32_e32 v17, v149
	ds_write2_b64 v84, v[14:15], v[16:17] offset0:42 offset1:43
	v_mov_b32_e32 v14, v192
	v_mov_b32_e32 v15, v193
	v_mov_b32_e32 v16, v146
	v_mov_b32_e32 v17, v147
	ds_write2_b64 v84, v[14:15], v[16:17] offset0:44 offset1:45
	v_mov_b32_e32 v14, v190
	v_mov_b32_e32 v15, v191
	v_mov_b32_e32 v16, v144
	v_mov_b32_e32 v17, v145
	ds_write2_b64 v84, v[14:15], v[16:17] offset0:46 offset1:47
	v_mov_b32_e32 v14, v188
	v_mov_b32_e32 v15, v189
	v_mov_b32_e32 v16, v142
	v_mov_b32_e32 v17, v143
	ds_write2_b64 v84, v[14:15], v[16:17] offset0:48 offset1:49
	v_mov_b32_e32 v14, v186
	v_mov_b32_e32 v15, v187
	v_mov_b32_e32 v16, v140
	v_mov_b32_e32 v17, v141
	ds_write2_b64 v84, v[14:15], v[16:17] offset0:50 offset1:51
	v_mov_b32_e32 v14, v184
	v_mov_b32_e32 v15, v185
	v_mov_b32_e32 v16, v138
	v_mov_b32_e32 v17, v139
	ds_write2_b64 v84, v[14:15], v[16:17] offset0:52 offset1:53
	v_mov_b32_e32 v14, v182
	v_mov_b32_e32 v15, v183
	v_mov_b32_e32 v16, v136
	v_mov_b32_e32 v17, v137
	ds_write2_b64 v84, v[14:15], v[16:17] offset0:54 offset1:55
	v_mov_b32_e32 v14, v180
	v_mov_b32_e32 v15, v181
	v_mov_b32_e32 v16, v134
	v_mov_b32_e32 v17, v135
	ds_write2_b64 v84, v[14:15], v[16:17] offset0:56 offset1:57
	v_mov_b32_e32 v14, v178
	v_mov_b32_e32 v15, v179
	v_mov_b32_e32 v16, v132
	v_mov_b32_e32 v17, v133
	ds_write2_b64 v84, v[14:15], v[16:17] offset0:58 offset1:59
	v_mov_b32_e32 v14, v176
	v_mov_b32_e32 v15, v177
	v_mov_b32_e32 v16, v130
	v_mov_b32_e32 v17, v131
	ds_write2_b64 v84, v[14:15], v[16:17] offset0:60 offset1:61
	v_mov_b32_e32 v14, v174
	v_mov_b32_e32 v15, v175
	ds_write2_b64 v84, v[14:15], v[6:7] offset0:62 offset1:63
	ds_read_b64 v[14:15], v1
	s_waitcnt lgkmcnt(0)
	v_cmp_neq_f64_e32 vcc_lo, 0, v[14:15]
	s_and_b32 exec_lo, exec_lo, vcc_lo
	s_cbranch_execz .LBB127_149
; %bb.148:
	v_div_scale_f64 v[16:17], null, v[14:15], v[14:15], 1.0
	v_rcp_f64_e32 v[18:19], v[16:17]
	v_fma_f64 v[20:21], -v[16:17], v[18:19], 1.0
	v_fma_f64 v[18:19], v[18:19], v[20:21], v[18:19]
	v_fma_f64 v[20:21], -v[16:17], v[18:19], 1.0
	v_fma_f64 v[18:19], v[18:19], v[20:21], v[18:19]
	v_div_scale_f64 v[20:21], vcc_lo, 1.0, v[14:15], 1.0
	v_mul_f64 v[22:23], v[20:21], v[18:19]
	v_fma_f64 v[16:17], -v[16:17], v[22:23], v[20:21]
	v_div_fmas_f64 v[16:17], v[16:17], v[18:19], v[22:23]
	v_div_fixup_f64 v[14:15], v[16:17], v[14:15], 1.0
	ds_write_b64 v1, v[14:15]
.LBB127_149:
	s_or_b32 exec_lo, exec_lo, s1
	s_waitcnt lgkmcnt(0)
	s_barrier
	buffer_gl0_inv
	ds_read_b64 v[14:15], v1
	s_mov_b32 s1, exec_lo
	v_cmpx_lt_u32_e32 29, v0
	s_cbranch_execz .LBB127_151
; %bb.150:
	s_waitcnt lgkmcnt(0)
	v_mul_f64 v[162:163], v[14:15], v[162:163]
	ds_read2_b64 v[16:19], v84 offset0:30 offset1:31
	s_waitcnt lgkmcnt(0)
	v_fma_f64 v[206:207], -v[162:163], v[16:17], v[206:207]
	v_fma_f64 v[160:161], -v[162:163], v[18:19], v[160:161]
	ds_read2_b64 v[16:19], v84 offset0:32 offset1:33
	s_waitcnt lgkmcnt(0)
	v_fma_f64 v[204:205], -v[162:163], v[16:17], v[204:205]
	v_fma_f64 v[158:159], -v[162:163], v[18:19], v[158:159]
	;; [unrolled: 4-line block ×17, first 2 shown]
.LBB127_151:
	s_or_b32 exec_lo, exec_lo, s1
	s_mov_b32 s1, exec_lo
	s_waitcnt lgkmcnt(0)
	s_barrier
	buffer_gl0_inv
	v_cmpx_eq_u32_e32 30, v0
	s_cbranch_execz .LBB127_154
; %bb.152:
	ds_write_b64 v1, v[206:207]
	ds_write2_b64 v84, v[160:161], v[204:205] offset0:31 offset1:32
	ds_write2_b64 v84, v[158:159], v[202:203] offset0:33 offset1:34
	;; [unrolled: 1-line block ×16, first 2 shown]
	ds_write_b64 v84, v[6:7] offset:504
	ds_read_b64 v[16:17], v1
	s_waitcnt lgkmcnt(0)
	v_cmp_neq_f64_e32 vcc_lo, 0, v[16:17]
	s_and_b32 exec_lo, exec_lo, vcc_lo
	s_cbranch_execz .LBB127_154
; %bb.153:
	v_div_scale_f64 v[18:19], null, v[16:17], v[16:17], 1.0
	v_rcp_f64_e32 v[20:21], v[18:19]
	v_fma_f64 v[22:23], -v[18:19], v[20:21], 1.0
	v_fma_f64 v[20:21], v[20:21], v[22:23], v[20:21]
	v_fma_f64 v[22:23], -v[18:19], v[20:21], 1.0
	v_fma_f64 v[20:21], v[20:21], v[22:23], v[20:21]
	v_div_scale_f64 v[22:23], vcc_lo, 1.0, v[16:17], 1.0
	v_mul_f64 v[24:25], v[22:23], v[20:21]
	v_fma_f64 v[18:19], -v[18:19], v[24:25], v[22:23]
	v_div_fmas_f64 v[18:19], v[18:19], v[20:21], v[24:25]
	v_div_fixup_f64 v[16:17], v[18:19], v[16:17], 1.0
	ds_write_b64 v1, v[16:17]
.LBB127_154:
	s_or_b32 exec_lo, exec_lo, s1
	s_waitcnt lgkmcnt(0)
	s_barrier
	buffer_gl0_inv
	ds_read_b64 v[16:17], v1
	s_mov_b32 s1, exec_lo
	v_cmpx_lt_u32_e32 30, v0
	s_cbranch_execz .LBB127_156
; %bb.155:
	s_waitcnt lgkmcnt(0)
	v_mul_f64 v[206:207], v[16:17], v[206:207]
	ds_read2_b64 v[18:21], v84 offset0:31 offset1:32
	s_waitcnt lgkmcnt(0)
	v_fma_f64 v[160:161], -v[206:207], v[18:19], v[160:161]
	v_fma_f64 v[204:205], -v[206:207], v[20:21], v[204:205]
	ds_read2_b64 v[18:21], v84 offset0:33 offset1:34
	s_waitcnt lgkmcnt(0)
	v_fma_f64 v[158:159], -v[206:207], v[18:19], v[158:159]
	v_fma_f64 v[202:203], -v[206:207], v[20:21], v[202:203]
	;; [unrolled: 4-line block ×15, first 2 shown]
	ds_read2_b64 v[18:21], v84 offset0:61 offset1:62
	s_waitcnt lgkmcnt(0)
	v_fma_f64 v[130:131], -v[206:207], v[18:19], v[130:131]
	ds_read_b64 v[18:19], v84 offset:504
	v_fma_f64 v[174:175], -v[206:207], v[20:21], v[174:175]
	s_waitcnt lgkmcnt(0)
	v_fma_f64 v[6:7], -v[206:207], v[18:19], v[6:7]
.LBB127_156:
	s_or_b32 exec_lo, exec_lo, s1
	s_mov_b32 s1, exec_lo
	s_waitcnt lgkmcnt(0)
	s_barrier
	buffer_gl0_inv
	v_cmpx_eq_u32_e32 31, v0
	s_cbranch_execz .LBB127_159
; %bb.157:
	v_mov_b32_e32 v18, v204
	v_mov_b32_e32 v19, v205
	;; [unrolled: 1-line block ×4, first 2 shown]
	ds_write_b64 v1, v[160:161]
	ds_write2_b64 v84, v[18:19], v[20:21] offset0:32 offset1:33
	v_mov_b32_e32 v18, v202
	v_mov_b32_e32 v19, v203
	v_mov_b32_e32 v20, v156
	v_mov_b32_e32 v21, v157
	ds_write2_b64 v84, v[18:19], v[20:21] offset0:34 offset1:35
	v_mov_b32_e32 v18, v200
	v_mov_b32_e32 v19, v201
	v_mov_b32_e32 v20, v154
	v_mov_b32_e32 v21, v155
	;; [unrolled: 5-line block ×14, first 2 shown]
	ds_write2_b64 v84, v[18:19], v[20:21] offset0:60 offset1:61
	v_mov_b32_e32 v18, v174
	v_mov_b32_e32 v19, v175
	ds_write2_b64 v84, v[18:19], v[6:7] offset0:62 offset1:63
	ds_read_b64 v[18:19], v1
	s_waitcnt lgkmcnt(0)
	v_cmp_neq_f64_e32 vcc_lo, 0, v[18:19]
	s_and_b32 exec_lo, exec_lo, vcc_lo
	s_cbranch_execz .LBB127_159
; %bb.158:
	v_div_scale_f64 v[20:21], null, v[18:19], v[18:19], 1.0
	v_rcp_f64_e32 v[22:23], v[20:21]
	v_fma_f64 v[24:25], -v[20:21], v[22:23], 1.0
	v_fma_f64 v[22:23], v[22:23], v[24:25], v[22:23]
	v_fma_f64 v[24:25], -v[20:21], v[22:23], 1.0
	v_fma_f64 v[22:23], v[22:23], v[24:25], v[22:23]
	v_div_scale_f64 v[24:25], vcc_lo, 1.0, v[18:19], 1.0
	v_mul_f64 v[26:27], v[24:25], v[22:23]
	v_fma_f64 v[20:21], -v[20:21], v[26:27], v[24:25]
	v_div_fmas_f64 v[20:21], v[20:21], v[22:23], v[26:27]
	v_div_fixup_f64 v[18:19], v[20:21], v[18:19], 1.0
	ds_write_b64 v1, v[18:19]
.LBB127_159:
	s_or_b32 exec_lo, exec_lo, s1
	s_waitcnt lgkmcnt(0)
	s_barrier
	buffer_gl0_inv
	ds_read_b64 v[18:19], v1
	s_mov_b32 s1, exec_lo
	v_cmpx_lt_u32_e32 31, v0
	s_cbranch_execz .LBB127_161
; %bb.160:
	s_waitcnt lgkmcnt(0)
	v_mul_f64 v[160:161], v[18:19], v[160:161]
	ds_read2_b64 v[20:23], v84 offset0:32 offset1:33
	s_waitcnt lgkmcnt(0)
	v_fma_f64 v[204:205], -v[160:161], v[20:21], v[204:205]
	v_fma_f64 v[158:159], -v[160:161], v[22:23], v[158:159]
	ds_read2_b64 v[20:23], v84 offset0:34 offset1:35
	s_waitcnt lgkmcnt(0)
	v_fma_f64 v[202:203], -v[160:161], v[20:21], v[202:203]
	v_fma_f64 v[156:157], -v[160:161], v[22:23], v[156:157]
	;; [unrolled: 4-line block ×16, first 2 shown]
.LBB127_161:
	s_or_b32 exec_lo, exec_lo, s1
	s_mov_b32 s1, exec_lo
	s_waitcnt lgkmcnt(0)
	s_barrier
	buffer_gl0_inv
	v_cmpx_eq_u32_e32 32, v0
	s_cbranch_execz .LBB127_164
; %bb.162:
	ds_write_b64 v1, v[204:205]
	ds_write2_b64 v84, v[158:159], v[202:203] offset0:33 offset1:34
	ds_write2_b64 v84, v[156:157], v[200:201] offset0:35 offset1:36
	;; [unrolled: 1-line block ×15, first 2 shown]
	ds_write_b64 v84, v[6:7] offset:504
	ds_read_b64 v[20:21], v1
	s_waitcnt lgkmcnt(0)
	v_cmp_neq_f64_e32 vcc_lo, 0, v[20:21]
	s_and_b32 exec_lo, exec_lo, vcc_lo
	s_cbranch_execz .LBB127_164
; %bb.163:
	v_div_scale_f64 v[22:23], null, v[20:21], v[20:21], 1.0
	v_rcp_f64_e32 v[24:25], v[22:23]
	v_fma_f64 v[26:27], -v[22:23], v[24:25], 1.0
	v_fma_f64 v[24:25], v[24:25], v[26:27], v[24:25]
	v_fma_f64 v[26:27], -v[22:23], v[24:25], 1.0
	v_fma_f64 v[24:25], v[24:25], v[26:27], v[24:25]
	v_div_scale_f64 v[26:27], vcc_lo, 1.0, v[20:21], 1.0
	v_mul_f64 v[28:29], v[26:27], v[24:25]
	v_fma_f64 v[22:23], -v[22:23], v[28:29], v[26:27]
	v_div_fmas_f64 v[22:23], v[22:23], v[24:25], v[28:29]
	v_div_fixup_f64 v[20:21], v[22:23], v[20:21], 1.0
	ds_write_b64 v1, v[20:21]
.LBB127_164:
	s_or_b32 exec_lo, exec_lo, s1
	s_waitcnt lgkmcnt(0)
	s_barrier
	buffer_gl0_inv
	ds_read_b64 v[20:21], v1
	s_mov_b32 s1, exec_lo
	v_cmpx_lt_u32_e32 32, v0
	s_cbranch_execz .LBB127_166
; %bb.165:
	s_waitcnt lgkmcnt(0)
	v_mul_f64 v[204:205], v[20:21], v[204:205]
	ds_read2_b64 v[22:25], v84 offset0:33 offset1:34
	s_waitcnt lgkmcnt(0)
	v_fma_f64 v[158:159], -v[204:205], v[22:23], v[158:159]
	v_fma_f64 v[202:203], -v[204:205], v[24:25], v[202:203]
	ds_read2_b64 v[22:25], v84 offset0:35 offset1:36
	s_waitcnt lgkmcnt(0)
	v_fma_f64 v[156:157], -v[204:205], v[22:23], v[156:157]
	v_fma_f64 v[200:201], -v[204:205], v[24:25], v[200:201]
	;; [unrolled: 4-line block ×14, first 2 shown]
	ds_read2_b64 v[22:25], v84 offset0:61 offset1:62
	s_waitcnt lgkmcnt(0)
	v_fma_f64 v[130:131], -v[204:205], v[22:23], v[130:131]
	ds_read_b64 v[22:23], v84 offset:504
	v_fma_f64 v[174:175], -v[204:205], v[24:25], v[174:175]
	s_waitcnt lgkmcnt(0)
	v_fma_f64 v[6:7], -v[204:205], v[22:23], v[6:7]
.LBB127_166:
	s_or_b32 exec_lo, exec_lo, s1
	s_mov_b32 s1, exec_lo
	s_waitcnt lgkmcnt(0)
	s_barrier
	buffer_gl0_inv
	v_cmpx_eq_u32_e32 33, v0
	s_cbranch_execz .LBB127_169
; %bb.167:
	v_mov_b32_e32 v22, v202
	v_mov_b32_e32 v23, v203
	;; [unrolled: 1-line block ×4, first 2 shown]
	ds_write_b64 v1, v[158:159]
	ds_write2_b64 v84, v[22:23], v[24:25] offset0:34 offset1:35
	v_mov_b32_e32 v22, v200
	v_mov_b32_e32 v23, v201
	v_mov_b32_e32 v24, v154
	v_mov_b32_e32 v25, v155
	ds_write2_b64 v84, v[22:23], v[24:25] offset0:36 offset1:37
	v_mov_b32_e32 v22, v198
	v_mov_b32_e32 v23, v199
	v_mov_b32_e32 v24, v152
	v_mov_b32_e32 v25, v153
	;; [unrolled: 5-line block ×13, first 2 shown]
	ds_write2_b64 v84, v[22:23], v[24:25] offset0:60 offset1:61
	v_mov_b32_e32 v22, v174
	v_mov_b32_e32 v23, v175
	ds_write2_b64 v84, v[22:23], v[6:7] offset0:62 offset1:63
	ds_read_b64 v[22:23], v1
	s_waitcnt lgkmcnt(0)
	v_cmp_neq_f64_e32 vcc_lo, 0, v[22:23]
	s_and_b32 exec_lo, exec_lo, vcc_lo
	s_cbranch_execz .LBB127_169
; %bb.168:
	v_div_scale_f64 v[24:25], null, v[22:23], v[22:23], 1.0
	v_rcp_f64_e32 v[26:27], v[24:25]
	v_fma_f64 v[28:29], -v[24:25], v[26:27], 1.0
	v_fma_f64 v[26:27], v[26:27], v[28:29], v[26:27]
	v_fma_f64 v[28:29], -v[24:25], v[26:27], 1.0
	v_fma_f64 v[26:27], v[26:27], v[28:29], v[26:27]
	v_div_scale_f64 v[28:29], vcc_lo, 1.0, v[22:23], 1.0
	v_mul_f64 v[30:31], v[28:29], v[26:27]
	v_fma_f64 v[24:25], -v[24:25], v[30:31], v[28:29]
	v_div_fmas_f64 v[24:25], v[24:25], v[26:27], v[30:31]
	v_div_fixup_f64 v[22:23], v[24:25], v[22:23], 1.0
	ds_write_b64 v1, v[22:23]
.LBB127_169:
	s_or_b32 exec_lo, exec_lo, s1
	s_waitcnt lgkmcnt(0)
	s_barrier
	buffer_gl0_inv
	ds_read_b64 v[22:23], v1
	s_mov_b32 s1, exec_lo
	v_cmpx_lt_u32_e32 33, v0
	s_cbranch_execz .LBB127_171
; %bb.170:
	s_waitcnt lgkmcnt(0)
	v_mul_f64 v[158:159], v[22:23], v[158:159]
	ds_read2_b64 v[24:27], v84 offset0:34 offset1:35
	s_waitcnt lgkmcnt(0)
	v_fma_f64 v[202:203], -v[158:159], v[24:25], v[202:203]
	v_fma_f64 v[156:157], -v[158:159], v[26:27], v[156:157]
	ds_read2_b64 v[24:27], v84 offset0:36 offset1:37
	s_waitcnt lgkmcnt(0)
	v_fma_f64 v[200:201], -v[158:159], v[24:25], v[200:201]
	v_fma_f64 v[154:155], -v[158:159], v[26:27], v[154:155]
	ds_read2_b64 v[24:27], v84 offset0:38 offset1:39
	s_waitcnt lgkmcnt(0)
	v_fma_f64 v[198:199], -v[158:159], v[24:25], v[198:199]
	v_fma_f64 v[152:153], -v[158:159], v[26:27], v[152:153]
	ds_read2_b64 v[24:27], v84 offset0:40 offset1:41
	s_waitcnt lgkmcnt(0)
	v_fma_f64 v[196:197], -v[158:159], v[24:25], v[196:197]
	v_fma_f64 v[150:151], -v[158:159], v[26:27], v[150:151]
	ds_read2_b64 v[24:27], v84 offset0:42 offset1:43
	s_waitcnt lgkmcnt(0)
	v_fma_f64 v[194:195], -v[158:159], v[24:25], v[194:195]
	v_fma_f64 v[148:149], -v[158:159], v[26:27], v[148:149]
	ds_read2_b64 v[24:27], v84 offset0:44 offset1:45
	s_waitcnt lgkmcnt(0)
	v_fma_f64 v[192:193], -v[158:159], v[24:25], v[192:193]
	v_fma_f64 v[146:147], -v[158:159], v[26:27], v[146:147]
	ds_read2_b64 v[24:27], v84 offset0:46 offset1:47
	s_waitcnt lgkmcnt(0)
	v_fma_f64 v[190:191], -v[158:159], v[24:25], v[190:191]
	v_fma_f64 v[144:145], -v[158:159], v[26:27], v[144:145]
	ds_read2_b64 v[24:27], v84 offset0:48 offset1:49
	s_waitcnt lgkmcnt(0)
	v_fma_f64 v[188:189], -v[158:159], v[24:25], v[188:189]
	v_fma_f64 v[142:143], -v[158:159], v[26:27], v[142:143]
	ds_read2_b64 v[24:27], v84 offset0:50 offset1:51
	s_waitcnt lgkmcnt(0)
	v_fma_f64 v[186:187], -v[158:159], v[24:25], v[186:187]
	v_fma_f64 v[140:141], -v[158:159], v[26:27], v[140:141]
	ds_read2_b64 v[24:27], v84 offset0:52 offset1:53
	s_waitcnt lgkmcnt(0)
	v_fma_f64 v[184:185], -v[158:159], v[24:25], v[184:185]
	v_fma_f64 v[138:139], -v[158:159], v[26:27], v[138:139]
	ds_read2_b64 v[24:27], v84 offset0:54 offset1:55
	s_waitcnt lgkmcnt(0)
	v_fma_f64 v[182:183], -v[158:159], v[24:25], v[182:183]
	v_fma_f64 v[136:137], -v[158:159], v[26:27], v[136:137]
	ds_read2_b64 v[24:27], v84 offset0:56 offset1:57
	s_waitcnt lgkmcnt(0)
	v_fma_f64 v[180:181], -v[158:159], v[24:25], v[180:181]
	v_fma_f64 v[134:135], -v[158:159], v[26:27], v[134:135]
	ds_read2_b64 v[24:27], v84 offset0:58 offset1:59
	s_waitcnt lgkmcnt(0)
	v_fma_f64 v[178:179], -v[158:159], v[24:25], v[178:179]
	v_fma_f64 v[132:133], -v[158:159], v[26:27], v[132:133]
	ds_read2_b64 v[24:27], v84 offset0:60 offset1:61
	s_waitcnt lgkmcnt(0)
	v_fma_f64 v[176:177], -v[158:159], v[24:25], v[176:177]
	v_fma_f64 v[130:131], -v[158:159], v[26:27], v[130:131]
	ds_read2_b64 v[24:27], v84 offset0:62 offset1:63
	s_waitcnt lgkmcnt(0)
	v_fma_f64 v[174:175], -v[158:159], v[24:25], v[174:175]
	v_fma_f64 v[6:7], -v[158:159], v[26:27], v[6:7]
.LBB127_171:
	s_or_b32 exec_lo, exec_lo, s1
	s_mov_b32 s1, exec_lo
	s_waitcnt lgkmcnt(0)
	s_barrier
	buffer_gl0_inv
	v_cmpx_eq_u32_e32 34, v0
	s_cbranch_execz .LBB127_174
; %bb.172:
	ds_write_b64 v1, v[202:203]
	ds_write2_b64 v84, v[156:157], v[200:201] offset0:35 offset1:36
	ds_write2_b64 v84, v[154:155], v[198:199] offset0:37 offset1:38
	;; [unrolled: 1-line block ×14, first 2 shown]
	ds_write_b64 v84, v[6:7] offset:504
	ds_read_b64 v[24:25], v1
	s_waitcnt lgkmcnt(0)
	v_cmp_neq_f64_e32 vcc_lo, 0, v[24:25]
	s_and_b32 exec_lo, exec_lo, vcc_lo
	s_cbranch_execz .LBB127_174
; %bb.173:
	v_div_scale_f64 v[26:27], null, v[24:25], v[24:25], 1.0
	v_rcp_f64_e32 v[28:29], v[26:27]
	v_fma_f64 v[30:31], -v[26:27], v[28:29], 1.0
	v_fma_f64 v[28:29], v[28:29], v[30:31], v[28:29]
	v_fma_f64 v[30:31], -v[26:27], v[28:29], 1.0
	v_fma_f64 v[28:29], v[28:29], v[30:31], v[28:29]
	v_div_scale_f64 v[30:31], vcc_lo, 1.0, v[24:25], 1.0
	v_mul_f64 v[32:33], v[30:31], v[28:29]
	v_fma_f64 v[26:27], -v[26:27], v[32:33], v[30:31]
	v_div_fmas_f64 v[26:27], v[26:27], v[28:29], v[32:33]
	v_div_fixup_f64 v[24:25], v[26:27], v[24:25], 1.0
	ds_write_b64 v1, v[24:25]
.LBB127_174:
	s_or_b32 exec_lo, exec_lo, s1
	s_waitcnt lgkmcnt(0)
	s_barrier
	buffer_gl0_inv
	ds_read_b64 v[24:25], v1
	s_mov_b32 s1, exec_lo
	v_cmpx_lt_u32_e32 34, v0
	s_cbranch_execz .LBB127_176
; %bb.175:
	s_waitcnt lgkmcnt(0)
	v_mul_f64 v[202:203], v[24:25], v[202:203]
	ds_read2_b64 v[26:29], v84 offset0:35 offset1:36
	s_waitcnt lgkmcnt(0)
	v_fma_f64 v[156:157], -v[202:203], v[26:27], v[156:157]
	v_fma_f64 v[200:201], -v[202:203], v[28:29], v[200:201]
	ds_read2_b64 v[26:29], v84 offset0:37 offset1:38
	s_waitcnt lgkmcnt(0)
	v_fma_f64 v[154:155], -v[202:203], v[26:27], v[154:155]
	v_fma_f64 v[198:199], -v[202:203], v[28:29], v[198:199]
	;; [unrolled: 4-line block ×13, first 2 shown]
	ds_read2_b64 v[26:29], v84 offset0:61 offset1:62
	s_waitcnt lgkmcnt(0)
	v_fma_f64 v[130:131], -v[202:203], v[26:27], v[130:131]
	ds_read_b64 v[26:27], v84 offset:504
	v_fma_f64 v[174:175], -v[202:203], v[28:29], v[174:175]
	s_waitcnt lgkmcnt(0)
	v_fma_f64 v[6:7], -v[202:203], v[26:27], v[6:7]
.LBB127_176:
	s_or_b32 exec_lo, exec_lo, s1
	s_mov_b32 s1, exec_lo
	s_waitcnt lgkmcnt(0)
	s_barrier
	buffer_gl0_inv
	v_cmpx_eq_u32_e32 35, v0
	s_cbranch_execz .LBB127_179
; %bb.177:
	v_mov_b32_e32 v26, v200
	v_mov_b32_e32 v27, v201
	;; [unrolled: 1-line block ×4, first 2 shown]
	ds_write_b64 v1, v[156:157]
	ds_write2_b64 v84, v[26:27], v[28:29] offset0:36 offset1:37
	v_mov_b32_e32 v26, v198
	v_mov_b32_e32 v27, v199
	v_mov_b32_e32 v28, v152
	v_mov_b32_e32 v29, v153
	ds_write2_b64 v84, v[26:27], v[28:29] offset0:38 offset1:39
	v_mov_b32_e32 v26, v196
	v_mov_b32_e32 v27, v197
	v_mov_b32_e32 v28, v150
	v_mov_b32_e32 v29, v151
	;; [unrolled: 5-line block ×12, first 2 shown]
	ds_write2_b64 v84, v[26:27], v[28:29] offset0:60 offset1:61
	v_mov_b32_e32 v26, v174
	v_mov_b32_e32 v27, v175
	ds_write2_b64 v84, v[26:27], v[6:7] offset0:62 offset1:63
	ds_read_b64 v[26:27], v1
	s_waitcnt lgkmcnt(0)
	v_cmp_neq_f64_e32 vcc_lo, 0, v[26:27]
	s_and_b32 exec_lo, exec_lo, vcc_lo
	s_cbranch_execz .LBB127_179
; %bb.178:
	v_div_scale_f64 v[28:29], null, v[26:27], v[26:27], 1.0
	v_rcp_f64_e32 v[30:31], v[28:29]
	v_fma_f64 v[32:33], -v[28:29], v[30:31], 1.0
	v_fma_f64 v[30:31], v[30:31], v[32:33], v[30:31]
	v_fma_f64 v[32:33], -v[28:29], v[30:31], 1.0
	v_fma_f64 v[30:31], v[30:31], v[32:33], v[30:31]
	v_div_scale_f64 v[32:33], vcc_lo, 1.0, v[26:27], 1.0
	v_mul_f64 v[34:35], v[32:33], v[30:31]
	v_fma_f64 v[28:29], -v[28:29], v[34:35], v[32:33]
	v_div_fmas_f64 v[28:29], v[28:29], v[30:31], v[34:35]
	v_div_fixup_f64 v[26:27], v[28:29], v[26:27], 1.0
	ds_write_b64 v1, v[26:27]
.LBB127_179:
	s_or_b32 exec_lo, exec_lo, s1
	s_waitcnt lgkmcnt(0)
	s_barrier
	buffer_gl0_inv
	ds_read_b64 v[26:27], v1
	s_mov_b32 s1, exec_lo
	v_cmpx_lt_u32_e32 35, v0
	s_cbranch_execz .LBB127_181
; %bb.180:
	s_waitcnt lgkmcnt(0)
	v_mul_f64 v[156:157], v[26:27], v[156:157]
	ds_read2_b64 v[28:31], v84 offset0:36 offset1:37
	s_waitcnt lgkmcnt(0)
	v_fma_f64 v[200:201], -v[156:157], v[28:29], v[200:201]
	v_fma_f64 v[154:155], -v[156:157], v[30:31], v[154:155]
	ds_read2_b64 v[28:31], v84 offset0:38 offset1:39
	s_waitcnt lgkmcnt(0)
	v_fma_f64 v[198:199], -v[156:157], v[28:29], v[198:199]
	v_fma_f64 v[152:153], -v[156:157], v[30:31], v[152:153]
	;; [unrolled: 4-line block ×14, first 2 shown]
.LBB127_181:
	s_or_b32 exec_lo, exec_lo, s1
	s_mov_b32 s1, exec_lo
	s_waitcnt lgkmcnt(0)
	s_barrier
	buffer_gl0_inv
	v_cmpx_eq_u32_e32 36, v0
	s_cbranch_execz .LBB127_184
; %bb.182:
	ds_write_b64 v1, v[200:201]
	ds_write2_b64 v84, v[154:155], v[198:199] offset0:37 offset1:38
	ds_write2_b64 v84, v[152:153], v[196:197] offset0:39 offset1:40
	;; [unrolled: 1-line block ×13, first 2 shown]
	ds_write_b64 v84, v[6:7] offset:504
	ds_read_b64 v[28:29], v1
	s_waitcnt lgkmcnt(0)
	v_cmp_neq_f64_e32 vcc_lo, 0, v[28:29]
	s_and_b32 exec_lo, exec_lo, vcc_lo
	s_cbranch_execz .LBB127_184
; %bb.183:
	v_div_scale_f64 v[30:31], null, v[28:29], v[28:29], 1.0
	v_rcp_f64_e32 v[32:33], v[30:31]
	v_fma_f64 v[34:35], -v[30:31], v[32:33], 1.0
	v_fma_f64 v[32:33], v[32:33], v[34:35], v[32:33]
	v_fma_f64 v[34:35], -v[30:31], v[32:33], 1.0
	v_fma_f64 v[32:33], v[32:33], v[34:35], v[32:33]
	v_div_scale_f64 v[34:35], vcc_lo, 1.0, v[28:29], 1.0
	v_mul_f64 v[36:37], v[34:35], v[32:33]
	v_fma_f64 v[30:31], -v[30:31], v[36:37], v[34:35]
	v_div_fmas_f64 v[30:31], v[30:31], v[32:33], v[36:37]
	v_div_fixup_f64 v[28:29], v[30:31], v[28:29], 1.0
	ds_write_b64 v1, v[28:29]
.LBB127_184:
	s_or_b32 exec_lo, exec_lo, s1
	s_waitcnt lgkmcnt(0)
	s_barrier
	buffer_gl0_inv
	ds_read_b64 v[28:29], v1
	s_mov_b32 s1, exec_lo
	v_cmpx_lt_u32_e32 36, v0
	s_cbranch_execz .LBB127_186
; %bb.185:
	s_waitcnt lgkmcnt(0)
	v_mul_f64 v[200:201], v[28:29], v[200:201]
	ds_read2_b64 v[30:33], v84 offset0:37 offset1:38
	s_waitcnt lgkmcnt(0)
	v_fma_f64 v[154:155], -v[200:201], v[30:31], v[154:155]
	v_fma_f64 v[198:199], -v[200:201], v[32:33], v[198:199]
	ds_read2_b64 v[30:33], v84 offset0:39 offset1:40
	s_waitcnt lgkmcnt(0)
	v_fma_f64 v[152:153], -v[200:201], v[30:31], v[152:153]
	v_fma_f64 v[196:197], -v[200:201], v[32:33], v[196:197]
	;; [unrolled: 4-line block ×12, first 2 shown]
	ds_read2_b64 v[30:33], v84 offset0:61 offset1:62
	s_waitcnt lgkmcnt(0)
	v_fma_f64 v[130:131], -v[200:201], v[30:31], v[130:131]
	ds_read_b64 v[30:31], v84 offset:504
	v_fma_f64 v[174:175], -v[200:201], v[32:33], v[174:175]
	s_waitcnt lgkmcnt(0)
	v_fma_f64 v[6:7], -v[200:201], v[30:31], v[6:7]
.LBB127_186:
	s_or_b32 exec_lo, exec_lo, s1
	s_mov_b32 s1, exec_lo
	s_waitcnt lgkmcnt(0)
	s_barrier
	buffer_gl0_inv
	v_cmpx_eq_u32_e32 37, v0
	s_cbranch_execz .LBB127_189
; %bb.187:
	v_mov_b32_e32 v30, v198
	v_mov_b32_e32 v31, v199
	;; [unrolled: 1-line block ×4, first 2 shown]
	ds_write_b64 v1, v[154:155]
	ds_write2_b64 v84, v[30:31], v[32:33] offset0:38 offset1:39
	v_mov_b32_e32 v30, v196
	v_mov_b32_e32 v31, v197
	v_mov_b32_e32 v32, v150
	v_mov_b32_e32 v33, v151
	ds_write2_b64 v84, v[30:31], v[32:33] offset0:40 offset1:41
	v_mov_b32_e32 v30, v194
	v_mov_b32_e32 v31, v195
	v_mov_b32_e32 v32, v148
	v_mov_b32_e32 v33, v149
	ds_write2_b64 v84, v[30:31], v[32:33] offset0:42 offset1:43
	v_mov_b32_e32 v30, v192
	v_mov_b32_e32 v31, v193
	v_mov_b32_e32 v32, v146
	v_mov_b32_e32 v33, v147
	ds_write2_b64 v84, v[30:31], v[32:33] offset0:44 offset1:45
	v_mov_b32_e32 v30, v190
	v_mov_b32_e32 v31, v191
	v_mov_b32_e32 v32, v144
	v_mov_b32_e32 v33, v145
	ds_write2_b64 v84, v[30:31], v[32:33] offset0:46 offset1:47
	v_mov_b32_e32 v30, v188
	v_mov_b32_e32 v31, v189
	v_mov_b32_e32 v32, v142
	v_mov_b32_e32 v33, v143
	ds_write2_b64 v84, v[30:31], v[32:33] offset0:48 offset1:49
	v_mov_b32_e32 v30, v186
	v_mov_b32_e32 v31, v187
	v_mov_b32_e32 v32, v140
	v_mov_b32_e32 v33, v141
	ds_write2_b64 v84, v[30:31], v[32:33] offset0:50 offset1:51
	v_mov_b32_e32 v30, v184
	v_mov_b32_e32 v31, v185
	v_mov_b32_e32 v32, v138
	v_mov_b32_e32 v33, v139
	ds_write2_b64 v84, v[30:31], v[32:33] offset0:52 offset1:53
	v_mov_b32_e32 v30, v182
	v_mov_b32_e32 v31, v183
	v_mov_b32_e32 v32, v136
	v_mov_b32_e32 v33, v137
	ds_write2_b64 v84, v[30:31], v[32:33] offset0:54 offset1:55
	v_mov_b32_e32 v30, v180
	v_mov_b32_e32 v31, v181
	v_mov_b32_e32 v32, v134
	v_mov_b32_e32 v33, v135
	ds_write2_b64 v84, v[30:31], v[32:33] offset0:56 offset1:57
	v_mov_b32_e32 v30, v178
	v_mov_b32_e32 v31, v179
	v_mov_b32_e32 v32, v132
	v_mov_b32_e32 v33, v133
	ds_write2_b64 v84, v[30:31], v[32:33] offset0:58 offset1:59
	v_mov_b32_e32 v30, v176
	v_mov_b32_e32 v31, v177
	v_mov_b32_e32 v32, v130
	v_mov_b32_e32 v33, v131
	ds_write2_b64 v84, v[30:31], v[32:33] offset0:60 offset1:61
	v_mov_b32_e32 v30, v174
	v_mov_b32_e32 v31, v175
	ds_write2_b64 v84, v[30:31], v[6:7] offset0:62 offset1:63
	ds_read_b64 v[30:31], v1
	s_waitcnt lgkmcnt(0)
	v_cmp_neq_f64_e32 vcc_lo, 0, v[30:31]
	s_and_b32 exec_lo, exec_lo, vcc_lo
	s_cbranch_execz .LBB127_189
; %bb.188:
	v_div_scale_f64 v[32:33], null, v[30:31], v[30:31], 1.0
	v_rcp_f64_e32 v[34:35], v[32:33]
	v_fma_f64 v[36:37], -v[32:33], v[34:35], 1.0
	v_fma_f64 v[34:35], v[34:35], v[36:37], v[34:35]
	v_fma_f64 v[36:37], -v[32:33], v[34:35], 1.0
	v_fma_f64 v[34:35], v[34:35], v[36:37], v[34:35]
	v_div_scale_f64 v[36:37], vcc_lo, 1.0, v[30:31], 1.0
	v_mul_f64 v[38:39], v[36:37], v[34:35]
	v_fma_f64 v[32:33], -v[32:33], v[38:39], v[36:37]
	v_div_fmas_f64 v[32:33], v[32:33], v[34:35], v[38:39]
	v_div_fixup_f64 v[30:31], v[32:33], v[30:31], 1.0
	ds_write_b64 v1, v[30:31]
.LBB127_189:
	s_or_b32 exec_lo, exec_lo, s1
	s_waitcnt lgkmcnt(0)
	s_barrier
	buffer_gl0_inv
	ds_read_b64 v[30:31], v1
	s_mov_b32 s1, exec_lo
	v_cmpx_lt_u32_e32 37, v0
	s_cbranch_execz .LBB127_191
; %bb.190:
	s_waitcnt lgkmcnt(0)
	v_mul_f64 v[154:155], v[30:31], v[154:155]
	ds_read2_b64 v[32:35], v84 offset0:38 offset1:39
	s_waitcnt lgkmcnt(0)
	v_fma_f64 v[198:199], -v[154:155], v[32:33], v[198:199]
	v_fma_f64 v[152:153], -v[154:155], v[34:35], v[152:153]
	ds_read2_b64 v[32:35], v84 offset0:40 offset1:41
	s_waitcnt lgkmcnt(0)
	v_fma_f64 v[196:197], -v[154:155], v[32:33], v[196:197]
	v_fma_f64 v[150:151], -v[154:155], v[34:35], v[150:151]
	;; [unrolled: 4-line block ×13, first 2 shown]
.LBB127_191:
	s_or_b32 exec_lo, exec_lo, s1
	s_mov_b32 s1, exec_lo
	s_waitcnt lgkmcnt(0)
	s_barrier
	buffer_gl0_inv
	v_cmpx_eq_u32_e32 38, v0
	s_cbranch_execz .LBB127_194
; %bb.192:
	ds_write_b64 v1, v[198:199]
	ds_write2_b64 v84, v[152:153], v[196:197] offset0:39 offset1:40
	ds_write2_b64 v84, v[150:151], v[194:195] offset0:41 offset1:42
	;; [unrolled: 1-line block ×12, first 2 shown]
	ds_write_b64 v84, v[6:7] offset:504
	ds_read_b64 v[32:33], v1
	s_waitcnt lgkmcnt(0)
	v_cmp_neq_f64_e32 vcc_lo, 0, v[32:33]
	s_and_b32 exec_lo, exec_lo, vcc_lo
	s_cbranch_execz .LBB127_194
; %bb.193:
	v_div_scale_f64 v[34:35], null, v[32:33], v[32:33], 1.0
	v_rcp_f64_e32 v[36:37], v[34:35]
	v_fma_f64 v[38:39], -v[34:35], v[36:37], 1.0
	v_fma_f64 v[36:37], v[36:37], v[38:39], v[36:37]
	v_fma_f64 v[38:39], -v[34:35], v[36:37], 1.0
	v_fma_f64 v[36:37], v[36:37], v[38:39], v[36:37]
	v_div_scale_f64 v[38:39], vcc_lo, 1.0, v[32:33], 1.0
	v_mul_f64 v[40:41], v[38:39], v[36:37]
	v_fma_f64 v[34:35], -v[34:35], v[40:41], v[38:39]
	v_div_fmas_f64 v[34:35], v[34:35], v[36:37], v[40:41]
	v_div_fixup_f64 v[32:33], v[34:35], v[32:33], 1.0
	ds_write_b64 v1, v[32:33]
.LBB127_194:
	s_or_b32 exec_lo, exec_lo, s1
	s_waitcnt lgkmcnt(0)
	s_barrier
	buffer_gl0_inv
	ds_read_b64 v[32:33], v1
	s_mov_b32 s1, exec_lo
	v_cmpx_lt_u32_e32 38, v0
	s_cbranch_execz .LBB127_196
; %bb.195:
	s_waitcnt lgkmcnt(0)
	v_mul_f64 v[198:199], v[32:33], v[198:199]
	ds_read2_b64 v[34:37], v84 offset0:39 offset1:40
	s_waitcnt lgkmcnt(0)
	v_fma_f64 v[152:153], -v[198:199], v[34:35], v[152:153]
	v_fma_f64 v[196:197], -v[198:199], v[36:37], v[196:197]
	ds_read2_b64 v[34:37], v84 offset0:41 offset1:42
	s_waitcnt lgkmcnt(0)
	v_fma_f64 v[150:151], -v[198:199], v[34:35], v[150:151]
	v_fma_f64 v[194:195], -v[198:199], v[36:37], v[194:195]
	;; [unrolled: 4-line block ×11, first 2 shown]
	ds_read2_b64 v[34:37], v84 offset0:61 offset1:62
	s_waitcnt lgkmcnt(0)
	v_fma_f64 v[130:131], -v[198:199], v[34:35], v[130:131]
	ds_read_b64 v[34:35], v84 offset:504
	v_fma_f64 v[174:175], -v[198:199], v[36:37], v[174:175]
	s_waitcnt lgkmcnt(0)
	v_fma_f64 v[6:7], -v[198:199], v[34:35], v[6:7]
.LBB127_196:
	s_or_b32 exec_lo, exec_lo, s1
	s_mov_b32 s1, exec_lo
	s_waitcnt lgkmcnt(0)
	s_barrier
	buffer_gl0_inv
	v_cmpx_eq_u32_e32 39, v0
	s_cbranch_execz .LBB127_199
; %bb.197:
	v_mov_b32_e32 v34, v196
	v_mov_b32_e32 v35, v197
	;; [unrolled: 1-line block ×4, first 2 shown]
	ds_write_b64 v1, v[152:153]
	ds_write2_b64 v84, v[34:35], v[36:37] offset0:40 offset1:41
	v_mov_b32_e32 v34, v194
	v_mov_b32_e32 v35, v195
	v_mov_b32_e32 v36, v148
	v_mov_b32_e32 v37, v149
	ds_write2_b64 v84, v[34:35], v[36:37] offset0:42 offset1:43
	v_mov_b32_e32 v34, v192
	v_mov_b32_e32 v35, v193
	v_mov_b32_e32 v36, v146
	v_mov_b32_e32 v37, v147
	ds_write2_b64 v84, v[34:35], v[36:37] offset0:44 offset1:45
	v_mov_b32_e32 v34, v190
	v_mov_b32_e32 v35, v191
	v_mov_b32_e32 v36, v144
	v_mov_b32_e32 v37, v145
	ds_write2_b64 v84, v[34:35], v[36:37] offset0:46 offset1:47
	v_mov_b32_e32 v34, v188
	v_mov_b32_e32 v35, v189
	v_mov_b32_e32 v36, v142
	v_mov_b32_e32 v37, v143
	ds_write2_b64 v84, v[34:35], v[36:37] offset0:48 offset1:49
	v_mov_b32_e32 v34, v186
	v_mov_b32_e32 v35, v187
	v_mov_b32_e32 v36, v140
	v_mov_b32_e32 v37, v141
	ds_write2_b64 v84, v[34:35], v[36:37] offset0:50 offset1:51
	v_mov_b32_e32 v34, v184
	v_mov_b32_e32 v35, v185
	v_mov_b32_e32 v36, v138
	v_mov_b32_e32 v37, v139
	ds_write2_b64 v84, v[34:35], v[36:37] offset0:52 offset1:53
	v_mov_b32_e32 v34, v182
	v_mov_b32_e32 v35, v183
	v_mov_b32_e32 v36, v136
	v_mov_b32_e32 v37, v137
	ds_write2_b64 v84, v[34:35], v[36:37] offset0:54 offset1:55
	v_mov_b32_e32 v34, v180
	v_mov_b32_e32 v35, v181
	v_mov_b32_e32 v36, v134
	v_mov_b32_e32 v37, v135
	ds_write2_b64 v84, v[34:35], v[36:37] offset0:56 offset1:57
	v_mov_b32_e32 v34, v178
	v_mov_b32_e32 v35, v179
	v_mov_b32_e32 v36, v132
	v_mov_b32_e32 v37, v133
	ds_write2_b64 v84, v[34:35], v[36:37] offset0:58 offset1:59
	v_mov_b32_e32 v34, v176
	v_mov_b32_e32 v35, v177
	v_mov_b32_e32 v36, v130
	v_mov_b32_e32 v37, v131
	ds_write2_b64 v84, v[34:35], v[36:37] offset0:60 offset1:61
	v_mov_b32_e32 v34, v174
	v_mov_b32_e32 v35, v175
	ds_write2_b64 v84, v[34:35], v[6:7] offset0:62 offset1:63
	ds_read_b64 v[34:35], v1
	s_waitcnt lgkmcnt(0)
	v_cmp_neq_f64_e32 vcc_lo, 0, v[34:35]
	s_and_b32 exec_lo, exec_lo, vcc_lo
	s_cbranch_execz .LBB127_199
; %bb.198:
	v_div_scale_f64 v[36:37], null, v[34:35], v[34:35], 1.0
	v_rcp_f64_e32 v[38:39], v[36:37]
	v_fma_f64 v[40:41], -v[36:37], v[38:39], 1.0
	v_fma_f64 v[38:39], v[38:39], v[40:41], v[38:39]
	v_fma_f64 v[40:41], -v[36:37], v[38:39], 1.0
	v_fma_f64 v[38:39], v[38:39], v[40:41], v[38:39]
	v_div_scale_f64 v[40:41], vcc_lo, 1.0, v[34:35], 1.0
	v_mul_f64 v[42:43], v[40:41], v[38:39]
	v_fma_f64 v[36:37], -v[36:37], v[42:43], v[40:41]
	v_div_fmas_f64 v[36:37], v[36:37], v[38:39], v[42:43]
	v_div_fixup_f64 v[34:35], v[36:37], v[34:35], 1.0
	ds_write_b64 v1, v[34:35]
.LBB127_199:
	s_or_b32 exec_lo, exec_lo, s1
	s_waitcnt lgkmcnt(0)
	s_barrier
	buffer_gl0_inv
	ds_read_b64 v[34:35], v1
	s_mov_b32 s1, exec_lo
	v_cmpx_lt_u32_e32 39, v0
	s_cbranch_execz .LBB127_201
; %bb.200:
	s_waitcnt lgkmcnt(0)
	v_mul_f64 v[152:153], v[34:35], v[152:153]
	ds_read2_b64 v[36:39], v84 offset0:40 offset1:41
	s_waitcnt lgkmcnt(0)
	v_fma_f64 v[196:197], -v[152:153], v[36:37], v[196:197]
	v_fma_f64 v[150:151], -v[152:153], v[38:39], v[150:151]
	ds_read2_b64 v[36:39], v84 offset0:42 offset1:43
	s_waitcnt lgkmcnt(0)
	v_fma_f64 v[194:195], -v[152:153], v[36:37], v[194:195]
	v_fma_f64 v[148:149], -v[152:153], v[38:39], v[148:149]
	;; [unrolled: 4-line block ×12, first 2 shown]
.LBB127_201:
	s_or_b32 exec_lo, exec_lo, s1
	s_mov_b32 s1, exec_lo
	s_waitcnt lgkmcnt(0)
	s_barrier
	buffer_gl0_inv
	v_cmpx_eq_u32_e32 40, v0
	s_cbranch_execz .LBB127_204
; %bb.202:
	ds_write_b64 v1, v[196:197]
	ds_write2_b64 v84, v[150:151], v[194:195] offset0:41 offset1:42
	ds_write2_b64 v84, v[148:149], v[192:193] offset0:43 offset1:44
	;; [unrolled: 1-line block ×11, first 2 shown]
	ds_write_b64 v84, v[6:7] offset:504
	ds_read_b64 v[36:37], v1
	s_waitcnt lgkmcnt(0)
	v_cmp_neq_f64_e32 vcc_lo, 0, v[36:37]
	s_and_b32 exec_lo, exec_lo, vcc_lo
	s_cbranch_execz .LBB127_204
; %bb.203:
	v_div_scale_f64 v[38:39], null, v[36:37], v[36:37], 1.0
	v_rcp_f64_e32 v[40:41], v[38:39]
	v_fma_f64 v[42:43], -v[38:39], v[40:41], 1.0
	v_fma_f64 v[40:41], v[40:41], v[42:43], v[40:41]
	v_fma_f64 v[42:43], -v[38:39], v[40:41], 1.0
	v_fma_f64 v[40:41], v[40:41], v[42:43], v[40:41]
	v_div_scale_f64 v[42:43], vcc_lo, 1.0, v[36:37], 1.0
	v_mul_f64 v[44:45], v[42:43], v[40:41]
	v_fma_f64 v[38:39], -v[38:39], v[44:45], v[42:43]
	v_div_fmas_f64 v[38:39], v[38:39], v[40:41], v[44:45]
	v_div_fixup_f64 v[36:37], v[38:39], v[36:37], 1.0
	ds_write_b64 v1, v[36:37]
.LBB127_204:
	s_or_b32 exec_lo, exec_lo, s1
	s_waitcnt lgkmcnt(0)
	s_barrier
	buffer_gl0_inv
	ds_read_b64 v[36:37], v1
	s_mov_b32 s1, exec_lo
	v_cmpx_lt_u32_e32 40, v0
	s_cbranch_execz .LBB127_206
; %bb.205:
	s_waitcnt lgkmcnt(0)
	v_mul_f64 v[196:197], v[36:37], v[196:197]
	ds_read2_b64 v[38:41], v84 offset0:41 offset1:42
	s_waitcnt lgkmcnt(0)
	v_fma_f64 v[150:151], -v[196:197], v[38:39], v[150:151]
	v_fma_f64 v[194:195], -v[196:197], v[40:41], v[194:195]
	ds_read2_b64 v[38:41], v84 offset0:43 offset1:44
	s_waitcnt lgkmcnt(0)
	v_fma_f64 v[148:149], -v[196:197], v[38:39], v[148:149]
	v_fma_f64 v[192:193], -v[196:197], v[40:41], v[192:193]
	;; [unrolled: 4-line block ×10, first 2 shown]
	ds_read2_b64 v[38:41], v84 offset0:61 offset1:62
	s_waitcnt lgkmcnt(0)
	v_fma_f64 v[130:131], -v[196:197], v[38:39], v[130:131]
	ds_read_b64 v[38:39], v84 offset:504
	v_fma_f64 v[174:175], -v[196:197], v[40:41], v[174:175]
	s_waitcnt lgkmcnt(0)
	v_fma_f64 v[6:7], -v[196:197], v[38:39], v[6:7]
.LBB127_206:
	s_or_b32 exec_lo, exec_lo, s1
	s_mov_b32 s1, exec_lo
	s_waitcnt lgkmcnt(0)
	s_barrier
	buffer_gl0_inv
	v_cmpx_eq_u32_e32 41, v0
	s_cbranch_execz .LBB127_209
; %bb.207:
	v_mov_b32_e32 v38, v194
	v_mov_b32_e32 v39, v195
	;; [unrolled: 1-line block ×4, first 2 shown]
	ds_write_b64 v1, v[150:151]
	ds_write2_b64 v84, v[38:39], v[40:41] offset0:42 offset1:43
	v_mov_b32_e32 v38, v192
	v_mov_b32_e32 v39, v193
	v_mov_b32_e32 v40, v146
	v_mov_b32_e32 v41, v147
	ds_write2_b64 v84, v[38:39], v[40:41] offset0:44 offset1:45
	v_mov_b32_e32 v38, v190
	v_mov_b32_e32 v39, v191
	v_mov_b32_e32 v40, v144
	v_mov_b32_e32 v41, v145
	;; [unrolled: 5-line block ×9, first 2 shown]
	ds_write2_b64 v84, v[38:39], v[40:41] offset0:60 offset1:61
	v_mov_b32_e32 v38, v174
	v_mov_b32_e32 v39, v175
	ds_write2_b64 v84, v[38:39], v[6:7] offset0:62 offset1:63
	ds_read_b64 v[38:39], v1
	s_waitcnt lgkmcnt(0)
	v_cmp_neq_f64_e32 vcc_lo, 0, v[38:39]
	s_and_b32 exec_lo, exec_lo, vcc_lo
	s_cbranch_execz .LBB127_209
; %bb.208:
	v_div_scale_f64 v[40:41], null, v[38:39], v[38:39], 1.0
	v_rcp_f64_e32 v[42:43], v[40:41]
	v_fma_f64 v[44:45], -v[40:41], v[42:43], 1.0
	v_fma_f64 v[42:43], v[42:43], v[44:45], v[42:43]
	v_fma_f64 v[44:45], -v[40:41], v[42:43], 1.0
	v_fma_f64 v[42:43], v[42:43], v[44:45], v[42:43]
	v_div_scale_f64 v[44:45], vcc_lo, 1.0, v[38:39], 1.0
	v_mul_f64 v[46:47], v[44:45], v[42:43]
	v_fma_f64 v[40:41], -v[40:41], v[46:47], v[44:45]
	v_div_fmas_f64 v[40:41], v[40:41], v[42:43], v[46:47]
	v_div_fixup_f64 v[38:39], v[40:41], v[38:39], 1.0
	ds_write_b64 v1, v[38:39]
.LBB127_209:
	s_or_b32 exec_lo, exec_lo, s1
	s_waitcnt lgkmcnt(0)
	s_barrier
	buffer_gl0_inv
	ds_read_b64 v[38:39], v1
	s_mov_b32 s1, exec_lo
	v_cmpx_lt_u32_e32 41, v0
	s_cbranch_execz .LBB127_211
; %bb.210:
	s_waitcnt lgkmcnt(0)
	v_mul_f64 v[150:151], v[38:39], v[150:151]
	ds_read2_b64 v[40:43], v84 offset0:42 offset1:43
	s_waitcnt lgkmcnt(0)
	v_fma_f64 v[194:195], -v[150:151], v[40:41], v[194:195]
	v_fma_f64 v[148:149], -v[150:151], v[42:43], v[148:149]
	ds_read2_b64 v[40:43], v84 offset0:44 offset1:45
	s_waitcnt lgkmcnt(0)
	v_fma_f64 v[192:193], -v[150:151], v[40:41], v[192:193]
	v_fma_f64 v[146:147], -v[150:151], v[42:43], v[146:147]
	;; [unrolled: 4-line block ×11, first 2 shown]
.LBB127_211:
	s_or_b32 exec_lo, exec_lo, s1
	s_mov_b32 s1, exec_lo
	s_waitcnt lgkmcnt(0)
	s_barrier
	buffer_gl0_inv
	v_cmpx_eq_u32_e32 42, v0
	s_cbranch_execz .LBB127_214
; %bb.212:
	ds_write_b64 v1, v[194:195]
	ds_write2_b64 v84, v[148:149], v[192:193] offset0:43 offset1:44
	ds_write2_b64 v84, v[146:147], v[190:191] offset0:45 offset1:46
	;; [unrolled: 1-line block ×10, first 2 shown]
	ds_write_b64 v84, v[6:7] offset:504
	ds_read_b64 v[40:41], v1
	s_waitcnt lgkmcnt(0)
	v_cmp_neq_f64_e32 vcc_lo, 0, v[40:41]
	s_and_b32 exec_lo, exec_lo, vcc_lo
	s_cbranch_execz .LBB127_214
; %bb.213:
	v_div_scale_f64 v[42:43], null, v[40:41], v[40:41], 1.0
	v_rcp_f64_e32 v[44:45], v[42:43]
	v_fma_f64 v[46:47], -v[42:43], v[44:45], 1.0
	v_fma_f64 v[44:45], v[44:45], v[46:47], v[44:45]
	v_fma_f64 v[46:47], -v[42:43], v[44:45], 1.0
	v_fma_f64 v[44:45], v[44:45], v[46:47], v[44:45]
	v_div_scale_f64 v[46:47], vcc_lo, 1.0, v[40:41], 1.0
	v_mul_f64 v[48:49], v[46:47], v[44:45]
	v_fma_f64 v[42:43], -v[42:43], v[48:49], v[46:47]
	v_div_fmas_f64 v[42:43], v[42:43], v[44:45], v[48:49]
	v_div_fixup_f64 v[40:41], v[42:43], v[40:41], 1.0
	ds_write_b64 v1, v[40:41]
.LBB127_214:
	s_or_b32 exec_lo, exec_lo, s1
	s_waitcnt lgkmcnt(0)
	s_barrier
	buffer_gl0_inv
	ds_read_b64 v[40:41], v1
	s_mov_b32 s1, exec_lo
	v_cmpx_lt_u32_e32 42, v0
	s_cbranch_execz .LBB127_216
; %bb.215:
	s_waitcnt lgkmcnt(0)
	v_mul_f64 v[194:195], v[40:41], v[194:195]
	ds_read2_b64 v[42:45], v84 offset0:43 offset1:44
	s_waitcnt lgkmcnt(0)
	v_fma_f64 v[148:149], -v[194:195], v[42:43], v[148:149]
	v_fma_f64 v[192:193], -v[194:195], v[44:45], v[192:193]
	ds_read2_b64 v[42:45], v84 offset0:45 offset1:46
	s_waitcnt lgkmcnt(0)
	v_fma_f64 v[146:147], -v[194:195], v[42:43], v[146:147]
	v_fma_f64 v[190:191], -v[194:195], v[44:45], v[190:191]
	;; [unrolled: 4-line block ×9, first 2 shown]
	ds_read2_b64 v[42:45], v84 offset0:61 offset1:62
	s_waitcnt lgkmcnt(0)
	v_fma_f64 v[130:131], -v[194:195], v[42:43], v[130:131]
	ds_read_b64 v[42:43], v84 offset:504
	v_fma_f64 v[174:175], -v[194:195], v[44:45], v[174:175]
	s_waitcnt lgkmcnt(0)
	v_fma_f64 v[6:7], -v[194:195], v[42:43], v[6:7]
.LBB127_216:
	s_or_b32 exec_lo, exec_lo, s1
	s_mov_b32 s1, exec_lo
	s_waitcnt lgkmcnt(0)
	s_barrier
	buffer_gl0_inv
	v_cmpx_eq_u32_e32 43, v0
	s_cbranch_execz .LBB127_219
; %bb.217:
	v_mov_b32_e32 v42, v192
	v_mov_b32_e32 v43, v193
	v_mov_b32_e32 v44, v146
	v_mov_b32_e32 v45, v147
	ds_write_b64 v1, v[148:149]
	ds_write2_b64 v84, v[42:43], v[44:45] offset0:44 offset1:45
	v_mov_b32_e32 v42, v190
	v_mov_b32_e32 v43, v191
	v_mov_b32_e32 v44, v144
	v_mov_b32_e32 v45, v145
	ds_write2_b64 v84, v[42:43], v[44:45] offset0:46 offset1:47
	v_mov_b32_e32 v42, v188
	v_mov_b32_e32 v43, v189
	v_mov_b32_e32 v44, v142
	v_mov_b32_e32 v45, v143
	;; [unrolled: 5-line block ×8, first 2 shown]
	ds_write2_b64 v84, v[42:43], v[44:45] offset0:60 offset1:61
	v_mov_b32_e32 v42, v174
	v_mov_b32_e32 v43, v175
	ds_write2_b64 v84, v[42:43], v[6:7] offset0:62 offset1:63
	ds_read_b64 v[42:43], v1
	s_waitcnt lgkmcnt(0)
	v_cmp_neq_f64_e32 vcc_lo, 0, v[42:43]
	s_and_b32 exec_lo, exec_lo, vcc_lo
	s_cbranch_execz .LBB127_219
; %bb.218:
	v_div_scale_f64 v[44:45], null, v[42:43], v[42:43], 1.0
	v_rcp_f64_e32 v[46:47], v[44:45]
	v_fma_f64 v[48:49], -v[44:45], v[46:47], 1.0
	v_fma_f64 v[46:47], v[46:47], v[48:49], v[46:47]
	v_fma_f64 v[48:49], -v[44:45], v[46:47], 1.0
	v_fma_f64 v[46:47], v[46:47], v[48:49], v[46:47]
	v_div_scale_f64 v[48:49], vcc_lo, 1.0, v[42:43], 1.0
	v_mul_f64 v[50:51], v[48:49], v[46:47]
	v_fma_f64 v[44:45], -v[44:45], v[50:51], v[48:49]
	v_div_fmas_f64 v[44:45], v[44:45], v[46:47], v[50:51]
	v_div_fixup_f64 v[42:43], v[44:45], v[42:43], 1.0
	ds_write_b64 v1, v[42:43]
.LBB127_219:
	s_or_b32 exec_lo, exec_lo, s1
	s_waitcnt lgkmcnt(0)
	s_barrier
	buffer_gl0_inv
	ds_read_b64 v[42:43], v1
	s_mov_b32 s1, exec_lo
	v_cmpx_lt_u32_e32 43, v0
	s_cbranch_execz .LBB127_221
; %bb.220:
	s_waitcnt lgkmcnt(0)
	v_mul_f64 v[148:149], v[42:43], v[148:149]
	ds_read2_b64 v[44:47], v84 offset0:44 offset1:45
	s_waitcnt lgkmcnt(0)
	v_fma_f64 v[192:193], -v[148:149], v[44:45], v[192:193]
	v_fma_f64 v[146:147], -v[148:149], v[46:47], v[146:147]
	ds_read2_b64 v[44:47], v84 offset0:46 offset1:47
	s_waitcnt lgkmcnt(0)
	v_fma_f64 v[190:191], -v[148:149], v[44:45], v[190:191]
	v_fma_f64 v[144:145], -v[148:149], v[46:47], v[144:145]
	;; [unrolled: 4-line block ×10, first 2 shown]
.LBB127_221:
	s_or_b32 exec_lo, exec_lo, s1
	s_mov_b32 s1, exec_lo
	s_waitcnt lgkmcnt(0)
	s_barrier
	buffer_gl0_inv
	v_cmpx_eq_u32_e32 44, v0
	s_cbranch_execz .LBB127_224
; %bb.222:
	ds_write_b64 v1, v[192:193]
	ds_write2_b64 v84, v[146:147], v[190:191] offset0:45 offset1:46
	ds_write2_b64 v84, v[144:145], v[188:189] offset0:47 offset1:48
	;; [unrolled: 1-line block ×9, first 2 shown]
	ds_write_b64 v84, v[6:7] offset:504
	ds_read_b64 v[44:45], v1
	s_waitcnt lgkmcnt(0)
	v_cmp_neq_f64_e32 vcc_lo, 0, v[44:45]
	s_and_b32 exec_lo, exec_lo, vcc_lo
	s_cbranch_execz .LBB127_224
; %bb.223:
	v_div_scale_f64 v[46:47], null, v[44:45], v[44:45], 1.0
	v_rcp_f64_e32 v[48:49], v[46:47]
	v_fma_f64 v[50:51], -v[46:47], v[48:49], 1.0
	v_fma_f64 v[48:49], v[48:49], v[50:51], v[48:49]
	v_fma_f64 v[50:51], -v[46:47], v[48:49], 1.0
	v_fma_f64 v[48:49], v[48:49], v[50:51], v[48:49]
	v_div_scale_f64 v[50:51], vcc_lo, 1.0, v[44:45], 1.0
	v_mul_f64 v[52:53], v[50:51], v[48:49]
	v_fma_f64 v[46:47], -v[46:47], v[52:53], v[50:51]
	v_div_fmas_f64 v[46:47], v[46:47], v[48:49], v[52:53]
	v_div_fixup_f64 v[44:45], v[46:47], v[44:45], 1.0
	ds_write_b64 v1, v[44:45]
.LBB127_224:
	s_or_b32 exec_lo, exec_lo, s1
	s_waitcnt lgkmcnt(0)
	s_barrier
	buffer_gl0_inv
	ds_read_b64 v[44:45], v1
	s_mov_b32 s1, exec_lo
	v_cmpx_lt_u32_e32 44, v0
	s_cbranch_execz .LBB127_226
; %bb.225:
	s_waitcnt lgkmcnt(0)
	v_mul_f64 v[192:193], v[44:45], v[192:193]
	ds_read2_b64 v[46:49], v84 offset0:45 offset1:46
	s_waitcnt lgkmcnt(0)
	v_fma_f64 v[146:147], -v[192:193], v[46:47], v[146:147]
	v_fma_f64 v[190:191], -v[192:193], v[48:49], v[190:191]
	ds_read2_b64 v[46:49], v84 offset0:47 offset1:48
	s_waitcnt lgkmcnt(0)
	v_fma_f64 v[144:145], -v[192:193], v[46:47], v[144:145]
	v_fma_f64 v[188:189], -v[192:193], v[48:49], v[188:189]
	;; [unrolled: 4-line block ×8, first 2 shown]
	ds_read2_b64 v[46:49], v84 offset0:61 offset1:62
	s_waitcnt lgkmcnt(0)
	v_fma_f64 v[130:131], -v[192:193], v[46:47], v[130:131]
	ds_read_b64 v[46:47], v84 offset:504
	v_fma_f64 v[174:175], -v[192:193], v[48:49], v[174:175]
	s_waitcnt lgkmcnt(0)
	v_fma_f64 v[6:7], -v[192:193], v[46:47], v[6:7]
.LBB127_226:
	s_or_b32 exec_lo, exec_lo, s1
	s_mov_b32 s1, exec_lo
	s_waitcnt lgkmcnt(0)
	s_barrier
	buffer_gl0_inv
	v_cmpx_eq_u32_e32 45, v0
	s_cbranch_execz .LBB127_229
; %bb.227:
	v_mov_b32_e32 v46, v190
	v_mov_b32_e32 v47, v191
	v_mov_b32_e32 v48, v144
	v_mov_b32_e32 v49, v145
	ds_write_b64 v1, v[146:147]
	ds_write2_b64 v84, v[46:47], v[48:49] offset0:46 offset1:47
	v_mov_b32_e32 v46, v188
	v_mov_b32_e32 v47, v189
	v_mov_b32_e32 v48, v142
	v_mov_b32_e32 v49, v143
	ds_write2_b64 v84, v[46:47], v[48:49] offset0:48 offset1:49
	v_mov_b32_e32 v46, v186
	v_mov_b32_e32 v47, v187
	v_mov_b32_e32 v48, v140
	v_mov_b32_e32 v49, v141
	;; [unrolled: 5-line block ×7, first 2 shown]
	ds_write2_b64 v84, v[46:47], v[48:49] offset0:60 offset1:61
	v_mov_b32_e32 v46, v174
	v_mov_b32_e32 v47, v175
	ds_write2_b64 v84, v[46:47], v[6:7] offset0:62 offset1:63
	ds_read_b64 v[46:47], v1
	s_waitcnt lgkmcnt(0)
	v_cmp_neq_f64_e32 vcc_lo, 0, v[46:47]
	s_and_b32 exec_lo, exec_lo, vcc_lo
	s_cbranch_execz .LBB127_229
; %bb.228:
	v_div_scale_f64 v[48:49], null, v[46:47], v[46:47], 1.0
	v_rcp_f64_e32 v[50:51], v[48:49]
	v_fma_f64 v[52:53], -v[48:49], v[50:51], 1.0
	v_fma_f64 v[50:51], v[50:51], v[52:53], v[50:51]
	v_fma_f64 v[52:53], -v[48:49], v[50:51], 1.0
	v_fma_f64 v[50:51], v[50:51], v[52:53], v[50:51]
	v_div_scale_f64 v[52:53], vcc_lo, 1.0, v[46:47], 1.0
	v_mul_f64 v[54:55], v[52:53], v[50:51]
	v_fma_f64 v[48:49], -v[48:49], v[54:55], v[52:53]
	v_div_fmas_f64 v[48:49], v[48:49], v[50:51], v[54:55]
	v_div_fixup_f64 v[46:47], v[48:49], v[46:47], 1.0
	ds_write_b64 v1, v[46:47]
.LBB127_229:
	s_or_b32 exec_lo, exec_lo, s1
	s_waitcnt lgkmcnt(0)
	s_barrier
	buffer_gl0_inv
	ds_read_b64 v[46:47], v1
	s_mov_b32 s1, exec_lo
	v_cmpx_lt_u32_e32 45, v0
	s_cbranch_execz .LBB127_231
; %bb.230:
	s_waitcnt lgkmcnt(0)
	v_mul_f64 v[146:147], v[46:47], v[146:147]
	ds_read2_b64 v[48:51], v84 offset0:46 offset1:47
	s_waitcnt lgkmcnt(0)
	v_fma_f64 v[190:191], -v[146:147], v[48:49], v[190:191]
	v_fma_f64 v[144:145], -v[146:147], v[50:51], v[144:145]
	ds_read2_b64 v[48:51], v84 offset0:48 offset1:49
	s_waitcnt lgkmcnt(0)
	v_fma_f64 v[188:189], -v[146:147], v[48:49], v[188:189]
	v_fma_f64 v[142:143], -v[146:147], v[50:51], v[142:143]
	;; [unrolled: 4-line block ×9, first 2 shown]
.LBB127_231:
	s_or_b32 exec_lo, exec_lo, s1
	s_mov_b32 s1, exec_lo
	s_waitcnt lgkmcnt(0)
	s_barrier
	buffer_gl0_inv
	v_cmpx_eq_u32_e32 46, v0
	s_cbranch_execz .LBB127_234
; %bb.232:
	ds_write_b64 v1, v[190:191]
	ds_write2_b64 v84, v[144:145], v[188:189] offset0:47 offset1:48
	ds_write2_b64 v84, v[142:143], v[186:187] offset0:49 offset1:50
	;; [unrolled: 1-line block ×8, first 2 shown]
	ds_write_b64 v84, v[6:7] offset:504
	ds_read_b64 v[48:49], v1
	s_waitcnt lgkmcnt(0)
	v_cmp_neq_f64_e32 vcc_lo, 0, v[48:49]
	s_and_b32 exec_lo, exec_lo, vcc_lo
	s_cbranch_execz .LBB127_234
; %bb.233:
	v_div_scale_f64 v[50:51], null, v[48:49], v[48:49], 1.0
	v_rcp_f64_e32 v[52:53], v[50:51]
	v_fma_f64 v[54:55], -v[50:51], v[52:53], 1.0
	v_fma_f64 v[52:53], v[52:53], v[54:55], v[52:53]
	v_fma_f64 v[54:55], -v[50:51], v[52:53], 1.0
	v_fma_f64 v[52:53], v[52:53], v[54:55], v[52:53]
	v_div_scale_f64 v[54:55], vcc_lo, 1.0, v[48:49], 1.0
	v_mul_f64 v[56:57], v[54:55], v[52:53]
	v_fma_f64 v[50:51], -v[50:51], v[56:57], v[54:55]
	v_div_fmas_f64 v[50:51], v[50:51], v[52:53], v[56:57]
	v_div_fixup_f64 v[48:49], v[50:51], v[48:49], 1.0
	ds_write_b64 v1, v[48:49]
.LBB127_234:
	s_or_b32 exec_lo, exec_lo, s1
	s_waitcnt lgkmcnt(0)
	s_barrier
	buffer_gl0_inv
	ds_read_b64 v[48:49], v1
	s_mov_b32 s1, exec_lo
	v_cmpx_lt_u32_e32 46, v0
	s_cbranch_execz .LBB127_236
; %bb.235:
	s_waitcnt lgkmcnt(0)
	v_mul_f64 v[190:191], v[48:49], v[190:191]
	ds_read2_b64 v[50:53], v84 offset0:47 offset1:48
	s_waitcnt lgkmcnt(0)
	v_fma_f64 v[144:145], -v[190:191], v[50:51], v[144:145]
	v_fma_f64 v[188:189], -v[190:191], v[52:53], v[188:189]
	ds_read2_b64 v[50:53], v84 offset0:49 offset1:50
	s_waitcnt lgkmcnt(0)
	v_fma_f64 v[142:143], -v[190:191], v[50:51], v[142:143]
	v_fma_f64 v[186:187], -v[190:191], v[52:53], v[186:187]
	ds_read2_b64 v[50:53], v84 offset0:51 offset1:52
	s_waitcnt lgkmcnt(0)
	v_fma_f64 v[140:141], -v[190:191], v[50:51], v[140:141]
	v_fma_f64 v[184:185], -v[190:191], v[52:53], v[184:185]
	ds_read2_b64 v[50:53], v84 offset0:53 offset1:54
	s_waitcnt lgkmcnt(0)
	v_fma_f64 v[138:139], -v[190:191], v[50:51], v[138:139]
	v_fma_f64 v[182:183], -v[190:191], v[52:53], v[182:183]
	ds_read2_b64 v[50:53], v84 offset0:55 offset1:56
	s_waitcnt lgkmcnt(0)
	v_fma_f64 v[136:137], -v[190:191], v[50:51], v[136:137]
	v_fma_f64 v[180:181], -v[190:191], v[52:53], v[180:181]
	ds_read2_b64 v[50:53], v84 offset0:57 offset1:58
	s_waitcnt lgkmcnt(0)
	v_fma_f64 v[134:135], -v[190:191], v[50:51], v[134:135]
	v_fma_f64 v[178:179], -v[190:191], v[52:53], v[178:179]
	ds_read2_b64 v[50:53], v84 offset0:59 offset1:60
	s_waitcnt lgkmcnt(0)
	v_fma_f64 v[132:133], -v[190:191], v[50:51], v[132:133]
	v_fma_f64 v[176:177], -v[190:191], v[52:53], v[176:177]
	ds_read2_b64 v[50:53], v84 offset0:61 offset1:62
	s_waitcnt lgkmcnt(0)
	v_fma_f64 v[130:131], -v[190:191], v[50:51], v[130:131]
	ds_read_b64 v[50:51], v84 offset:504
	v_fma_f64 v[174:175], -v[190:191], v[52:53], v[174:175]
	s_waitcnt lgkmcnt(0)
	v_fma_f64 v[6:7], -v[190:191], v[50:51], v[6:7]
.LBB127_236:
	s_or_b32 exec_lo, exec_lo, s1
	s_mov_b32 s1, exec_lo
	s_waitcnt lgkmcnt(0)
	s_barrier
	buffer_gl0_inv
	v_cmpx_eq_u32_e32 47, v0
	s_cbranch_execz .LBB127_239
; %bb.237:
	v_mov_b32_e32 v50, v188
	v_mov_b32_e32 v51, v189
	v_mov_b32_e32 v52, v142
	v_mov_b32_e32 v53, v143
	ds_write_b64 v1, v[144:145]
	ds_write2_b64 v84, v[50:51], v[52:53] offset0:48 offset1:49
	v_mov_b32_e32 v50, v186
	v_mov_b32_e32 v51, v187
	v_mov_b32_e32 v52, v140
	v_mov_b32_e32 v53, v141
	ds_write2_b64 v84, v[50:51], v[52:53] offset0:50 offset1:51
	v_mov_b32_e32 v50, v184
	v_mov_b32_e32 v51, v185
	v_mov_b32_e32 v52, v138
	v_mov_b32_e32 v53, v139
	;; [unrolled: 5-line block ×6, first 2 shown]
	ds_write2_b64 v84, v[50:51], v[52:53] offset0:60 offset1:61
	v_mov_b32_e32 v50, v174
	v_mov_b32_e32 v51, v175
	ds_write2_b64 v84, v[50:51], v[6:7] offset0:62 offset1:63
	ds_read_b64 v[50:51], v1
	s_waitcnt lgkmcnt(0)
	v_cmp_neq_f64_e32 vcc_lo, 0, v[50:51]
	s_and_b32 exec_lo, exec_lo, vcc_lo
	s_cbranch_execz .LBB127_239
; %bb.238:
	v_div_scale_f64 v[52:53], null, v[50:51], v[50:51], 1.0
	v_rcp_f64_e32 v[54:55], v[52:53]
	v_fma_f64 v[56:57], -v[52:53], v[54:55], 1.0
	v_fma_f64 v[54:55], v[54:55], v[56:57], v[54:55]
	v_fma_f64 v[56:57], -v[52:53], v[54:55], 1.0
	v_fma_f64 v[54:55], v[54:55], v[56:57], v[54:55]
	v_div_scale_f64 v[56:57], vcc_lo, 1.0, v[50:51], 1.0
	v_mul_f64 v[58:59], v[56:57], v[54:55]
	v_fma_f64 v[52:53], -v[52:53], v[58:59], v[56:57]
	v_div_fmas_f64 v[52:53], v[52:53], v[54:55], v[58:59]
	v_div_fixup_f64 v[50:51], v[52:53], v[50:51], 1.0
	ds_write_b64 v1, v[50:51]
.LBB127_239:
	s_or_b32 exec_lo, exec_lo, s1
	s_waitcnt lgkmcnt(0)
	s_barrier
	buffer_gl0_inv
	ds_read_b64 v[50:51], v1
	s_mov_b32 s1, exec_lo
	v_cmpx_lt_u32_e32 47, v0
	s_cbranch_execz .LBB127_241
; %bb.240:
	s_waitcnt lgkmcnt(0)
	v_mul_f64 v[144:145], v[50:51], v[144:145]
	ds_read2_b64 v[52:55], v84 offset0:48 offset1:49
	s_waitcnt lgkmcnt(0)
	v_fma_f64 v[188:189], -v[144:145], v[52:53], v[188:189]
	v_fma_f64 v[142:143], -v[144:145], v[54:55], v[142:143]
	ds_read2_b64 v[52:55], v84 offset0:50 offset1:51
	s_waitcnt lgkmcnt(0)
	v_fma_f64 v[186:187], -v[144:145], v[52:53], v[186:187]
	v_fma_f64 v[140:141], -v[144:145], v[54:55], v[140:141]
	;; [unrolled: 4-line block ×8, first 2 shown]
.LBB127_241:
	s_or_b32 exec_lo, exec_lo, s1
	s_mov_b32 s1, exec_lo
	s_waitcnt lgkmcnt(0)
	s_barrier
	buffer_gl0_inv
	v_cmpx_eq_u32_e32 48, v0
	s_cbranch_execz .LBB127_244
; %bb.242:
	ds_write_b64 v1, v[188:189]
	ds_write2_b64 v84, v[142:143], v[186:187] offset0:49 offset1:50
	ds_write2_b64 v84, v[140:141], v[184:185] offset0:51 offset1:52
	;; [unrolled: 1-line block ×7, first 2 shown]
	ds_write_b64 v84, v[6:7] offset:504
	ds_read_b64 v[52:53], v1
	s_waitcnt lgkmcnt(0)
	v_cmp_neq_f64_e32 vcc_lo, 0, v[52:53]
	s_and_b32 exec_lo, exec_lo, vcc_lo
	s_cbranch_execz .LBB127_244
; %bb.243:
	v_div_scale_f64 v[54:55], null, v[52:53], v[52:53], 1.0
	v_rcp_f64_e32 v[56:57], v[54:55]
	v_fma_f64 v[58:59], -v[54:55], v[56:57], 1.0
	v_fma_f64 v[56:57], v[56:57], v[58:59], v[56:57]
	v_fma_f64 v[58:59], -v[54:55], v[56:57], 1.0
	v_fma_f64 v[56:57], v[56:57], v[58:59], v[56:57]
	v_div_scale_f64 v[58:59], vcc_lo, 1.0, v[52:53], 1.0
	v_mul_f64 v[60:61], v[58:59], v[56:57]
	v_fma_f64 v[54:55], -v[54:55], v[60:61], v[58:59]
	v_div_fmas_f64 v[54:55], v[54:55], v[56:57], v[60:61]
	v_div_fixup_f64 v[52:53], v[54:55], v[52:53], 1.0
	ds_write_b64 v1, v[52:53]
.LBB127_244:
	s_or_b32 exec_lo, exec_lo, s1
	s_waitcnt lgkmcnt(0)
	s_barrier
	buffer_gl0_inv
	ds_read_b64 v[52:53], v1
	s_mov_b32 s1, exec_lo
	v_cmpx_lt_u32_e32 48, v0
	s_cbranch_execz .LBB127_246
; %bb.245:
	s_waitcnt lgkmcnt(0)
	v_mul_f64 v[188:189], v[52:53], v[188:189]
	ds_read2_b64 v[54:57], v84 offset0:49 offset1:50
	s_waitcnt lgkmcnt(0)
	v_fma_f64 v[142:143], -v[188:189], v[54:55], v[142:143]
	v_fma_f64 v[186:187], -v[188:189], v[56:57], v[186:187]
	ds_read2_b64 v[54:57], v84 offset0:51 offset1:52
	s_waitcnt lgkmcnt(0)
	v_fma_f64 v[140:141], -v[188:189], v[54:55], v[140:141]
	v_fma_f64 v[184:185], -v[188:189], v[56:57], v[184:185]
	;; [unrolled: 4-line block ×6, first 2 shown]
	ds_read2_b64 v[54:57], v84 offset0:61 offset1:62
	s_waitcnt lgkmcnt(0)
	v_fma_f64 v[130:131], -v[188:189], v[54:55], v[130:131]
	ds_read_b64 v[54:55], v84 offset:504
	v_fma_f64 v[174:175], -v[188:189], v[56:57], v[174:175]
	s_waitcnt lgkmcnt(0)
	v_fma_f64 v[6:7], -v[188:189], v[54:55], v[6:7]
.LBB127_246:
	s_or_b32 exec_lo, exec_lo, s1
	s_mov_b32 s1, exec_lo
	s_waitcnt lgkmcnt(0)
	s_barrier
	buffer_gl0_inv
	v_cmpx_eq_u32_e32 49, v0
	s_cbranch_execz .LBB127_249
; %bb.247:
	v_mov_b32_e32 v54, v186
	v_mov_b32_e32 v55, v187
	;; [unrolled: 1-line block ×4, first 2 shown]
	ds_write_b64 v1, v[142:143]
	ds_write2_b64 v84, v[54:55], v[56:57] offset0:50 offset1:51
	v_mov_b32_e32 v54, v184
	v_mov_b32_e32 v55, v185
	v_mov_b32_e32 v56, v138
	v_mov_b32_e32 v57, v139
	ds_write2_b64 v84, v[54:55], v[56:57] offset0:52 offset1:53
	v_mov_b32_e32 v54, v182
	v_mov_b32_e32 v55, v183
	v_mov_b32_e32 v56, v136
	v_mov_b32_e32 v57, v137
	;; [unrolled: 5-line block ×5, first 2 shown]
	ds_write2_b64 v84, v[54:55], v[56:57] offset0:60 offset1:61
	v_mov_b32_e32 v54, v174
	v_mov_b32_e32 v55, v175
	ds_write2_b64 v84, v[54:55], v[6:7] offset0:62 offset1:63
	ds_read_b64 v[54:55], v1
	s_waitcnt lgkmcnt(0)
	v_cmp_neq_f64_e32 vcc_lo, 0, v[54:55]
	s_and_b32 exec_lo, exec_lo, vcc_lo
	s_cbranch_execz .LBB127_249
; %bb.248:
	v_div_scale_f64 v[56:57], null, v[54:55], v[54:55], 1.0
	v_rcp_f64_e32 v[58:59], v[56:57]
	v_fma_f64 v[60:61], -v[56:57], v[58:59], 1.0
	v_fma_f64 v[58:59], v[58:59], v[60:61], v[58:59]
	v_fma_f64 v[60:61], -v[56:57], v[58:59], 1.0
	v_fma_f64 v[58:59], v[58:59], v[60:61], v[58:59]
	v_div_scale_f64 v[60:61], vcc_lo, 1.0, v[54:55], 1.0
	v_mul_f64 v[62:63], v[60:61], v[58:59]
	v_fma_f64 v[56:57], -v[56:57], v[62:63], v[60:61]
	v_div_fmas_f64 v[56:57], v[56:57], v[58:59], v[62:63]
	v_div_fixup_f64 v[54:55], v[56:57], v[54:55], 1.0
	ds_write_b64 v1, v[54:55]
.LBB127_249:
	s_or_b32 exec_lo, exec_lo, s1
	s_waitcnt lgkmcnt(0)
	s_barrier
	buffer_gl0_inv
	ds_read_b64 v[54:55], v1
	s_mov_b32 s1, exec_lo
	v_cmpx_lt_u32_e32 49, v0
	s_cbranch_execz .LBB127_251
; %bb.250:
	s_waitcnt lgkmcnt(0)
	v_mul_f64 v[142:143], v[54:55], v[142:143]
	ds_read2_b64 v[56:59], v84 offset0:50 offset1:51
	s_waitcnt lgkmcnt(0)
	v_fma_f64 v[186:187], -v[142:143], v[56:57], v[186:187]
	v_fma_f64 v[140:141], -v[142:143], v[58:59], v[140:141]
	ds_read2_b64 v[56:59], v84 offset0:52 offset1:53
	s_waitcnt lgkmcnt(0)
	v_fma_f64 v[184:185], -v[142:143], v[56:57], v[184:185]
	v_fma_f64 v[138:139], -v[142:143], v[58:59], v[138:139]
	;; [unrolled: 4-line block ×7, first 2 shown]
.LBB127_251:
	s_or_b32 exec_lo, exec_lo, s1
	s_mov_b32 s1, exec_lo
	s_waitcnt lgkmcnt(0)
	s_barrier
	buffer_gl0_inv
	v_cmpx_eq_u32_e32 50, v0
	s_cbranch_execz .LBB127_254
; %bb.252:
	ds_write_b64 v1, v[186:187]
	ds_write2_b64 v84, v[140:141], v[184:185] offset0:51 offset1:52
	ds_write2_b64 v84, v[138:139], v[182:183] offset0:53 offset1:54
	;; [unrolled: 1-line block ×6, first 2 shown]
	ds_write_b64 v84, v[6:7] offset:504
	ds_read_b64 v[56:57], v1
	s_waitcnt lgkmcnt(0)
	v_cmp_neq_f64_e32 vcc_lo, 0, v[56:57]
	s_and_b32 exec_lo, exec_lo, vcc_lo
	s_cbranch_execz .LBB127_254
; %bb.253:
	v_div_scale_f64 v[58:59], null, v[56:57], v[56:57], 1.0
	v_rcp_f64_e32 v[60:61], v[58:59]
	v_fma_f64 v[62:63], -v[58:59], v[60:61], 1.0
	v_fma_f64 v[60:61], v[60:61], v[62:63], v[60:61]
	v_fma_f64 v[62:63], -v[58:59], v[60:61], 1.0
	v_fma_f64 v[60:61], v[60:61], v[62:63], v[60:61]
	v_div_scale_f64 v[62:63], vcc_lo, 1.0, v[56:57], 1.0
	v_mul_f64 v[64:65], v[62:63], v[60:61]
	v_fma_f64 v[58:59], -v[58:59], v[64:65], v[62:63]
	v_div_fmas_f64 v[58:59], v[58:59], v[60:61], v[64:65]
	v_div_fixup_f64 v[56:57], v[58:59], v[56:57], 1.0
	ds_write_b64 v1, v[56:57]
.LBB127_254:
	s_or_b32 exec_lo, exec_lo, s1
	s_waitcnt lgkmcnt(0)
	s_barrier
	buffer_gl0_inv
	ds_read_b64 v[56:57], v1
	s_mov_b32 s1, exec_lo
	v_cmpx_lt_u32_e32 50, v0
	s_cbranch_execz .LBB127_256
; %bb.255:
	s_waitcnt lgkmcnt(0)
	v_mul_f64 v[186:187], v[56:57], v[186:187]
	ds_read2_b64 v[58:61], v84 offset0:51 offset1:52
	s_waitcnt lgkmcnt(0)
	v_fma_f64 v[140:141], -v[186:187], v[58:59], v[140:141]
	v_fma_f64 v[184:185], -v[186:187], v[60:61], v[184:185]
	ds_read2_b64 v[58:61], v84 offset0:53 offset1:54
	s_waitcnt lgkmcnt(0)
	v_fma_f64 v[138:139], -v[186:187], v[58:59], v[138:139]
	v_fma_f64 v[182:183], -v[186:187], v[60:61], v[182:183]
	;; [unrolled: 4-line block ×5, first 2 shown]
	ds_read2_b64 v[58:61], v84 offset0:61 offset1:62
	s_waitcnt lgkmcnt(0)
	v_fma_f64 v[130:131], -v[186:187], v[58:59], v[130:131]
	ds_read_b64 v[58:59], v84 offset:504
	v_fma_f64 v[174:175], -v[186:187], v[60:61], v[174:175]
	s_waitcnt lgkmcnt(0)
	v_fma_f64 v[6:7], -v[186:187], v[58:59], v[6:7]
.LBB127_256:
	s_or_b32 exec_lo, exec_lo, s1
	s_mov_b32 s1, exec_lo
	s_waitcnt lgkmcnt(0)
	s_barrier
	buffer_gl0_inv
	v_cmpx_eq_u32_e32 51, v0
	s_cbranch_execz .LBB127_259
; %bb.257:
	v_mov_b32_e32 v58, v184
	v_mov_b32_e32 v59, v185
	;; [unrolled: 1-line block ×4, first 2 shown]
	ds_write_b64 v1, v[140:141]
	ds_write2_b64 v84, v[58:59], v[60:61] offset0:52 offset1:53
	v_mov_b32_e32 v58, v182
	v_mov_b32_e32 v59, v183
	v_mov_b32_e32 v60, v136
	v_mov_b32_e32 v61, v137
	ds_write2_b64 v84, v[58:59], v[60:61] offset0:54 offset1:55
	v_mov_b32_e32 v58, v180
	v_mov_b32_e32 v59, v181
	v_mov_b32_e32 v60, v134
	v_mov_b32_e32 v61, v135
	;; [unrolled: 5-line block ×4, first 2 shown]
	ds_write2_b64 v84, v[58:59], v[60:61] offset0:60 offset1:61
	v_mov_b32_e32 v58, v174
	v_mov_b32_e32 v59, v175
	ds_write2_b64 v84, v[58:59], v[6:7] offset0:62 offset1:63
	ds_read_b64 v[58:59], v1
	s_waitcnt lgkmcnt(0)
	v_cmp_neq_f64_e32 vcc_lo, 0, v[58:59]
	s_and_b32 exec_lo, exec_lo, vcc_lo
	s_cbranch_execz .LBB127_259
; %bb.258:
	v_div_scale_f64 v[60:61], null, v[58:59], v[58:59], 1.0
	v_rcp_f64_e32 v[62:63], v[60:61]
	v_fma_f64 v[64:65], -v[60:61], v[62:63], 1.0
	v_fma_f64 v[62:63], v[62:63], v[64:65], v[62:63]
	v_fma_f64 v[64:65], -v[60:61], v[62:63], 1.0
	v_fma_f64 v[62:63], v[62:63], v[64:65], v[62:63]
	v_div_scale_f64 v[64:65], vcc_lo, 1.0, v[58:59], 1.0
	v_mul_f64 v[66:67], v[64:65], v[62:63]
	v_fma_f64 v[60:61], -v[60:61], v[66:67], v[64:65]
	v_div_fmas_f64 v[60:61], v[60:61], v[62:63], v[66:67]
	v_div_fixup_f64 v[58:59], v[60:61], v[58:59], 1.0
	ds_write_b64 v1, v[58:59]
.LBB127_259:
	s_or_b32 exec_lo, exec_lo, s1
	s_waitcnt lgkmcnt(0)
	s_barrier
	buffer_gl0_inv
	ds_read_b64 v[58:59], v1
	s_mov_b32 s1, exec_lo
	v_cmpx_lt_u32_e32 51, v0
	s_cbranch_execz .LBB127_261
; %bb.260:
	s_waitcnt lgkmcnt(0)
	v_mul_f64 v[140:141], v[58:59], v[140:141]
	ds_read2_b64 v[60:63], v84 offset0:52 offset1:53
	s_waitcnt lgkmcnt(0)
	v_fma_f64 v[184:185], -v[140:141], v[60:61], v[184:185]
	v_fma_f64 v[138:139], -v[140:141], v[62:63], v[138:139]
	ds_read2_b64 v[60:63], v84 offset0:54 offset1:55
	s_waitcnt lgkmcnt(0)
	v_fma_f64 v[182:183], -v[140:141], v[60:61], v[182:183]
	v_fma_f64 v[136:137], -v[140:141], v[62:63], v[136:137]
	;; [unrolled: 4-line block ×6, first 2 shown]
.LBB127_261:
	s_or_b32 exec_lo, exec_lo, s1
	s_mov_b32 s1, exec_lo
	s_waitcnt lgkmcnt(0)
	s_barrier
	buffer_gl0_inv
	v_cmpx_eq_u32_e32 52, v0
	s_cbranch_execz .LBB127_264
; %bb.262:
	ds_write_b64 v1, v[184:185]
	ds_write2_b64 v84, v[138:139], v[182:183] offset0:53 offset1:54
	ds_write2_b64 v84, v[136:137], v[180:181] offset0:55 offset1:56
	;; [unrolled: 1-line block ×5, first 2 shown]
	ds_write_b64 v84, v[6:7] offset:504
	ds_read_b64 v[60:61], v1
	s_waitcnt lgkmcnt(0)
	v_cmp_neq_f64_e32 vcc_lo, 0, v[60:61]
	s_and_b32 exec_lo, exec_lo, vcc_lo
	s_cbranch_execz .LBB127_264
; %bb.263:
	v_div_scale_f64 v[62:63], null, v[60:61], v[60:61], 1.0
	v_rcp_f64_e32 v[64:65], v[62:63]
	v_fma_f64 v[66:67], -v[62:63], v[64:65], 1.0
	v_fma_f64 v[64:65], v[64:65], v[66:67], v[64:65]
	v_fma_f64 v[66:67], -v[62:63], v[64:65], 1.0
	v_fma_f64 v[64:65], v[64:65], v[66:67], v[64:65]
	v_div_scale_f64 v[66:67], vcc_lo, 1.0, v[60:61], 1.0
	v_mul_f64 v[68:69], v[66:67], v[64:65]
	v_fma_f64 v[62:63], -v[62:63], v[68:69], v[66:67]
	v_div_fmas_f64 v[62:63], v[62:63], v[64:65], v[68:69]
	v_div_fixup_f64 v[60:61], v[62:63], v[60:61], 1.0
	ds_write_b64 v1, v[60:61]
.LBB127_264:
	s_or_b32 exec_lo, exec_lo, s1
	s_waitcnt lgkmcnt(0)
	s_barrier
	buffer_gl0_inv
	ds_read_b64 v[60:61], v1
	s_mov_b32 s1, exec_lo
	v_cmpx_lt_u32_e32 52, v0
	s_cbranch_execz .LBB127_266
; %bb.265:
	s_waitcnt lgkmcnt(0)
	v_mul_f64 v[184:185], v[60:61], v[184:185]
	ds_read2_b64 v[62:65], v84 offset0:53 offset1:54
	s_waitcnt lgkmcnt(0)
	v_fma_f64 v[138:139], -v[184:185], v[62:63], v[138:139]
	v_fma_f64 v[182:183], -v[184:185], v[64:65], v[182:183]
	ds_read2_b64 v[62:65], v84 offset0:55 offset1:56
	s_waitcnt lgkmcnt(0)
	v_fma_f64 v[136:137], -v[184:185], v[62:63], v[136:137]
	v_fma_f64 v[180:181], -v[184:185], v[64:65], v[180:181]
	;; [unrolled: 4-line block ×4, first 2 shown]
	ds_read2_b64 v[62:65], v84 offset0:61 offset1:62
	s_waitcnt lgkmcnt(0)
	v_fma_f64 v[130:131], -v[184:185], v[62:63], v[130:131]
	ds_read_b64 v[62:63], v84 offset:504
	v_fma_f64 v[174:175], -v[184:185], v[64:65], v[174:175]
	s_waitcnt lgkmcnt(0)
	v_fma_f64 v[6:7], -v[184:185], v[62:63], v[6:7]
.LBB127_266:
	s_or_b32 exec_lo, exec_lo, s1
	s_mov_b32 s1, exec_lo
	s_waitcnt lgkmcnt(0)
	s_barrier
	buffer_gl0_inv
	v_cmpx_eq_u32_e32 53, v0
	s_cbranch_execz .LBB127_269
; %bb.267:
	v_mov_b32_e32 v62, v182
	v_mov_b32_e32 v63, v183
	;; [unrolled: 1-line block ×4, first 2 shown]
	ds_write_b64 v1, v[138:139]
	ds_write2_b64 v84, v[62:63], v[64:65] offset0:54 offset1:55
	v_mov_b32_e32 v62, v180
	v_mov_b32_e32 v63, v181
	v_mov_b32_e32 v64, v134
	v_mov_b32_e32 v65, v135
	ds_write2_b64 v84, v[62:63], v[64:65] offset0:56 offset1:57
	v_mov_b32_e32 v62, v178
	v_mov_b32_e32 v63, v179
	v_mov_b32_e32 v64, v132
	v_mov_b32_e32 v65, v133
	;; [unrolled: 5-line block ×3, first 2 shown]
	ds_write2_b64 v84, v[62:63], v[64:65] offset0:60 offset1:61
	v_mov_b32_e32 v62, v174
	v_mov_b32_e32 v63, v175
	ds_write2_b64 v84, v[62:63], v[6:7] offset0:62 offset1:63
	ds_read_b64 v[62:63], v1
	s_waitcnt lgkmcnt(0)
	v_cmp_neq_f64_e32 vcc_lo, 0, v[62:63]
	s_and_b32 exec_lo, exec_lo, vcc_lo
	s_cbranch_execz .LBB127_269
; %bb.268:
	v_div_scale_f64 v[64:65], null, v[62:63], v[62:63], 1.0
	v_rcp_f64_e32 v[66:67], v[64:65]
	v_fma_f64 v[68:69], -v[64:65], v[66:67], 1.0
	v_fma_f64 v[66:67], v[66:67], v[68:69], v[66:67]
	v_fma_f64 v[68:69], -v[64:65], v[66:67], 1.0
	v_fma_f64 v[66:67], v[66:67], v[68:69], v[66:67]
	v_div_scale_f64 v[68:69], vcc_lo, 1.0, v[62:63], 1.0
	v_mul_f64 v[70:71], v[68:69], v[66:67]
	v_fma_f64 v[64:65], -v[64:65], v[70:71], v[68:69]
	v_div_fmas_f64 v[64:65], v[64:65], v[66:67], v[70:71]
	v_div_fixup_f64 v[62:63], v[64:65], v[62:63], 1.0
	ds_write_b64 v1, v[62:63]
.LBB127_269:
	s_or_b32 exec_lo, exec_lo, s1
	s_waitcnt lgkmcnt(0)
	s_barrier
	buffer_gl0_inv
	ds_read_b64 v[62:63], v1
	s_mov_b32 s1, exec_lo
	v_cmpx_lt_u32_e32 53, v0
	s_cbranch_execz .LBB127_271
; %bb.270:
	s_waitcnt lgkmcnt(0)
	v_mul_f64 v[138:139], v[62:63], v[138:139]
	ds_read2_b64 v[64:67], v84 offset0:54 offset1:55
	s_waitcnt lgkmcnt(0)
	v_fma_f64 v[182:183], -v[138:139], v[64:65], v[182:183]
	v_fma_f64 v[136:137], -v[138:139], v[66:67], v[136:137]
	ds_read2_b64 v[64:67], v84 offset0:56 offset1:57
	s_waitcnt lgkmcnt(0)
	v_fma_f64 v[180:181], -v[138:139], v[64:65], v[180:181]
	v_fma_f64 v[134:135], -v[138:139], v[66:67], v[134:135]
	;; [unrolled: 4-line block ×5, first 2 shown]
.LBB127_271:
	s_or_b32 exec_lo, exec_lo, s1
	s_mov_b32 s1, exec_lo
	s_waitcnt lgkmcnt(0)
	s_barrier
	buffer_gl0_inv
	v_cmpx_eq_u32_e32 54, v0
	s_cbranch_execz .LBB127_274
; %bb.272:
	ds_write_b64 v1, v[182:183]
	ds_write2_b64 v84, v[136:137], v[180:181] offset0:55 offset1:56
	ds_write2_b64 v84, v[134:135], v[178:179] offset0:57 offset1:58
	;; [unrolled: 1-line block ×4, first 2 shown]
	ds_write_b64 v84, v[6:7] offset:504
	ds_read_b64 v[64:65], v1
	s_waitcnt lgkmcnt(0)
	v_cmp_neq_f64_e32 vcc_lo, 0, v[64:65]
	s_and_b32 exec_lo, exec_lo, vcc_lo
	s_cbranch_execz .LBB127_274
; %bb.273:
	v_div_scale_f64 v[66:67], null, v[64:65], v[64:65], 1.0
	v_rcp_f64_e32 v[68:69], v[66:67]
	v_fma_f64 v[70:71], -v[66:67], v[68:69], 1.0
	v_fma_f64 v[68:69], v[68:69], v[70:71], v[68:69]
	v_fma_f64 v[70:71], -v[66:67], v[68:69], 1.0
	v_fma_f64 v[68:69], v[68:69], v[70:71], v[68:69]
	v_div_scale_f64 v[70:71], vcc_lo, 1.0, v[64:65], 1.0
	v_mul_f64 v[72:73], v[70:71], v[68:69]
	v_fma_f64 v[66:67], -v[66:67], v[72:73], v[70:71]
	v_div_fmas_f64 v[66:67], v[66:67], v[68:69], v[72:73]
	v_div_fixup_f64 v[64:65], v[66:67], v[64:65], 1.0
	ds_write_b64 v1, v[64:65]
.LBB127_274:
	s_or_b32 exec_lo, exec_lo, s1
	s_waitcnt lgkmcnt(0)
	s_barrier
	buffer_gl0_inv
	ds_read_b64 v[64:65], v1
	s_mov_b32 s1, exec_lo
	v_cmpx_lt_u32_e32 54, v0
	s_cbranch_execz .LBB127_276
; %bb.275:
	s_waitcnt lgkmcnt(0)
	v_mul_f64 v[182:183], v[64:65], v[182:183]
	ds_read2_b64 v[66:69], v84 offset0:55 offset1:56
	s_waitcnt lgkmcnt(0)
	v_fma_f64 v[136:137], -v[182:183], v[66:67], v[136:137]
	v_fma_f64 v[180:181], -v[182:183], v[68:69], v[180:181]
	ds_read2_b64 v[66:69], v84 offset0:57 offset1:58
	s_waitcnt lgkmcnt(0)
	v_fma_f64 v[134:135], -v[182:183], v[66:67], v[134:135]
	v_fma_f64 v[178:179], -v[182:183], v[68:69], v[178:179]
	;; [unrolled: 4-line block ×3, first 2 shown]
	ds_read2_b64 v[66:69], v84 offset0:61 offset1:62
	s_waitcnt lgkmcnt(0)
	v_fma_f64 v[130:131], -v[182:183], v[66:67], v[130:131]
	ds_read_b64 v[66:67], v84 offset:504
	v_fma_f64 v[174:175], -v[182:183], v[68:69], v[174:175]
	s_waitcnt lgkmcnt(0)
	v_fma_f64 v[6:7], -v[182:183], v[66:67], v[6:7]
.LBB127_276:
	s_or_b32 exec_lo, exec_lo, s1
	s_mov_b32 s1, exec_lo
	s_waitcnt lgkmcnt(0)
	s_barrier
	buffer_gl0_inv
	v_cmpx_eq_u32_e32 55, v0
	s_cbranch_execz .LBB127_279
; %bb.277:
	v_mov_b32_e32 v66, v180
	v_mov_b32_e32 v67, v181
	;; [unrolled: 1-line block ×4, first 2 shown]
	ds_write_b64 v1, v[136:137]
	ds_write2_b64 v84, v[66:67], v[68:69] offset0:56 offset1:57
	v_mov_b32_e32 v66, v178
	v_mov_b32_e32 v67, v179
	;; [unrolled: 1-line block ×4, first 2 shown]
	ds_write2_b64 v84, v[66:67], v[68:69] offset0:58 offset1:59
	v_mov_b32_e32 v66, v176
	v_mov_b32_e32 v67, v177
	;; [unrolled: 1-line block ×4, first 2 shown]
	ds_write2_b64 v84, v[66:67], v[68:69] offset0:60 offset1:61
	v_mov_b32_e32 v66, v174
	v_mov_b32_e32 v67, v175
	ds_write2_b64 v84, v[66:67], v[6:7] offset0:62 offset1:63
	ds_read_b64 v[66:67], v1
	s_waitcnt lgkmcnt(0)
	v_cmp_neq_f64_e32 vcc_lo, 0, v[66:67]
	s_and_b32 exec_lo, exec_lo, vcc_lo
	s_cbranch_execz .LBB127_279
; %bb.278:
	v_div_scale_f64 v[68:69], null, v[66:67], v[66:67], 1.0
	v_rcp_f64_e32 v[70:71], v[68:69]
	v_fma_f64 v[72:73], -v[68:69], v[70:71], 1.0
	v_fma_f64 v[70:71], v[70:71], v[72:73], v[70:71]
	v_fma_f64 v[72:73], -v[68:69], v[70:71], 1.0
	v_fma_f64 v[70:71], v[70:71], v[72:73], v[70:71]
	v_div_scale_f64 v[72:73], vcc_lo, 1.0, v[66:67], 1.0
	v_mul_f64 v[74:75], v[72:73], v[70:71]
	v_fma_f64 v[68:69], -v[68:69], v[74:75], v[72:73]
	v_div_fmas_f64 v[68:69], v[68:69], v[70:71], v[74:75]
	v_div_fixup_f64 v[66:67], v[68:69], v[66:67], 1.0
	ds_write_b64 v1, v[66:67]
.LBB127_279:
	s_or_b32 exec_lo, exec_lo, s1
	s_waitcnt lgkmcnt(0)
	s_barrier
	buffer_gl0_inv
	ds_read_b64 v[66:67], v1
	s_mov_b32 s1, exec_lo
	v_cmpx_lt_u32_e32 55, v0
	s_cbranch_execz .LBB127_281
; %bb.280:
	s_waitcnt lgkmcnt(0)
	v_mul_f64 v[136:137], v[66:67], v[136:137]
	ds_read2_b64 v[68:71], v84 offset0:56 offset1:57
	s_waitcnt lgkmcnt(0)
	v_fma_f64 v[180:181], -v[136:137], v[68:69], v[180:181]
	v_fma_f64 v[134:135], -v[136:137], v[70:71], v[134:135]
	ds_read2_b64 v[68:71], v84 offset0:58 offset1:59
	s_waitcnt lgkmcnt(0)
	v_fma_f64 v[178:179], -v[136:137], v[68:69], v[178:179]
	v_fma_f64 v[132:133], -v[136:137], v[70:71], v[132:133]
	;; [unrolled: 4-line block ×4, first 2 shown]
.LBB127_281:
	s_or_b32 exec_lo, exec_lo, s1
	s_mov_b32 s1, exec_lo
	s_waitcnt lgkmcnt(0)
	s_barrier
	buffer_gl0_inv
	v_cmpx_eq_u32_e32 56, v0
	s_cbranch_execz .LBB127_284
; %bb.282:
	ds_write_b64 v1, v[180:181]
	ds_write2_b64 v84, v[134:135], v[178:179] offset0:57 offset1:58
	ds_write2_b64 v84, v[132:133], v[176:177] offset0:59 offset1:60
	;; [unrolled: 1-line block ×3, first 2 shown]
	ds_write_b64 v84, v[6:7] offset:504
	ds_read_b64 v[68:69], v1
	s_waitcnt lgkmcnt(0)
	v_cmp_neq_f64_e32 vcc_lo, 0, v[68:69]
	s_and_b32 exec_lo, exec_lo, vcc_lo
	s_cbranch_execz .LBB127_284
; %bb.283:
	v_div_scale_f64 v[70:71], null, v[68:69], v[68:69], 1.0
	v_rcp_f64_e32 v[72:73], v[70:71]
	v_fma_f64 v[74:75], -v[70:71], v[72:73], 1.0
	v_fma_f64 v[72:73], v[72:73], v[74:75], v[72:73]
	v_fma_f64 v[74:75], -v[70:71], v[72:73], 1.0
	v_fma_f64 v[72:73], v[72:73], v[74:75], v[72:73]
	v_div_scale_f64 v[74:75], vcc_lo, 1.0, v[68:69], 1.0
	v_mul_f64 v[76:77], v[74:75], v[72:73]
	v_fma_f64 v[70:71], -v[70:71], v[76:77], v[74:75]
	v_div_fmas_f64 v[70:71], v[70:71], v[72:73], v[76:77]
	v_div_fixup_f64 v[68:69], v[70:71], v[68:69], 1.0
	ds_write_b64 v1, v[68:69]
.LBB127_284:
	s_or_b32 exec_lo, exec_lo, s1
	s_waitcnt lgkmcnt(0)
	s_barrier
	buffer_gl0_inv
	ds_read_b64 v[70:71], v1
	s_mov_b32 s1, exec_lo
	v_cmpx_lt_u32_e32 56, v0
	s_cbranch_execz .LBB127_286
; %bb.285:
	s_waitcnt lgkmcnt(0)
	v_mul_f64 v[180:181], v[70:71], v[180:181]
	ds_read2_b64 v[72:75], v84 offset0:57 offset1:58
	ds_read_b64 v[68:69], v84 offset:504
	s_waitcnt lgkmcnt(1)
	v_fma_f64 v[134:135], -v[180:181], v[72:73], v[134:135]
	v_fma_f64 v[178:179], -v[180:181], v[74:75], v[178:179]
	ds_read2_b64 v[72:75], v84 offset0:59 offset1:60
	s_waitcnt lgkmcnt(1)
	v_fma_f64 v[6:7], -v[180:181], v[68:69], v[6:7]
	s_waitcnt lgkmcnt(0)
	v_fma_f64 v[132:133], -v[180:181], v[72:73], v[132:133]
	v_fma_f64 v[176:177], -v[180:181], v[74:75], v[176:177]
	ds_read2_b64 v[72:75], v84 offset0:61 offset1:62
	s_waitcnt lgkmcnt(0)
	v_fma_f64 v[130:131], -v[180:181], v[72:73], v[130:131]
	v_fma_f64 v[174:175], -v[180:181], v[74:75], v[174:175]
.LBB127_286:
	s_or_b32 exec_lo, exec_lo, s1
	s_mov_b32 s1, exec_lo
	s_waitcnt lgkmcnt(0)
	s_barrier
	buffer_gl0_inv
	v_cmpx_eq_u32_e32 57, v0
	s_cbranch_execz .LBB127_289
; %bb.287:
	v_mov_b32_e32 v68, v178
	v_mov_b32_e32 v69, v179
	v_mov_b32_e32 v72, v132
	v_mov_b32_e32 v73, v133
	ds_write_b64 v1, v[134:135]
	ds_write2_b64 v84, v[68:69], v[72:73] offset0:58 offset1:59
	v_mov_b32_e32 v68, v176
	v_mov_b32_e32 v69, v177
	;; [unrolled: 1-line block ×4, first 2 shown]
	ds_write2_b64 v84, v[68:69], v[72:73] offset0:60 offset1:61
	v_mov_b32_e32 v68, v174
	v_mov_b32_e32 v69, v175
	ds_write2_b64 v84, v[68:69], v[6:7] offset0:62 offset1:63
	ds_read_b64 v[68:69], v1
	s_waitcnt lgkmcnt(0)
	v_cmp_neq_f64_e32 vcc_lo, 0, v[68:69]
	s_and_b32 exec_lo, exec_lo, vcc_lo
	s_cbranch_execz .LBB127_289
; %bb.288:
	v_div_scale_f64 v[72:73], null, v[68:69], v[68:69], 1.0
	v_rcp_f64_e32 v[74:75], v[72:73]
	v_fma_f64 v[76:77], -v[72:73], v[74:75], 1.0
	v_fma_f64 v[74:75], v[74:75], v[76:77], v[74:75]
	v_fma_f64 v[76:77], -v[72:73], v[74:75], 1.0
	v_fma_f64 v[74:75], v[74:75], v[76:77], v[74:75]
	v_div_scale_f64 v[76:77], vcc_lo, 1.0, v[68:69], 1.0
	v_mul_f64 v[78:79], v[76:77], v[74:75]
	v_fma_f64 v[72:73], -v[72:73], v[78:79], v[76:77]
	v_div_fmas_f64 v[72:73], v[72:73], v[74:75], v[78:79]
	v_div_fixup_f64 v[68:69], v[72:73], v[68:69], 1.0
	ds_write_b64 v1, v[68:69]
.LBB127_289:
	s_or_b32 exec_lo, exec_lo, s1
	s_waitcnt lgkmcnt(0)
	s_barrier
	buffer_gl0_inv
	ds_read_b64 v[72:73], v1
	s_mov_b32 s1, exec_lo
	v_cmpx_lt_u32_e32 57, v0
	s_cbranch_execz .LBB127_291
; %bb.290:
	s_waitcnt lgkmcnt(0)
	v_mul_f64 v[134:135], v[72:73], v[134:135]
	ds_read2_b64 v[74:77], v84 offset0:58 offset1:59
	s_waitcnt lgkmcnt(0)
	v_fma_f64 v[178:179], -v[134:135], v[74:75], v[178:179]
	v_fma_f64 v[132:133], -v[134:135], v[76:77], v[132:133]
	ds_read2_b64 v[74:77], v84 offset0:60 offset1:61
	s_waitcnt lgkmcnt(0)
	v_fma_f64 v[176:177], -v[134:135], v[74:75], v[176:177]
	v_fma_f64 v[130:131], -v[134:135], v[76:77], v[130:131]
	;; [unrolled: 4-line block ×3, first 2 shown]
.LBB127_291:
	s_or_b32 exec_lo, exec_lo, s1
	s_mov_b32 s1, exec_lo
	s_waitcnt lgkmcnt(0)
	s_barrier
	buffer_gl0_inv
	v_cmpx_eq_u32_e32 58, v0
	s_cbranch_execz .LBB127_294
; %bb.292:
	ds_write_b64 v1, v[178:179]
	ds_write2_b64 v84, v[132:133], v[176:177] offset0:59 offset1:60
	ds_write2_b64 v84, v[130:131], v[174:175] offset0:61 offset1:62
	ds_write_b64 v84, v[6:7] offset:504
	ds_read_b64 v[68:69], v1
	s_waitcnt lgkmcnt(0)
	v_cmp_neq_f64_e32 vcc_lo, 0, v[68:69]
	s_and_b32 exec_lo, exec_lo, vcc_lo
	s_cbranch_execz .LBB127_294
; %bb.293:
	v_div_scale_f64 v[74:75], null, v[68:69], v[68:69], 1.0
	v_rcp_f64_e32 v[76:77], v[74:75]
	v_fma_f64 v[78:79], -v[74:75], v[76:77], 1.0
	v_fma_f64 v[76:77], v[76:77], v[78:79], v[76:77]
	v_fma_f64 v[78:79], -v[74:75], v[76:77], 1.0
	v_fma_f64 v[76:77], v[76:77], v[78:79], v[76:77]
	v_div_scale_f64 v[78:79], vcc_lo, 1.0, v[68:69], 1.0
	v_mul_f64 v[80:81], v[78:79], v[76:77]
	v_fma_f64 v[74:75], -v[74:75], v[80:81], v[78:79]
	v_div_fmas_f64 v[74:75], v[74:75], v[76:77], v[80:81]
	v_div_fixup_f64 v[68:69], v[74:75], v[68:69], 1.0
	ds_write_b64 v1, v[68:69]
.LBB127_294:
	s_or_b32 exec_lo, exec_lo, s1
	s_waitcnt lgkmcnt(0)
	s_barrier
	buffer_gl0_inv
	ds_read_b64 v[74:75], v1
	s_mov_b32 s1, exec_lo
	v_cmpx_lt_u32_e32 58, v0
	s_cbranch_execz .LBB127_296
; %bb.295:
	s_waitcnt lgkmcnt(0)
	v_mul_f64 v[178:179], v[74:75], v[178:179]
	ds_read2_b64 v[76:79], v84 offset0:59 offset1:60
	ds_read_b64 v[68:69], v84 offset:504
	s_waitcnt lgkmcnt(1)
	v_fma_f64 v[132:133], -v[178:179], v[76:77], v[132:133]
	v_fma_f64 v[176:177], -v[178:179], v[78:79], v[176:177]
	ds_read2_b64 v[76:79], v84 offset0:61 offset1:62
	s_waitcnt lgkmcnt(1)
	v_fma_f64 v[6:7], -v[178:179], v[68:69], v[6:7]
	s_waitcnt lgkmcnt(0)
	v_fma_f64 v[130:131], -v[178:179], v[76:77], v[130:131]
	v_fma_f64 v[174:175], -v[178:179], v[78:79], v[174:175]
.LBB127_296:
	s_or_b32 exec_lo, exec_lo, s1
	s_mov_b32 s1, exec_lo
	s_waitcnt lgkmcnt(0)
	s_barrier
	buffer_gl0_inv
	v_cmpx_eq_u32_e32 59, v0
	s_cbranch_execz .LBB127_299
; %bb.297:
	v_mov_b32_e32 v68, v176
	v_mov_b32_e32 v69, v177
	;; [unrolled: 1-line block ×4, first 2 shown]
	ds_write_b64 v1, v[132:133]
	ds_write2_b64 v84, v[68:69], v[76:77] offset0:60 offset1:61
	v_mov_b32_e32 v68, v174
	v_mov_b32_e32 v69, v175
	ds_write2_b64 v84, v[68:69], v[6:7] offset0:62 offset1:63
	ds_read_b64 v[68:69], v1
	s_waitcnt lgkmcnt(0)
	v_cmp_neq_f64_e32 vcc_lo, 0, v[68:69]
	s_and_b32 exec_lo, exec_lo, vcc_lo
	s_cbranch_execz .LBB127_299
; %bb.298:
	v_div_scale_f64 v[76:77], null, v[68:69], v[68:69], 1.0
	v_rcp_f64_e32 v[78:79], v[76:77]
	v_fma_f64 v[80:81], -v[76:77], v[78:79], 1.0
	v_fma_f64 v[78:79], v[78:79], v[80:81], v[78:79]
	v_fma_f64 v[80:81], -v[76:77], v[78:79], 1.0
	v_fma_f64 v[78:79], v[78:79], v[80:81], v[78:79]
	v_div_scale_f64 v[80:81], vcc_lo, 1.0, v[68:69], 1.0
	v_mul_f64 v[82:83], v[80:81], v[78:79]
	v_fma_f64 v[76:77], -v[76:77], v[82:83], v[80:81]
	v_div_fmas_f64 v[76:77], v[76:77], v[78:79], v[82:83]
	v_div_fixup_f64 v[68:69], v[76:77], v[68:69], 1.0
	ds_write_b64 v1, v[68:69]
.LBB127_299:
	s_or_b32 exec_lo, exec_lo, s1
	s_waitcnt lgkmcnt(0)
	s_barrier
	buffer_gl0_inv
	ds_read_b64 v[76:77], v1
	s_mov_b32 s1, exec_lo
	v_cmpx_lt_u32_e32 59, v0
	s_cbranch_execz .LBB127_301
; %bb.300:
	s_waitcnt lgkmcnt(0)
	v_mul_f64 v[132:133], v[76:77], v[132:133]
	ds_read2_b64 v[78:81], v84 offset0:60 offset1:61
	s_waitcnt lgkmcnt(0)
	v_fma_f64 v[176:177], -v[132:133], v[78:79], v[176:177]
	v_fma_f64 v[130:131], -v[132:133], v[80:81], v[130:131]
	ds_read2_b64 v[78:81], v84 offset0:62 offset1:63
	s_waitcnt lgkmcnt(0)
	v_fma_f64 v[174:175], -v[132:133], v[78:79], v[174:175]
	v_fma_f64 v[6:7], -v[132:133], v[80:81], v[6:7]
.LBB127_301:
	s_or_b32 exec_lo, exec_lo, s1
	s_mov_b32 s1, exec_lo
	s_waitcnt lgkmcnt(0)
	s_barrier
	buffer_gl0_inv
	v_cmpx_eq_u32_e32 60, v0
	s_cbranch_execz .LBB127_304
; %bb.302:
	ds_write_b64 v1, v[176:177]
	ds_write2_b64 v84, v[130:131], v[174:175] offset0:61 offset1:62
	ds_write_b64 v84, v[6:7] offset:504
	ds_read_b64 v[68:69], v1
	s_waitcnt lgkmcnt(0)
	v_cmp_neq_f64_e32 vcc_lo, 0, v[68:69]
	s_and_b32 exec_lo, exec_lo, vcc_lo
	s_cbranch_execz .LBB127_304
; %bb.303:
	v_div_scale_f64 v[78:79], null, v[68:69], v[68:69], 1.0
	v_rcp_f64_e32 v[80:81], v[78:79]
	v_fma_f64 v[82:83], -v[78:79], v[80:81], 1.0
	v_fma_f64 v[80:81], v[80:81], v[82:83], v[80:81]
	v_fma_f64 v[82:83], -v[78:79], v[80:81], 1.0
	v_fma_f64 v[80:81], v[80:81], v[82:83], v[80:81]
	v_div_scale_f64 v[82:83], vcc_lo, 1.0, v[68:69], 1.0
	v_mul_f64 v[85:86], v[82:83], v[80:81]
	v_fma_f64 v[78:79], -v[78:79], v[85:86], v[82:83]
	v_div_fmas_f64 v[78:79], v[78:79], v[80:81], v[85:86]
	v_div_fixup_f64 v[68:69], v[78:79], v[68:69], 1.0
	ds_write_b64 v1, v[68:69]
.LBB127_304:
	s_or_b32 exec_lo, exec_lo, s1
	s_waitcnt lgkmcnt(0)
	s_barrier
	buffer_gl0_inv
	ds_read_b64 v[78:79], v1
	s_mov_b32 s1, exec_lo
	v_cmpx_lt_u32_e32 60, v0
	s_cbranch_execz .LBB127_306
; %bb.305:
	s_waitcnt lgkmcnt(0)
	v_mul_f64 v[176:177], v[78:79], v[176:177]
	ds_read2_b64 v[80:83], v84 offset0:61 offset1:62
	ds_read_b64 v[68:69], v84 offset:504
	s_waitcnt lgkmcnt(1)
	v_fma_f64 v[130:131], -v[176:177], v[80:81], v[130:131]
	v_fma_f64 v[174:175], -v[176:177], v[82:83], v[174:175]
	s_waitcnt lgkmcnt(0)
	v_fma_f64 v[6:7], -v[176:177], v[68:69], v[6:7]
.LBB127_306:
	s_or_b32 exec_lo, exec_lo, s1
	s_mov_b32 s1, exec_lo
	s_waitcnt lgkmcnt(0)
	s_barrier
	buffer_gl0_inv
	v_cmpx_eq_u32_e32 61, v0
	s_cbranch_execz .LBB127_309
; %bb.307:
	v_mov_b32_e32 v68, v174
	v_mov_b32_e32 v69, v175
	ds_write_b64 v1, v[130:131]
	ds_write2_b64 v84, v[68:69], v[6:7] offset0:62 offset1:63
	ds_read_b64 v[68:69], v1
	s_waitcnt lgkmcnt(0)
	v_cmp_neq_f64_e32 vcc_lo, 0, v[68:69]
	s_and_b32 exec_lo, exec_lo, vcc_lo
	s_cbranch_execz .LBB127_309
; %bb.308:
	v_div_scale_f64 v[80:81], null, v[68:69], v[68:69], 1.0
	v_rcp_f64_e32 v[82:83], v[80:81]
	v_fma_f64 v[85:86], -v[80:81], v[82:83], 1.0
	v_fma_f64 v[82:83], v[82:83], v[85:86], v[82:83]
	v_fma_f64 v[85:86], -v[80:81], v[82:83], 1.0
	v_fma_f64 v[82:83], v[82:83], v[85:86], v[82:83]
	v_div_scale_f64 v[85:86], vcc_lo, 1.0, v[68:69], 1.0
	v_mul_f64 v[87:88], v[85:86], v[82:83]
	v_fma_f64 v[80:81], -v[80:81], v[87:88], v[85:86]
	v_div_fmas_f64 v[80:81], v[80:81], v[82:83], v[87:88]
	v_div_fixup_f64 v[68:69], v[80:81], v[68:69], 1.0
	ds_write_b64 v1, v[68:69]
.LBB127_309:
	s_or_b32 exec_lo, exec_lo, s1
	s_waitcnt lgkmcnt(0)
	s_barrier
	buffer_gl0_inv
	ds_read_b64 v[80:81], v1
	s_mov_b32 s1, exec_lo
	v_cmpx_lt_u32_e32 61, v0
	s_cbranch_execz .LBB127_311
; %bb.310:
	s_waitcnt lgkmcnt(0)
	v_mul_f64 v[130:131], v[80:81], v[130:131]
	ds_read2_b64 v[85:88], v84 offset0:62 offset1:63
	s_waitcnt lgkmcnt(0)
	v_fma_f64 v[174:175], -v[130:131], v[85:86], v[174:175]
	v_fma_f64 v[6:7], -v[130:131], v[87:88], v[6:7]
.LBB127_311:
	s_or_b32 exec_lo, exec_lo, s1
	s_mov_b32 s1, exec_lo
	s_waitcnt lgkmcnt(0)
	s_barrier
	buffer_gl0_inv
	v_cmpx_eq_u32_e32 62, v0
	s_cbranch_execz .LBB127_314
; %bb.312:
	ds_write_b64 v1, v[174:175]
	ds_write_b64 v84, v[6:7] offset:504
	ds_read_b64 v[68:69], v1
	s_waitcnt lgkmcnt(0)
	v_cmp_neq_f64_e32 vcc_lo, 0, v[68:69]
	s_and_b32 exec_lo, exec_lo, vcc_lo
	s_cbranch_execz .LBB127_314
; %bb.313:
	v_div_scale_f64 v[82:83], null, v[68:69], v[68:69], 1.0
	v_mov_b32_e32 v108, v107
	v_mov_b32_e32 v107, v106
	;; [unrolled: 1-line block ×20, first 2 shown]
	v_rcp_f64_e32 v[85:86], v[82:83]
	v_mov_b32_e32 v128, v23
	v_mov_b32_e32 v127, v22
	;; [unrolled: 1-line block ×23, first 2 shown]
	v_fma_f64 v[87:88], -v[82:83], v[85:86], 1.0
	v_mov_b32_e32 v117, v116
	v_mov_b32_e32 v116, v115
	;; [unrolled: 1-line block ×21, first 2 shown]
	v_fma_f64 v[85:86], v[85:86], v[87:88], v[85:86]
	v_mov_b32_e32 v121, v122
	v_mov_b32_e32 v122, v123
	;; [unrolled: 1-line block ×10, first 2 shown]
	v_fma_f64 v[87:88], -v[82:83], v[85:86], 1.0
	v_fma_f64 v[85:86], v[85:86], v[87:88], v[85:86]
	v_div_scale_f64 v[87:88], vcc_lo, 1.0, v[68:69], 1.0
	v_mul_f64 v[89:90], v[87:88], v[85:86]
	v_fma_f64 v[82:83], -v[82:83], v[89:90], v[87:88]
	v_div_fmas_f64 v[82:83], v[82:83], v[85:86], v[89:90]
	v_mov_b32_e32 v90, v91
	v_mov_b32_e32 v91, v92
	;; [unrolled: 1-line block ×18, first 2 shown]
	v_div_fixup_f64 v[68:69], v[82:83], v[68:69], 1.0
	ds_write_b64 v1, v[68:69]
.LBB127_314:
	s_or_b32 exec_lo, exec_lo, s1
	s_waitcnt lgkmcnt(0)
	s_barrier
	buffer_gl0_inv
	ds_read_b64 v[82:83], v1
	s_mov_b32 s1, exec_lo
	v_cmpx_lt_u32_e32 62, v0
	s_cbranch_execz .LBB127_316
; %bb.315:
	s_waitcnt lgkmcnt(0)
	v_mul_f64 v[174:175], v[82:83], v[174:175]
	ds_read_b64 v[68:69], v84 offset:504
	s_waitcnt lgkmcnt(0)
	v_fma_f64 v[6:7], -v[174:175], v[68:69], v[6:7]
.LBB127_316:
	s_or_b32 exec_lo, exec_lo, s1
	s_mov_b32 s1, exec_lo
	s_waitcnt lgkmcnt(0)
	s_barrier
	buffer_gl0_inv
	v_cmpx_eq_u32_e32 63, v0
	s_cbranch_execz .LBB127_319
; %bb.317:
	v_cmp_neq_f64_e32 vcc_lo, 0, v[6:7]
	ds_write_b64 v1, v[6:7]
	s_and_b32 exec_lo, exec_lo, vcc_lo
	s_cbranch_execz .LBB127_319
; %bb.318:
	v_div_scale_f64 v[68:69], null, v[6:7], v[6:7], 1.0
	v_rcp_f64_e32 v[84:85], v[68:69]
	v_fma_f64 v[86:87], -v[68:69], v[84:85], 1.0
	v_fma_f64 v[84:85], v[84:85], v[86:87], v[84:85]
	v_fma_f64 v[86:87], -v[68:69], v[84:85], 1.0
	v_fma_f64 v[84:85], v[84:85], v[86:87], v[84:85]
	v_div_scale_f64 v[86:87], vcc_lo, 1.0, v[6:7], 1.0
	v_mul_f64 v[88:89], v[86:87], v[84:85]
	v_fma_f64 v[68:69], -v[68:69], v[88:89], v[86:87]
	v_div_fmas_f64 v[68:69], v[68:69], v[84:85], v[88:89]
	v_div_fixup_f64 v[68:69], v[68:69], v[6:7], 1.0
	ds_write_b64 v1, v[68:69]
.LBB127_319:
	s_or_b32 exec_lo, exec_lo, s1
	s_waitcnt lgkmcnt(0)
	s_barrier
	buffer_gl0_inv
	ds_read_b64 v[68:69], v1
	s_waitcnt lgkmcnt(0)
	s_barrier
	buffer_gl0_inv
	s_and_saveexec_b32 s1, s0
	s_cbranch_execz .LBB127_322
; %bb.320:
	v_mov_b32_e32 v85, v9
	v_mov_b32_e32 v84, v8
	s_clause 0x1
	buffer_load_dword v8, off, s[12:15], 0 offset:352
	buffer_load_dword v9, off, s[12:15], 0 offset:356
	v_cmp_eq_f64_e32 vcc_lo, 0, v[90:91]
	s_load_dwordx2 s[2:3], s[4:5], 0x28
	v_cndmask_b32_e64 v1, 0, 1, vcc_lo
	s_waitcnt vmcnt(0)
	v_cmp_neq_f64_e64 s0, 0, v[8:9]
	s_clause 0x1
	buffer_load_dword v8, off, s[12:15], 0 offset:360
	buffer_load_dword v9, off, s[12:15], 0 offset:364
	s_or_b32 vcc_lo, s0, vcc_lo
	v_cndmask_b32_e32 v1, 2, v1, vcc_lo
	v_cmp_eq_u32_e64 s0, 0, v1
	s_waitcnt vmcnt(0)
	v_cmp_eq_f64_e32 vcc_lo, 0, v[8:9]
	s_clause 0x1
	buffer_load_dword v8, off, s[12:15], 0 offset:368
	buffer_load_dword v9, off, s[12:15], 0 offset:372
	s_and_b32 s0, vcc_lo, s0
	v_cndmask_b32_e64 v1, v1, 3, s0
	v_cmp_eq_u32_e64 s0, 0, v1
	s_waitcnt vmcnt(0)
	v_cmp_eq_f64_e32 vcc_lo, 0, v[8:9]
	s_clause 0x1
	buffer_load_dword v8, off, s[12:15], 0 offset:376
	buffer_load_dword v9, off, s[12:15], 0 offset:380
	s_and_b32 s0, vcc_lo, s0
	v_cndmask_b32_e64 v1, v1, 4, s0
	;; [unrolled: 8-line block ×23, first 2 shown]
	v_cmp_eq_u32_e64 s0, 0, v1
	s_waitcnt vmcnt(0)
	v_cmp_eq_f64_e32 vcc_lo, 0, v[8:9]
	s_and_b32 s0, vcc_lo, s0
	v_cmp_eq_f64_e32 vcc_lo, 0, v[84:85]
	v_cndmask_b32_e64 v1, v1, 26, s0
	v_cmp_eq_u32_e64 s0, 0, v1
	s_and_b32 s0, vcc_lo, s0
	v_cmp_eq_f64_e32 vcc_lo, 0, v[10:11]
	v_cndmask_b32_e64 v1, v1, 27, s0
	v_cmp_eq_u32_e64 s0, 0, v1
	;; [unrolled: 4-line block ×38, first 2 shown]
	s_and_b32 s0, vcc_lo, s0
	v_cndmask_b32_e64 v8, v1, 64, s0
	v_lshlrev_b64 v[1:2], 2, v[2:3]
	v_cmp_ne_u32_e64 s0, 0, v8
	s_waitcnt lgkmcnt(0)
	v_add_co_u32 v1, vcc_lo, s2, v1
	v_add_co_ci_u32_e64 v2, null, s3, v2, vcc_lo
	global_load_dword v3, v[1:2], off
	s_waitcnt vmcnt(0)
	v_cmp_eq_u32_e32 vcc_lo, 0, v3
	s_and_b32 s0, vcc_lo, s0
	s_and_b32 exec_lo, exec_lo, s0
	s_cbranch_execz .LBB127_322
; %bb.321:
	v_add_nc_u32_e32 v3, s9, v8
	global_store_dword v[1:2], v3, off
.LBB127_322:
	s_or_b32 exec_lo, exec_lo, s1
	flat_store_dwordx2 v[128:129], v[254:255]
	s_clause 0x1
	buffer_load_dword v1, off, s[12:15], 0 offset:344
	buffer_load_dword v2, off, s[12:15], 0 offset:348
	v_cmp_lt_u32_e32 vcc_lo, 63, v0
	s_waitcnt vmcnt(0)
	flat_store_dwordx2 v[1:2], v[4:5]
	s_clause 0x1
	buffer_load_dword v1, off, s[12:15], 0 offset:336
	buffer_load_dword v2, off, s[12:15], 0 offset:340
	s_waitcnt vmcnt(0)
	flat_store_dwordx2 v[1:2], v[252:253]
	flat_store_dwordx2 v[92:93], v[234:235]
	;; [unrolled: 1-line block ×9, first 2 shown]
	s_clause 0x1
	buffer_load_dword v1, off, s[12:15], 0 offset:552
	buffer_load_dword v2, off, s[12:15], 0 offset:556
	s_waitcnt vmcnt(0)
	flat_store_dwordx2 v[1:2], v[226:227]
	s_clause 0x1
	buffer_load_dword v1, off, s[12:15], 0 offset:560
	buffer_load_dword v2, off, s[12:15], 0 offset:564
	s_waitcnt vmcnt(0)
	flat_store_dwordx2 v[1:2], v[242:243]
	;; [unrolled: 5-line block ×3, first 2 shown]
	flat_store_dwordx2 v[116:117], v[240:241]
	flat_store_dwordx2 v[120:121], v[222:223]
	;; [unrolled: 1-line block ×4, first 2 shown]
	s_clause 0x1
	buffer_load_dword v1, off, s[12:15], 0 offset:8
	buffer_load_dword v2, off, s[12:15], 0 offset:12
	s_waitcnt vmcnt(0)
	flat_store_dwordx2 v[1:2], v[236:237]
	flat_store_dwordx2 v[114:115], v[172:173]
	;; [unrolled: 1-line block ×5, first 2 shown]
	s_clause 0x1
	buffer_load_dword v3, off, s[12:15], 0
	buffer_load_dword v4, off, s[12:15], 0 offset:4
	v_mul_f64 v[1:2], v[68:69], v[6:7]
	v_cndmask_b32_e32 v2, v7, v2, vcc_lo
	v_cndmask_b32_e32 v1, v6, v1, vcc_lo
	s_waitcnt vmcnt(0)
	flat_store_dwordx2 v[3:4], v[168:169]
	s_clause 0x1
	buffer_load_dword v3, off, s[12:15], 0 offset:16
	buffer_load_dword v4, off, s[12:15], 0 offset:20
	s_waitcnt vmcnt(0)
	flat_store_dwordx2 v[3:4], v[212:213]
	s_clause 0x1
	buffer_load_dword v3, off, s[12:15], 0 offset:24
	buffer_load_dword v4, off, s[12:15], 0 offset:28
	;; [unrolled: 5-line block ×40, first 2 shown]
	s_waitcnt vmcnt(0)
	flat_store_dwordx2 v[3:4], v[1:2]
.LBB127_323:
	s_endpgm
	.section	.rodata,"a",@progbits
	.p2align	6, 0x0
	.amdhsa_kernel _ZN9rocsolver6v33100L23getf2_npvt_small_kernelILi64EdiiPKPdEEvT1_T3_lS5_lPT2_S5_S5_
		.amdhsa_group_segment_fixed_size 0
		.amdhsa_private_segment_fixed_size 580
		.amdhsa_kernarg_size 312
		.amdhsa_user_sgpr_count 6
		.amdhsa_user_sgpr_private_segment_buffer 1
		.amdhsa_user_sgpr_dispatch_ptr 0
		.amdhsa_user_sgpr_queue_ptr 0
		.amdhsa_user_sgpr_kernarg_segment_ptr 1
		.amdhsa_user_sgpr_dispatch_id 0
		.amdhsa_user_sgpr_flat_scratch_init 0
		.amdhsa_user_sgpr_private_segment_size 0
		.amdhsa_wavefront_size32 1
		.amdhsa_uses_dynamic_stack 0
		.amdhsa_system_sgpr_private_segment_wavefront_offset 1
		.amdhsa_system_sgpr_workgroup_id_x 1
		.amdhsa_system_sgpr_workgroup_id_y 1
		.amdhsa_system_sgpr_workgroup_id_z 0
		.amdhsa_system_sgpr_workgroup_info 0
		.amdhsa_system_vgpr_workitem_id 1
		.amdhsa_next_free_vgpr 256
		.amdhsa_next_free_sgpr 16
		.amdhsa_reserve_vcc 1
		.amdhsa_reserve_flat_scratch 1
		.amdhsa_float_round_mode_32 0
		.amdhsa_float_round_mode_16_64 0
		.amdhsa_float_denorm_mode_32 3
		.amdhsa_float_denorm_mode_16_64 3
		.amdhsa_dx10_clamp 1
		.amdhsa_ieee_mode 1
		.amdhsa_fp16_overflow 0
		.amdhsa_workgroup_processor_mode 1
		.amdhsa_memory_ordered 1
		.amdhsa_forward_progress 1
		.amdhsa_shared_vgpr_count 0
		.amdhsa_exception_fp_ieee_invalid_op 0
		.amdhsa_exception_fp_denorm_src 0
		.amdhsa_exception_fp_ieee_div_zero 0
		.amdhsa_exception_fp_ieee_overflow 0
		.amdhsa_exception_fp_ieee_underflow 0
		.amdhsa_exception_fp_ieee_inexact 0
		.amdhsa_exception_int_div_zero 0
	.end_amdhsa_kernel
	.section	.text._ZN9rocsolver6v33100L23getf2_npvt_small_kernelILi64EdiiPKPdEEvT1_T3_lS5_lPT2_S5_S5_,"axG",@progbits,_ZN9rocsolver6v33100L23getf2_npvt_small_kernelILi64EdiiPKPdEEvT1_T3_lS5_lPT2_S5_S5_,comdat
.Lfunc_end127:
	.size	_ZN9rocsolver6v33100L23getf2_npvt_small_kernelILi64EdiiPKPdEEvT1_T3_lS5_lPT2_S5_S5_, .Lfunc_end127-_ZN9rocsolver6v33100L23getf2_npvt_small_kernelILi64EdiiPKPdEEvT1_T3_lS5_lPT2_S5_S5_
                                        ; -- End function
	.set _ZN9rocsolver6v33100L23getf2_npvt_small_kernelILi64EdiiPKPdEEvT1_T3_lS5_lPT2_S5_S5_.num_vgpr, 256
	.set _ZN9rocsolver6v33100L23getf2_npvt_small_kernelILi64EdiiPKPdEEvT1_T3_lS5_lPT2_S5_S5_.num_agpr, 0
	.set _ZN9rocsolver6v33100L23getf2_npvt_small_kernelILi64EdiiPKPdEEvT1_T3_lS5_lPT2_S5_S5_.numbered_sgpr, 16
	.set _ZN9rocsolver6v33100L23getf2_npvt_small_kernelILi64EdiiPKPdEEvT1_T3_lS5_lPT2_S5_S5_.num_named_barrier, 0
	.set _ZN9rocsolver6v33100L23getf2_npvt_small_kernelILi64EdiiPKPdEEvT1_T3_lS5_lPT2_S5_S5_.private_seg_size, 580
	.set _ZN9rocsolver6v33100L23getf2_npvt_small_kernelILi64EdiiPKPdEEvT1_T3_lS5_lPT2_S5_S5_.uses_vcc, 1
	.set _ZN9rocsolver6v33100L23getf2_npvt_small_kernelILi64EdiiPKPdEEvT1_T3_lS5_lPT2_S5_S5_.uses_flat_scratch, 1
	.set _ZN9rocsolver6v33100L23getf2_npvt_small_kernelILi64EdiiPKPdEEvT1_T3_lS5_lPT2_S5_S5_.has_dyn_sized_stack, 0
	.set _ZN9rocsolver6v33100L23getf2_npvt_small_kernelILi64EdiiPKPdEEvT1_T3_lS5_lPT2_S5_S5_.has_recursion, 0
	.set _ZN9rocsolver6v33100L23getf2_npvt_small_kernelILi64EdiiPKPdEEvT1_T3_lS5_lPT2_S5_S5_.has_indirect_call, 0
	.section	.AMDGPU.csdata,"",@progbits
; Kernel info:
; codeLenInByte = 66520
; TotalNumSgprs: 18
; NumVgprs: 256
; ScratchSize: 580
; MemoryBound: 0
; FloatMode: 240
; IeeeMode: 1
; LDSByteSize: 0 bytes/workgroup (compile time only)
; SGPRBlocks: 0
; VGPRBlocks: 31
; NumSGPRsForWavesPerEU: 18
; NumVGPRsForWavesPerEU: 256
; Occupancy: 4
; WaveLimiterHint : 1
; COMPUTE_PGM_RSRC2:SCRATCH_EN: 1
; COMPUTE_PGM_RSRC2:USER_SGPR: 6
; COMPUTE_PGM_RSRC2:TRAP_HANDLER: 0
; COMPUTE_PGM_RSRC2:TGID_X_EN: 1
; COMPUTE_PGM_RSRC2:TGID_Y_EN: 1
; COMPUTE_PGM_RSRC2:TGID_Z_EN: 0
; COMPUTE_PGM_RSRC2:TIDIG_COMP_CNT: 1
	.section	.AMDGPU.gpr_maximums,"",@progbits
	.set amdgpu.max_num_vgpr, 0
	.set amdgpu.max_num_agpr, 0
	.set amdgpu.max_num_sgpr, 0
	.section	.AMDGPU.csdata,"",@progbits
	.type	__hip_cuid_6ba06ea600d8e495,@object ; @__hip_cuid_6ba06ea600d8e495
	.section	.bss,"aw",@nobits
	.globl	__hip_cuid_6ba06ea600d8e495
__hip_cuid_6ba06ea600d8e495:
	.byte	0                               ; 0x0
	.size	__hip_cuid_6ba06ea600d8e495, 1

	.ident	"AMD clang version 22.0.0git (https://github.com/RadeonOpenCompute/llvm-project roc-7.2.4 26084 f58b06dce1f9c15707c5f808fd002e18c2accf7e)"
	.section	".note.GNU-stack","",@progbits
	.addrsig
	.addrsig_sym __hip_cuid_6ba06ea600d8e495
	.amdgpu_metadata
---
amdhsa.kernels:
  - .args:
      - .offset:         0
        .size:           4
        .value_kind:     by_value
      - .address_space:  global
        .offset:         8
        .size:           8
        .value_kind:     global_buffer
      - .offset:         16
        .size:           8
        .value_kind:     by_value
      - .offset:         24
        .size:           4
        .value_kind:     by_value
      - .offset:         32
        .size:           8
        .value_kind:     by_value
      - .address_space:  global
        .offset:         40
        .size:           8
        .value_kind:     global_buffer
      - .offset:         48
        .size:           8
        .value_kind:     by_value
      - .offset:         56
        .size:           8
        .value_kind:     by_value
      - .address_space:  global
        .offset:         64
        .size:           8
        .value_kind:     global_buffer
      - .offset:         72
        .size:           4
        .value_kind:     by_value
      - .offset:         76
        .size:           4
        .value_kind:     by_value
      - .address_space:  global
        .offset:         80
        .size:           8
        .value_kind:     global_buffer
      - .offset:         88
        .size:           8
        .value_kind:     by_value
      - .offset:         96
        .size:           4
        .value_kind:     hidden_block_count_x
      - .offset:         100
        .size:           4
        .value_kind:     hidden_block_count_y
      - .offset:         104
        .size:           4
        .value_kind:     hidden_block_count_z
      - .offset:         108
        .size:           2
        .value_kind:     hidden_group_size_x
      - .offset:         110
        .size:           2
        .value_kind:     hidden_group_size_y
      - .offset:         112
        .size:           2
        .value_kind:     hidden_group_size_z
      - .offset:         114
        .size:           2
        .value_kind:     hidden_remainder_x
      - .offset:         116
        .size:           2
        .value_kind:     hidden_remainder_y
      - .offset:         118
        .size:           2
        .value_kind:     hidden_remainder_z
      - .offset:         136
        .size:           8
        .value_kind:     hidden_global_offset_x
      - .offset:         144
        .size:           8
        .value_kind:     hidden_global_offset_y
      - .offset:         152
        .size:           8
        .value_kind:     hidden_global_offset_z
      - .offset:         160
        .size:           2
        .value_kind:     hidden_grid_dims
      - .offset:         216
        .size:           4
        .value_kind:     hidden_dynamic_lds_size
    .group_segment_fixed_size: 0
    .kernarg_segment_align: 8
    .kernarg_segment_size: 352
    .language:       OpenCL C
    .language_version:
      - 2
      - 0
    .max_flat_workgroup_size: 512
    .name:           _ZN9rocsolver6v33100L18getf2_small_kernelILi1EdiiPKPdEEvT1_T3_lS5_lPS5_llPT2_S5_S5_S7_l
    .private_segment_fixed_size: 0
    .sgpr_count:     16
    .sgpr_spill_count: 0
    .symbol:         _ZN9rocsolver6v33100L18getf2_small_kernelILi1EdiiPKPdEEvT1_T3_lS5_lPS5_llPT2_S5_S5_S7_l.kd
    .uniform_work_group_size: 1
    .uses_dynamic_stack: false
    .vgpr_count:     18
    .vgpr_spill_count: 0
    .wavefront_size: 32
    .workgroup_processor_mode: 1
  - .args:
      - .offset:         0
        .size:           4
        .value_kind:     by_value
      - .address_space:  global
        .offset:         8
        .size:           8
        .value_kind:     global_buffer
      - .offset:         16
        .size:           8
        .value_kind:     by_value
      - .offset:         24
        .size:           4
        .value_kind:     by_value
      - .offset:         32
        .size:           8
        .value_kind:     by_value
      - .address_space:  global
        .offset:         40
        .size:           8
        .value_kind:     global_buffer
      - .offset:         48
        .size:           4
        .value_kind:     by_value
      - .offset:         52
        .size:           4
        .value_kind:     by_value
      - .offset:         56
        .size:           4
        .value_kind:     hidden_block_count_x
      - .offset:         60
        .size:           4
        .value_kind:     hidden_block_count_y
      - .offset:         64
        .size:           4
        .value_kind:     hidden_block_count_z
      - .offset:         68
        .size:           2
        .value_kind:     hidden_group_size_x
      - .offset:         70
        .size:           2
        .value_kind:     hidden_group_size_y
      - .offset:         72
        .size:           2
        .value_kind:     hidden_group_size_z
      - .offset:         74
        .size:           2
        .value_kind:     hidden_remainder_x
      - .offset:         76
        .size:           2
        .value_kind:     hidden_remainder_y
      - .offset:         78
        .size:           2
        .value_kind:     hidden_remainder_z
      - .offset:         96
        .size:           8
        .value_kind:     hidden_global_offset_x
      - .offset:         104
        .size:           8
        .value_kind:     hidden_global_offset_y
      - .offset:         112
        .size:           8
        .value_kind:     hidden_global_offset_z
      - .offset:         120
        .size:           2
        .value_kind:     hidden_grid_dims
      - .offset:         176
        .size:           4
        .value_kind:     hidden_dynamic_lds_size
    .group_segment_fixed_size: 0
    .kernarg_segment_align: 8
    .kernarg_segment_size: 312
    .language:       OpenCL C
    .language_version:
      - 2
      - 0
    .max_flat_workgroup_size: 512
    .name:           _ZN9rocsolver6v33100L23getf2_npvt_small_kernelILi1EdiiPKPdEEvT1_T3_lS5_lPT2_S5_S5_
    .private_segment_fixed_size: 0
    .sgpr_count:     14
    .sgpr_spill_count: 0
    .symbol:         _ZN9rocsolver6v33100L23getf2_npvt_small_kernelILi1EdiiPKPdEEvT1_T3_lS5_lPT2_S5_S5_.kd
    .uniform_work_group_size: 1
    .uses_dynamic_stack: false
    .vgpr_count:     16
    .vgpr_spill_count: 0
    .wavefront_size: 32
    .workgroup_processor_mode: 1
  - .args:
      - .offset:         0
        .size:           4
        .value_kind:     by_value
      - .address_space:  global
        .offset:         8
        .size:           8
        .value_kind:     global_buffer
      - .offset:         16
        .size:           8
        .value_kind:     by_value
      - .offset:         24
        .size:           4
        .value_kind:     by_value
      - .offset:         32
        .size:           8
        .value_kind:     by_value
      - .address_space:  global
        .offset:         40
        .size:           8
        .value_kind:     global_buffer
      - .offset:         48
        .size:           8
        .value_kind:     by_value
      - .offset:         56
        .size:           8
        .value_kind:     by_value
      - .address_space:  global
        .offset:         64
        .size:           8
        .value_kind:     global_buffer
      - .offset:         72
        .size:           4
        .value_kind:     by_value
      - .offset:         76
        .size:           4
        .value_kind:     by_value
      - .address_space:  global
        .offset:         80
        .size:           8
        .value_kind:     global_buffer
      - .offset:         88
        .size:           8
        .value_kind:     by_value
      - .offset:         96
        .size:           4
        .value_kind:     hidden_block_count_x
      - .offset:         100
        .size:           4
        .value_kind:     hidden_block_count_y
      - .offset:         104
        .size:           4
        .value_kind:     hidden_block_count_z
      - .offset:         108
        .size:           2
        .value_kind:     hidden_group_size_x
      - .offset:         110
        .size:           2
        .value_kind:     hidden_group_size_y
      - .offset:         112
        .size:           2
        .value_kind:     hidden_group_size_z
      - .offset:         114
        .size:           2
        .value_kind:     hidden_remainder_x
      - .offset:         116
        .size:           2
        .value_kind:     hidden_remainder_y
      - .offset:         118
        .size:           2
        .value_kind:     hidden_remainder_z
      - .offset:         136
        .size:           8
        .value_kind:     hidden_global_offset_x
      - .offset:         144
        .size:           8
        .value_kind:     hidden_global_offset_y
      - .offset:         152
        .size:           8
        .value_kind:     hidden_global_offset_z
      - .offset:         160
        .size:           2
        .value_kind:     hidden_grid_dims
      - .offset:         216
        .size:           4
        .value_kind:     hidden_dynamic_lds_size
    .group_segment_fixed_size: 0
    .kernarg_segment_align: 8
    .kernarg_segment_size: 352
    .language:       OpenCL C
    .language_version:
      - 2
      - 0
    .max_flat_workgroup_size: 512
    .name:           _ZN9rocsolver6v33100L18getf2_small_kernelILi2EdiiPKPdEEvT1_T3_lS5_lPS5_llPT2_S5_S5_S7_l
    .private_segment_fixed_size: 0
    .sgpr_count:     16
    .sgpr_spill_count: 0
    .symbol:         _ZN9rocsolver6v33100L18getf2_small_kernelILi2EdiiPKPdEEvT1_T3_lS5_lPS5_llPT2_S5_S5_S7_l.kd
    .uniform_work_group_size: 1
    .uses_dynamic_stack: false
    .vgpr_count:     25
    .vgpr_spill_count: 0
    .wavefront_size: 32
    .workgroup_processor_mode: 1
  - .args:
      - .offset:         0
        .size:           4
        .value_kind:     by_value
      - .address_space:  global
        .offset:         8
        .size:           8
        .value_kind:     global_buffer
      - .offset:         16
        .size:           8
        .value_kind:     by_value
      - .offset:         24
        .size:           4
        .value_kind:     by_value
      - .offset:         32
        .size:           8
        .value_kind:     by_value
      - .address_space:  global
        .offset:         40
        .size:           8
        .value_kind:     global_buffer
      - .offset:         48
        .size:           4
        .value_kind:     by_value
      - .offset:         52
        .size:           4
        .value_kind:     by_value
      - .offset:         56
        .size:           4
        .value_kind:     hidden_block_count_x
      - .offset:         60
        .size:           4
        .value_kind:     hidden_block_count_y
      - .offset:         64
        .size:           4
        .value_kind:     hidden_block_count_z
      - .offset:         68
        .size:           2
        .value_kind:     hidden_group_size_x
      - .offset:         70
        .size:           2
        .value_kind:     hidden_group_size_y
      - .offset:         72
        .size:           2
        .value_kind:     hidden_group_size_z
      - .offset:         74
        .size:           2
        .value_kind:     hidden_remainder_x
      - .offset:         76
        .size:           2
        .value_kind:     hidden_remainder_y
      - .offset:         78
        .size:           2
        .value_kind:     hidden_remainder_z
      - .offset:         96
        .size:           8
        .value_kind:     hidden_global_offset_x
      - .offset:         104
        .size:           8
        .value_kind:     hidden_global_offset_y
      - .offset:         112
        .size:           8
        .value_kind:     hidden_global_offset_z
      - .offset:         120
        .size:           2
        .value_kind:     hidden_grid_dims
      - .offset:         176
        .size:           4
        .value_kind:     hidden_dynamic_lds_size
    .group_segment_fixed_size: 0
    .kernarg_segment_align: 8
    .kernarg_segment_size: 312
    .language:       OpenCL C
    .language_version:
      - 2
      - 0
    .max_flat_workgroup_size: 512
    .name:           _ZN9rocsolver6v33100L23getf2_npvt_small_kernelILi2EdiiPKPdEEvT1_T3_lS5_lPT2_S5_S5_
    .private_segment_fixed_size: 0
    .sgpr_count:     14
    .sgpr_spill_count: 0
    .symbol:         _ZN9rocsolver6v33100L23getf2_npvt_small_kernelILi2EdiiPKPdEEvT1_T3_lS5_lPT2_S5_S5_.kd
    .uniform_work_group_size: 1
    .uses_dynamic_stack: false
    .vgpr_count:     23
    .vgpr_spill_count: 0
    .wavefront_size: 32
    .workgroup_processor_mode: 1
  - .args:
      - .offset:         0
        .size:           4
        .value_kind:     by_value
      - .address_space:  global
        .offset:         8
        .size:           8
        .value_kind:     global_buffer
      - .offset:         16
        .size:           8
        .value_kind:     by_value
      - .offset:         24
        .size:           4
        .value_kind:     by_value
      - .offset:         32
        .size:           8
        .value_kind:     by_value
      - .address_space:  global
        .offset:         40
        .size:           8
        .value_kind:     global_buffer
      - .offset:         48
        .size:           8
        .value_kind:     by_value
      - .offset:         56
        .size:           8
        .value_kind:     by_value
      - .address_space:  global
        .offset:         64
        .size:           8
        .value_kind:     global_buffer
      - .offset:         72
        .size:           4
        .value_kind:     by_value
      - .offset:         76
        .size:           4
        .value_kind:     by_value
      - .address_space:  global
        .offset:         80
        .size:           8
        .value_kind:     global_buffer
      - .offset:         88
        .size:           8
        .value_kind:     by_value
      - .offset:         96
        .size:           4
        .value_kind:     hidden_block_count_x
      - .offset:         100
        .size:           4
        .value_kind:     hidden_block_count_y
      - .offset:         104
        .size:           4
        .value_kind:     hidden_block_count_z
      - .offset:         108
        .size:           2
        .value_kind:     hidden_group_size_x
      - .offset:         110
        .size:           2
        .value_kind:     hidden_group_size_y
      - .offset:         112
        .size:           2
        .value_kind:     hidden_group_size_z
      - .offset:         114
        .size:           2
        .value_kind:     hidden_remainder_x
      - .offset:         116
        .size:           2
        .value_kind:     hidden_remainder_y
      - .offset:         118
        .size:           2
        .value_kind:     hidden_remainder_z
      - .offset:         136
        .size:           8
        .value_kind:     hidden_global_offset_x
      - .offset:         144
        .size:           8
        .value_kind:     hidden_global_offset_y
      - .offset:         152
        .size:           8
        .value_kind:     hidden_global_offset_z
      - .offset:         160
        .size:           2
        .value_kind:     hidden_grid_dims
      - .offset:         216
        .size:           4
        .value_kind:     hidden_dynamic_lds_size
    .group_segment_fixed_size: 0
    .kernarg_segment_align: 8
    .kernarg_segment_size: 352
    .language:       OpenCL C
    .language_version:
      - 2
      - 0
    .max_flat_workgroup_size: 512
    .name:           _ZN9rocsolver6v33100L18getf2_small_kernelILi3EdiiPKPdEEvT1_T3_lS5_lPS5_llPT2_S5_S5_S7_l
    .private_segment_fixed_size: 0
    .sgpr_count:     16
    .sgpr_spill_count: 0
    .symbol:         _ZN9rocsolver6v33100L18getf2_small_kernelILi3EdiiPKPdEEvT1_T3_lS5_lPS5_llPT2_S5_S5_S7_l.kd
    .uniform_work_group_size: 1
    .uses_dynamic_stack: false
    .vgpr_count:     27
    .vgpr_spill_count: 0
    .wavefront_size: 32
    .workgroup_processor_mode: 1
  - .args:
      - .offset:         0
        .size:           4
        .value_kind:     by_value
      - .address_space:  global
        .offset:         8
        .size:           8
        .value_kind:     global_buffer
      - .offset:         16
        .size:           8
        .value_kind:     by_value
      - .offset:         24
        .size:           4
        .value_kind:     by_value
      - .offset:         32
        .size:           8
        .value_kind:     by_value
      - .address_space:  global
        .offset:         40
        .size:           8
        .value_kind:     global_buffer
      - .offset:         48
        .size:           4
        .value_kind:     by_value
      - .offset:         52
        .size:           4
        .value_kind:     by_value
      - .offset:         56
        .size:           4
        .value_kind:     hidden_block_count_x
      - .offset:         60
        .size:           4
        .value_kind:     hidden_block_count_y
      - .offset:         64
        .size:           4
        .value_kind:     hidden_block_count_z
      - .offset:         68
        .size:           2
        .value_kind:     hidden_group_size_x
      - .offset:         70
        .size:           2
        .value_kind:     hidden_group_size_y
      - .offset:         72
        .size:           2
        .value_kind:     hidden_group_size_z
      - .offset:         74
        .size:           2
        .value_kind:     hidden_remainder_x
      - .offset:         76
        .size:           2
        .value_kind:     hidden_remainder_y
      - .offset:         78
        .size:           2
        .value_kind:     hidden_remainder_z
      - .offset:         96
        .size:           8
        .value_kind:     hidden_global_offset_x
      - .offset:         104
        .size:           8
        .value_kind:     hidden_global_offset_y
      - .offset:         112
        .size:           8
        .value_kind:     hidden_global_offset_z
      - .offset:         120
        .size:           2
        .value_kind:     hidden_grid_dims
      - .offset:         176
        .size:           4
        .value_kind:     hidden_dynamic_lds_size
    .group_segment_fixed_size: 0
    .kernarg_segment_align: 8
    .kernarg_segment_size: 312
    .language:       OpenCL C
    .language_version:
      - 2
      - 0
    .max_flat_workgroup_size: 512
    .name:           _ZN9rocsolver6v33100L23getf2_npvt_small_kernelILi3EdiiPKPdEEvT1_T3_lS5_lPT2_S5_S5_
    .private_segment_fixed_size: 0
    .sgpr_count:     14
    .sgpr_spill_count: 0
    .symbol:         _ZN9rocsolver6v33100L23getf2_npvt_small_kernelILi3EdiiPKPdEEvT1_T3_lS5_lPT2_S5_S5_.kd
    .uniform_work_group_size: 1
    .uses_dynamic_stack: false
    .vgpr_count:     29
    .vgpr_spill_count: 0
    .wavefront_size: 32
    .workgroup_processor_mode: 1
  - .args:
      - .offset:         0
        .size:           4
        .value_kind:     by_value
      - .address_space:  global
        .offset:         8
        .size:           8
        .value_kind:     global_buffer
      - .offset:         16
        .size:           8
        .value_kind:     by_value
      - .offset:         24
        .size:           4
        .value_kind:     by_value
      - .offset:         32
        .size:           8
        .value_kind:     by_value
      - .address_space:  global
        .offset:         40
        .size:           8
        .value_kind:     global_buffer
      - .offset:         48
        .size:           8
        .value_kind:     by_value
      - .offset:         56
        .size:           8
        .value_kind:     by_value
      - .address_space:  global
        .offset:         64
        .size:           8
        .value_kind:     global_buffer
      - .offset:         72
        .size:           4
        .value_kind:     by_value
      - .offset:         76
        .size:           4
        .value_kind:     by_value
      - .address_space:  global
        .offset:         80
        .size:           8
        .value_kind:     global_buffer
      - .offset:         88
        .size:           8
        .value_kind:     by_value
      - .offset:         96
        .size:           4
        .value_kind:     hidden_block_count_x
      - .offset:         100
        .size:           4
        .value_kind:     hidden_block_count_y
      - .offset:         104
        .size:           4
        .value_kind:     hidden_block_count_z
      - .offset:         108
        .size:           2
        .value_kind:     hidden_group_size_x
      - .offset:         110
        .size:           2
        .value_kind:     hidden_group_size_y
      - .offset:         112
        .size:           2
        .value_kind:     hidden_group_size_z
      - .offset:         114
        .size:           2
        .value_kind:     hidden_remainder_x
      - .offset:         116
        .size:           2
        .value_kind:     hidden_remainder_y
      - .offset:         118
        .size:           2
        .value_kind:     hidden_remainder_z
      - .offset:         136
        .size:           8
        .value_kind:     hidden_global_offset_x
      - .offset:         144
        .size:           8
        .value_kind:     hidden_global_offset_y
      - .offset:         152
        .size:           8
        .value_kind:     hidden_global_offset_z
      - .offset:         160
        .size:           2
        .value_kind:     hidden_grid_dims
      - .offset:         216
        .size:           4
        .value_kind:     hidden_dynamic_lds_size
    .group_segment_fixed_size: 0
    .kernarg_segment_align: 8
    .kernarg_segment_size: 352
    .language:       OpenCL C
    .language_version:
      - 2
      - 0
    .max_flat_workgroup_size: 512
    .name:           _ZN9rocsolver6v33100L18getf2_small_kernelILi4EdiiPKPdEEvT1_T3_lS5_lPS5_llPT2_S5_S5_S7_l
    .private_segment_fixed_size: 0
    .sgpr_count:     16
    .sgpr_spill_count: 0
    .symbol:         _ZN9rocsolver6v33100L18getf2_small_kernelILi4EdiiPKPdEEvT1_T3_lS5_lPS5_llPT2_S5_S5_S7_l.kd
    .uniform_work_group_size: 1
    .uses_dynamic_stack: false
    .vgpr_count:     30
    .vgpr_spill_count: 0
    .wavefront_size: 32
    .workgroup_processor_mode: 1
  - .args:
      - .offset:         0
        .size:           4
        .value_kind:     by_value
      - .address_space:  global
        .offset:         8
        .size:           8
        .value_kind:     global_buffer
      - .offset:         16
        .size:           8
        .value_kind:     by_value
      - .offset:         24
        .size:           4
        .value_kind:     by_value
      - .offset:         32
        .size:           8
        .value_kind:     by_value
      - .address_space:  global
        .offset:         40
        .size:           8
        .value_kind:     global_buffer
      - .offset:         48
        .size:           4
        .value_kind:     by_value
      - .offset:         52
        .size:           4
        .value_kind:     by_value
      - .offset:         56
        .size:           4
        .value_kind:     hidden_block_count_x
      - .offset:         60
        .size:           4
        .value_kind:     hidden_block_count_y
      - .offset:         64
        .size:           4
        .value_kind:     hidden_block_count_z
      - .offset:         68
        .size:           2
        .value_kind:     hidden_group_size_x
      - .offset:         70
        .size:           2
        .value_kind:     hidden_group_size_y
      - .offset:         72
        .size:           2
        .value_kind:     hidden_group_size_z
      - .offset:         74
        .size:           2
        .value_kind:     hidden_remainder_x
      - .offset:         76
        .size:           2
        .value_kind:     hidden_remainder_y
      - .offset:         78
        .size:           2
        .value_kind:     hidden_remainder_z
      - .offset:         96
        .size:           8
        .value_kind:     hidden_global_offset_x
      - .offset:         104
        .size:           8
        .value_kind:     hidden_global_offset_y
      - .offset:         112
        .size:           8
        .value_kind:     hidden_global_offset_z
      - .offset:         120
        .size:           2
        .value_kind:     hidden_grid_dims
      - .offset:         176
        .size:           4
        .value_kind:     hidden_dynamic_lds_size
    .group_segment_fixed_size: 0
    .kernarg_segment_align: 8
    .kernarg_segment_size: 312
    .language:       OpenCL C
    .language_version:
      - 2
      - 0
    .max_flat_workgroup_size: 512
    .name:           _ZN9rocsolver6v33100L23getf2_npvt_small_kernelILi4EdiiPKPdEEvT1_T3_lS5_lPT2_S5_S5_
    .private_segment_fixed_size: 0
    .sgpr_count:     14
    .sgpr_spill_count: 0
    .symbol:         _ZN9rocsolver6v33100L23getf2_npvt_small_kernelILi4EdiiPKPdEEvT1_T3_lS5_lPT2_S5_S5_.kd
    .uniform_work_group_size: 1
    .uses_dynamic_stack: false
    .vgpr_count:     35
    .vgpr_spill_count: 0
    .wavefront_size: 32
    .workgroup_processor_mode: 1
  - .args:
      - .offset:         0
        .size:           4
        .value_kind:     by_value
      - .address_space:  global
        .offset:         8
        .size:           8
        .value_kind:     global_buffer
      - .offset:         16
        .size:           8
        .value_kind:     by_value
      - .offset:         24
        .size:           4
        .value_kind:     by_value
      - .offset:         32
        .size:           8
        .value_kind:     by_value
      - .address_space:  global
        .offset:         40
        .size:           8
        .value_kind:     global_buffer
      - .offset:         48
        .size:           8
        .value_kind:     by_value
      - .offset:         56
        .size:           8
        .value_kind:     by_value
      - .address_space:  global
        .offset:         64
        .size:           8
        .value_kind:     global_buffer
      - .offset:         72
        .size:           4
        .value_kind:     by_value
      - .offset:         76
        .size:           4
        .value_kind:     by_value
      - .address_space:  global
        .offset:         80
        .size:           8
        .value_kind:     global_buffer
      - .offset:         88
        .size:           8
        .value_kind:     by_value
      - .offset:         96
        .size:           4
        .value_kind:     hidden_block_count_x
      - .offset:         100
        .size:           4
        .value_kind:     hidden_block_count_y
      - .offset:         104
        .size:           4
        .value_kind:     hidden_block_count_z
      - .offset:         108
        .size:           2
        .value_kind:     hidden_group_size_x
      - .offset:         110
        .size:           2
        .value_kind:     hidden_group_size_y
      - .offset:         112
        .size:           2
        .value_kind:     hidden_group_size_z
      - .offset:         114
        .size:           2
        .value_kind:     hidden_remainder_x
      - .offset:         116
        .size:           2
        .value_kind:     hidden_remainder_y
      - .offset:         118
        .size:           2
        .value_kind:     hidden_remainder_z
      - .offset:         136
        .size:           8
        .value_kind:     hidden_global_offset_x
      - .offset:         144
        .size:           8
        .value_kind:     hidden_global_offset_y
      - .offset:         152
        .size:           8
        .value_kind:     hidden_global_offset_z
      - .offset:         160
        .size:           2
        .value_kind:     hidden_grid_dims
      - .offset:         216
        .size:           4
        .value_kind:     hidden_dynamic_lds_size
    .group_segment_fixed_size: 0
    .kernarg_segment_align: 8
    .kernarg_segment_size: 352
    .language:       OpenCL C
    .language_version:
      - 2
      - 0
    .max_flat_workgroup_size: 512
    .name:           _ZN9rocsolver6v33100L18getf2_small_kernelILi5EdiiPKPdEEvT1_T3_lS5_lPS5_llPT2_S5_S5_S7_l
    .private_segment_fixed_size: 0
    .sgpr_count:     16
    .sgpr_spill_count: 0
    .symbol:         _ZN9rocsolver6v33100L18getf2_small_kernelILi5EdiiPKPdEEvT1_T3_lS5_lPS5_llPT2_S5_S5_S7_l.kd
    .uniform_work_group_size: 1
    .uses_dynamic_stack: false
    .vgpr_count:     33
    .vgpr_spill_count: 0
    .wavefront_size: 32
    .workgroup_processor_mode: 1
  - .args:
      - .offset:         0
        .size:           4
        .value_kind:     by_value
      - .address_space:  global
        .offset:         8
        .size:           8
        .value_kind:     global_buffer
      - .offset:         16
        .size:           8
        .value_kind:     by_value
      - .offset:         24
        .size:           4
        .value_kind:     by_value
      - .offset:         32
        .size:           8
        .value_kind:     by_value
      - .address_space:  global
        .offset:         40
        .size:           8
        .value_kind:     global_buffer
      - .offset:         48
        .size:           4
        .value_kind:     by_value
      - .offset:         52
        .size:           4
        .value_kind:     by_value
      - .offset:         56
        .size:           4
        .value_kind:     hidden_block_count_x
      - .offset:         60
        .size:           4
        .value_kind:     hidden_block_count_y
      - .offset:         64
        .size:           4
        .value_kind:     hidden_block_count_z
      - .offset:         68
        .size:           2
        .value_kind:     hidden_group_size_x
      - .offset:         70
        .size:           2
        .value_kind:     hidden_group_size_y
      - .offset:         72
        .size:           2
        .value_kind:     hidden_group_size_z
      - .offset:         74
        .size:           2
        .value_kind:     hidden_remainder_x
      - .offset:         76
        .size:           2
        .value_kind:     hidden_remainder_y
      - .offset:         78
        .size:           2
        .value_kind:     hidden_remainder_z
      - .offset:         96
        .size:           8
        .value_kind:     hidden_global_offset_x
      - .offset:         104
        .size:           8
        .value_kind:     hidden_global_offset_y
      - .offset:         112
        .size:           8
        .value_kind:     hidden_global_offset_z
      - .offset:         120
        .size:           2
        .value_kind:     hidden_grid_dims
      - .offset:         176
        .size:           4
        .value_kind:     hidden_dynamic_lds_size
    .group_segment_fixed_size: 0
    .kernarg_segment_align: 8
    .kernarg_segment_size: 312
    .language:       OpenCL C
    .language_version:
      - 2
      - 0
    .max_flat_workgroup_size: 512
    .name:           _ZN9rocsolver6v33100L23getf2_npvt_small_kernelILi5EdiiPKPdEEvT1_T3_lS5_lPT2_S5_S5_
    .private_segment_fixed_size: 0
    .sgpr_count:     14
    .sgpr_spill_count: 0
    .symbol:         _ZN9rocsolver6v33100L23getf2_npvt_small_kernelILi5EdiiPKPdEEvT1_T3_lS5_lPT2_S5_S5_.kd
    .uniform_work_group_size: 1
    .uses_dynamic_stack: false
    .vgpr_count:     41
    .vgpr_spill_count: 0
    .wavefront_size: 32
    .workgroup_processor_mode: 1
  - .args:
      - .offset:         0
        .size:           4
        .value_kind:     by_value
      - .address_space:  global
        .offset:         8
        .size:           8
        .value_kind:     global_buffer
      - .offset:         16
        .size:           8
        .value_kind:     by_value
      - .offset:         24
        .size:           4
        .value_kind:     by_value
      - .offset:         32
        .size:           8
        .value_kind:     by_value
      - .address_space:  global
        .offset:         40
        .size:           8
        .value_kind:     global_buffer
      - .offset:         48
        .size:           8
        .value_kind:     by_value
      - .offset:         56
        .size:           8
        .value_kind:     by_value
      - .address_space:  global
        .offset:         64
        .size:           8
        .value_kind:     global_buffer
      - .offset:         72
        .size:           4
        .value_kind:     by_value
      - .offset:         76
        .size:           4
        .value_kind:     by_value
      - .address_space:  global
        .offset:         80
        .size:           8
        .value_kind:     global_buffer
      - .offset:         88
        .size:           8
        .value_kind:     by_value
      - .offset:         96
        .size:           4
        .value_kind:     hidden_block_count_x
      - .offset:         100
        .size:           4
        .value_kind:     hidden_block_count_y
      - .offset:         104
        .size:           4
        .value_kind:     hidden_block_count_z
      - .offset:         108
        .size:           2
        .value_kind:     hidden_group_size_x
      - .offset:         110
        .size:           2
        .value_kind:     hidden_group_size_y
      - .offset:         112
        .size:           2
        .value_kind:     hidden_group_size_z
      - .offset:         114
        .size:           2
        .value_kind:     hidden_remainder_x
      - .offset:         116
        .size:           2
        .value_kind:     hidden_remainder_y
      - .offset:         118
        .size:           2
        .value_kind:     hidden_remainder_z
      - .offset:         136
        .size:           8
        .value_kind:     hidden_global_offset_x
      - .offset:         144
        .size:           8
        .value_kind:     hidden_global_offset_y
      - .offset:         152
        .size:           8
        .value_kind:     hidden_global_offset_z
      - .offset:         160
        .size:           2
        .value_kind:     hidden_grid_dims
      - .offset:         216
        .size:           4
        .value_kind:     hidden_dynamic_lds_size
    .group_segment_fixed_size: 0
    .kernarg_segment_align: 8
    .kernarg_segment_size: 352
    .language:       OpenCL C
    .language_version:
      - 2
      - 0
    .max_flat_workgroup_size: 512
    .name:           _ZN9rocsolver6v33100L18getf2_small_kernelILi6EdiiPKPdEEvT1_T3_lS5_lPS5_llPT2_S5_S5_S7_l
    .private_segment_fixed_size: 0
    .sgpr_count:     16
    .sgpr_spill_count: 0
    .symbol:         _ZN9rocsolver6v33100L18getf2_small_kernelILi6EdiiPKPdEEvT1_T3_lS5_lPS5_llPT2_S5_S5_S7_l.kd
    .uniform_work_group_size: 1
    .uses_dynamic_stack: false
    .vgpr_count:     35
    .vgpr_spill_count: 0
    .wavefront_size: 32
    .workgroup_processor_mode: 1
  - .args:
      - .offset:         0
        .size:           4
        .value_kind:     by_value
      - .address_space:  global
        .offset:         8
        .size:           8
        .value_kind:     global_buffer
      - .offset:         16
        .size:           8
        .value_kind:     by_value
      - .offset:         24
        .size:           4
        .value_kind:     by_value
      - .offset:         32
        .size:           8
        .value_kind:     by_value
      - .address_space:  global
        .offset:         40
        .size:           8
        .value_kind:     global_buffer
      - .offset:         48
        .size:           4
        .value_kind:     by_value
      - .offset:         52
        .size:           4
        .value_kind:     by_value
      - .offset:         56
        .size:           4
        .value_kind:     hidden_block_count_x
      - .offset:         60
        .size:           4
        .value_kind:     hidden_block_count_y
      - .offset:         64
        .size:           4
        .value_kind:     hidden_block_count_z
      - .offset:         68
        .size:           2
        .value_kind:     hidden_group_size_x
      - .offset:         70
        .size:           2
        .value_kind:     hidden_group_size_y
      - .offset:         72
        .size:           2
        .value_kind:     hidden_group_size_z
      - .offset:         74
        .size:           2
        .value_kind:     hidden_remainder_x
      - .offset:         76
        .size:           2
        .value_kind:     hidden_remainder_y
      - .offset:         78
        .size:           2
        .value_kind:     hidden_remainder_z
      - .offset:         96
        .size:           8
        .value_kind:     hidden_global_offset_x
      - .offset:         104
        .size:           8
        .value_kind:     hidden_global_offset_y
      - .offset:         112
        .size:           8
        .value_kind:     hidden_global_offset_z
      - .offset:         120
        .size:           2
        .value_kind:     hidden_grid_dims
      - .offset:         176
        .size:           4
        .value_kind:     hidden_dynamic_lds_size
    .group_segment_fixed_size: 0
    .kernarg_segment_align: 8
    .kernarg_segment_size: 312
    .language:       OpenCL C
    .language_version:
      - 2
      - 0
    .max_flat_workgroup_size: 512
    .name:           _ZN9rocsolver6v33100L23getf2_npvt_small_kernelILi6EdiiPKPdEEvT1_T3_lS5_lPT2_S5_S5_
    .private_segment_fixed_size: 0
    .sgpr_count:     14
    .sgpr_spill_count: 0
    .symbol:         _ZN9rocsolver6v33100L23getf2_npvt_small_kernelILi6EdiiPKPdEEvT1_T3_lS5_lPT2_S5_S5_.kd
    .uniform_work_group_size: 1
    .uses_dynamic_stack: false
    .vgpr_count:     47
    .vgpr_spill_count: 0
    .wavefront_size: 32
    .workgroup_processor_mode: 1
  - .args:
      - .offset:         0
        .size:           4
        .value_kind:     by_value
      - .address_space:  global
        .offset:         8
        .size:           8
        .value_kind:     global_buffer
      - .offset:         16
        .size:           8
        .value_kind:     by_value
      - .offset:         24
        .size:           4
        .value_kind:     by_value
      - .offset:         32
        .size:           8
        .value_kind:     by_value
      - .address_space:  global
        .offset:         40
        .size:           8
        .value_kind:     global_buffer
      - .offset:         48
        .size:           8
        .value_kind:     by_value
      - .offset:         56
        .size:           8
        .value_kind:     by_value
      - .address_space:  global
        .offset:         64
        .size:           8
        .value_kind:     global_buffer
      - .offset:         72
        .size:           4
        .value_kind:     by_value
      - .offset:         76
        .size:           4
        .value_kind:     by_value
      - .address_space:  global
        .offset:         80
        .size:           8
        .value_kind:     global_buffer
      - .offset:         88
        .size:           8
        .value_kind:     by_value
      - .offset:         96
        .size:           4
        .value_kind:     hidden_block_count_x
      - .offset:         100
        .size:           4
        .value_kind:     hidden_block_count_y
      - .offset:         104
        .size:           4
        .value_kind:     hidden_block_count_z
      - .offset:         108
        .size:           2
        .value_kind:     hidden_group_size_x
      - .offset:         110
        .size:           2
        .value_kind:     hidden_group_size_y
      - .offset:         112
        .size:           2
        .value_kind:     hidden_group_size_z
      - .offset:         114
        .size:           2
        .value_kind:     hidden_remainder_x
      - .offset:         116
        .size:           2
        .value_kind:     hidden_remainder_y
      - .offset:         118
        .size:           2
        .value_kind:     hidden_remainder_z
      - .offset:         136
        .size:           8
        .value_kind:     hidden_global_offset_x
      - .offset:         144
        .size:           8
        .value_kind:     hidden_global_offset_y
      - .offset:         152
        .size:           8
        .value_kind:     hidden_global_offset_z
      - .offset:         160
        .size:           2
        .value_kind:     hidden_grid_dims
      - .offset:         216
        .size:           4
        .value_kind:     hidden_dynamic_lds_size
    .group_segment_fixed_size: 0
    .kernarg_segment_align: 8
    .kernarg_segment_size: 352
    .language:       OpenCL C
    .language_version:
      - 2
      - 0
    .max_flat_workgroup_size: 512
    .name:           _ZN9rocsolver6v33100L18getf2_small_kernelILi7EdiiPKPdEEvT1_T3_lS5_lPS5_llPT2_S5_S5_S7_l
    .private_segment_fixed_size: 0
    .sgpr_count:     16
    .sgpr_spill_count: 0
    .symbol:         _ZN9rocsolver6v33100L18getf2_small_kernelILi7EdiiPKPdEEvT1_T3_lS5_lPS5_llPT2_S5_S5_S7_l.kd
    .uniform_work_group_size: 1
    .uses_dynamic_stack: false
    .vgpr_count:     41
    .vgpr_spill_count: 0
    .wavefront_size: 32
    .workgroup_processor_mode: 1
  - .args:
      - .offset:         0
        .size:           4
        .value_kind:     by_value
      - .address_space:  global
        .offset:         8
        .size:           8
        .value_kind:     global_buffer
      - .offset:         16
        .size:           8
        .value_kind:     by_value
      - .offset:         24
        .size:           4
        .value_kind:     by_value
      - .offset:         32
        .size:           8
        .value_kind:     by_value
      - .address_space:  global
        .offset:         40
        .size:           8
        .value_kind:     global_buffer
      - .offset:         48
        .size:           4
        .value_kind:     by_value
      - .offset:         52
        .size:           4
        .value_kind:     by_value
      - .offset:         56
        .size:           4
        .value_kind:     hidden_block_count_x
      - .offset:         60
        .size:           4
        .value_kind:     hidden_block_count_y
      - .offset:         64
        .size:           4
        .value_kind:     hidden_block_count_z
      - .offset:         68
        .size:           2
        .value_kind:     hidden_group_size_x
      - .offset:         70
        .size:           2
        .value_kind:     hidden_group_size_y
      - .offset:         72
        .size:           2
        .value_kind:     hidden_group_size_z
      - .offset:         74
        .size:           2
        .value_kind:     hidden_remainder_x
      - .offset:         76
        .size:           2
        .value_kind:     hidden_remainder_y
      - .offset:         78
        .size:           2
        .value_kind:     hidden_remainder_z
      - .offset:         96
        .size:           8
        .value_kind:     hidden_global_offset_x
      - .offset:         104
        .size:           8
        .value_kind:     hidden_global_offset_y
      - .offset:         112
        .size:           8
        .value_kind:     hidden_global_offset_z
      - .offset:         120
        .size:           2
        .value_kind:     hidden_grid_dims
      - .offset:         176
        .size:           4
        .value_kind:     hidden_dynamic_lds_size
    .group_segment_fixed_size: 0
    .kernarg_segment_align: 8
    .kernarg_segment_size: 312
    .language:       OpenCL C
    .language_version:
      - 2
      - 0
    .max_flat_workgroup_size: 512
    .name:           _ZN9rocsolver6v33100L23getf2_npvt_small_kernelILi7EdiiPKPdEEvT1_T3_lS5_lPT2_S5_S5_
    .private_segment_fixed_size: 0
    .sgpr_count:     14
    .sgpr_spill_count: 0
    .symbol:         _ZN9rocsolver6v33100L23getf2_npvt_small_kernelILi7EdiiPKPdEEvT1_T3_lS5_lPT2_S5_S5_.kd
    .uniform_work_group_size: 1
    .uses_dynamic_stack: false
    .vgpr_count:     53
    .vgpr_spill_count: 0
    .wavefront_size: 32
    .workgroup_processor_mode: 1
  - .args:
      - .offset:         0
        .size:           4
        .value_kind:     by_value
      - .address_space:  global
        .offset:         8
        .size:           8
        .value_kind:     global_buffer
      - .offset:         16
        .size:           8
        .value_kind:     by_value
      - .offset:         24
        .size:           4
        .value_kind:     by_value
      - .offset:         32
        .size:           8
        .value_kind:     by_value
      - .address_space:  global
        .offset:         40
        .size:           8
        .value_kind:     global_buffer
      - .offset:         48
        .size:           8
        .value_kind:     by_value
      - .offset:         56
        .size:           8
        .value_kind:     by_value
      - .address_space:  global
        .offset:         64
        .size:           8
        .value_kind:     global_buffer
      - .offset:         72
        .size:           4
        .value_kind:     by_value
      - .offset:         76
        .size:           4
        .value_kind:     by_value
      - .address_space:  global
        .offset:         80
        .size:           8
        .value_kind:     global_buffer
      - .offset:         88
        .size:           8
        .value_kind:     by_value
      - .offset:         96
        .size:           4
        .value_kind:     hidden_block_count_x
      - .offset:         100
        .size:           4
        .value_kind:     hidden_block_count_y
      - .offset:         104
        .size:           4
        .value_kind:     hidden_block_count_z
      - .offset:         108
        .size:           2
        .value_kind:     hidden_group_size_x
      - .offset:         110
        .size:           2
        .value_kind:     hidden_group_size_y
      - .offset:         112
        .size:           2
        .value_kind:     hidden_group_size_z
      - .offset:         114
        .size:           2
        .value_kind:     hidden_remainder_x
      - .offset:         116
        .size:           2
        .value_kind:     hidden_remainder_y
      - .offset:         118
        .size:           2
        .value_kind:     hidden_remainder_z
      - .offset:         136
        .size:           8
        .value_kind:     hidden_global_offset_x
      - .offset:         144
        .size:           8
        .value_kind:     hidden_global_offset_y
      - .offset:         152
        .size:           8
        .value_kind:     hidden_global_offset_z
      - .offset:         160
        .size:           2
        .value_kind:     hidden_grid_dims
      - .offset:         216
        .size:           4
        .value_kind:     hidden_dynamic_lds_size
    .group_segment_fixed_size: 0
    .kernarg_segment_align: 8
    .kernarg_segment_size: 352
    .language:       OpenCL C
    .language_version:
      - 2
      - 0
    .max_flat_workgroup_size: 512
    .name:           _ZN9rocsolver6v33100L18getf2_small_kernelILi8EdiiPKPdEEvT1_T3_lS5_lPS5_llPT2_S5_S5_S7_l
    .private_segment_fixed_size: 0
    .sgpr_count:     16
    .sgpr_spill_count: 0
    .symbol:         _ZN9rocsolver6v33100L18getf2_small_kernelILi8EdiiPKPdEEvT1_T3_lS5_lPS5_llPT2_S5_S5_S7_l.kd
    .uniform_work_group_size: 1
    .uses_dynamic_stack: false
    .vgpr_count:     43
    .vgpr_spill_count: 0
    .wavefront_size: 32
    .workgroup_processor_mode: 1
  - .args:
      - .offset:         0
        .size:           4
        .value_kind:     by_value
      - .address_space:  global
        .offset:         8
        .size:           8
        .value_kind:     global_buffer
      - .offset:         16
        .size:           8
        .value_kind:     by_value
      - .offset:         24
        .size:           4
        .value_kind:     by_value
      - .offset:         32
        .size:           8
        .value_kind:     by_value
      - .address_space:  global
        .offset:         40
        .size:           8
        .value_kind:     global_buffer
      - .offset:         48
        .size:           4
        .value_kind:     by_value
      - .offset:         52
        .size:           4
        .value_kind:     by_value
      - .offset:         56
        .size:           4
        .value_kind:     hidden_block_count_x
      - .offset:         60
        .size:           4
        .value_kind:     hidden_block_count_y
      - .offset:         64
        .size:           4
        .value_kind:     hidden_block_count_z
      - .offset:         68
        .size:           2
        .value_kind:     hidden_group_size_x
      - .offset:         70
        .size:           2
        .value_kind:     hidden_group_size_y
      - .offset:         72
        .size:           2
        .value_kind:     hidden_group_size_z
      - .offset:         74
        .size:           2
        .value_kind:     hidden_remainder_x
      - .offset:         76
        .size:           2
        .value_kind:     hidden_remainder_y
      - .offset:         78
        .size:           2
        .value_kind:     hidden_remainder_z
      - .offset:         96
        .size:           8
        .value_kind:     hidden_global_offset_x
      - .offset:         104
        .size:           8
        .value_kind:     hidden_global_offset_y
      - .offset:         112
        .size:           8
        .value_kind:     hidden_global_offset_z
      - .offset:         120
        .size:           2
        .value_kind:     hidden_grid_dims
      - .offset:         176
        .size:           4
        .value_kind:     hidden_dynamic_lds_size
    .group_segment_fixed_size: 0
    .kernarg_segment_align: 8
    .kernarg_segment_size: 312
    .language:       OpenCL C
    .language_version:
      - 2
      - 0
    .max_flat_workgroup_size: 512
    .name:           _ZN9rocsolver6v33100L23getf2_npvt_small_kernelILi8EdiiPKPdEEvT1_T3_lS5_lPT2_S5_S5_
    .private_segment_fixed_size: 0
    .sgpr_count:     14
    .sgpr_spill_count: 0
    .symbol:         _ZN9rocsolver6v33100L23getf2_npvt_small_kernelILi8EdiiPKPdEEvT1_T3_lS5_lPT2_S5_S5_.kd
    .uniform_work_group_size: 1
    .uses_dynamic_stack: false
    .vgpr_count:     59
    .vgpr_spill_count: 0
    .wavefront_size: 32
    .workgroup_processor_mode: 1
  - .args:
      - .offset:         0
        .size:           4
        .value_kind:     by_value
      - .address_space:  global
        .offset:         8
        .size:           8
        .value_kind:     global_buffer
      - .offset:         16
        .size:           8
        .value_kind:     by_value
      - .offset:         24
        .size:           4
        .value_kind:     by_value
      - .offset:         32
        .size:           8
        .value_kind:     by_value
      - .address_space:  global
        .offset:         40
        .size:           8
        .value_kind:     global_buffer
      - .offset:         48
        .size:           8
        .value_kind:     by_value
      - .offset:         56
        .size:           8
        .value_kind:     by_value
      - .address_space:  global
        .offset:         64
        .size:           8
        .value_kind:     global_buffer
      - .offset:         72
        .size:           4
        .value_kind:     by_value
      - .offset:         76
        .size:           4
        .value_kind:     by_value
      - .address_space:  global
        .offset:         80
        .size:           8
        .value_kind:     global_buffer
      - .offset:         88
        .size:           8
        .value_kind:     by_value
      - .offset:         96
        .size:           4
        .value_kind:     hidden_block_count_x
      - .offset:         100
        .size:           4
        .value_kind:     hidden_block_count_y
      - .offset:         104
        .size:           4
        .value_kind:     hidden_block_count_z
      - .offset:         108
        .size:           2
        .value_kind:     hidden_group_size_x
      - .offset:         110
        .size:           2
        .value_kind:     hidden_group_size_y
      - .offset:         112
        .size:           2
        .value_kind:     hidden_group_size_z
      - .offset:         114
        .size:           2
        .value_kind:     hidden_remainder_x
      - .offset:         116
        .size:           2
        .value_kind:     hidden_remainder_y
      - .offset:         118
        .size:           2
        .value_kind:     hidden_remainder_z
      - .offset:         136
        .size:           8
        .value_kind:     hidden_global_offset_x
      - .offset:         144
        .size:           8
        .value_kind:     hidden_global_offset_y
      - .offset:         152
        .size:           8
        .value_kind:     hidden_global_offset_z
      - .offset:         160
        .size:           2
        .value_kind:     hidden_grid_dims
      - .offset:         216
        .size:           4
        .value_kind:     hidden_dynamic_lds_size
    .group_segment_fixed_size: 0
    .kernarg_segment_align: 8
    .kernarg_segment_size: 352
    .language:       OpenCL C
    .language_version:
      - 2
      - 0
    .max_flat_workgroup_size: 512
    .name:           _ZN9rocsolver6v33100L18getf2_small_kernelILi9EdiiPKPdEEvT1_T3_lS5_lPS5_llPT2_S5_S5_S7_l
    .private_segment_fixed_size: 0
    .sgpr_count:     16
    .sgpr_spill_count: 0
    .symbol:         _ZN9rocsolver6v33100L18getf2_small_kernelILi9EdiiPKPdEEvT1_T3_lS5_lPS5_llPT2_S5_S5_S7_l.kd
    .uniform_work_group_size: 1
    .uses_dynamic_stack: false
    .vgpr_count:     49
    .vgpr_spill_count: 0
    .wavefront_size: 32
    .workgroup_processor_mode: 1
  - .args:
      - .offset:         0
        .size:           4
        .value_kind:     by_value
      - .address_space:  global
        .offset:         8
        .size:           8
        .value_kind:     global_buffer
      - .offset:         16
        .size:           8
        .value_kind:     by_value
      - .offset:         24
        .size:           4
        .value_kind:     by_value
      - .offset:         32
        .size:           8
        .value_kind:     by_value
      - .address_space:  global
        .offset:         40
        .size:           8
        .value_kind:     global_buffer
      - .offset:         48
        .size:           4
        .value_kind:     by_value
      - .offset:         52
        .size:           4
        .value_kind:     by_value
      - .offset:         56
        .size:           4
        .value_kind:     hidden_block_count_x
      - .offset:         60
        .size:           4
        .value_kind:     hidden_block_count_y
      - .offset:         64
        .size:           4
        .value_kind:     hidden_block_count_z
      - .offset:         68
        .size:           2
        .value_kind:     hidden_group_size_x
      - .offset:         70
        .size:           2
        .value_kind:     hidden_group_size_y
      - .offset:         72
        .size:           2
        .value_kind:     hidden_group_size_z
      - .offset:         74
        .size:           2
        .value_kind:     hidden_remainder_x
      - .offset:         76
        .size:           2
        .value_kind:     hidden_remainder_y
      - .offset:         78
        .size:           2
        .value_kind:     hidden_remainder_z
      - .offset:         96
        .size:           8
        .value_kind:     hidden_global_offset_x
      - .offset:         104
        .size:           8
        .value_kind:     hidden_global_offset_y
      - .offset:         112
        .size:           8
        .value_kind:     hidden_global_offset_z
      - .offset:         120
        .size:           2
        .value_kind:     hidden_grid_dims
      - .offset:         176
        .size:           4
        .value_kind:     hidden_dynamic_lds_size
    .group_segment_fixed_size: 0
    .kernarg_segment_align: 8
    .kernarg_segment_size: 312
    .language:       OpenCL C
    .language_version:
      - 2
      - 0
    .max_flat_workgroup_size: 512
    .name:           _ZN9rocsolver6v33100L23getf2_npvt_small_kernelILi9EdiiPKPdEEvT1_T3_lS5_lPT2_S5_S5_
    .private_segment_fixed_size: 0
    .sgpr_count:     14
    .sgpr_spill_count: 0
    .symbol:         _ZN9rocsolver6v33100L23getf2_npvt_small_kernelILi9EdiiPKPdEEvT1_T3_lS5_lPT2_S5_S5_.kd
    .uniform_work_group_size: 1
    .uses_dynamic_stack: false
    .vgpr_count:     65
    .vgpr_spill_count: 0
    .wavefront_size: 32
    .workgroup_processor_mode: 1
  - .args:
      - .offset:         0
        .size:           4
        .value_kind:     by_value
      - .address_space:  global
        .offset:         8
        .size:           8
        .value_kind:     global_buffer
      - .offset:         16
        .size:           8
        .value_kind:     by_value
      - .offset:         24
        .size:           4
        .value_kind:     by_value
      - .offset:         32
        .size:           8
        .value_kind:     by_value
      - .address_space:  global
        .offset:         40
        .size:           8
        .value_kind:     global_buffer
      - .offset:         48
        .size:           8
        .value_kind:     by_value
      - .offset:         56
        .size:           8
        .value_kind:     by_value
      - .address_space:  global
        .offset:         64
        .size:           8
        .value_kind:     global_buffer
      - .offset:         72
        .size:           4
        .value_kind:     by_value
      - .offset:         76
        .size:           4
        .value_kind:     by_value
      - .address_space:  global
        .offset:         80
        .size:           8
        .value_kind:     global_buffer
      - .offset:         88
        .size:           8
        .value_kind:     by_value
      - .offset:         96
        .size:           4
        .value_kind:     hidden_block_count_x
      - .offset:         100
        .size:           4
        .value_kind:     hidden_block_count_y
      - .offset:         104
        .size:           4
        .value_kind:     hidden_block_count_z
      - .offset:         108
        .size:           2
        .value_kind:     hidden_group_size_x
      - .offset:         110
        .size:           2
        .value_kind:     hidden_group_size_y
      - .offset:         112
        .size:           2
        .value_kind:     hidden_group_size_z
      - .offset:         114
        .size:           2
        .value_kind:     hidden_remainder_x
      - .offset:         116
        .size:           2
        .value_kind:     hidden_remainder_y
      - .offset:         118
        .size:           2
        .value_kind:     hidden_remainder_z
      - .offset:         136
        .size:           8
        .value_kind:     hidden_global_offset_x
      - .offset:         144
        .size:           8
        .value_kind:     hidden_global_offset_y
      - .offset:         152
        .size:           8
        .value_kind:     hidden_global_offset_z
      - .offset:         160
        .size:           2
        .value_kind:     hidden_grid_dims
      - .offset:         216
        .size:           4
        .value_kind:     hidden_dynamic_lds_size
    .group_segment_fixed_size: 0
    .kernarg_segment_align: 8
    .kernarg_segment_size: 352
    .language:       OpenCL C
    .language_version:
      - 2
      - 0
    .max_flat_workgroup_size: 512
    .name:           _ZN9rocsolver6v33100L18getf2_small_kernelILi10EdiiPKPdEEvT1_T3_lS5_lPS5_llPT2_S5_S5_S7_l
    .private_segment_fixed_size: 0
    .sgpr_count:     16
    .sgpr_spill_count: 0
    .symbol:         _ZN9rocsolver6v33100L18getf2_small_kernelILi10EdiiPKPdEEvT1_T3_lS5_lPS5_llPT2_S5_S5_S7_l.kd
    .uniform_work_group_size: 1
    .uses_dynamic_stack: false
    .vgpr_count:     51
    .vgpr_spill_count: 0
    .wavefront_size: 32
    .workgroup_processor_mode: 1
  - .args:
      - .offset:         0
        .size:           4
        .value_kind:     by_value
      - .address_space:  global
        .offset:         8
        .size:           8
        .value_kind:     global_buffer
      - .offset:         16
        .size:           8
        .value_kind:     by_value
      - .offset:         24
        .size:           4
        .value_kind:     by_value
      - .offset:         32
        .size:           8
        .value_kind:     by_value
      - .address_space:  global
        .offset:         40
        .size:           8
        .value_kind:     global_buffer
      - .offset:         48
        .size:           4
        .value_kind:     by_value
      - .offset:         52
        .size:           4
        .value_kind:     by_value
      - .offset:         56
        .size:           4
        .value_kind:     hidden_block_count_x
      - .offset:         60
        .size:           4
        .value_kind:     hidden_block_count_y
      - .offset:         64
        .size:           4
        .value_kind:     hidden_block_count_z
      - .offset:         68
        .size:           2
        .value_kind:     hidden_group_size_x
      - .offset:         70
        .size:           2
        .value_kind:     hidden_group_size_y
      - .offset:         72
        .size:           2
        .value_kind:     hidden_group_size_z
      - .offset:         74
        .size:           2
        .value_kind:     hidden_remainder_x
      - .offset:         76
        .size:           2
        .value_kind:     hidden_remainder_y
      - .offset:         78
        .size:           2
        .value_kind:     hidden_remainder_z
      - .offset:         96
        .size:           8
        .value_kind:     hidden_global_offset_x
      - .offset:         104
        .size:           8
        .value_kind:     hidden_global_offset_y
      - .offset:         112
        .size:           8
        .value_kind:     hidden_global_offset_z
      - .offset:         120
        .size:           2
        .value_kind:     hidden_grid_dims
      - .offset:         176
        .size:           4
        .value_kind:     hidden_dynamic_lds_size
    .group_segment_fixed_size: 0
    .kernarg_segment_align: 8
    .kernarg_segment_size: 312
    .language:       OpenCL C
    .language_version:
      - 2
      - 0
    .max_flat_workgroup_size: 512
    .name:           _ZN9rocsolver6v33100L23getf2_npvt_small_kernelILi10EdiiPKPdEEvT1_T3_lS5_lPT2_S5_S5_
    .private_segment_fixed_size: 0
    .sgpr_count:     13
    .sgpr_spill_count: 0
    .symbol:         _ZN9rocsolver6v33100L23getf2_npvt_small_kernelILi10EdiiPKPdEEvT1_T3_lS5_lPT2_S5_S5_.kd
    .uniform_work_group_size: 1
    .uses_dynamic_stack: false
    .vgpr_count:     71
    .vgpr_spill_count: 0
    .wavefront_size: 32
    .workgroup_processor_mode: 1
  - .args:
      - .offset:         0
        .size:           4
        .value_kind:     by_value
      - .address_space:  global
        .offset:         8
        .size:           8
        .value_kind:     global_buffer
      - .offset:         16
        .size:           8
        .value_kind:     by_value
      - .offset:         24
        .size:           4
        .value_kind:     by_value
      - .offset:         32
        .size:           8
        .value_kind:     by_value
      - .address_space:  global
        .offset:         40
        .size:           8
        .value_kind:     global_buffer
      - .offset:         48
        .size:           8
        .value_kind:     by_value
      - .offset:         56
        .size:           8
        .value_kind:     by_value
      - .address_space:  global
        .offset:         64
        .size:           8
        .value_kind:     global_buffer
      - .offset:         72
        .size:           4
        .value_kind:     by_value
      - .offset:         76
        .size:           4
        .value_kind:     by_value
      - .address_space:  global
        .offset:         80
        .size:           8
        .value_kind:     global_buffer
      - .offset:         88
        .size:           8
        .value_kind:     by_value
      - .offset:         96
        .size:           4
        .value_kind:     hidden_block_count_x
      - .offset:         100
        .size:           4
        .value_kind:     hidden_block_count_y
      - .offset:         104
        .size:           4
        .value_kind:     hidden_block_count_z
      - .offset:         108
        .size:           2
        .value_kind:     hidden_group_size_x
      - .offset:         110
        .size:           2
        .value_kind:     hidden_group_size_y
      - .offset:         112
        .size:           2
        .value_kind:     hidden_group_size_z
      - .offset:         114
        .size:           2
        .value_kind:     hidden_remainder_x
      - .offset:         116
        .size:           2
        .value_kind:     hidden_remainder_y
      - .offset:         118
        .size:           2
        .value_kind:     hidden_remainder_z
      - .offset:         136
        .size:           8
        .value_kind:     hidden_global_offset_x
      - .offset:         144
        .size:           8
        .value_kind:     hidden_global_offset_y
      - .offset:         152
        .size:           8
        .value_kind:     hidden_global_offset_z
      - .offset:         160
        .size:           2
        .value_kind:     hidden_grid_dims
      - .offset:         216
        .size:           4
        .value_kind:     hidden_dynamic_lds_size
    .group_segment_fixed_size: 0
    .kernarg_segment_align: 8
    .kernarg_segment_size: 352
    .language:       OpenCL C
    .language_version:
      - 2
      - 0
    .max_flat_workgroup_size: 512
    .name:           _ZN9rocsolver6v33100L18getf2_small_kernelILi11EdiiPKPdEEvT1_T3_lS5_lPS5_llPT2_S5_S5_S7_l
    .private_segment_fixed_size: 0
    .sgpr_count:     16
    .sgpr_spill_count: 0
    .symbol:         _ZN9rocsolver6v33100L18getf2_small_kernelILi11EdiiPKPdEEvT1_T3_lS5_lPS5_llPT2_S5_S5_S7_l.kd
    .uniform_work_group_size: 1
    .uses_dynamic_stack: false
    .vgpr_count:     56
    .vgpr_spill_count: 0
    .wavefront_size: 32
    .workgroup_processor_mode: 1
  - .args:
      - .offset:         0
        .size:           4
        .value_kind:     by_value
      - .address_space:  global
        .offset:         8
        .size:           8
        .value_kind:     global_buffer
      - .offset:         16
        .size:           8
        .value_kind:     by_value
      - .offset:         24
        .size:           4
        .value_kind:     by_value
      - .offset:         32
        .size:           8
        .value_kind:     by_value
      - .address_space:  global
        .offset:         40
        .size:           8
        .value_kind:     global_buffer
      - .offset:         48
        .size:           4
        .value_kind:     by_value
      - .offset:         52
        .size:           4
        .value_kind:     by_value
      - .offset:         56
        .size:           4
        .value_kind:     hidden_block_count_x
      - .offset:         60
        .size:           4
        .value_kind:     hidden_block_count_y
      - .offset:         64
        .size:           4
        .value_kind:     hidden_block_count_z
      - .offset:         68
        .size:           2
        .value_kind:     hidden_group_size_x
      - .offset:         70
        .size:           2
        .value_kind:     hidden_group_size_y
      - .offset:         72
        .size:           2
        .value_kind:     hidden_group_size_z
      - .offset:         74
        .size:           2
        .value_kind:     hidden_remainder_x
      - .offset:         76
        .size:           2
        .value_kind:     hidden_remainder_y
      - .offset:         78
        .size:           2
        .value_kind:     hidden_remainder_z
      - .offset:         96
        .size:           8
        .value_kind:     hidden_global_offset_x
      - .offset:         104
        .size:           8
        .value_kind:     hidden_global_offset_y
      - .offset:         112
        .size:           8
        .value_kind:     hidden_global_offset_z
      - .offset:         120
        .size:           2
        .value_kind:     hidden_grid_dims
      - .offset:         176
        .size:           4
        .value_kind:     hidden_dynamic_lds_size
    .group_segment_fixed_size: 0
    .kernarg_segment_align: 8
    .kernarg_segment_size: 312
    .language:       OpenCL C
    .language_version:
      - 2
      - 0
    .max_flat_workgroup_size: 512
    .name:           _ZN9rocsolver6v33100L23getf2_npvt_small_kernelILi11EdiiPKPdEEvT1_T3_lS5_lPT2_S5_S5_
    .private_segment_fixed_size: 0
    .sgpr_count:     13
    .sgpr_spill_count: 0
    .symbol:         _ZN9rocsolver6v33100L23getf2_npvt_small_kernelILi11EdiiPKPdEEvT1_T3_lS5_lPT2_S5_S5_.kd
    .uniform_work_group_size: 1
    .uses_dynamic_stack: false
    .vgpr_count:     77
    .vgpr_spill_count: 0
    .wavefront_size: 32
    .workgroup_processor_mode: 1
  - .args:
      - .offset:         0
        .size:           4
        .value_kind:     by_value
      - .address_space:  global
        .offset:         8
        .size:           8
        .value_kind:     global_buffer
      - .offset:         16
        .size:           8
        .value_kind:     by_value
      - .offset:         24
        .size:           4
        .value_kind:     by_value
      - .offset:         32
        .size:           8
        .value_kind:     by_value
      - .address_space:  global
        .offset:         40
        .size:           8
        .value_kind:     global_buffer
      - .offset:         48
        .size:           8
        .value_kind:     by_value
      - .offset:         56
        .size:           8
        .value_kind:     by_value
      - .address_space:  global
        .offset:         64
        .size:           8
        .value_kind:     global_buffer
      - .offset:         72
        .size:           4
        .value_kind:     by_value
      - .offset:         76
        .size:           4
        .value_kind:     by_value
      - .address_space:  global
        .offset:         80
        .size:           8
        .value_kind:     global_buffer
      - .offset:         88
        .size:           8
        .value_kind:     by_value
      - .offset:         96
        .size:           4
        .value_kind:     hidden_block_count_x
      - .offset:         100
        .size:           4
        .value_kind:     hidden_block_count_y
      - .offset:         104
        .size:           4
        .value_kind:     hidden_block_count_z
      - .offset:         108
        .size:           2
        .value_kind:     hidden_group_size_x
      - .offset:         110
        .size:           2
        .value_kind:     hidden_group_size_y
      - .offset:         112
        .size:           2
        .value_kind:     hidden_group_size_z
      - .offset:         114
        .size:           2
        .value_kind:     hidden_remainder_x
      - .offset:         116
        .size:           2
        .value_kind:     hidden_remainder_y
      - .offset:         118
        .size:           2
        .value_kind:     hidden_remainder_z
      - .offset:         136
        .size:           8
        .value_kind:     hidden_global_offset_x
      - .offset:         144
        .size:           8
        .value_kind:     hidden_global_offset_y
      - .offset:         152
        .size:           8
        .value_kind:     hidden_global_offset_z
      - .offset:         160
        .size:           2
        .value_kind:     hidden_grid_dims
      - .offset:         216
        .size:           4
        .value_kind:     hidden_dynamic_lds_size
    .group_segment_fixed_size: 0
    .kernarg_segment_align: 8
    .kernarg_segment_size: 352
    .language:       OpenCL C
    .language_version:
      - 2
      - 0
    .max_flat_workgroup_size: 512
    .name:           _ZN9rocsolver6v33100L18getf2_small_kernelILi12EdiiPKPdEEvT1_T3_lS5_lPS5_llPT2_S5_S5_S7_l
    .private_segment_fixed_size: 0
    .sgpr_count:     16
    .sgpr_spill_count: 0
    .symbol:         _ZN9rocsolver6v33100L18getf2_small_kernelILi12EdiiPKPdEEvT1_T3_lS5_lPS5_llPT2_S5_S5_S7_l.kd
    .uniform_work_group_size: 1
    .uses_dynamic_stack: false
    .vgpr_count:     59
    .vgpr_spill_count: 0
    .wavefront_size: 32
    .workgroup_processor_mode: 1
  - .args:
      - .offset:         0
        .size:           4
        .value_kind:     by_value
      - .address_space:  global
        .offset:         8
        .size:           8
        .value_kind:     global_buffer
      - .offset:         16
        .size:           8
        .value_kind:     by_value
      - .offset:         24
        .size:           4
        .value_kind:     by_value
      - .offset:         32
        .size:           8
        .value_kind:     by_value
      - .address_space:  global
        .offset:         40
        .size:           8
        .value_kind:     global_buffer
      - .offset:         48
        .size:           4
        .value_kind:     by_value
      - .offset:         52
        .size:           4
        .value_kind:     by_value
      - .offset:         56
        .size:           4
        .value_kind:     hidden_block_count_x
      - .offset:         60
        .size:           4
        .value_kind:     hidden_block_count_y
      - .offset:         64
        .size:           4
        .value_kind:     hidden_block_count_z
      - .offset:         68
        .size:           2
        .value_kind:     hidden_group_size_x
      - .offset:         70
        .size:           2
        .value_kind:     hidden_group_size_y
      - .offset:         72
        .size:           2
        .value_kind:     hidden_group_size_z
      - .offset:         74
        .size:           2
        .value_kind:     hidden_remainder_x
      - .offset:         76
        .size:           2
        .value_kind:     hidden_remainder_y
      - .offset:         78
        .size:           2
        .value_kind:     hidden_remainder_z
      - .offset:         96
        .size:           8
        .value_kind:     hidden_global_offset_x
      - .offset:         104
        .size:           8
        .value_kind:     hidden_global_offset_y
      - .offset:         112
        .size:           8
        .value_kind:     hidden_global_offset_z
      - .offset:         120
        .size:           2
        .value_kind:     hidden_grid_dims
      - .offset:         176
        .size:           4
        .value_kind:     hidden_dynamic_lds_size
    .group_segment_fixed_size: 0
    .kernarg_segment_align: 8
    .kernarg_segment_size: 312
    .language:       OpenCL C
    .language_version:
      - 2
      - 0
    .max_flat_workgroup_size: 512
    .name:           _ZN9rocsolver6v33100L23getf2_npvt_small_kernelILi12EdiiPKPdEEvT1_T3_lS5_lPT2_S5_S5_
    .private_segment_fixed_size: 0
    .sgpr_count:     13
    .sgpr_spill_count: 0
    .symbol:         _ZN9rocsolver6v33100L23getf2_npvt_small_kernelILi12EdiiPKPdEEvT1_T3_lS5_lPT2_S5_S5_.kd
    .uniform_work_group_size: 1
    .uses_dynamic_stack: false
    .vgpr_count:     83
    .vgpr_spill_count: 0
    .wavefront_size: 32
    .workgroup_processor_mode: 1
  - .args:
      - .offset:         0
        .size:           4
        .value_kind:     by_value
      - .address_space:  global
        .offset:         8
        .size:           8
        .value_kind:     global_buffer
      - .offset:         16
        .size:           8
        .value_kind:     by_value
      - .offset:         24
        .size:           4
        .value_kind:     by_value
      - .offset:         32
        .size:           8
        .value_kind:     by_value
      - .address_space:  global
        .offset:         40
        .size:           8
        .value_kind:     global_buffer
      - .offset:         48
        .size:           8
        .value_kind:     by_value
      - .offset:         56
        .size:           8
        .value_kind:     by_value
      - .address_space:  global
        .offset:         64
        .size:           8
        .value_kind:     global_buffer
      - .offset:         72
        .size:           4
        .value_kind:     by_value
      - .offset:         76
        .size:           4
        .value_kind:     by_value
      - .address_space:  global
        .offset:         80
        .size:           8
        .value_kind:     global_buffer
      - .offset:         88
        .size:           8
        .value_kind:     by_value
      - .offset:         96
        .size:           4
        .value_kind:     hidden_block_count_x
      - .offset:         100
        .size:           4
        .value_kind:     hidden_block_count_y
      - .offset:         104
        .size:           4
        .value_kind:     hidden_block_count_z
      - .offset:         108
        .size:           2
        .value_kind:     hidden_group_size_x
      - .offset:         110
        .size:           2
        .value_kind:     hidden_group_size_y
      - .offset:         112
        .size:           2
        .value_kind:     hidden_group_size_z
      - .offset:         114
        .size:           2
        .value_kind:     hidden_remainder_x
      - .offset:         116
        .size:           2
        .value_kind:     hidden_remainder_y
      - .offset:         118
        .size:           2
        .value_kind:     hidden_remainder_z
      - .offset:         136
        .size:           8
        .value_kind:     hidden_global_offset_x
      - .offset:         144
        .size:           8
        .value_kind:     hidden_global_offset_y
      - .offset:         152
        .size:           8
        .value_kind:     hidden_global_offset_z
      - .offset:         160
        .size:           2
        .value_kind:     hidden_grid_dims
      - .offset:         216
        .size:           4
        .value_kind:     hidden_dynamic_lds_size
    .group_segment_fixed_size: 0
    .kernarg_segment_align: 8
    .kernarg_segment_size: 352
    .language:       OpenCL C
    .language_version:
      - 2
      - 0
    .max_flat_workgroup_size: 512
    .name:           _ZN9rocsolver6v33100L18getf2_small_kernelILi13EdiiPKPdEEvT1_T3_lS5_lPS5_llPT2_S5_S5_S7_l
    .private_segment_fixed_size: 0
    .sgpr_count:     16
    .sgpr_spill_count: 0
    .symbol:         _ZN9rocsolver6v33100L18getf2_small_kernelILi13EdiiPKPdEEvT1_T3_lS5_lPS5_llPT2_S5_S5_S7_l.kd
    .uniform_work_group_size: 1
    .uses_dynamic_stack: false
    .vgpr_count:     65
    .vgpr_spill_count: 0
    .wavefront_size: 32
    .workgroup_processor_mode: 1
  - .args:
      - .offset:         0
        .size:           4
        .value_kind:     by_value
      - .address_space:  global
        .offset:         8
        .size:           8
        .value_kind:     global_buffer
      - .offset:         16
        .size:           8
        .value_kind:     by_value
      - .offset:         24
        .size:           4
        .value_kind:     by_value
      - .offset:         32
        .size:           8
        .value_kind:     by_value
      - .address_space:  global
        .offset:         40
        .size:           8
        .value_kind:     global_buffer
      - .offset:         48
        .size:           4
        .value_kind:     by_value
      - .offset:         52
        .size:           4
        .value_kind:     by_value
      - .offset:         56
        .size:           4
        .value_kind:     hidden_block_count_x
      - .offset:         60
        .size:           4
        .value_kind:     hidden_block_count_y
      - .offset:         64
        .size:           4
        .value_kind:     hidden_block_count_z
      - .offset:         68
        .size:           2
        .value_kind:     hidden_group_size_x
      - .offset:         70
        .size:           2
        .value_kind:     hidden_group_size_y
      - .offset:         72
        .size:           2
        .value_kind:     hidden_group_size_z
      - .offset:         74
        .size:           2
        .value_kind:     hidden_remainder_x
      - .offset:         76
        .size:           2
        .value_kind:     hidden_remainder_y
      - .offset:         78
        .size:           2
        .value_kind:     hidden_remainder_z
      - .offset:         96
        .size:           8
        .value_kind:     hidden_global_offset_x
      - .offset:         104
        .size:           8
        .value_kind:     hidden_global_offset_y
      - .offset:         112
        .size:           8
        .value_kind:     hidden_global_offset_z
      - .offset:         120
        .size:           2
        .value_kind:     hidden_grid_dims
      - .offset:         176
        .size:           4
        .value_kind:     hidden_dynamic_lds_size
    .group_segment_fixed_size: 0
    .kernarg_segment_align: 8
    .kernarg_segment_size: 312
    .language:       OpenCL C
    .language_version:
      - 2
      - 0
    .max_flat_workgroup_size: 512
    .name:           _ZN9rocsolver6v33100L23getf2_npvt_small_kernelILi13EdiiPKPdEEvT1_T3_lS5_lPT2_S5_S5_
    .private_segment_fixed_size: 0
    .sgpr_count:     13
    .sgpr_spill_count: 0
    .symbol:         _ZN9rocsolver6v33100L23getf2_npvt_small_kernelILi13EdiiPKPdEEvT1_T3_lS5_lPT2_S5_S5_.kd
    .uniform_work_group_size: 1
    .uses_dynamic_stack: false
    .vgpr_count:     89
    .vgpr_spill_count: 0
    .wavefront_size: 32
    .workgroup_processor_mode: 1
  - .args:
      - .offset:         0
        .size:           4
        .value_kind:     by_value
      - .address_space:  global
        .offset:         8
        .size:           8
        .value_kind:     global_buffer
      - .offset:         16
        .size:           8
        .value_kind:     by_value
      - .offset:         24
        .size:           4
        .value_kind:     by_value
      - .offset:         32
        .size:           8
        .value_kind:     by_value
      - .address_space:  global
        .offset:         40
        .size:           8
        .value_kind:     global_buffer
      - .offset:         48
        .size:           8
        .value_kind:     by_value
      - .offset:         56
        .size:           8
        .value_kind:     by_value
      - .address_space:  global
        .offset:         64
        .size:           8
        .value_kind:     global_buffer
      - .offset:         72
        .size:           4
        .value_kind:     by_value
      - .offset:         76
        .size:           4
        .value_kind:     by_value
      - .address_space:  global
        .offset:         80
        .size:           8
        .value_kind:     global_buffer
      - .offset:         88
        .size:           8
        .value_kind:     by_value
      - .offset:         96
        .size:           4
        .value_kind:     hidden_block_count_x
      - .offset:         100
        .size:           4
        .value_kind:     hidden_block_count_y
      - .offset:         104
        .size:           4
        .value_kind:     hidden_block_count_z
      - .offset:         108
        .size:           2
        .value_kind:     hidden_group_size_x
      - .offset:         110
        .size:           2
        .value_kind:     hidden_group_size_y
      - .offset:         112
        .size:           2
        .value_kind:     hidden_group_size_z
      - .offset:         114
        .size:           2
        .value_kind:     hidden_remainder_x
      - .offset:         116
        .size:           2
        .value_kind:     hidden_remainder_y
      - .offset:         118
        .size:           2
        .value_kind:     hidden_remainder_z
      - .offset:         136
        .size:           8
        .value_kind:     hidden_global_offset_x
      - .offset:         144
        .size:           8
        .value_kind:     hidden_global_offset_y
      - .offset:         152
        .size:           8
        .value_kind:     hidden_global_offset_z
      - .offset:         160
        .size:           2
        .value_kind:     hidden_grid_dims
      - .offset:         216
        .size:           4
        .value_kind:     hidden_dynamic_lds_size
    .group_segment_fixed_size: 0
    .kernarg_segment_align: 8
    .kernarg_segment_size: 352
    .language:       OpenCL C
    .language_version:
      - 2
      - 0
    .max_flat_workgroup_size: 512
    .name:           _ZN9rocsolver6v33100L18getf2_small_kernelILi14EdiiPKPdEEvT1_T3_lS5_lPS5_llPT2_S5_S5_S7_l
    .private_segment_fixed_size: 0
    .sgpr_count:     16
    .sgpr_spill_count: 0
    .symbol:         _ZN9rocsolver6v33100L18getf2_small_kernelILi14EdiiPKPdEEvT1_T3_lS5_lPS5_llPT2_S5_S5_S7_l.kd
    .uniform_work_group_size: 1
    .uses_dynamic_stack: false
    .vgpr_count:     68
    .vgpr_spill_count: 0
    .wavefront_size: 32
    .workgroup_processor_mode: 1
  - .args:
      - .offset:         0
        .size:           4
        .value_kind:     by_value
      - .address_space:  global
        .offset:         8
        .size:           8
        .value_kind:     global_buffer
      - .offset:         16
        .size:           8
        .value_kind:     by_value
      - .offset:         24
        .size:           4
        .value_kind:     by_value
      - .offset:         32
        .size:           8
        .value_kind:     by_value
      - .address_space:  global
        .offset:         40
        .size:           8
        .value_kind:     global_buffer
      - .offset:         48
        .size:           4
        .value_kind:     by_value
      - .offset:         52
        .size:           4
        .value_kind:     by_value
      - .offset:         56
        .size:           4
        .value_kind:     hidden_block_count_x
      - .offset:         60
        .size:           4
        .value_kind:     hidden_block_count_y
      - .offset:         64
        .size:           4
        .value_kind:     hidden_block_count_z
      - .offset:         68
        .size:           2
        .value_kind:     hidden_group_size_x
      - .offset:         70
        .size:           2
        .value_kind:     hidden_group_size_y
      - .offset:         72
        .size:           2
        .value_kind:     hidden_group_size_z
      - .offset:         74
        .size:           2
        .value_kind:     hidden_remainder_x
      - .offset:         76
        .size:           2
        .value_kind:     hidden_remainder_y
      - .offset:         78
        .size:           2
        .value_kind:     hidden_remainder_z
      - .offset:         96
        .size:           8
        .value_kind:     hidden_global_offset_x
      - .offset:         104
        .size:           8
        .value_kind:     hidden_global_offset_y
      - .offset:         112
        .size:           8
        .value_kind:     hidden_global_offset_z
      - .offset:         120
        .size:           2
        .value_kind:     hidden_grid_dims
      - .offset:         176
        .size:           4
        .value_kind:     hidden_dynamic_lds_size
    .group_segment_fixed_size: 0
    .kernarg_segment_align: 8
    .kernarg_segment_size: 312
    .language:       OpenCL C
    .language_version:
      - 2
      - 0
    .max_flat_workgroup_size: 512
    .name:           _ZN9rocsolver6v33100L23getf2_npvt_small_kernelILi14EdiiPKPdEEvT1_T3_lS5_lPT2_S5_S5_
    .private_segment_fixed_size: 0
    .sgpr_count:     13
    .sgpr_spill_count: 0
    .symbol:         _ZN9rocsolver6v33100L23getf2_npvt_small_kernelILi14EdiiPKPdEEvT1_T3_lS5_lPT2_S5_S5_.kd
    .uniform_work_group_size: 1
    .uses_dynamic_stack: false
    .vgpr_count:     95
    .vgpr_spill_count: 0
    .wavefront_size: 32
    .workgroup_processor_mode: 1
  - .args:
      - .offset:         0
        .size:           4
        .value_kind:     by_value
      - .address_space:  global
        .offset:         8
        .size:           8
        .value_kind:     global_buffer
      - .offset:         16
        .size:           8
        .value_kind:     by_value
      - .offset:         24
        .size:           4
        .value_kind:     by_value
      - .offset:         32
        .size:           8
        .value_kind:     by_value
      - .address_space:  global
        .offset:         40
        .size:           8
        .value_kind:     global_buffer
      - .offset:         48
        .size:           8
        .value_kind:     by_value
      - .offset:         56
        .size:           8
        .value_kind:     by_value
      - .address_space:  global
        .offset:         64
        .size:           8
        .value_kind:     global_buffer
      - .offset:         72
        .size:           4
        .value_kind:     by_value
      - .offset:         76
        .size:           4
        .value_kind:     by_value
      - .address_space:  global
        .offset:         80
        .size:           8
        .value_kind:     global_buffer
      - .offset:         88
        .size:           8
        .value_kind:     by_value
      - .offset:         96
        .size:           4
        .value_kind:     hidden_block_count_x
      - .offset:         100
        .size:           4
        .value_kind:     hidden_block_count_y
      - .offset:         104
        .size:           4
        .value_kind:     hidden_block_count_z
      - .offset:         108
        .size:           2
        .value_kind:     hidden_group_size_x
      - .offset:         110
        .size:           2
        .value_kind:     hidden_group_size_y
      - .offset:         112
        .size:           2
        .value_kind:     hidden_group_size_z
      - .offset:         114
        .size:           2
        .value_kind:     hidden_remainder_x
      - .offset:         116
        .size:           2
        .value_kind:     hidden_remainder_y
      - .offset:         118
        .size:           2
        .value_kind:     hidden_remainder_z
      - .offset:         136
        .size:           8
        .value_kind:     hidden_global_offset_x
      - .offset:         144
        .size:           8
        .value_kind:     hidden_global_offset_y
      - .offset:         152
        .size:           8
        .value_kind:     hidden_global_offset_z
      - .offset:         160
        .size:           2
        .value_kind:     hidden_grid_dims
      - .offset:         216
        .size:           4
        .value_kind:     hidden_dynamic_lds_size
    .group_segment_fixed_size: 0
    .kernarg_segment_align: 8
    .kernarg_segment_size: 352
    .language:       OpenCL C
    .language_version:
      - 2
      - 0
    .max_flat_workgroup_size: 512
    .name:           _ZN9rocsolver6v33100L18getf2_small_kernelILi15EdiiPKPdEEvT1_T3_lS5_lPS5_llPT2_S5_S5_S7_l
    .private_segment_fixed_size: 0
    .sgpr_count:     16
    .sgpr_spill_count: 0
    .symbol:         _ZN9rocsolver6v33100L18getf2_small_kernelILi15EdiiPKPdEEvT1_T3_lS5_lPS5_llPT2_S5_S5_S7_l.kd
    .uniform_work_group_size: 1
    .uses_dynamic_stack: false
    .vgpr_count:     73
    .vgpr_spill_count: 0
    .wavefront_size: 32
    .workgroup_processor_mode: 1
  - .args:
      - .offset:         0
        .size:           4
        .value_kind:     by_value
      - .address_space:  global
        .offset:         8
        .size:           8
        .value_kind:     global_buffer
      - .offset:         16
        .size:           8
        .value_kind:     by_value
      - .offset:         24
        .size:           4
        .value_kind:     by_value
      - .offset:         32
        .size:           8
        .value_kind:     by_value
      - .address_space:  global
        .offset:         40
        .size:           8
        .value_kind:     global_buffer
      - .offset:         48
        .size:           4
        .value_kind:     by_value
      - .offset:         52
        .size:           4
        .value_kind:     by_value
      - .offset:         56
        .size:           4
        .value_kind:     hidden_block_count_x
      - .offset:         60
        .size:           4
        .value_kind:     hidden_block_count_y
      - .offset:         64
        .size:           4
        .value_kind:     hidden_block_count_z
      - .offset:         68
        .size:           2
        .value_kind:     hidden_group_size_x
      - .offset:         70
        .size:           2
        .value_kind:     hidden_group_size_y
      - .offset:         72
        .size:           2
        .value_kind:     hidden_group_size_z
      - .offset:         74
        .size:           2
        .value_kind:     hidden_remainder_x
      - .offset:         76
        .size:           2
        .value_kind:     hidden_remainder_y
      - .offset:         78
        .size:           2
        .value_kind:     hidden_remainder_z
      - .offset:         96
        .size:           8
        .value_kind:     hidden_global_offset_x
      - .offset:         104
        .size:           8
        .value_kind:     hidden_global_offset_y
      - .offset:         112
        .size:           8
        .value_kind:     hidden_global_offset_z
      - .offset:         120
        .size:           2
        .value_kind:     hidden_grid_dims
      - .offset:         176
        .size:           4
        .value_kind:     hidden_dynamic_lds_size
    .group_segment_fixed_size: 0
    .kernarg_segment_align: 8
    .kernarg_segment_size: 312
    .language:       OpenCL C
    .language_version:
      - 2
      - 0
    .max_flat_workgroup_size: 512
    .name:           _ZN9rocsolver6v33100L23getf2_npvt_small_kernelILi15EdiiPKPdEEvT1_T3_lS5_lPT2_S5_S5_
    .private_segment_fixed_size: 0
    .sgpr_count:     13
    .sgpr_spill_count: 0
    .symbol:         _ZN9rocsolver6v33100L23getf2_npvt_small_kernelILi15EdiiPKPdEEvT1_T3_lS5_lPT2_S5_S5_.kd
    .uniform_work_group_size: 1
    .uses_dynamic_stack: false
    .vgpr_count:     101
    .vgpr_spill_count: 0
    .wavefront_size: 32
    .workgroup_processor_mode: 1
  - .args:
      - .offset:         0
        .size:           4
        .value_kind:     by_value
      - .address_space:  global
        .offset:         8
        .size:           8
        .value_kind:     global_buffer
      - .offset:         16
        .size:           8
        .value_kind:     by_value
      - .offset:         24
        .size:           4
        .value_kind:     by_value
      - .offset:         32
        .size:           8
        .value_kind:     by_value
      - .address_space:  global
        .offset:         40
        .size:           8
        .value_kind:     global_buffer
      - .offset:         48
        .size:           8
        .value_kind:     by_value
      - .offset:         56
        .size:           8
        .value_kind:     by_value
      - .address_space:  global
        .offset:         64
        .size:           8
        .value_kind:     global_buffer
      - .offset:         72
        .size:           4
        .value_kind:     by_value
      - .offset:         76
        .size:           4
        .value_kind:     by_value
      - .address_space:  global
        .offset:         80
        .size:           8
        .value_kind:     global_buffer
      - .offset:         88
        .size:           8
        .value_kind:     by_value
      - .offset:         96
        .size:           4
        .value_kind:     hidden_block_count_x
      - .offset:         100
        .size:           4
        .value_kind:     hidden_block_count_y
      - .offset:         104
        .size:           4
        .value_kind:     hidden_block_count_z
      - .offset:         108
        .size:           2
        .value_kind:     hidden_group_size_x
      - .offset:         110
        .size:           2
        .value_kind:     hidden_group_size_y
      - .offset:         112
        .size:           2
        .value_kind:     hidden_group_size_z
      - .offset:         114
        .size:           2
        .value_kind:     hidden_remainder_x
      - .offset:         116
        .size:           2
        .value_kind:     hidden_remainder_y
      - .offset:         118
        .size:           2
        .value_kind:     hidden_remainder_z
      - .offset:         136
        .size:           8
        .value_kind:     hidden_global_offset_x
      - .offset:         144
        .size:           8
        .value_kind:     hidden_global_offset_y
      - .offset:         152
        .size:           8
        .value_kind:     hidden_global_offset_z
      - .offset:         160
        .size:           2
        .value_kind:     hidden_grid_dims
      - .offset:         216
        .size:           4
        .value_kind:     hidden_dynamic_lds_size
    .group_segment_fixed_size: 0
    .kernarg_segment_align: 8
    .kernarg_segment_size: 352
    .language:       OpenCL C
    .language_version:
      - 2
      - 0
    .max_flat_workgroup_size: 512
    .name:           _ZN9rocsolver6v33100L18getf2_small_kernelILi16EdiiPKPdEEvT1_T3_lS5_lPS5_llPT2_S5_S5_S7_l
    .private_segment_fixed_size: 0
    .sgpr_count:     16
    .sgpr_spill_count: 0
    .symbol:         _ZN9rocsolver6v33100L18getf2_small_kernelILi16EdiiPKPdEEvT1_T3_lS5_lPS5_llPT2_S5_S5_S7_l.kd
    .uniform_work_group_size: 1
    .uses_dynamic_stack: false
    .vgpr_count:     87
    .vgpr_spill_count: 0
    .wavefront_size: 32
    .workgroup_processor_mode: 1
  - .args:
      - .offset:         0
        .size:           4
        .value_kind:     by_value
      - .address_space:  global
        .offset:         8
        .size:           8
        .value_kind:     global_buffer
      - .offset:         16
        .size:           8
        .value_kind:     by_value
      - .offset:         24
        .size:           4
        .value_kind:     by_value
      - .offset:         32
        .size:           8
        .value_kind:     by_value
      - .address_space:  global
        .offset:         40
        .size:           8
        .value_kind:     global_buffer
      - .offset:         48
        .size:           4
        .value_kind:     by_value
      - .offset:         52
        .size:           4
        .value_kind:     by_value
      - .offset:         56
        .size:           4
        .value_kind:     hidden_block_count_x
      - .offset:         60
        .size:           4
        .value_kind:     hidden_block_count_y
      - .offset:         64
        .size:           4
        .value_kind:     hidden_block_count_z
      - .offset:         68
        .size:           2
        .value_kind:     hidden_group_size_x
      - .offset:         70
        .size:           2
        .value_kind:     hidden_group_size_y
      - .offset:         72
        .size:           2
        .value_kind:     hidden_group_size_z
      - .offset:         74
        .size:           2
        .value_kind:     hidden_remainder_x
      - .offset:         76
        .size:           2
        .value_kind:     hidden_remainder_y
      - .offset:         78
        .size:           2
        .value_kind:     hidden_remainder_z
      - .offset:         96
        .size:           8
        .value_kind:     hidden_global_offset_x
      - .offset:         104
        .size:           8
        .value_kind:     hidden_global_offset_y
      - .offset:         112
        .size:           8
        .value_kind:     hidden_global_offset_z
      - .offset:         120
        .size:           2
        .value_kind:     hidden_grid_dims
      - .offset:         176
        .size:           4
        .value_kind:     hidden_dynamic_lds_size
    .group_segment_fixed_size: 0
    .kernarg_segment_align: 8
    .kernarg_segment_size: 312
    .language:       OpenCL C
    .language_version:
      - 2
      - 0
    .max_flat_workgroup_size: 512
    .name:           _ZN9rocsolver6v33100L23getf2_npvt_small_kernelILi16EdiiPKPdEEvT1_T3_lS5_lPT2_S5_S5_
    .private_segment_fixed_size: 0
    .sgpr_count:     13
    .sgpr_spill_count: 0
    .symbol:         _ZN9rocsolver6v33100L23getf2_npvt_small_kernelILi16EdiiPKPdEEvT1_T3_lS5_lPT2_S5_S5_.kd
    .uniform_work_group_size: 1
    .uses_dynamic_stack: false
    .vgpr_count:     135
    .vgpr_spill_count: 0
    .wavefront_size: 32
    .workgroup_processor_mode: 1
  - .args:
      - .offset:         0
        .size:           4
        .value_kind:     by_value
      - .address_space:  global
        .offset:         8
        .size:           8
        .value_kind:     global_buffer
      - .offset:         16
        .size:           8
        .value_kind:     by_value
      - .offset:         24
        .size:           4
        .value_kind:     by_value
      - .offset:         32
        .size:           8
        .value_kind:     by_value
      - .address_space:  global
        .offset:         40
        .size:           8
        .value_kind:     global_buffer
      - .offset:         48
        .size:           8
        .value_kind:     by_value
      - .offset:         56
        .size:           8
        .value_kind:     by_value
      - .address_space:  global
        .offset:         64
        .size:           8
        .value_kind:     global_buffer
      - .offset:         72
        .size:           4
        .value_kind:     by_value
      - .offset:         76
        .size:           4
        .value_kind:     by_value
      - .address_space:  global
        .offset:         80
        .size:           8
        .value_kind:     global_buffer
      - .offset:         88
        .size:           8
        .value_kind:     by_value
      - .offset:         96
        .size:           4
        .value_kind:     hidden_block_count_x
      - .offset:         100
        .size:           4
        .value_kind:     hidden_block_count_y
      - .offset:         104
        .size:           4
        .value_kind:     hidden_block_count_z
      - .offset:         108
        .size:           2
        .value_kind:     hidden_group_size_x
      - .offset:         110
        .size:           2
        .value_kind:     hidden_group_size_y
      - .offset:         112
        .size:           2
        .value_kind:     hidden_group_size_z
      - .offset:         114
        .size:           2
        .value_kind:     hidden_remainder_x
      - .offset:         116
        .size:           2
        .value_kind:     hidden_remainder_y
      - .offset:         118
        .size:           2
        .value_kind:     hidden_remainder_z
      - .offset:         136
        .size:           8
        .value_kind:     hidden_global_offset_x
      - .offset:         144
        .size:           8
        .value_kind:     hidden_global_offset_y
      - .offset:         152
        .size:           8
        .value_kind:     hidden_global_offset_z
      - .offset:         160
        .size:           2
        .value_kind:     hidden_grid_dims
      - .offset:         216
        .size:           4
        .value_kind:     hidden_dynamic_lds_size
    .group_segment_fixed_size: 0
    .kernarg_segment_align: 8
    .kernarg_segment_size: 352
    .language:       OpenCL C
    .language_version:
      - 2
      - 0
    .max_flat_workgroup_size: 512
    .name:           _ZN9rocsolver6v33100L18getf2_small_kernelILi17EdiiPKPdEEvT1_T3_lS5_lPS5_llPT2_S5_S5_S7_l
    .private_segment_fixed_size: 0
    .sgpr_count:     16
    .sgpr_spill_count: 0
    .symbol:         _ZN9rocsolver6v33100L18getf2_small_kernelILi17EdiiPKPdEEvT1_T3_lS5_lPS5_llPT2_S5_S5_S7_l.kd
    .uniform_work_group_size: 1
    .uses_dynamic_stack: false
    .vgpr_count:     82
    .vgpr_spill_count: 0
    .wavefront_size: 32
    .workgroup_processor_mode: 1
  - .args:
      - .offset:         0
        .size:           4
        .value_kind:     by_value
      - .address_space:  global
        .offset:         8
        .size:           8
        .value_kind:     global_buffer
      - .offset:         16
        .size:           8
        .value_kind:     by_value
      - .offset:         24
        .size:           4
        .value_kind:     by_value
      - .offset:         32
        .size:           8
        .value_kind:     by_value
      - .address_space:  global
        .offset:         40
        .size:           8
        .value_kind:     global_buffer
      - .offset:         48
        .size:           4
        .value_kind:     by_value
      - .offset:         52
        .size:           4
        .value_kind:     by_value
      - .offset:         56
        .size:           4
        .value_kind:     hidden_block_count_x
      - .offset:         60
        .size:           4
        .value_kind:     hidden_block_count_y
      - .offset:         64
        .size:           4
        .value_kind:     hidden_block_count_z
      - .offset:         68
        .size:           2
        .value_kind:     hidden_group_size_x
      - .offset:         70
        .size:           2
        .value_kind:     hidden_group_size_y
      - .offset:         72
        .size:           2
        .value_kind:     hidden_group_size_z
      - .offset:         74
        .size:           2
        .value_kind:     hidden_remainder_x
      - .offset:         76
        .size:           2
        .value_kind:     hidden_remainder_y
      - .offset:         78
        .size:           2
        .value_kind:     hidden_remainder_z
      - .offset:         96
        .size:           8
        .value_kind:     hidden_global_offset_x
      - .offset:         104
        .size:           8
        .value_kind:     hidden_global_offset_y
      - .offset:         112
        .size:           8
        .value_kind:     hidden_global_offset_z
      - .offset:         120
        .size:           2
        .value_kind:     hidden_grid_dims
      - .offset:         176
        .size:           4
        .value_kind:     hidden_dynamic_lds_size
    .group_segment_fixed_size: 0
    .kernarg_segment_align: 8
    .kernarg_segment_size: 312
    .language:       OpenCL C
    .language_version:
      - 2
      - 0
    .max_flat_workgroup_size: 512
    .name:           _ZN9rocsolver6v33100L23getf2_npvt_small_kernelILi17EdiiPKPdEEvT1_T3_lS5_lPT2_S5_S5_
    .private_segment_fixed_size: 0
    .sgpr_count:     13
    .sgpr_spill_count: 0
    .symbol:         _ZN9rocsolver6v33100L23getf2_npvt_small_kernelILi17EdiiPKPdEEvT1_T3_lS5_lPT2_S5_S5_.kd
    .uniform_work_group_size: 1
    .uses_dynamic_stack: false
    .vgpr_count:     113
    .vgpr_spill_count: 0
    .wavefront_size: 32
    .workgroup_processor_mode: 1
  - .args:
      - .offset:         0
        .size:           4
        .value_kind:     by_value
      - .address_space:  global
        .offset:         8
        .size:           8
        .value_kind:     global_buffer
      - .offset:         16
        .size:           8
        .value_kind:     by_value
      - .offset:         24
        .size:           4
        .value_kind:     by_value
      - .offset:         32
        .size:           8
        .value_kind:     by_value
      - .address_space:  global
        .offset:         40
        .size:           8
        .value_kind:     global_buffer
      - .offset:         48
        .size:           8
        .value_kind:     by_value
      - .offset:         56
        .size:           8
        .value_kind:     by_value
      - .address_space:  global
        .offset:         64
        .size:           8
        .value_kind:     global_buffer
      - .offset:         72
        .size:           4
        .value_kind:     by_value
      - .offset:         76
        .size:           4
        .value_kind:     by_value
      - .address_space:  global
        .offset:         80
        .size:           8
        .value_kind:     global_buffer
      - .offset:         88
        .size:           8
        .value_kind:     by_value
      - .offset:         96
        .size:           4
        .value_kind:     hidden_block_count_x
      - .offset:         100
        .size:           4
        .value_kind:     hidden_block_count_y
      - .offset:         104
        .size:           4
        .value_kind:     hidden_block_count_z
      - .offset:         108
        .size:           2
        .value_kind:     hidden_group_size_x
      - .offset:         110
        .size:           2
        .value_kind:     hidden_group_size_y
      - .offset:         112
        .size:           2
        .value_kind:     hidden_group_size_z
      - .offset:         114
        .size:           2
        .value_kind:     hidden_remainder_x
      - .offset:         116
        .size:           2
        .value_kind:     hidden_remainder_y
      - .offset:         118
        .size:           2
        .value_kind:     hidden_remainder_z
      - .offset:         136
        .size:           8
        .value_kind:     hidden_global_offset_x
      - .offset:         144
        .size:           8
        .value_kind:     hidden_global_offset_y
      - .offset:         152
        .size:           8
        .value_kind:     hidden_global_offset_z
      - .offset:         160
        .size:           2
        .value_kind:     hidden_grid_dims
      - .offset:         216
        .size:           4
        .value_kind:     hidden_dynamic_lds_size
    .group_segment_fixed_size: 0
    .kernarg_segment_align: 8
    .kernarg_segment_size: 352
    .language:       OpenCL C
    .language_version:
      - 2
      - 0
    .max_flat_workgroup_size: 512
    .name:           _ZN9rocsolver6v33100L18getf2_small_kernelILi18EdiiPKPdEEvT1_T3_lS5_lPS5_llPT2_S5_S5_S7_l
    .private_segment_fixed_size: 0
    .sgpr_count:     16
    .sgpr_spill_count: 0
    .symbol:         _ZN9rocsolver6v33100L18getf2_small_kernelILi18EdiiPKPdEEvT1_T3_lS5_lPS5_llPT2_S5_S5_S7_l.kd
    .uniform_work_group_size: 1
    .uses_dynamic_stack: false
    .vgpr_count:     84
    .vgpr_spill_count: 0
    .wavefront_size: 32
    .workgroup_processor_mode: 1
  - .args:
      - .offset:         0
        .size:           4
        .value_kind:     by_value
      - .address_space:  global
        .offset:         8
        .size:           8
        .value_kind:     global_buffer
      - .offset:         16
        .size:           8
        .value_kind:     by_value
      - .offset:         24
        .size:           4
        .value_kind:     by_value
      - .offset:         32
        .size:           8
        .value_kind:     by_value
      - .address_space:  global
        .offset:         40
        .size:           8
        .value_kind:     global_buffer
      - .offset:         48
        .size:           4
        .value_kind:     by_value
      - .offset:         52
        .size:           4
        .value_kind:     by_value
      - .offset:         56
        .size:           4
        .value_kind:     hidden_block_count_x
      - .offset:         60
        .size:           4
        .value_kind:     hidden_block_count_y
      - .offset:         64
        .size:           4
        .value_kind:     hidden_block_count_z
      - .offset:         68
        .size:           2
        .value_kind:     hidden_group_size_x
      - .offset:         70
        .size:           2
        .value_kind:     hidden_group_size_y
      - .offset:         72
        .size:           2
        .value_kind:     hidden_group_size_z
      - .offset:         74
        .size:           2
        .value_kind:     hidden_remainder_x
      - .offset:         76
        .size:           2
        .value_kind:     hidden_remainder_y
      - .offset:         78
        .size:           2
        .value_kind:     hidden_remainder_z
      - .offset:         96
        .size:           8
        .value_kind:     hidden_global_offset_x
      - .offset:         104
        .size:           8
        .value_kind:     hidden_global_offset_y
      - .offset:         112
        .size:           8
        .value_kind:     hidden_global_offset_z
      - .offset:         120
        .size:           2
        .value_kind:     hidden_grid_dims
      - .offset:         176
        .size:           4
        .value_kind:     hidden_dynamic_lds_size
    .group_segment_fixed_size: 0
    .kernarg_segment_align: 8
    .kernarg_segment_size: 312
    .language:       OpenCL C
    .language_version:
      - 2
      - 0
    .max_flat_workgroup_size: 512
    .name:           _ZN9rocsolver6v33100L23getf2_npvt_small_kernelILi18EdiiPKPdEEvT1_T3_lS5_lPT2_S5_S5_
    .private_segment_fixed_size: 0
    .sgpr_count:     13
    .sgpr_spill_count: 0
    .symbol:         _ZN9rocsolver6v33100L23getf2_npvt_small_kernelILi18EdiiPKPdEEvT1_T3_lS5_lPT2_S5_S5_.kd
    .uniform_work_group_size: 1
    .uses_dynamic_stack: false
    .vgpr_count:     119
    .vgpr_spill_count: 0
    .wavefront_size: 32
    .workgroup_processor_mode: 1
  - .args:
      - .offset:         0
        .size:           4
        .value_kind:     by_value
      - .address_space:  global
        .offset:         8
        .size:           8
        .value_kind:     global_buffer
      - .offset:         16
        .size:           8
        .value_kind:     by_value
      - .offset:         24
        .size:           4
        .value_kind:     by_value
      - .offset:         32
        .size:           8
        .value_kind:     by_value
      - .address_space:  global
        .offset:         40
        .size:           8
        .value_kind:     global_buffer
      - .offset:         48
        .size:           8
        .value_kind:     by_value
      - .offset:         56
        .size:           8
        .value_kind:     by_value
      - .address_space:  global
        .offset:         64
        .size:           8
        .value_kind:     global_buffer
      - .offset:         72
        .size:           4
        .value_kind:     by_value
      - .offset:         76
        .size:           4
        .value_kind:     by_value
      - .address_space:  global
        .offset:         80
        .size:           8
        .value_kind:     global_buffer
      - .offset:         88
        .size:           8
        .value_kind:     by_value
      - .offset:         96
        .size:           4
        .value_kind:     hidden_block_count_x
      - .offset:         100
        .size:           4
        .value_kind:     hidden_block_count_y
      - .offset:         104
        .size:           4
        .value_kind:     hidden_block_count_z
      - .offset:         108
        .size:           2
        .value_kind:     hidden_group_size_x
      - .offset:         110
        .size:           2
        .value_kind:     hidden_group_size_y
      - .offset:         112
        .size:           2
        .value_kind:     hidden_group_size_z
      - .offset:         114
        .size:           2
        .value_kind:     hidden_remainder_x
      - .offset:         116
        .size:           2
        .value_kind:     hidden_remainder_y
      - .offset:         118
        .size:           2
        .value_kind:     hidden_remainder_z
      - .offset:         136
        .size:           8
        .value_kind:     hidden_global_offset_x
      - .offset:         144
        .size:           8
        .value_kind:     hidden_global_offset_y
      - .offset:         152
        .size:           8
        .value_kind:     hidden_global_offset_z
      - .offset:         160
        .size:           2
        .value_kind:     hidden_grid_dims
      - .offset:         216
        .size:           4
        .value_kind:     hidden_dynamic_lds_size
    .group_segment_fixed_size: 0
    .kernarg_segment_align: 8
    .kernarg_segment_size: 352
    .language:       OpenCL C
    .language_version:
      - 2
      - 0
    .max_flat_workgroup_size: 512
    .name:           _ZN9rocsolver6v33100L18getf2_small_kernelILi19EdiiPKPdEEvT1_T3_lS5_lPS5_llPT2_S5_S5_S7_l
    .private_segment_fixed_size: 0
    .sgpr_count:     16
    .sgpr_spill_count: 0
    .symbol:         _ZN9rocsolver6v33100L18getf2_small_kernelILi19EdiiPKPdEEvT1_T3_lS5_lPS5_llPT2_S5_S5_S7_l.kd
    .uniform_work_group_size: 1
    .uses_dynamic_stack: false
    .vgpr_count:     90
    .vgpr_spill_count: 0
    .wavefront_size: 32
    .workgroup_processor_mode: 1
  - .args:
      - .offset:         0
        .size:           4
        .value_kind:     by_value
      - .address_space:  global
        .offset:         8
        .size:           8
        .value_kind:     global_buffer
      - .offset:         16
        .size:           8
        .value_kind:     by_value
      - .offset:         24
        .size:           4
        .value_kind:     by_value
      - .offset:         32
        .size:           8
        .value_kind:     by_value
      - .address_space:  global
        .offset:         40
        .size:           8
        .value_kind:     global_buffer
      - .offset:         48
        .size:           4
        .value_kind:     by_value
      - .offset:         52
        .size:           4
        .value_kind:     by_value
      - .offset:         56
        .size:           4
        .value_kind:     hidden_block_count_x
      - .offset:         60
        .size:           4
        .value_kind:     hidden_block_count_y
      - .offset:         64
        .size:           4
        .value_kind:     hidden_block_count_z
      - .offset:         68
        .size:           2
        .value_kind:     hidden_group_size_x
      - .offset:         70
        .size:           2
        .value_kind:     hidden_group_size_y
      - .offset:         72
        .size:           2
        .value_kind:     hidden_group_size_z
      - .offset:         74
        .size:           2
        .value_kind:     hidden_remainder_x
      - .offset:         76
        .size:           2
        .value_kind:     hidden_remainder_y
      - .offset:         78
        .size:           2
        .value_kind:     hidden_remainder_z
      - .offset:         96
        .size:           8
        .value_kind:     hidden_global_offset_x
      - .offset:         104
        .size:           8
        .value_kind:     hidden_global_offset_y
      - .offset:         112
        .size:           8
        .value_kind:     hidden_global_offset_z
      - .offset:         120
        .size:           2
        .value_kind:     hidden_grid_dims
      - .offset:         176
        .size:           4
        .value_kind:     hidden_dynamic_lds_size
    .group_segment_fixed_size: 0
    .kernarg_segment_align: 8
    .kernarg_segment_size: 312
    .language:       OpenCL C
    .language_version:
      - 2
      - 0
    .max_flat_workgroup_size: 512
    .name:           _ZN9rocsolver6v33100L23getf2_npvt_small_kernelILi19EdiiPKPdEEvT1_T3_lS5_lPT2_S5_S5_
    .private_segment_fixed_size: 0
    .sgpr_count:     13
    .sgpr_spill_count: 0
    .symbol:         _ZN9rocsolver6v33100L23getf2_npvt_small_kernelILi19EdiiPKPdEEvT1_T3_lS5_lPT2_S5_S5_.kd
    .uniform_work_group_size: 1
    .uses_dynamic_stack: false
    .vgpr_count:     125
    .vgpr_spill_count: 0
    .wavefront_size: 32
    .workgroup_processor_mode: 1
  - .args:
      - .offset:         0
        .size:           4
        .value_kind:     by_value
      - .address_space:  global
        .offset:         8
        .size:           8
        .value_kind:     global_buffer
      - .offset:         16
        .size:           8
        .value_kind:     by_value
      - .offset:         24
        .size:           4
        .value_kind:     by_value
      - .offset:         32
        .size:           8
        .value_kind:     by_value
      - .address_space:  global
        .offset:         40
        .size:           8
        .value_kind:     global_buffer
      - .offset:         48
        .size:           8
        .value_kind:     by_value
      - .offset:         56
        .size:           8
        .value_kind:     by_value
      - .address_space:  global
        .offset:         64
        .size:           8
        .value_kind:     global_buffer
      - .offset:         72
        .size:           4
        .value_kind:     by_value
      - .offset:         76
        .size:           4
        .value_kind:     by_value
      - .address_space:  global
        .offset:         80
        .size:           8
        .value_kind:     global_buffer
      - .offset:         88
        .size:           8
        .value_kind:     by_value
      - .offset:         96
        .size:           4
        .value_kind:     hidden_block_count_x
      - .offset:         100
        .size:           4
        .value_kind:     hidden_block_count_y
      - .offset:         104
        .size:           4
        .value_kind:     hidden_block_count_z
      - .offset:         108
        .size:           2
        .value_kind:     hidden_group_size_x
      - .offset:         110
        .size:           2
        .value_kind:     hidden_group_size_y
      - .offset:         112
        .size:           2
        .value_kind:     hidden_group_size_z
      - .offset:         114
        .size:           2
        .value_kind:     hidden_remainder_x
      - .offset:         116
        .size:           2
        .value_kind:     hidden_remainder_y
      - .offset:         118
        .size:           2
        .value_kind:     hidden_remainder_z
      - .offset:         136
        .size:           8
        .value_kind:     hidden_global_offset_x
      - .offset:         144
        .size:           8
        .value_kind:     hidden_global_offset_y
      - .offset:         152
        .size:           8
        .value_kind:     hidden_global_offset_z
      - .offset:         160
        .size:           2
        .value_kind:     hidden_grid_dims
      - .offset:         216
        .size:           4
        .value_kind:     hidden_dynamic_lds_size
    .group_segment_fixed_size: 0
    .kernarg_segment_align: 8
    .kernarg_segment_size: 352
    .language:       OpenCL C
    .language_version:
      - 2
      - 0
    .max_flat_workgroup_size: 512
    .name:           _ZN9rocsolver6v33100L18getf2_small_kernelILi20EdiiPKPdEEvT1_T3_lS5_lPS5_llPT2_S5_S5_S7_l
    .private_segment_fixed_size: 0
    .sgpr_count:     16
    .sgpr_spill_count: 0
    .symbol:         _ZN9rocsolver6v33100L18getf2_small_kernelILi20EdiiPKPdEEvT1_T3_lS5_lPS5_llPT2_S5_S5_S7_l.kd
    .uniform_work_group_size: 1
    .uses_dynamic_stack: false
    .vgpr_count:     92
    .vgpr_spill_count: 0
    .wavefront_size: 32
    .workgroup_processor_mode: 1
  - .args:
      - .offset:         0
        .size:           4
        .value_kind:     by_value
      - .address_space:  global
        .offset:         8
        .size:           8
        .value_kind:     global_buffer
      - .offset:         16
        .size:           8
        .value_kind:     by_value
      - .offset:         24
        .size:           4
        .value_kind:     by_value
      - .offset:         32
        .size:           8
        .value_kind:     by_value
      - .address_space:  global
        .offset:         40
        .size:           8
        .value_kind:     global_buffer
      - .offset:         48
        .size:           4
        .value_kind:     by_value
      - .offset:         52
        .size:           4
        .value_kind:     by_value
      - .offset:         56
        .size:           4
        .value_kind:     hidden_block_count_x
      - .offset:         60
        .size:           4
        .value_kind:     hidden_block_count_y
      - .offset:         64
        .size:           4
        .value_kind:     hidden_block_count_z
      - .offset:         68
        .size:           2
        .value_kind:     hidden_group_size_x
      - .offset:         70
        .size:           2
        .value_kind:     hidden_group_size_y
      - .offset:         72
        .size:           2
        .value_kind:     hidden_group_size_z
      - .offset:         74
        .size:           2
        .value_kind:     hidden_remainder_x
      - .offset:         76
        .size:           2
        .value_kind:     hidden_remainder_y
      - .offset:         78
        .size:           2
        .value_kind:     hidden_remainder_z
      - .offset:         96
        .size:           8
        .value_kind:     hidden_global_offset_x
      - .offset:         104
        .size:           8
        .value_kind:     hidden_global_offset_y
      - .offset:         112
        .size:           8
        .value_kind:     hidden_global_offset_z
      - .offset:         120
        .size:           2
        .value_kind:     hidden_grid_dims
      - .offset:         176
        .size:           4
        .value_kind:     hidden_dynamic_lds_size
    .group_segment_fixed_size: 0
    .kernarg_segment_align: 8
    .kernarg_segment_size: 312
    .language:       OpenCL C
    .language_version:
      - 2
      - 0
    .max_flat_workgroup_size: 512
    .name:           _ZN9rocsolver6v33100L23getf2_npvt_small_kernelILi20EdiiPKPdEEvT1_T3_lS5_lPT2_S5_S5_
    .private_segment_fixed_size: 0
    .sgpr_count:     13
    .sgpr_spill_count: 0
    .symbol:         _ZN9rocsolver6v33100L23getf2_npvt_small_kernelILi20EdiiPKPdEEvT1_T3_lS5_lPT2_S5_S5_.kd
    .uniform_work_group_size: 1
    .uses_dynamic_stack: false
    .vgpr_count:     131
    .vgpr_spill_count: 0
    .wavefront_size: 32
    .workgroup_processor_mode: 1
  - .args:
      - .offset:         0
        .size:           4
        .value_kind:     by_value
      - .address_space:  global
        .offset:         8
        .size:           8
        .value_kind:     global_buffer
      - .offset:         16
        .size:           8
        .value_kind:     by_value
      - .offset:         24
        .size:           4
        .value_kind:     by_value
      - .offset:         32
        .size:           8
        .value_kind:     by_value
      - .address_space:  global
        .offset:         40
        .size:           8
        .value_kind:     global_buffer
      - .offset:         48
        .size:           8
        .value_kind:     by_value
      - .offset:         56
        .size:           8
        .value_kind:     by_value
      - .address_space:  global
        .offset:         64
        .size:           8
        .value_kind:     global_buffer
      - .offset:         72
        .size:           4
        .value_kind:     by_value
      - .offset:         76
        .size:           4
        .value_kind:     by_value
      - .address_space:  global
        .offset:         80
        .size:           8
        .value_kind:     global_buffer
      - .offset:         88
        .size:           8
        .value_kind:     by_value
      - .offset:         96
        .size:           4
        .value_kind:     hidden_block_count_x
      - .offset:         100
        .size:           4
        .value_kind:     hidden_block_count_y
      - .offset:         104
        .size:           4
        .value_kind:     hidden_block_count_z
      - .offset:         108
        .size:           2
        .value_kind:     hidden_group_size_x
      - .offset:         110
        .size:           2
        .value_kind:     hidden_group_size_y
      - .offset:         112
        .size:           2
        .value_kind:     hidden_group_size_z
      - .offset:         114
        .size:           2
        .value_kind:     hidden_remainder_x
      - .offset:         116
        .size:           2
        .value_kind:     hidden_remainder_y
      - .offset:         118
        .size:           2
        .value_kind:     hidden_remainder_z
      - .offset:         136
        .size:           8
        .value_kind:     hidden_global_offset_x
      - .offset:         144
        .size:           8
        .value_kind:     hidden_global_offset_y
      - .offset:         152
        .size:           8
        .value_kind:     hidden_global_offset_z
      - .offset:         160
        .size:           2
        .value_kind:     hidden_grid_dims
      - .offset:         216
        .size:           4
        .value_kind:     hidden_dynamic_lds_size
    .group_segment_fixed_size: 0
    .kernarg_segment_align: 8
    .kernarg_segment_size: 352
    .language:       OpenCL C
    .language_version:
      - 2
      - 0
    .max_flat_workgroup_size: 512
    .name:           _ZN9rocsolver6v33100L18getf2_small_kernelILi21EdiiPKPdEEvT1_T3_lS5_lPS5_llPT2_S5_S5_S7_l
    .private_segment_fixed_size: 0
    .sgpr_count:     16
    .sgpr_spill_count: 0
    .symbol:         _ZN9rocsolver6v33100L18getf2_small_kernelILi21EdiiPKPdEEvT1_T3_lS5_lPS5_llPT2_S5_S5_S7_l.kd
    .uniform_work_group_size: 1
    .uses_dynamic_stack: false
    .vgpr_count:     98
    .vgpr_spill_count: 0
    .wavefront_size: 32
    .workgroup_processor_mode: 1
  - .args:
      - .offset:         0
        .size:           4
        .value_kind:     by_value
      - .address_space:  global
        .offset:         8
        .size:           8
        .value_kind:     global_buffer
      - .offset:         16
        .size:           8
        .value_kind:     by_value
      - .offset:         24
        .size:           4
        .value_kind:     by_value
      - .offset:         32
        .size:           8
        .value_kind:     by_value
      - .address_space:  global
        .offset:         40
        .size:           8
        .value_kind:     global_buffer
      - .offset:         48
        .size:           4
        .value_kind:     by_value
      - .offset:         52
        .size:           4
        .value_kind:     by_value
      - .offset:         56
        .size:           4
        .value_kind:     hidden_block_count_x
      - .offset:         60
        .size:           4
        .value_kind:     hidden_block_count_y
      - .offset:         64
        .size:           4
        .value_kind:     hidden_block_count_z
      - .offset:         68
        .size:           2
        .value_kind:     hidden_group_size_x
      - .offset:         70
        .size:           2
        .value_kind:     hidden_group_size_y
      - .offset:         72
        .size:           2
        .value_kind:     hidden_group_size_z
      - .offset:         74
        .size:           2
        .value_kind:     hidden_remainder_x
      - .offset:         76
        .size:           2
        .value_kind:     hidden_remainder_y
      - .offset:         78
        .size:           2
        .value_kind:     hidden_remainder_z
      - .offset:         96
        .size:           8
        .value_kind:     hidden_global_offset_x
      - .offset:         104
        .size:           8
        .value_kind:     hidden_global_offset_y
      - .offset:         112
        .size:           8
        .value_kind:     hidden_global_offset_z
      - .offset:         120
        .size:           2
        .value_kind:     hidden_grid_dims
      - .offset:         176
        .size:           4
        .value_kind:     hidden_dynamic_lds_size
    .group_segment_fixed_size: 0
    .kernarg_segment_align: 8
    .kernarg_segment_size: 312
    .language:       OpenCL C
    .language_version:
      - 2
      - 0
    .max_flat_workgroup_size: 512
    .name:           _ZN9rocsolver6v33100L23getf2_npvt_small_kernelILi21EdiiPKPdEEvT1_T3_lS5_lPT2_S5_S5_
    .private_segment_fixed_size: 0
    .sgpr_count:     13
    .sgpr_spill_count: 0
    .symbol:         _ZN9rocsolver6v33100L23getf2_npvt_small_kernelILi21EdiiPKPdEEvT1_T3_lS5_lPT2_S5_S5_.kd
    .uniform_work_group_size: 1
    .uses_dynamic_stack: false
    .vgpr_count:     137
    .vgpr_spill_count: 0
    .wavefront_size: 32
    .workgroup_processor_mode: 1
  - .args:
      - .offset:         0
        .size:           4
        .value_kind:     by_value
      - .address_space:  global
        .offset:         8
        .size:           8
        .value_kind:     global_buffer
      - .offset:         16
        .size:           8
        .value_kind:     by_value
      - .offset:         24
        .size:           4
        .value_kind:     by_value
      - .offset:         32
        .size:           8
        .value_kind:     by_value
      - .address_space:  global
        .offset:         40
        .size:           8
        .value_kind:     global_buffer
      - .offset:         48
        .size:           8
        .value_kind:     by_value
      - .offset:         56
        .size:           8
        .value_kind:     by_value
      - .address_space:  global
        .offset:         64
        .size:           8
        .value_kind:     global_buffer
      - .offset:         72
        .size:           4
        .value_kind:     by_value
      - .offset:         76
        .size:           4
        .value_kind:     by_value
      - .address_space:  global
        .offset:         80
        .size:           8
        .value_kind:     global_buffer
      - .offset:         88
        .size:           8
        .value_kind:     by_value
      - .offset:         96
        .size:           4
        .value_kind:     hidden_block_count_x
      - .offset:         100
        .size:           4
        .value_kind:     hidden_block_count_y
      - .offset:         104
        .size:           4
        .value_kind:     hidden_block_count_z
      - .offset:         108
        .size:           2
        .value_kind:     hidden_group_size_x
      - .offset:         110
        .size:           2
        .value_kind:     hidden_group_size_y
      - .offset:         112
        .size:           2
        .value_kind:     hidden_group_size_z
      - .offset:         114
        .size:           2
        .value_kind:     hidden_remainder_x
      - .offset:         116
        .size:           2
        .value_kind:     hidden_remainder_y
      - .offset:         118
        .size:           2
        .value_kind:     hidden_remainder_z
      - .offset:         136
        .size:           8
        .value_kind:     hidden_global_offset_x
      - .offset:         144
        .size:           8
        .value_kind:     hidden_global_offset_y
      - .offset:         152
        .size:           8
        .value_kind:     hidden_global_offset_z
      - .offset:         160
        .size:           2
        .value_kind:     hidden_grid_dims
      - .offset:         216
        .size:           4
        .value_kind:     hidden_dynamic_lds_size
    .group_segment_fixed_size: 0
    .kernarg_segment_align: 8
    .kernarg_segment_size: 352
    .language:       OpenCL C
    .language_version:
      - 2
      - 0
    .max_flat_workgroup_size: 512
    .name:           _ZN9rocsolver6v33100L18getf2_small_kernelILi22EdiiPKPdEEvT1_T3_lS5_lPS5_llPT2_S5_S5_S7_l
    .private_segment_fixed_size: 0
    .sgpr_count:     16
    .sgpr_spill_count: 0
    .symbol:         _ZN9rocsolver6v33100L18getf2_small_kernelILi22EdiiPKPdEEvT1_T3_lS5_lPS5_llPT2_S5_S5_S7_l.kd
    .uniform_work_group_size: 1
    .uses_dynamic_stack: false
    .vgpr_count:     100
    .vgpr_spill_count: 0
    .wavefront_size: 32
    .workgroup_processor_mode: 1
  - .args:
      - .offset:         0
        .size:           4
        .value_kind:     by_value
      - .address_space:  global
        .offset:         8
        .size:           8
        .value_kind:     global_buffer
      - .offset:         16
        .size:           8
        .value_kind:     by_value
      - .offset:         24
        .size:           4
        .value_kind:     by_value
      - .offset:         32
        .size:           8
        .value_kind:     by_value
      - .address_space:  global
        .offset:         40
        .size:           8
        .value_kind:     global_buffer
      - .offset:         48
        .size:           4
        .value_kind:     by_value
      - .offset:         52
        .size:           4
        .value_kind:     by_value
      - .offset:         56
        .size:           4
        .value_kind:     hidden_block_count_x
      - .offset:         60
        .size:           4
        .value_kind:     hidden_block_count_y
      - .offset:         64
        .size:           4
        .value_kind:     hidden_block_count_z
      - .offset:         68
        .size:           2
        .value_kind:     hidden_group_size_x
      - .offset:         70
        .size:           2
        .value_kind:     hidden_group_size_y
      - .offset:         72
        .size:           2
        .value_kind:     hidden_group_size_z
      - .offset:         74
        .size:           2
        .value_kind:     hidden_remainder_x
      - .offset:         76
        .size:           2
        .value_kind:     hidden_remainder_y
      - .offset:         78
        .size:           2
        .value_kind:     hidden_remainder_z
      - .offset:         96
        .size:           8
        .value_kind:     hidden_global_offset_x
      - .offset:         104
        .size:           8
        .value_kind:     hidden_global_offset_y
      - .offset:         112
        .size:           8
        .value_kind:     hidden_global_offset_z
      - .offset:         120
        .size:           2
        .value_kind:     hidden_grid_dims
      - .offset:         176
        .size:           4
        .value_kind:     hidden_dynamic_lds_size
    .group_segment_fixed_size: 0
    .kernarg_segment_align: 8
    .kernarg_segment_size: 312
    .language:       OpenCL C
    .language_version:
      - 2
      - 0
    .max_flat_workgroup_size: 512
    .name:           _ZN9rocsolver6v33100L23getf2_npvt_small_kernelILi22EdiiPKPdEEvT1_T3_lS5_lPT2_S5_S5_
    .private_segment_fixed_size: 0
    .sgpr_count:     13
    .sgpr_spill_count: 0
    .symbol:         _ZN9rocsolver6v33100L23getf2_npvt_small_kernelILi22EdiiPKPdEEvT1_T3_lS5_lPT2_S5_S5_.kd
    .uniform_work_group_size: 1
    .uses_dynamic_stack: false
    .vgpr_count:     143
    .vgpr_spill_count: 0
    .wavefront_size: 32
    .workgroup_processor_mode: 1
  - .args:
      - .offset:         0
        .size:           4
        .value_kind:     by_value
      - .address_space:  global
        .offset:         8
        .size:           8
        .value_kind:     global_buffer
      - .offset:         16
        .size:           8
        .value_kind:     by_value
      - .offset:         24
        .size:           4
        .value_kind:     by_value
      - .offset:         32
        .size:           8
        .value_kind:     by_value
      - .address_space:  global
        .offset:         40
        .size:           8
        .value_kind:     global_buffer
      - .offset:         48
        .size:           8
        .value_kind:     by_value
      - .offset:         56
        .size:           8
        .value_kind:     by_value
      - .address_space:  global
        .offset:         64
        .size:           8
        .value_kind:     global_buffer
      - .offset:         72
        .size:           4
        .value_kind:     by_value
      - .offset:         76
        .size:           4
        .value_kind:     by_value
      - .address_space:  global
        .offset:         80
        .size:           8
        .value_kind:     global_buffer
      - .offset:         88
        .size:           8
        .value_kind:     by_value
      - .offset:         96
        .size:           4
        .value_kind:     hidden_block_count_x
      - .offset:         100
        .size:           4
        .value_kind:     hidden_block_count_y
      - .offset:         104
        .size:           4
        .value_kind:     hidden_block_count_z
      - .offset:         108
        .size:           2
        .value_kind:     hidden_group_size_x
      - .offset:         110
        .size:           2
        .value_kind:     hidden_group_size_y
      - .offset:         112
        .size:           2
        .value_kind:     hidden_group_size_z
      - .offset:         114
        .size:           2
        .value_kind:     hidden_remainder_x
      - .offset:         116
        .size:           2
        .value_kind:     hidden_remainder_y
      - .offset:         118
        .size:           2
        .value_kind:     hidden_remainder_z
      - .offset:         136
        .size:           8
        .value_kind:     hidden_global_offset_x
      - .offset:         144
        .size:           8
        .value_kind:     hidden_global_offset_y
      - .offset:         152
        .size:           8
        .value_kind:     hidden_global_offset_z
      - .offset:         160
        .size:           2
        .value_kind:     hidden_grid_dims
      - .offset:         216
        .size:           4
        .value_kind:     hidden_dynamic_lds_size
    .group_segment_fixed_size: 0
    .kernarg_segment_align: 8
    .kernarg_segment_size: 352
    .language:       OpenCL C
    .language_version:
      - 2
      - 0
    .max_flat_workgroup_size: 512
    .name:           _ZN9rocsolver6v33100L18getf2_small_kernelILi23EdiiPKPdEEvT1_T3_lS5_lPS5_llPT2_S5_S5_S7_l
    .private_segment_fixed_size: 0
    .sgpr_count:     16
    .sgpr_spill_count: 0
    .symbol:         _ZN9rocsolver6v33100L18getf2_small_kernelILi23EdiiPKPdEEvT1_T3_lS5_lPS5_llPT2_S5_S5_S7_l.kd
    .uniform_work_group_size: 1
    .uses_dynamic_stack: false
    .vgpr_count:     106
    .vgpr_spill_count: 0
    .wavefront_size: 32
    .workgroup_processor_mode: 1
  - .args:
      - .offset:         0
        .size:           4
        .value_kind:     by_value
      - .address_space:  global
        .offset:         8
        .size:           8
        .value_kind:     global_buffer
      - .offset:         16
        .size:           8
        .value_kind:     by_value
      - .offset:         24
        .size:           4
        .value_kind:     by_value
      - .offset:         32
        .size:           8
        .value_kind:     by_value
      - .address_space:  global
        .offset:         40
        .size:           8
        .value_kind:     global_buffer
      - .offset:         48
        .size:           4
        .value_kind:     by_value
      - .offset:         52
        .size:           4
        .value_kind:     by_value
      - .offset:         56
        .size:           4
        .value_kind:     hidden_block_count_x
      - .offset:         60
        .size:           4
        .value_kind:     hidden_block_count_y
      - .offset:         64
        .size:           4
        .value_kind:     hidden_block_count_z
      - .offset:         68
        .size:           2
        .value_kind:     hidden_group_size_x
      - .offset:         70
        .size:           2
        .value_kind:     hidden_group_size_y
      - .offset:         72
        .size:           2
        .value_kind:     hidden_group_size_z
      - .offset:         74
        .size:           2
        .value_kind:     hidden_remainder_x
      - .offset:         76
        .size:           2
        .value_kind:     hidden_remainder_y
      - .offset:         78
        .size:           2
        .value_kind:     hidden_remainder_z
      - .offset:         96
        .size:           8
        .value_kind:     hidden_global_offset_x
      - .offset:         104
        .size:           8
        .value_kind:     hidden_global_offset_y
      - .offset:         112
        .size:           8
        .value_kind:     hidden_global_offset_z
      - .offset:         120
        .size:           2
        .value_kind:     hidden_grid_dims
      - .offset:         176
        .size:           4
        .value_kind:     hidden_dynamic_lds_size
    .group_segment_fixed_size: 0
    .kernarg_segment_align: 8
    .kernarg_segment_size: 312
    .language:       OpenCL C
    .language_version:
      - 2
      - 0
    .max_flat_workgroup_size: 512
    .name:           _ZN9rocsolver6v33100L23getf2_npvt_small_kernelILi23EdiiPKPdEEvT1_T3_lS5_lPT2_S5_S5_
    .private_segment_fixed_size: 0
    .sgpr_count:     13
    .sgpr_spill_count: 0
    .symbol:         _ZN9rocsolver6v33100L23getf2_npvt_small_kernelILi23EdiiPKPdEEvT1_T3_lS5_lPT2_S5_S5_.kd
    .uniform_work_group_size: 1
    .uses_dynamic_stack: false
    .vgpr_count:     149
    .vgpr_spill_count: 0
    .wavefront_size: 32
    .workgroup_processor_mode: 1
  - .args:
      - .offset:         0
        .size:           4
        .value_kind:     by_value
      - .address_space:  global
        .offset:         8
        .size:           8
        .value_kind:     global_buffer
      - .offset:         16
        .size:           8
        .value_kind:     by_value
      - .offset:         24
        .size:           4
        .value_kind:     by_value
      - .offset:         32
        .size:           8
        .value_kind:     by_value
      - .address_space:  global
        .offset:         40
        .size:           8
        .value_kind:     global_buffer
      - .offset:         48
        .size:           8
        .value_kind:     by_value
      - .offset:         56
        .size:           8
        .value_kind:     by_value
      - .address_space:  global
        .offset:         64
        .size:           8
        .value_kind:     global_buffer
      - .offset:         72
        .size:           4
        .value_kind:     by_value
      - .offset:         76
        .size:           4
        .value_kind:     by_value
      - .address_space:  global
        .offset:         80
        .size:           8
        .value_kind:     global_buffer
      - .offset:         88
        .size:           8
        .value_kind:     by_value
      - .offset:         96
        .size:           4
        .value_kind:     hidden_block_count_x
      - .offset:         100
        .size:           4
        .value_kind:     hidden_block_count_y
      - .offset:         104
        .size:           4
        .value_kind:     hidden_block_count_z
      - .offset:         108
        .size:           2
        .value_kind:     hidden_group_size_x
      - .offset:         110
        .size:           2
        .value_kind:     hidden_group_size_y
      - .offset:         112
        .size:           2
        .value_kind:     hidden_group_size_z
      - .offset:         114
        .size:           2
        .value_kind:     hidden_remainder_x
      - .offset:         116
        .size:           2
        .value_kind:     hidden_remainder_y
      - .offset:         118
        .size:           2
        .value_kind:     hidden_remainder_z
      - .offset:         136
        .size:           8
        .value_kind:     hidden_global_offset_x
      - .offset:         144
        .size:           8
        .value_kind:     hidden_global_offset_y
      - .offset:         152
        .size:           8
        .value_kind:     hidden_global_offset_z
      - .offset:         160
        .size:           2
        .value_kind:     hidden_grid_dims
      - .offset:         216
        .size:           4
        .value_kind:     hidden_dynamic_lds_size
    .group_segment_fixed_size: 0
    .kernarg_segment_align: 8
    .kernarg_segment_size: 352
    .language:       OpenCL C
    .language_version:
      - 2
      - 0
    .max_flat_workgroup_size: 512
    .name:           _ZN9rocsolver6v33100L18getf2_small_kernelILi24EdiiPKPdEEvT1_T3_lS5_lPS5_llPT2_S5_S5_S7_l
    .private_segment_fixed_size: 0
    .sgpr_count:     16
    .sgpr_spill_count: 0
    .symbol:         _ZN9rocsolver6v33100L18getf2_small_kernelILi24EdiiPKPdEEvT1_T3_lS5_lPS5_llPT2_S5_S5_S7_l.kd
    .uniform_work_group_size: 1
    .uses_dynamic_stack: false
    .vgpr_count:     108
    .vgpr_spill_count: 0
    .wavefront_size: 32
    .workgroup_processor_mode: 1
  - .args:
      - .offset:         0
        .size:           4
        .value_kind:     by_value
      - .address_space:  global
        .offset:         8
        .size:           8
        .value_kind:     global_buffer
      - .offset:         16
        .size:           8
        .value_kind:     by_value
      - .offset:         24
        .size:           4
        .value_kind:     by_value
      - .offset:         32
        .size:           8
        .value_kind:     by_value
      - .address_space:  global
        .offset:         40
        .size:           8
        .value_kind:     global_buffer
      - .offset:         48
        .size:           4
        .value_kind:     by_value
      - .offset:         52
        .size:           4
        .value_kind:     by_value
      - .offset:         56
        .size:           4
        .value_kind:     hidden_block_count_x
      - .offset:         60
        .size:           4
        .value_kind:     hidden_block_count_y
      - .offset:         64
        .size:           4
        .value_kind:     hidden_block_count_z
      - .offset:         68
        .size:           2
        .value_kind:     hidden_group_size_x
      - .offset:         70
        .size:           2
        .value_kind:     hidden_group_size_y
      - .offset:         72
        .size:           2
        .value_kind:     hidden_group_size_z
      - .offset:         74
        .size:           2
        .value_kind:     hidden_remainder_x
      - .offset:         76
        .size:           2
        .value_kind:     hidden_remainder_y
      - .offset:         78
        .size:           2
        .value_kind:     hidden_remainder_z
      - .offset:         96
        .size:           8
        .value_kind:     hidden_global_offset_x
      - .offset:         104
        .size:           8
        .value_kind:     hidden_global_offset_y
      - .offset:         112
        .size:           8
        .value_kind:     hidden_global_offset_z
      - .offset:         120
        .size:           2
        .value_kind:     hidden_grid_dims
      - .offset:         176
        .size:           4
        .value_kind:     hidden_dynamic_lds_size
    .group_segment_fixed_size: 0
    .kernarg_segment_align: 8
    .kernarg_segment_size: 312
    .language:       OpenCL C
    .language_version:
      - 2
      - 0
    .max_flat_workgroup_size: 512
    .name:           _ZN9rocsolver6v33100L23getf2_npvt_small_kernelILi24EdiiPKPdEEvT1_T3_lS5_lPT2_S5_S5_
    .private_segment_fixed_size: 0
    .sgpr_count:     13
    .sgpr_spill_count: 0
    .symbol:         _ZN9rocsolver6v33100L23getf2_npvt_small_kernelILi24EdiiPKPdEEvT1_T3_lS5_lPT2_S5_S5_.kd
    .uniform_work_group_size: 1
    .uses_dynamic_stack: false
    .vgpr_count:     155
    .vgpr_spill_count: 0
    .wavefront_size: 32
    .workgroup_processor_mode: 1
  - .args:
      - .offset:         0
        .size:           4
        .value_kind:     by_value
      - .address_space:  global
        .offset:         8
        .size:           8
        .value_kind:     global_buffer
      - .offset:         16
        .size:           8
        .value_kind:     by_value
      - .offset:         24
        .size:           4
        .value_kind:     by_value
      - .offset:         32
        .size:           8
        .value_kind:     by_value
      - .address_space:  global
        .offset:         40
        .size:           8
        .value_kind:     global_buffer
      - .offset:         48
        .size:           8
        .value_kind:     by_value
      - .offset:         56
        .size:           8
        .value_kind:     by_value
      - .address_space:  global
        .offset:         64
        .size:           8
        .value_kind:     global_buffer
      - .offset:         72
        .size:           4
        .value_kind:     by_value
      - .offset:         76
        .size:           4
        .value_kind:     by_value
      - .address_space:  global
        .offset:         80
        .size:           8
        .value_kind:     global_buffer
      - .offset:         88
        .size:           8
        .value_kind:     by_value
      - .offset:         96
        .size:           4
        .value_kind:     hidden_block_count_x
      - .offset:         100
        .size:           4
        .value_kind:     hidden_block_count_y
      - .offset:         104
        .size:           4
        .value_kind:     hidden_block_count_z
      - .offset:         108
        .size:           2
        .value_kind:     hidden_group_size_x
      - .offset:         110
        .size:           2
        .value_kind:     hidden_group_size_y
      - .offset:         112
        .size:           2
        .value_kind:     hidden_group_size_z
      - .offset:         114
        .size:           2
        .value_kind:     hidden_remainder_x
      - .offset:         116
        .size:           2
        .value_kind:     hidden_remainder_y
      - .offset:         118
        .size:           2
        .value_kind:     hidden_remainder_z
      - .offset:         136
        .size:           8
        .value_kind:     hidden_global_offset_x
      - .offset:         144
        .size:           8
        .value_kind:     hidden_global_offset_y
      - .offset:         152
        .size:           8
        .value_kind:     hidden_global_offset_z
      - .offset:         160
        .size:           2
        .value_kind:     hidden_grid_dims
      - .offset:         216
        .size:           4
        .value_kind:     hidden_dynamic_lds_size
    .group_segment_fixed_size: 0
    .kernarg_segment_align: 8
    .kernarg_segment_size: 352
    .language:       OpenCL C
    .language_version:
      - 2
      - 0
    .max_flat_workgroup_size: 512
    .name:           _ZN9rocsolver6v33100L18getf2_small_kernelILi25EdiiPKPdEEvT1_T3_lS5_lPS5_llPT2_S5_S5_S7_l
    .private_segment_fixed_size: 0
    .sgpr_count:     16
    .sgpr_spill_count: 0
    .symbol:         _ZN9rocsolver6v33100L18getf2_small_kernelILi25EdiiPKPdEEvT1_T3_lS5_lPS5_llPT2_S5_S5_S7_l.kd
    .uniform_work_group_size: 1
    .uses_dynamic_stack: false
    .vgpr_count:     114
    .vgpr_spill_count: 0
    .wavefront_size: 32
    .workgroup_processor_mode: 1
  - .args:
      - .offset:         0
        .size:           4
        .value_kind:     by_value
      - .address_space:  global
        .offset:         8
        .size:           8
        .value_kind:     global_buffer
      - .offset:         16
        .size:           8
        .value_kind:     by_value
      - .offset:         24
        .size:           4
        .value_kind:     by_value
      - .offset:         32
        .size:           8
        .value_kind:     by_value
      - .address_space:  global
        .offset:         40
        .size:           8
        .value_kind:     global_buffer
      - .offset:         48
        .size:           4
        .value_kind:     by_value
      - .offset:         52
        .size:           4
        .value_kind:     by_value
      - .offset:         56
        .size:           4
        .value_kind:     hidden_block_count_x
      - .offset:         60
        .size:           4
        .value_kind:     hidden_block_count_y
      - .offset:         64
        .size:           4
        .value_kind:     hidden_block_count_z
      - .offset:         68
        .size:           2
        .value_kind:     hidden_group_size_x
      - .offset:         70
        .size:           2
        .value_kind:     hidden_group_size_y
      - .offset:         72
        .size:           2
        .value_kind:     hidden_group_size_z
      - .offset:         74
        .size:           2
        .value_kind:     hidden_remainder_x
      - .offset:         76
        .size:           2
        .value_kind:     hidden_remainder_y
      - .offset:         78
        .size:           2
        .value_kind:     hidden_remainder_z
      - .offset:         96
        .size:           8
        .value_kind:     hidden_global_offset_x
      - .offset:         104
        .size:           8
        .value_kind:     hidden_global_offset_y
      - .offset:         112
        .size:           8
        .value_kind:     hidden_global_offset_z
      - .offset:         120
        .size:           2
        .value_kind:     hidden_grid_dims
      - .offset:         176
        .size:           4
        .value_kind:     hidden_dynamic_lds_size
    .group_segment_fixed_size: 0
    .kernarg_segment_align: 8
    .kernarg_segment_size: 312
    .language:       OpenCL C
    .language_version:
      - 2
      - 0
    .max_flat_workgroup_size: 512
    .name:           _ZN9rocsolver6v33100L23getf2_npvt_small_kernelILi25EdiiPKPdEEvT1_T3_lS5_lPT2_S5_S5_
    .private_segment_fixed_size: 0
    .sgpr_count:     13
    .sgpr_spill_count: 0
    .symbol:         _ZN9rocsolver6v33100L23getf2_npvt_small_kernelILi25EdiiPKPdEEvT1_T3_lS5_lPT2_S5_S5_.kd
    .uniform_work_group_size: 1
    .uses_dynamic_stack: false
    .vgpr_count:     161
    .vgpr_spill_count: 0
    .wavefront_size: 32
    .workgroup_processor_mode: 1
  - .args:
      - .offset:         0
        .size:           4
        .value_kind:     by_value
      - .address_space:  global
        .offset:         8
        .size:           8
        .value_kind:     global_buffer
      - .offset:         16
        .size:           8
        .value_kind:     by_value
      - .offset:         24
        .size:           4
        .value_kind:     by_value
      - .offset:         32
        .size:           8
        .value_kind:     by_value
      - .address_space:  global
        .offset:         40
        .size:           8
        .value_kind:     global_buffer
      - .offset:         48
        .size:           8
        .value_kind:     by_value
      - .offset:         56
        .size:           8
        .value_kind:     by_value
      - .address_space:  global
        .offset:         64
        .size:           8
        .value_kind:     global_buffer
      - .offset:         72
        .size:           4
        .value_kind:     by_value
      - .offset:         76
        .size:           4
        .value_kind:     by_value
      - .address_space:  global
        .offset:         80
        .size:           8
        .value_kind:     global_buffer
      - .offset:         88
        .size:           8
        .value_kind:     by_value
      - .offset:         96
        .size:           4
        .value_kind:     hidden_block_count_x
      - .offset:         100
        .size:           4
        .value_kind:     hidden_block_count_y
      - .offset:         104
        .size:           4
        .value_kind:     hidden_block_count_z
      - .offset:         108
        .size:           2
        .value_kind:     hidden_group_size_x
      - .offset:         110
        .size:           2
        .value_kind:     hidden_group_size_y
      - .offset:         112
        .size:           2
        .value_kind:     hidden_group_size_z
      - .offset:         114
        .size:           2
        .value_kind:     hidden_remainder_x
      - .offset:         116
        .size:           2
        .value_kind:     hidden_remainder_y
      - .offset:         118
        .size:           2
        .value_kind:     hidden_remainder_z
      - .offset:         136
        .size:           8
        .value_kind:     hidden_global_offset_x
      - .offset:         144
        .size:           8
        .value_kind:     hidden_global_offset_y
      - .offset:         152
        .size:           8
        .value_kind:     hidden_global_offset_z
      - .offset:         160
        .size:           2
        .value_kind:     hidden_grid_dims
      - .offset:         216
        .size:           4
        .value_kind:     hidden_dynamic_lds_size
    .group_segment_fixed_size: 0
    .kernarg_segment_align: 8
    .kernarg_segment_size: 352
    .language:       OpenCL C
    .language_version:
      - 2
      - 0
    .max_flat_workgroup_size: 512
    .name:           _ZN9rocsolver6v33100L18getf2_small_kernelILi26EdiiPKPdEEvT1_T3_lS5_lPS5_llPT2_S5_S5_S7_l
    .private_segment_fixed_size: 0
    .sgpr_count:     16
    .sgpr_spill_count: 0
    .symbol:         _ZN9rocsolver6v33100L18getf2_small_kernelILi26EdiiPKPdEEvT1_T3_lS5_lPS5_llPT2_S5_S5_S7_l.kd
    .uniform_work_group_size: 1
    .uses_dynamic_stack: false
    .vgpr_count:     116
    .vgpr_spill_count: 0
    .wavefront_size: 32
    .workgroup_processor_mode: 1
  - .args:
      - .offset:         0
        .size:           4
        .value_kind:     by_value
      - .address_space:  global
        .offset:         8
        .size:           8
        .value_kind:     global_buffer
      - .offset:         16
        .size:           8
        .value_kind:     by_value
      - .offset:         24
        .size:           4
        .value_kind:     by_value
      - .offset:         32
        .size:           8
        .value_kind:     by_value
      - .address_space:  global
        .offset:         40
        .size:           8
        .value_kind:     global_buffer
      - .offset:         48
        .size:           4
        .value_kind:     by_value
      - .offset:         52
        .size:           4
        .value_kind:     by_value
      - .offset:         56
        .size:           4
        .value_kind:     hidden_block_count_x
      - .offset:         60
        .size:           4
        .value_kind:     hidden_block_count_y
      - .offset:         64
        .size:           4
        .value_kind:     hidden_block_count_z
      - .offset:         68
        .size:           2
        .value_kind:     hidden_group_size_x
      - .offset:         70
        .size:           2
        .value_kind:     hidden_group_size_y
      - .offset:         72
        .size:           2
        .value_kind:     hidden_group_size_z
      - .offset:         74
        .size:           2
        .value_kind:     hidden_remainder_x
      - .offset:         76
        .size:           2
        .value_kind:     hidden_remainder_y
      - .offset:         78
        .size:           2
        .value_kind:     hidden_remainder_z
      - .offset:         96
        .size:           8
        .value_kind:     hidden_global_offset_x
      - .offset:         104
        .size:           8
        .value_kind:     hidden_global_offset_y
      - .offset:         112
        .size:           8
        .value_kind:     hidden_global_offset_z
      - .offset:         120
        .size:           2
        .value_kind:     hidden_grid_dims
      - .offset:         176
        .size:           4
        .value_kind:     hidden_dynamic_lds_size
    .group_segment_fixed_size: 0
    .kernarg_segment_align: 8
    .kernarg_segment_size: 312
    .language:       OpenCL C
    .language_version:
      - 2
      - 0
    .max_flat_workgroup_size: 512
    .name:           _ZN9rocsolver6v33100L23getf2_npvt_small_kernelILi26EdiiPKPdEEvT1_T3_lS5_lPT2_S5_S5_
    .private_segment_fixed_size: 0
    .sgpr_count:     13
    .sgpr_spill_count: 0
    .symbol:         _ZN9rocsolver6v33100L23getf2_npvt_small_kernelILi26EdiiPKPdEEvT1_T3_lS5_lPT2_S5_S5_.kd
    .uniform_work_group_size: 1
    .uses_dynamic_stack: false
    .vgpr_count:     167
    .vgpr_spill_count: 0
    .wavefront_size: 32
    .workgroup_processor_mode: 1
  - .args:
      - .offset:         0
        .size:           4
        .value_kind:     by_value
      - .address_space:  global
        .offset:         8
        .size:           8
        .value_kind:     global_buffer
      - .offset:         16
        .size:           8
        .value_kind:     by_value
      - .offset:         24
        .size:           4
        .value_kind:     by_value
      - .offset:         32
        .size:           8
        .value_kind:     by_value
      - .address_space:  global
        .offset:         40
        .size:           8
        .value_kind:     global_buffer
      - .offset:         48
        .size:           8
        .value_kind:     by_value
      - .offset:         56
        .size:           8
        .value_kind:     by_value
      - .address_space:  global
        .offset:         64
        .size:           8
        .value_kind:     global_buffer
      - .offset:         72
        .size:           4
        .value_kind:     by_value
      - .offset:         76
        .size:           4
        .value_kind:     by_value
      - .address_space:  global
        .offset:         80
        .size:           8
        .value_kind:     global_buffer
      - .offset:         88
        .size:           8
        .value_kind:     by_value
      - .offset:         96
        .size:           4
        .value_kind:     hidden_block_count_x
      - .offset:         100
        .size:           4
        .value_kind:     hidden_block_count_y
      - .offset:         104
        .size:           4
        .value_kind:     hidden_block_count_z
      - .offset:         108
        .size:           2
        .value_kind:     hidden_group_size_x
      - .offset:         110
        .size:           2
        .value_kind:     hidden_group_size_y
      - .offset:         112
        .size:           2
        .value_kind:     hidden_group_size_z
      - .offset:         114
        .size:           2
        .value_kind:     hidden_remainder_x
      - .offset:         116
        .size:           2
        .value_kind:     hidden_remainder_y
      - .offset:         118
        .size:           2
        .value_kind:     hidden_remainder_z
      - .offset:         136
        .size:           8
        .value_kind:     hidden_global_offset_x
      - .offset:         144
        .size:           8
        .value_kind:     hidden_global_offset_y
      - .offset:         152
        .size:           8
        .value_kind:     hidden_global_offset_z
      - .offset:         160
        .size:           2
        .value_kind:     hidden_grid_dims
      - .offset:         216
        .size:           4
        .value_kind:     hidden_dynamic_lds_size
    .group_segment_fixed_size: 0
    .kernarg_segment_align: 8
    .kernarg_segment_size: 352
    .language:       OpenCL C
    .language_version:
      - 2
      - 0
    .max_flat_workgroup_size: 512
    .name:           _ZN9rocsolver6v33100L18getf2_small_kernelILi27EdiiPKPdEEvT1_T3_lS5_lPS5_llPT2_S5_S5_S7_l
    .private_segment_fixed_size: 0
    .sgpr_count:     16
    .sgpr_spill_count: 0
    .symbol:         _ZN9rocsolver6v33100L18getf2_small_kernelILi27EdiiPKPdEEvT1_T3_lS5_lPS5_llPT2_S5_S5_S7_l.kd
    .uniform_work_group_size: 1
    .uses_dynamic_stack: false
    .vgpr_count:     122
    .vgpr_spill_count: 0
    .wavefront_size: 32
    .workgroup_processor_mode: 1
  - .args:
      - .offset:         0
        .size:           4
        .value_kind:     by_value
      - .address_space:  global
        .offset:         8
        .size:           8
        .value_kind:     global_buffer
      - .offset:         16
        .size:           8
        .value_kind:     by_value
      - .offset:         24
        .size:           4
        .value_kind:     by_value
      - .offset:         32
        .size:           8
        .value_kind:     by_value
      - .address_space:  global
        .offset:         40
        .size:           8
        .value_kind:     global_buffer
      - .offset:         48
        .size:           4
        .value_kind:     by_value
      - .offset:         52
        .size:           4
        .value_kind:     by_value
      - .offset:         56
        .size:           4
        .value_kind:     hidden_block_count_x
      - .offset:         60
        .size:           4
        .value_kind:     hidden_block_count_y
      - .offset:         64
        .size:           4
        .value_kind:     hidden_block_count_z
      - .offset:         68
        .size:           2
        .value_kind:     hidden_group_size_x
      - .offset:         70
        .size:           2
        .value_kind:     hidden_group_size_y
      - .offset:         72
        .size:           2
        .value_kind:     hidden_group_size_z
      - .offset:         74
        .size:           2
        .value_kind:     hidden_remainder_x
      - .offset:         76
        .size:           2
        .value_kind:     hidden_remainder_y
      - .offset:         78
        .size:           2
        .value_kind:     hidden_remainder_z
      - .offset:         96
        .size:           8
        .value_kind:     hidden_global_offset_x
      - .offset:         104
        .size:           8
        .value_kind:     hidden_global_offset_y
      - .offset:         112
        .size:           8
        .value_kind:     hidden_global_offset_z
      - .offset:         120
        .size:           2
        .value_kind:     hidden_grid_dims
      - .offset:         176
        .size:           4
        .value_kind:     hidden_dynamic_lds_size
    .group_segment_fixed_size: 0
    .kernarg_segment_align: 8
    .kernarg_segment_size: 312
    .language:       OpenCL C
    .language_version:
      - 2
      - 0
    .max_flat_workgroup_size: 512
    .name:           _ZN9rocsolver6v33100L23getf2_npvt_small_kernelILi27EdiiPKPdEEvT1_T3_lS5_lPT2_S5_S5_
    .private_segment_fixed_size: 0
    .sgpr_count:     13
    .sgpr_spill_count: 0
    .symbol:         _ZN9rocsolver6v33100L23getf2_npvt_small_kernelILi27EdiiPKPdEEvT1_T3_lS5_lPT2_S5_S5_.kd
    .uniform_work_group_size: 1
    .uses_dynamic_stack: false
    .vgpr_count:     173
    .vgpr_spill_count: 0
    .wavefront_size: 32
    .workgroup_processor_mode: 1
  - .args:
      - .offset:         0
        .size:           4
        .value_kind:     by_value
      - .address_space:  global
        .offset:         8
        .size:           8
        .value_kind:     global_buffer
      - .offset:         16
        .size:           8
        .value_kind:     by_value
      - .offset:         24
        .size:           4
        .value_kind:     by_value
      - .offset:         32
        .size:           8
        .value_kind:     by_value
      - .address_space:  global
        .offset:         40
        .size:           8
        .value_kind:     global_buffer
      - .offset:         48
        .size:           8
        .value_kind:     by_value
      - .offset:         56
        .size:           8
        .value_kind:     by_value
      - .address_space:  global
        .offset:         64
        .size:           8
        .value_kind:     global_buffer
      - .offset:         72
        .size:           4
        .value_kind:     by_value
      - .offset:         76
        .size:           4
        .value_kind:     by_value
      - .address_space:  global
        .offset:         80
        .size:           8
        .value_kind:     global_buffer
      - .offset:         88
        .size:           8
        .value_kind:     by_value
      - .offset:         96
        .size:           4
        .value_kind:     hidden_block_count_x
      - .offset:         100
        .size:           4
        .value_kind:     hidden_block_count_y
      - .offset:         104
        .size:           4
        .value_kind:     hidden_block_count_z
      - .offset:         108
        .size:           2
        .value_kind:     hidden_group_size_x
      - .offset:         110
        .size:           2
        .value_kind:     hidden_group_size_y
      - .offset:         112
        .size:           2
        .value_kind:     hidden_group_size_z
      - .offset:         114
        .size:           2
        .value_kind:     hidden_remainder_x
      - .offset:         116
        .size:           2
        .value_kind:     hidden_remainder_y
      - .offset:         118
        .size:           2
        .value_kind:     hidden_remainder_z
      - .offset:         136
        .size:           8
        .value_kind:     hidden_global_offset_x
      - .offset:         144
        .size:           8
        .value_kind:     hidden_global_offset_y
      - .offset:         152
        .size:           8
        .value_kind:     hidden_global_offset_z
      - .offset:         160
        .size:           2
        .value_kind:     hidden_grid_dims
      - .offset:         216
        .size:           4
        .value_kind:     hidden_dynamic_lds_size
    .group_segment_fixed_size: 0
    .kernarg_segment_align: 8
    .kernarg_segment_size: 352
    .language:       OpenCL C
    .language_version:
      - 2
      - 0
    .max_flat_workgroup_size: 512
    .name:           _ZN9rocsolver6v33100L18getf2_small_kernelILi28EdiiPKPdEEvT1_T3_lS5_lPS5_llPT2_S5_S5_S7_l
    .private_segment_fixed_size: 0
    .sgpr_count:     16
    .sgpr_spill_count: 0
    .symbol:         _ZN9rocsolver6v33100L18getf2_small_kernelILi28EdiiPKPdEEvT1_T3_lS5_lPS5_llPT2_S5_S5_S7_l.kd
    .uniform_work_group_size: 1
    .uses_dynamic_stack: false
    .vgpr_count:     124
    .vgpr_spill_count: 0
    .wavefront_size: 32
    .workgroup_processor_mode: 1
  - .args:
      - .offset:         0
        .size:           4
        .value_kind:     by_value
      - .address_space:  global
        .offset:         8
        .size:           8
        .value_kind:     global_buffer
      - .offset:         16
        .size:           8
        .value_kind:     by_value
      - .offset:         24
        .size:           4
        .value_kind:     by_value
      - .offset:         32
        .size:           8
        .value_kind:     by_value
      - .address_space:  global
        .offset:         40
        .size:           8
        .value_kind:     global_buffer
      - .offset:         48
        .size:           4
        .value_kind:     by_value
      - .offset:         52
        .size:           4
        .value_kind:     by_value
      - .offset:         56
        .size:           4
        .value_kind:     hidden_block_count_x
      - .offset:         60
        .size:           4
        .value_kind:     hidden_block_count_y
      - .offset:         64
        .size:           4
        .value_kind:     hidden_block_count_z
      - .offset:         68
        .size:           2
        .value_kind:     hidden_group_size_x
      - .offset:         70
        .size:           2
        .value_kind:     hidden_group_size_y
      - .offset:         72
        .size:           2
        .value_kind:     hidden_group_size_z
      - .offset:         74
        .size:           2
        .value_kind:     hidden_remainder_x
      - .offset:         76
        .size:           2
        .value_kind:     hidden_remainder_y
      - .offset:         78
        .size:           2
        .value_kind:     hidden_remainder_z
      - .offset:         96
        .size:           8
        .value_kind:     hidden_global_offset_x
      - .offset:         104
        .size:           8
        .value_kind:     hidden_global_offset_y
      - .offset:         112
        .size:           8
        .value_kind:     hidden_global_offset_z
      - .offset:         120
        .size:           2
        .value_kind:     hidden_grid_dims
      - .offset:         176
        .size:           4
        .value_kind:     hidden_dynamic_lds_size
    .group_segment_fixed_size: 0
    .kernarg_segment_align: 8
    .kernarg_segment_size: 312
    .language:       OpenCL C
    .language_version:
      - 2
      - 0
    .max_flat_workgroup_size: 512
    .name:           _ZN9rocsolver6v33100L23getf2_npvt_small_kernelILi28EdiiPKPdEEvT1_T3_lS5_lPT2_S5_S5_
    .private_segment_fixed_size: 0
    .sgpr_count:     13
    .sgpr_spill_count: 0
    .symbol:         _ZN9rocsolver6v33100L23getf2_npvt_small_kernelILi28EdiiPKPdEEvT1_T3_lS5_lPT2_S5_S5_.kd
    .uniform_work_group_size: 1
    .uses_dynamic_stack: false
    .vgpr_count:     179
    .vgpr_spill_count: 0
    .wavefront_size: 32
    .workgroup_processor_mode: 1
  - .args:
      - .offset:         0
        .size:           4
        .value_kind:     by_value
      - .address_space:  global
        .offset:         8
        .size:           8
        .value_kind:     global_buffer
      - .offset:         16
        .size:           8
        .value_kind:     by_value
      - .offset:         24
        .size:           4
        .value_kind:     by_value
      - .offset:         32
        .size:           8
        .value_kind:     by_value
      - .address_space:  global
        .offset:         40
        .size:           8
        .value_kind:     global_buffer
      - .offset:         48
        .size:           8
        .value_kind:     by_value
      - .offset:         56
        .size:           8
        .value_kind:     by_value
      - .address_space:  global
        .offset:         64
        .size:           8
        .value_kind:     global_buffer
      - .offset:         72
        .size:           4
        .value_kind:     by_value
      - .offset:         76
        .size:           4
        .value_kind:     by_value
      - .address_space:  global
        .offset:         80
        .size:           8
        .value_kind:     global_buffer
      - .offset:         88
        .size:           8
        .value_kind:     by_value
      - .offset:         96
        .size:           4
        .value_kind:     hidden_block_count_x
      - .offset:         100
        .size:           4
        .value_kind:     hidden_block_count_y
      - .offset:         104
        .size:           4
        .value_kind:     hidden_block_count_z
      - .offset:         108
        .size:           2
        .value_kind:     hidden_group_size_x
      - .offset:         110
        .size:           2
        .value_kind:     hidden_group_size_y
      - .offset:         112
        .size:           2
        .value_kind:     hidden_group_size_z
      - .offset:         114
        .size:           2
        .value_kind:     hidden_remainder_x
      - .offset:         116
        .size:           2
        .value_kind:     hidden_remainder_y
      - .offset:         118
        .size:           2
        .value_kind:     hidden_remainder_z
      - .offset:         136
        .size:           8
        .value_kind:     hidden_global_offset_x
      - .offset:         144
        .size:           8
        .value_kind:     hidden_global_offset_y
      - .offset:         152
        .size:           8
        .value_kind:     hidden_global_offset_z
      - .offset:         160
        .size:           2
        .value_kind:     hidden_grid_dims
      - .offset:         216
        .size:           4
        .value_kind:     hidden_dynamic_lds_size
    .group_segment_fixed_size: 0
    .kernarg_segment_align: 8
    .kernarg_segment_size: 352
    .language:       OpenCL C
    .language_version:
      - 2
      - 0
    .max_flat_workgroup_size: 512
    .name:           _ZN9rocsolver6v33100L18getf2_small_kernelILi29EdiiPKPdEEvT1_T3_lS5_lPS5_llPT2_S5_S5_S7_l
    .private_segment_fixed_size: 0
    .sgpr_count:     16
    .sgpr_spill_count: 0
    .symbol:         _ZN9rocsolver6v33100L18getf2_small_kernelILi29EdiiPKPdEEvT1_T3_lS5_lPS5_llPT2_S5_S5_S7_l.kd
    .uniform_work_group_size: 1
    .uses_dynamic_stack: false
    .vgpr_count:     130
    .vgpr_spill_count: 0
    .wavefront_size: 32
    .workgroup_processor_mode: 1
  - .args:
      - .offset:         0
        .size:           4
        .value_kind:     by_value
      - .address_space:  global
        .offset:         8
        .size:           8
        .value_kind:     global_buffer
      - .offset:         16
        .size:           8
        .value_kind:     by_value
      - .offset:         24
        .size:           4
        .value_kind:     by_value
      - .offset:         32
        .size:           8
        .value_kind:     by_value
      - .address_space:  global
        .offset:         40
        .size:           8
        .value_kind:     global_buffer
      - .offset:         48
        .size:           4
        .value_kind:     by_value
      - .offset:         52
        .size:           4
        .value_kind:     by_value
      - .offset:         56
        .size:           4
        .value_kind:     hidden_block_count_x
      - .offset:         60
        .size:           4
        .value_kind:     hidden_block_count_y
      - .offset:         64
        .size:           4
        .value_kind:     hidden_block_count_z
      - .offset:         68
        .size:           2
        .value_kind:     hidden_group_size_x
      - .offset:         70
        .size:           2
        .value_kind:     hidden_group_size_y
      - .offset:         72
        .size:           2
        .value_kind:     hidden_group_size_z
      - .offset:         74
        .size:           2
        .value_kind:     hidden_remainder_x
      - .offset:         76
        .size:           2
        .value_kind:     hidden_remainder_y
      - .offset:         78
        .size:           2
        .value_kind:     hidden_remainder_z
      - .offset:         96
        .size:           8
        .value_kind:     hidden_global_offset_x
      - .offset:         104
        .size:           8
        .value_kind:     hidden_global_offset_y
      - .offset:         112
        .size:           8
        .value_kind:     hidden_global_offset_z
      - .offset:         120
        .size:           2
        .value_kind:     hidden_grid_dims
      - .offset:         176
        .size:           4
        .value_kind:     hidden_dynamic_lds_size
    .group_segment_fixed_size: 0
    .kernarg_segment_align: 8
    .kernarg_segment_size: 312
    .language:       OpenCL C
    .language_version:
      - 2
      - 0
    .max_flat_workgroup_size: 512
    .name:           _ZN9rocsolver6v33100L23getf2_npvt_small_kernelILi29EdiiPKPdEEvT1_T3_lS5_lPT2_S5_S5_
    .private_segment_fixed_size: 0
    .sgpr_count:     13
    .sgpr_spill_count: 0
    .symbol:         _ZN9rocsolver6v33100L23getf2_npvt_small_kernelILi29EdiiPKPdEEvT1_T3_lS5_lPT2_S5_S5_.kd
    .uniform_work_group_size: 1
    .uses_dynamic_stack: false
    .vgpr_count:     185
    .vgpr_spill_count: 0
    .wavefront_size: 32
    .workgroup_processor_mode: 1
  - .args:
      - .offset:         0
        .size:           4
        .value_kind:     by_value
      - .address_space:  global
        .offset:         8
        .size:           8
        .value_kind:     global_buffer
      - .offset:         16
        .size:           8
        .value_kind:     by_value
      - .offset:         24
        .size:           4
        .value_kind:     by_value
      - .offset:         32
        .size:           8
        .value_kind:     by_value
      - .address_space:  global
        .offset:         40
        .size:           8
        .value_kind:     global_buffer
      - .offset:         48
        .size:           8
        .value_kind:     by_value
      - .offset:         56
        .size:           8
        .value_kind:     by_value
      - .address_space:  global
        .offset:         64
        .size:           8
        .value_kind:     global_buffer
      - .offset:         72
        .size:           4
        .value_kind:     by_value
      - .offset:         76
        .size:           4
        .value_kind:     by_value
      - .address_space:  global
        .offset:         80
        .size:           8
        .value_kind:     global_buffer
      - .offset:         88
        .size:           8
        .value_kind:     by_value
      - .offset:         96
        .size:           4
        .value_kind:     hidden_block_count_x
      - .offset:         100
        .size:           4
        .value_kind:     hidden_block_count_y
      - .offset:         104
        .size:           4
        .value_kind:     hidden_block_count_z
      - .offset:         108
        .size:           2
        .value_kind:     hidden_group_size_x
      - .offset:         110
        .size:           2
        .value_kind:     hidden_group_size_y
      - .offset:         112
        .size:           2
        .value_kind:     hidden_group_size_z
      - .offset:         114
        .size:           2
        .value_kind:     hidden_remainder_x
      - .offset:         116
        .size:           2
        .value_kind:     hidden_remainder_y
      - .offset:         118
        .size:           2
        .value_kind:     hidden_remainder_z
      - .offset:         136
        .size:           8
        .value_kind:     hidden_global_offset_x
      - .offset:         144
        .size:           8
        .value_kind:     hidden_global_offset_y
      - .offset:         152
        .size:           8
        .value_kind:     hidden_global_offset_z
      - .offset:         160
        .size:           2
        .value_kind:     hidden_grid_dims
      - .offset:         216
        .size:           4
        .value_kind:     hidden_dynamic_lds_size
    .group_segment_fixed_size: 0
    .kernarg_segment_align: 8
    .kernarg_segment_size: 352
    .language:       OpenCL C
    .language_version:
      - 2
      - 0
    .max_flat_workgroup_size: 512
    .name:           _ZN9rocsolver6v33100L18getf2_small_kernelILi30EdiiPKPdEEvT1_T3_lS5_lPS5_llPT2_S5_S5_S7_l
    .private_segment_fixed_size: 0
    .sgpr_count:     16
    .sgpr_spill_count: 0
    .symbol:         _ZN9rocsolver6v33100L18getf2_small_kernelILi30EdiiPKPdEEvT1_T3_lS5_lPS5_llPT2_S5_S5_S7_l.kd
    .uniform_work_group_size: 1
    .uses_dynamic_stack: false
    .vgpr_count:     132
    .vgpr_spill_count: 0
    .wavefront_size: 32
    .workgroup_processor_mode: 1
  - .args:
      - .offset:         0
        .size:           4
        .value_kind:     by_value
      - .address_space:  global
        .offset:         8
        .size:           8
        .value_kind:     global_buffer
      - .offset:         16
        .size:           8
        .value_kind:     by_value
      - .offset:         24
        .size:           4
        .value_kind:     by_value
      - .offset:         32
        .size:           8
        .value_kind:     by_value
      - .address_space:  global
        .offset:         40
        .size:           8
        .value_kind:     global_buffer
      - .offset:         48
        .size:           4
        .value_kind:     by_value
      - .offset:         52
        .size:           4
        .value_kind:     by_value
      - .offset:         56
        .size:           4
        .value_kind:     hidden_block_count_x
      - .offset:         60
        .size:           4
        .value_kind:     hidden_block_count_y
      - .offset:         64
        .size:           4
        .value_kind:     hidden_block_count_z
      - .offset:         68
        .size:           2
        .value_kind:     hidden_group_size_x
      - .offset:         70
        .size:           2
        .value_kind:     hidden_group_size_y
      - .offset:         72
        .size:           2
        .value_kind:     hidden_group_size_z
      - .offset:         74
        .size:           2
        .value_kind:     hidden_remainder_x
      - .offset:         76
        .size:           2
        .value_kind:     hidden_remainder_y
      - .offset:         78
        .size:           2
        .value_kind:     hidden_remainder_z
      - .offset:         96
        .size:           8
        .value_kind:     hidden_global_offset_x
      - .offset:         104
        .size:           8
        .value_kind:     hidden_global_offset_y
      - .offset:         112
        .size:           8
        .value_kind:     hidden_global_offset_z
      - .offset:         120
        .size:           2
        .value_kind:     hidden_grid_dims
      - .offset:         176
        .size:           4
        .value_kind:     hidden_dynamic_lds_size
    .group_segment_fixed_size: 0
    .kernarg_segment_align: 8
    .kernarg_segment_size: 312
    .language:       OpenCL C
    .language_version:
      - 2
      - 0
    .max_flat_workgroup_size: 512
    .name:           _ZN9rocsolver6v33100L23getf2_npvt_small_kernelILi30EdiiPKPdEEvT1_T3_lS5_lPT2_S5_S5_
    .private_segment_fixed_size: 0
    .sgpr_count:     13
    .sgpr_spill_count: 0
    .symbol:         _ZN9rocsolver6v33100L23getf2_npvt_small_kernelILi30EdiiPKPdEEvT1_T3_lS5_lPT2_S5_S5_.kd
    .uniform_work_group_size: 1
    .uses_dynamic_stack: false
    .vgpr_count:     191
    .vgpr_spill_count: 0
    .wavefront_size: 32
    .workgroup_processor_mode: 1
  - .args:
      - .offset:         0
        .size:           4
        .value_kind:     by_value
      - .address_space:  global
        .offset:         8
        .size:           8
        .value_kind:     global_buffer
      - .offset:         16
        .size:           8
        .value_kind:     by_value
      - .offset:         24
        .size:           4
        .value_kind:     by_value
      - .offset:         32
        .size:           8
        .value_kind:     by_value
      - .address_space:  global
        .offset:         40
        .size:           8
        .value_kind:     global_buffer
      - .offset:         48
        .size:           8
        .value_kind:     by_value
      - .offset:         56
        .size:           8
        .value_kind:     by_value
      - .address_space:  global
        .offset:         64
        .size:           8
        .value_kind:     global_buffer
      - .offset:         72
        .size:           4
        .value_kind:     by_value
      - .offset:         76
        .size:           4
        .value_kind:     by_value
      - .address_space:  global
        .offset:         80
        .size:           8
        .value_kind:     global_buffer
      - .offset:         88
        .size:           8
        .value_kind:     by_value
      - .offset:         96
        .size:           4
        .value_kind:     hidden_block_count_x
      - .offset:         100
        .size:           4
        .value_kind:     hidden_block_count_y
      - .offset:         104
        .size:           4
        .value_kind:     hidden_block_count_z
      - .offset:         108
        .size:           2
        .value_kind:     hidden_group_size_x
      - .offset:         110
        .size:           2
        .value_kind:     hidden_group_size_y
      - .offset:         112
        .size:           2
        .value_kind:     hidden_group_size_z
      - .offset:         114
        .size:           2
        .value_kind:     hidden_remainder_x
      - .offset:         116
        .size:           2
        .value_kind:     hidden_remainder_y
      - .offset:         118
        .size:           2
        .value_kind:     hidden_remainder_z
      - .offset:         136
        .size:           8
        .value_kind:     hidden_global_offset_x
      - .offset:         144
        .size:           8
        .value_kind:     hidden_global_offset_y
      - .offset:         152
        .size:           8
        .value_kind:     hidden_global_offset_z
      - .offset:         160
        .size:           2
        .value_kind:     hidden_grid_dims
      - .offset:         216
        .size:           4
        .value_kind:     hidden_dynamic_lds_size
    .group_segment_fixed_size: 0
    .kernarg_segment_align: 8
    .kernarg_segment_size: 352
    .language:       OpenCL C
    .language_version:
      - 2
      - 0
    .max_flat_workgroup_size: 512
    .name:           _ZN9rocsolver6v33100L18getf2_small_kernelILi31EdiiPKPdEEvT1_T3_lS5_lPS5_llPT2_S5_S5_S7_l
    .private_segment_fixed_size: 0
    .sgpr_count:     16
    .sgpr_spill_count: 0
    .symbol:         _ZN9rocsolver6v33100L18getf2_small_kernelILi31EdiiPKPdEEvT1_T3_lS5_lPS5_llPT2_S5_S5_S7_l.kd
    .uniform_work_group_size: 1
    .uses_dynamic_stack: false
    .vgpr_count:     138
    .vgpr_spill_count: 0
    .wavefront_size: 32
    .workgroup_processor_mode: 1
  - .args:
      - .offset:         0
        .size:           4
        .value_kind:     by_value
      - .address_space:  global
        .offset:         8
        .size:           8
        .value_kind:     global_buffer
      - .offset:         16
        .size:           8
        .value_kind:     by_value
      - .offset:         24
        .size:           4
        .value_kind:     by_value
      - .offset:         32
        .size:           8
        .value_kind:     by_value
      - .address_space:  global
        .offset:         40
        .size:           8
        .value_kind:     global_buffer
      - .offset:         48
        .size:           4
        .value_kind:     by_value
      - .offset:         52
        .size:           4
        .value_kind:     by_value
      - .offset:         56
        .size:           4
        .value_kind:     hidden_block_count_x
      - .offset:         60
        .size:           4
        .value_kind:     hidden_block_count_y
      - .offset:         64
        .size:           4
        .value_kind:     hidden_block_count_z
      - .offset:         68
        .size:           2
        .value_kind:     hidden_group_size_x
      - .offset:         70
        .size:           2
        .value_kind:     hidden_group_size_y
      - .offset:         72
        .size:           2
        .value_kind:     hidden_group_size_z
      - .offset:         74
        .size:           2
        .value_kind:     hidden_remainder_x
      - .offset:         76
        .size:           2
        .value_kind:     hidden_remainder_y
      - .offset:         78
        .size:           2
        .value_kind:     hidden_remainder_z
      - .offset:         96
        .size:           8
        .value_kind:     hidden_global_offset_x
      - .offset:         104
        .size:           8
        .value_kind:     hidden_global_offset_y
      - .offset:         112
        .size:           8
        .value_kind:     hidden_global_offset_z
      - .offset:         120
        .size:           2
        .value_kind:     hidden_grid_dims
      - .offset:         176
        .size:           4
        .value_kind:     hidden_dynamic_lds_size
    .group_segment_fixed_size: 0
    .kernarg_segment_align: 8
    .kernarg_segment_size: 312
    .language:       OpenCL C
    .language_version:
      - 2
      - 0
    .max_flat_workgroup_size: 512
    .name:           _ZN9rocsolver6v33100L23getf2_npvt_small_kernelILi31EdiiPKPdEEvT1_T3_lS5_lPT2_S5_S5_
    .private_segment_fixed_size: 0
    .sgpr_count:     13
    .sgpr_spill_count: 0
    .symbol:         _ZN9rocsolver6v33100L23getf2_npvt_small_kernelILi31EdiiPKPdEEvT1_T3_lS5_lPT2_S5_S5_.kd
    .uniform_work_group_size: 1
    .uses_dynamic_stack: false
    .vgpr_count:     197
    .vgpr_spill_count: 0
    .wavefront_size: 32
    .workgroup_processor_mode: 1
  - .args:
      - .offset:         0
        .size:           4
        .value_kind:     by_value
      - .address_space:  global
        .offset:         8
        .size:           8
        .value_kind:     global_buffer
      - .offset:         16
        .size:           8
        .value_kind:     by_value
      - .offset:         24
        .size:           4
        .value_kind:     by_value
      - .offset:         32
        .size:           8
        .value_kind:     by_value
      - .address_space:  global
        .offset:         40
        .size:           8
        .value_kind:     global_buffer
      - .offset:         48
        .size:           8
        .value_kind:     by_value
      - .offset:         56
        .size:           8
        .value_kind:     by_value
      - .address_space:  global
        .offset:         64
        .size:           8
        .value_kind:     global_buffer
      - .offset:         72
        .size:           4
        .value_kind:     by_value
      - .offset:         76
        .size:           4
        .value_kind:     by_value
      - .address_space:  global
        .offset:         80
        .size:           8
        .value_kind:     global_buffer
      - .offset:         88
        .size:           8
        .value_kind:     by_value
      - .offset:         96
        .size:           4
        .value_kind:     hidden_block_count_x
      - .offset:         100
        .size:           4
        .value_kind:     hidden_block_count_y
      - .offset:         104
        .size:           4
        .value_kind:     hidden_block_count_z
      - .offset:         108
        .size:           2
        .value_kind:     hidden_group_size_x
      - .offset:         110
        .size:           2
        .value_kind:     hidden_group_size_y
      - .offset:         112
        .size:           2
        .value_kind:     hidden_group_size_z
      - .offset:         114
        .size:           2
        .value_kind:     hidden_remainder_x
      - .offset:         116
        .size:           2
        .value_kind:     hidden_remainder_y
      - .offset:         118
        .size:           2
        .value_kind:     hidden_remainder_z
      - .offset:         136
        .size:           8
        .value_kind:     hidden_global_offset_x
      - .offset:         144
        .size:           8
        .value_kind:     hidden_global_offset_y
      - .offset:         152
        .size:           8
        .value_kind:     hidden_global_offset_z
      - .offset:         160
        .size:           2
        .value_kind:     hidden_grid_dims
      - .offset:         216
        .size:           4
        .value_kind:     hidden_dynamic_lds_size
    .group_segment_fixed_size: 0
    .kernarg_segment_align: 8
    .kernarg_segment_size: 352
    .language:       OpenCL C
    .language_version:
      - 2
      - 0
    .max_flat_workgroup_size: 512
    .name:           _ZN9rocsolver6v33100L18getf2_small_kernelILi32EdiiPKPdEEvT1_T3_lS5_lPS5_llPT2_S5_S5_S7_l
    .private_segment_fixed_size: 0
    .sgpr_count:     16
    .sgpr_spill_count: 0
    .symbol:         _ZN9rocsolver6v33100L18getf2_small_kernelILi32EdiiPKPdEEvT1_T3_lS5_lPS5_llPT2_S5_S5_S7_l.kd
    .uniform_work_group_size: 1
    .uses_dynamic_stack: false
    .vgpr_count:     140
    .vgpr_spill_count: 0
    .wavefront_size: 32
    .workgroup_processor_mode: 1
  - .args:
      - .offset:         0
        .size:           4
        .value_kind:     by_value
      - .address_space:  global
        .offset:         8
        .size:           8
        .value_kind:     global_buffer
      - .offset:         16
        .size:           8
        .value_kind:     by_value
      - .offset:         24
        .size:           4
        .value_kind:     by_value
      - .offset:         32
        .size:           8
        .value_kind:     by_value
      - .address_space:  global
        .offset:         40
        .size:           8
        .value_kind:     global_buffer
      - .offset:         48
        .size:           4
        .value_kind:     by_value
      - .offset:         52
        .size:           4
        .value_kind:     by_value
      - .offset:         56
        .size:           4
        .value_kind:     hidden_block_count_x
      - .offset:         60
        .size:           4
        .value_kind:     hidden_block_count_y
      - .offset:         64
        .size:           4
        .value_kind:     hidden_block_count_z
      - .offset:         68
        .size:           2
        .value_kind:     hidden_group_size_x
      - .offset:         70
        .size:           2
        .value_kind:     hidden_group_size_y
      - .offset:         72
        .size:           2
        .value_kind:     hidden_group_size_z
      - .offset:         74
        .size:           2
        .value_kind:     hidden_remainder_x
      - .offset:         76
        .size:           2
        .value_kind:     hidden_remainder_y
      - .offset:         78
        .size:           2
        .value_kind:     hidden_remainder_z
      - .offset:         96
        .size:           8
        .value_kind:     hidden_global_offset_x
      - .offset:         104
        .size:           8
        .value_kind:     hidden_global_offset_y
      - .offset:         112
        .size:           8
        .value_kind:     hidden_global_offset_z
      - .offset:         120
        .size:           2
        .value_kind:     hidden_grid_dims
      - .offset:         176
        .size:           4
        .value_kind:     hidden_dynamic_lds_size
    .group_segment_fixed_size: 0
    .kernarg_segment_align: 8
    .kernarg_segment_size: 312
    .language:       OpenCL C
    .language_version:
      - 2
      - 0
    .max_flat_workgroup_size: 512
    .name:           _ZN9rocsolver6v33100L23getf2_npvt_small_kernelILi32EdiiPKPdEEvT1_T3_lS5_lPT2_S5_S5_
    .private_segment_fixed_size: 0
    .sgpr_count:     13
    .sgpr_spill_count: 0
    .symbol:         _ZN9rocsolver6v33100L23getf2_npvt_small_kernelILi32EdiiPKPdEEvT1_T3_lS5_lPT2_S5_S5_.kd
    .uniform_work_group_size: 1
    .uses_dynamic_stack: false
    .vgpr_count:     203
    .vgpr_spill_count: 0
    .wavefront_size: 32
    .workgroup_processor_mode: 1
  - .args:
      - .offset:         0
        .size:           4
        .value_kind:     by_value
      - .address_space:  global
        .offset:         8
        .size:           8
        .value_kind:     global_buffer
      - .offset:         16
        .size:           8
        .value_kind:     by_value
      - .offset:         24
        .size:           4
        .value_kind:     by_value
      - .offset:         32
        .size:           8
        .value_kind:     by_value
      - .address_space:  global
        .offset:         40
        .size:           8
        .value_kind:     global_buffer
      - .offset:         48
        .size:           8
        .value_kind:     by_value
      - .offset:         56
        .size:           8
        .value_kind:     by_value
      - .address_space:  global
        .offset:         64
        .size:           8
        .value_kind:     global_buffer
      - .offset:         72
        .size:           4
        .value_kind:     by_value
      - .offset:         76
        .size:           4
        .value_kind:     by_value
      - .address_space:  global
        .offset:         80
        .size:           8
        .value_kind:     global_buffer
      - .offset:         88
        .size:           8
        .value_kind:     by_value
      - .offset:         96
        .size:           4
        .value_kind:     hidden_block_count_x
      - .offset:         100
        .size:           4
        .value_kind:     hidden_block_count_y
      - .offset:         104
        .size:           4
        .value_kind:     hidden_block_count_z
      - .offset:         108
        .size:           2
        .value_kind:     hidden_group_size_x
      - .offset:         110
        .size:           2
        .value_kind:     hidden_group_size_y
      - .offset:         112
        .size:           2
        .value_kind:     hidden_group_size_z
      - .offset:         114
        .size:           2
        .value_kind:     hidden_remainder_x
      - .offset:         116
        .size:           2
        .value_kind:     hidden_remainder_y
      - .offset:         118
        .size:           2
        .value_kind:     hidden_remainder_z
      - .offset:         136
        .size:           8
        .value_kind:     hidden_global_offset_x
      - .offset:         144
        .size:           8
        .value_kind:     hidden_global_offset_y
      - .offset:         152
        .size:           8
        .value_kind:     hidden_global_offset_z
      - .offset:         160
        .size:           2
        .value_kind:     hidden_grid_dims
      - .offset:         216
        .size:           4
        .value_kind:     hidden_dynamic_lds_size
    .group_segment_fixed_size: 0
    .kernarg_segment_align: 8
    .kernarg_segment_size: 352
    .language:       OpenCL C
    .language_version:
      - 2
      - 0
    .max_flat_workgroup_size: 512
    .name:           _ZN9rocsolver6v33100L18getf2_small_kernelILi33EdiiPKPdEEvT1_T3_lS5_lPS5_llPT2_S5_S5_S7_l
    .private_segment_fixed_size: 0
    .sgpr_count:     16
    .sgpr_spill_count: 0
    .symbol:         _ZN9rocsolver6v33100L18getf2_small_kernelILi33EdiiPKPdEEvT1_T3_lS5_lPS5_llPT2_S5_S5_S7_l.kd
    .uniform_work_group_size: 1
    .uses_dynamic_stack: false
    .vgpr_count:     146
    .vgpr_spill_count: 0
    .wavefront_size: 32
    .workgroup_processor_mode: 1
  - .args:
      - .offset:         0
        .size:           4
        .value_kind:     by_value
      - .address_space:  global
        .offset:         8
        .size:           8
        .value_kind:     global_buffer
      - .offset:         16
        .size:           8
        .value_kind:     by_value
      - .offset:         24
        .size:           4
        .value_kind:     by_value
      - .offset:         32
        .size:           8
        .value_kind:     by_value
      - .address_space:  global
        .offset:         40
        .size:           8
        .value_kind:     global_buffer
      - .offset:         48
        .size:           4
        .value_kind:     by_value
      - .offset:         52
        .size:           4
        .value_kind:     by_value
      - .offset:         56
        .size:           4
        .value_kind:     hidden_block_count_x
      - .offset:         60
        .size:           4
        .value_kind:     hidden_block_count_y
      - .offset:         64
        .size:           4
        .value_kind:     hidden_block_count_z
      - .offset:         68
        .size:           2
        .value_kind:     hidden_group_size_x
      - .offset:         70
        .size:           2
        .value_kind:     hidden_group_size_y
      - .offset:         72
        .size:           2
        .value_kind:     hidden_group_size_z
      - .offset:         74
        .size:           2
        .value_kind:     hidden_remainder_x
      - .offset:         76
        .size:           2
        .value_kind:     hidden_remainder_y
      - .offset:         78
        .size:           2
        .value_kind:     hidden_remainder_z
      - .offset:         96
        .size:           8
        .value_kind:     hidden_global_offset_x
      - .offset:         104
        .size:           8
        .value_kind:     hidden_global_offset_y
      - .offset:         112
        .size:           8
        .value_kind:     hidden_global_offset_z
      - .offset:         120
        .size:           2
        .value_kind:     hidden_grid_dims
      - .offset:         176
        .size:           4
        .value_kind:     hidden_dynamic_lds_size
    .group_segment_fixed_size: 0
    .kernarg_segment_align: 8
    .kernarg_segment_size: 312
    .language:       OpenCL C
    .language_version:
      - 2
      - 0
    .max_flat_workgroup_size: 512
    .name:           _ZN9rocsolver6v33100L23getf2_npvt_small_kernelILi33EdiiPKPdEEvT1_T3_lS5_lPT2_S5_S5_
    .private_segment_fixed_size: 0
    .sgpr_count:     13
    .sgpr_spill_count: 0
    .symbol:         _ZN9rocsolver6v33100L23getf2_npvt_small_kernelILi33EdiiPKPdEEvT1_T3_lS5_lPT2_S5_S5_.kd
    .uniform_work_group_size: 1
    .uses_dynamic_stack: false
    .vgpr_count:     209
    .vgpr_spill_count: 0
    .wavefront_size: 32
    .workgroup_processor_mode: 1
  - .args:
      - .offset:         0
        .size:           4
        .value_kind:     by_value
      - .address_space:  global
        .offset:         8
        .size:           8
        .value_kind:     global_buffer
      - .offset:         16
        .size:           8
        .value_kind:     by_value
      - .offset:         24
        .size:           4
        .value_kind:     by_value
      - .offset:         32
        .size:           8
        .value_kind:     by_value
      - .address_space:  global
        .offset:         40
        .size:           8
        .value_kind:     global_buffer
      - .offset:         48
        .size:           8
        .value_kind:     by_value
      - .offset:         56
        .size:           8
        .value_kind:     by_value
      - .address_space:  global
        .offset:         64
        .size:           8
        .value_kind:     global_buffer
      - .offset:         72
        .size:           4
        .value_kind:     by_value
      - .offset:         76
        .size:           4
        .value_kind:     by_value
      - .address_space:  global
        .offset:         80
        .size:           8
        .value_kind:     global_buffer
      - .offset:         88
        .size:           8
        .value_kind:     by_value
      - .offset:         96
        .size:           4
        .value_kind:     hidden_block_count_x
      - .offset:         100
        .size:           4
        .value_kind:     hidden_block_count_y
      - .offset:         104
        .size:           4
        .value_kind:     hidden_block_count_z
      - .offset:         108
        .size:           2
        .value_kind:     hidden_group_size_x
      - .offset:         110
        .size:           2
        .value_kind:     hidden_group_size_y
      - .offset:         112
        .size:           2
        .value_kind:     hidden_group_size_z
      - .offset:         114
        .size:           2
        .value_kind:     hidden_remainder_x
      - .offset:         116
        .size:           2
        .value_kind:     hidden_remainder_y
      - .offset:         118
        .size:           2
        .value_kind:     hidden_remainder_z
      - .offset:         136
        .size:           8
        .value_kind:     hidden_global_offset_x
      - .offset:         144
        .size:           8
        .value_kind:     hidden_global_offset_y
      - .offset:         152
        .size:           8
        .value_kind:     hidden_global_offset_z
      - .offset:         160
        .size:           2
        .value_kind:     hidden_grid_dims
      - .offset:         216
        .size:           4
        .value_kind:     hidden_dynamic_lds_size
    .group_segment_fixed_size: 0
    .kernarg_segment_align: 8
    .kernarg_segment_size: 352
    .language:       OpenCL C
    .language_version:
      - 2
      - 0
    .max_flat_workgroup_size: 512
    .name:           _ZN9rocsolver6v33100L18getf2_small_kernelILi34EdiiPKPdEEvT1_T3_lS5_lPS5_llPT2_S5_S5_S7_l
    .private_segment_fixed_size: 0
    .sgpr_count:     16
    .sgpr_spill_count: 0
    .symbol:         _ZN9rocsolver6v33100L18getf2_small_kernelILi34EdiiPKPdEEvT1_T3_lS5_lPS5_llPT2_S5_S5_S7_l.kd
    .uniform_work_group_size: 1
    .uses_dynamic_stack: false
    .vgpr_count:     148
    .vgpr_spill_count: 0
    .wavefront_size: 32
    .workgroup_processor_mode: 1
  - .args:
      - .offset:         0
        .size:           4
        .value_kind:     by_value
      - .address_space:  global
        .offset:         8
        .size:           8
        .value_kind:     global_buffer
      - .offset:         16
        .size:           8
        .value_kind:     by_value
      - .offset:         24
        .size:           4
        .value_kind:     by_value
      - .offset:         32
        .size:           8
        .value_kind:     by_value
      - .address_space:  global
        .offset:         40
        .size:           8
        .value_kind:     global_buffer
      - .offset:         48
        .size:           4
        .value_kind:     by_value
      - .offset:         52
        .size:           4
        .value_kind:     by_value
      - .offset:         56
        .size:           4
        .value_kind:     hidden_block_count_x
      - .offset:         60
        .size:           4
        .value_kind:     hidden_block_count_y
      - .offset:         64
        .size:           4
        .value_kind:     hidden_block_count_z
      - .offset:         68
        .size:           2
        .value_kind:     hidden_group_size_x
      - .offset:         70
        .size:           2
        .value_kind:     hidden_group_size_y
      - .offset:         72
        .size:           2
        .value_kind:     hidden_group_size_z
      - .offset:         74
        .size:           2
        .value_kind:     hidden_remainder_x
      - .offset:         76
        .size:           2
        .value_kind:     hidden_remainder_y
      - .offset:         78
        .size:           2
        .value_kind:     hidden_remainder_z
      - .offset:         96
        .size:           8
        .value_kind:     hidden_global_offset_x
      - .offset:         104
        .size:           8
        .value_kind:     hidden_global_offset_y
      - .offset:         112
        .size:           8
        .value_kind:     hidden_global_offset_z
      - .offset:         120
        .size:           2
        .value_kind:     hidden_grid_dims
      - .offset:         176
        .size:           4
        .value_kind:     hidden_dynamic_lds_size
    .group_segment_fixed_size: 0
    .kernarg_segment_align: 8
    .kernarg_segment_size: 312
    .language:       OpenCL C
    .language_version:
      - 2
      - 0
    .max_flat_workgroup_size: 512
    .name:           _ZN9rocsolver6v33100L23getf2_npvt_small_kernelILi34EdiiPKPdEEvT1_T3_lS5_lPT2_S5_S5_
    .private_segment_fixed_size: 0
    .sgpr_count:     13
    .sgpr_spill_count: 0
    .symbol:         _ZN9rocsolver6v33100L23getf2_npvt_small_kernelILi34EdiiPKPdEEvT1_T3_lS5_lPT2_S5_S5_.kd
    .uniform_work_group_size: 1
    .uses_dynamic_stack: false
    .vgpr_count:     215
    .vgpr_spill_count: 0
    .wavefront_size: 32
    .workgroup_processor_mode: 1
  - .args:
      - .offset:         0
        .size:           4
        .value_kind:     by_value
      - .address_space:  global
        .offset:         8
        .size:           8
        .value_kind:     global_buffer
      - .offset:         16
        .size:           8
        .value_kind:     by_value
      - .offset:         24
        .size:           4
        .value_kind:     by_value
      - .offset:         32
        .size:           8
        .value_kind:     by_value
      - .address_space:  global
        .offset:         40
        .size:           8
        .value_kind:     global_buffer
      - .offset:         48
        .size:           8
        .value_kind:     by_value
      - .offset:         56
        .size:           8
        .value_kind:     by_value
      - .address_space:  global
        .offset:         64
        .size:           8
        .value_kind:     global_buffer
      - .offset:         72
        .size:           4
        .value_kind:     by_value
      - .offset:         76
        .size:           4
        .value_kind:     by_value
      - .address_space:  global
        .offset:         80
        .size:           8
        .value_kind:     global_buffer
      - .offset:         88
        .size:           8
        .value_kind:     by_value
      - .offset:         96
        .size:           4
        .value_kind:     hidden_block_count_x
      - .offset:         100
        .size:           4
        .value_kind:     hidden_block_count_y
      - .offset:         104
        .size:           4
        .value_kind:     hidden_block_count_z
      - .offset:         108
        .size:           2
        .value_kind:     hidden_group_size_x
      - .offset:         110
        .size:           2
        .value_kind:     hidden_group_size_y
      - .offset:         112
        .size:           2
        .value_kind:     hidden_group_size_z
      - .offset:         114
        .size:           2
        .value_kind:     hidden_remainder_x
      - .offset:         116
        .size:           2
        .value_kind:     hidden_remainder_y
      - .offset:         118
        .size:           2
        .value_kind:     hidden_remainder_z
      - .offset:         136
        .size:           8
        .value_kind:     hidden_global_offset_x
      - .offset:         144
        .size:           8
        .value_kind:     hidden_global_offset_y
      - .offset:         152
        .size:           8
        .value_kind:     hidden_global_offset_z
      - .offset:         160
        .size:           2
        .value_kind:     hidden_grid_dims
      - .offset:         216
        .size:           4
        .value_kind:     hidden_dynamic_lds_size
    .group_segment_fixed_size: 0
    .kernarg_segment_align: 8
    .kernarg_segment_size: 352
    .language:       OpenCL C
    .language_version:
      - 2
      - 0
    .max_flat_workgroup_size: 512
    .name:           _ZN9rocsolver6v33100L18getf2_small_kernelILi35EdiiPKPdEEvT1_T3_lS5_lPS5_llPT2_S5_S5_S7_l
    .private_segment_fixed_size: 0
    .sgpr_count:     16
    .sgpr_spill_count: 0
    .symbol:         _ZN9rocsolver6v33100L18getf2_small_kernelILi35EdiiPKPdEEvT1_T3_lS5_lPS5_llPT2_S5_S5_S7_l.kd
    .uniform_work_group_size: 1
    .uses_dynamic_stack: false
    .vgpr_count:     154
    .vgpr_spill_count: 0
    .wavefront_size: 32
    .workgroup_processor_mode: 1
  - .args:
      - .offset:         0
        .size:           4
        .value_kind:     by_value
      - .address_space:  global
        .offset:         8
        .size:           8
        .value_kind:     global_buffer
      - .offset:         16
        .size:           8
        .value_kind:     by_value
      - .offset:         24
        .size:           4
        .value_kind:     by_value
      - .offset:         32
        .size:           8
        .value_kind:     by_value
      - .address_space:  global
        .offset:         40
        .size:           8
        .value_kind:     global_buffer
      - .offset:         48
        .size:           4
        .value_kind:     by_value
      - .offset:         52
        .size:           4
        .value_kind:     by_value
      - .offset:         56
        .size:           4
        .value_kind:     hidden_block_count_x
      - .offset:         60
        .size:           4
        .value_kind:     hidden_block_count_y
      - .offset:         64
        .size:           4
        .value_kind:     hidden_block_count_z
      - .offset:         68
        .size:           2
        .value_kind:     hidden_group_size_x
      - .offset:         70
        .size:           2
        .value_kind:     hidden_group_size_y
      - .offset:         72
        .size:           2
        .value_kind:     hidden_group_size_z
      - .offset:         74
        .size:           2
        .value_kind:     hidden_remainder_x
      - .offset:         76
        .size:           2
        .value_kind:     hidden_remainder_y
      - .offset:         78
        .size:           2
        .value_kind:     hidden_remainder_z
      - .offset:         96
        .size:           8
        .value_kind:     hidden_global_offset_x
      - .offset:         104
        .size:           8
        .value_kind:     hidden_global_offset_y
      - .offset:         112
        .size:           8
        .value_kind:     hidden_global_offset_z
      - .offset:         120
        .size:           2
        .value_kind:     hidden_grid_dims
      - .offset:         176
        .size:           4
        .value_kind:     hidden_dynamic_lds_size
    .group_segment_fixed_size: 0
    .kernarg_segment_align: 8
    .kernarg_segment_size: 312
    .language:       OpenCL C
    .language_version:
      - 2
      - 0
    .max_flat_workgroup_size: 512
    .name:           _ZN9rocsolver6v33100L23getf2_npvt_small_kernelILi35EdiiPKPdEEvT1_T3_lS5_lPT2_S5_S5_
    .private_segment_fixed_size: 0
    .sgpr_count:     13
    .sgpr_spill_count: 0
    .symbol:         _ZN9rocsolver6v33100L23getf2_npvt_small_kernelILi35EdiiPKPdEEvT1_T3_lS5_lPT2_S5_S5_.kd
    .uniform_work_group_size: 1
    .uses_dynamic_stack: false
    .vgpr_count:     221
    .vgpr_spill_count: 0
    .wavefront_size: 32
    .workgroup_processor_mode: 1
  - .args:
      - .offset:         0
        .size:           4
        .value_kind:     by_value
      - .address_space:  global
        .offset:         8
        .size:           8
        .value_kind:     global_buffer
      - .offset:         16
        .size:           8
        .value_kind:     by_value
      - .offset:         24
        .size:           4
        .value_kind:     by_value
      - .offset:         32
        .size:           8
        .value_kind:     by_value
      - .address_space:  global
        .offset:         40
        .size:           8
        .value_kind:     global_buffer
      - .offset:         48
        .size:           8
        .value_kind:     by_value
      - .offset:         56
        .size:           8
        .value_kind:     by_value
      - .address_space:  global
        .offset:         64
        .size:           8
        .value_kind:     global_buffer
      - .offset:         72
        .size:           4
        .value_kind:     by_value
      - .offset:         76
        .size:           4
        .value_kind:     by_value
      - .address_space:  global
        .offset:         80
        .size:           8
        .value_kind:     global_buffer
      - .offset:         88
        .size:           8
        .value_kind:     by_value
      - .offset:         96
        .size:           4
        .value_kind:     hidden_block_count_x
      - .offset:         100
        .size:           4
        .value_kind:     hidden_block_count_y
      - .offset:         104
        .size:           4
        .value_kind:     hidden_block_count_z
      - .offset:         108
        .size:           2
        .value_kind:     hidden_group_size_x
      - .offset:         110
        .size:           2
        .value_kind:     hidden_group_size_y
      - .offset:         112
        .size:           2
        .value_kind:     hidden_group_size_z
      - .offset:         114
        .size:           2
        .value_kind:     hidden_remainder_x
      - .offset:         116
        .size:           2
        .value_kind:     hidden_remainder_y
      - .offset:         118
        .size:           2
        .value_kind:     hidden_remainder_z
      - .offset:         136
        .size:           8
        .value_kind:     hidden_global_offset_x
      - .offset:         144
        .size:           8
        .value_kind:     hidden_global_offset_y
      - .offset:         152
        .size:           8
        .value_kind:     hidden_global_offset_z
      - .offset:         160
        .size:           2
        .value_kind:     hidden_grid_dims
      - .offset:         216
        .size:           4
        .value_kind:     hidden_dynamic_lds_size
    .group_segment_fixed_size: 0
    .kernarg_segment_align: 8
    .kernarg_segment_size: 352
    .language:       OpenCL C
    .language_version:
      - 2
      - 0
    .max_flat_workgroup_size: 512
    .name:           _ZN9rocsolver6v33100L18getf2_small_kernelILi36EdiiPKPdEEvT1_T3_lS5_lPS5_llPT2_S5_S5_S7_l
    .private_segment_fixed_size: 0
    .sgpr_count:     16
    .sgpr_spill_count: 0
    .symbol:         _ZN9rocsolver6v33100L18getf2_small_kernelILi36EdiiPKPdEEvT1_T3_lS5_lPS5_llPT2_S5_S5_S7_l.kd
    .uniform_work_group_size: 1
    .uses_dynamic_stack: false
    .vgpr_count:     156
    .vgpr_spill_count: 0
    .wavefront_size: 32
    .workgroup_processor_mode: 1
  - .args:
      - .offset:         0
        .size:           4
        .value_kind:     by_value
      - .address_space:  global
        .offset:         8
        .size:           8
        .value_kind:     global_buffer
      - .offset:         16
        .size:           8
        .value_kind:     by_value
      - .offset:         24
        .size:           4
        .value_kind:     by_value
      - .offset:         32
        .size:           8
        .value_kind:     by_value
      - .address_space:  global
        .offset:         40
        .size:           8
        .value_kind:     global_buffer
      - .offset:         48
        .size:           4
        .value_kind:     by_value
      - .offset:         52
        .size:           4
        .value_kind:     by_value
      - .offset:         56
        .size:           4
        .value_kind:     hidden_block_count_x
      - .offset:         60
        .size:           4
        .value_kind:     hidden_block_count_y
      - .offset:         64
        .size:           4
        .value_kind:     hidden_block_count_z
      - .offset:         68
        .size:           2
        .value_kind:     hidden_group_size_x
      - .offset:         70
        .size:           2
        .value_kind:     hidden_group_size_y
      - .offset:         72
        .size:           2
        .value_kind:     hidden_group_size_z
      - .offset:         74
        .size:           2
        .value_kind:     hidden_remainder_x
      - .offset:         76
        .size:           2
        .value_kind:     hidden_remainder_y
      - .offset:         78
        .size:           2
        .value_kind:     hidden_remainder_z
      - .offset:         96
        .size:           8
        .value_kind:     hidden_global_offset_x
      - .offset:         104
        .size:           8
        .value_kind:     hidden_global_offset_y
      - .offset:         112
        .size:           8
        .value_kind:     hidden_global_offset_z
      - .offset:         120
        .size:           2
        .value_kind:     hidden_grid_dims
      - .offset:         176
        .size:           4
        .value_kind:     hidden_dynamic_lds_size
    .group_segment_fixed_size: 0
    .kernarg_segment_align: 8
    .kernarg_segment_size: 312
    .language:       OpenCL C
    .language_version:
      - 2
      - 0
    .max_flat_workgroup_size: 512
    .name:           _ZN9rocsolver6v33100L23getf2_npvt_small_kernelILi36EdiiPKPdEEvT1_T3_lS5_lPT2_S5_S5_
    .private_segment_fixed_size: 0
    .sgpr_count:     13
    .sgpr_spill_count: 0
    .symbol:         _ZN9rocsolver6v33100L23getf2_npvt_small_kernelILi36EdiiPKPdEEvT1_T3_lS5_lPT2_S5_S5_.kd
    .uniform_work_group_size: 1
    .uses_dynamic_stack: false
    .vgpr_count:     227
    .vgpr_spill_count: 0
    .wavefront_size: 32
    .workgroup_processor_mode: 1
  - .args:
      - .offset:         0
        .size:           4
        .value_kind:     by_value
      - .address_space:  global
        .offset:         8
        .size:           8
        .value_kind:     global_buffer
      - .offset:         16
        .size:           8
        .value_kind:     by_value
      - .offset:         24
        .size:           4
        .value_kind:     by_value
      - .offset:         32
        .size:           8
        .value_kind:     by_value
      - .address_space:  global
        .offset:         40
        .size:           8
        .value_kind:     global_buffer
      - .offset:         48
        .size:           8
        .value_kind:     by_value
      - .offset:         56
        .size:           8
        .value_kind:     by_value
      - .address_space:  global
        .offset:         64
        .size:           8
        .value_kind:     global_buffer
      - .offset:         72
        .size:           4
        .value_kind:     by_value
      - .offset:         76
        .size:           4
        .value_kind:     by_value
      - .address_space:  global
        .offset:         80
        .size:           8
        .value_kind:     global_buffer
      - .offset:         88
        .size:           8
        .value_kind:     by_value
      - .offset:         96
        .size:           4
        .value_kind:     hidden_block_count_x
      - .offset:         100
        .size:           4
        .value_kind:     hidden_block_count_y
      - .offset:         104
        .size:           4
        .value_kind:     hidden_block_count_z
      - .offset:         108
        .size:           2
        .value_kind:     hidden_group_size_x
      - .offset:         110
        .size:           2
        .value_kind:     hidden_group_size_y
      - .offset:         112
        .size:           2
        .value_kind:     hidden_group_size_z
      - .offset:         114
        .size:           2
        .value_kind:     hidden_remainder_x
      - .offset:         116
        .size:           2
        .value_kind:     hidden_remainder_y
      - .offset:         118
        .size:           2
        .value_kind:     hidden_remainder_z
      - .offset:         136
        .size:           8
        .value_kind:     hidden_global_offset_x
      - .offset:         144
        .size:           8
        .value_kind:     hidden_global_offset_y
      - .offset:         152
        .size:           8
        .value_kind:     hidden_global_offset_z
      - .offset:         160
        .size:           2
        .value_kind:     hidden_grid_dims
      - .offset:         216
        .size:           4
        .value_kind:     hidden_dynamic_lds_size
    .group_segment_fixed_size: 0
    .kernarg_segment_align: 8
    .kernarg_segment_size: 352
    .language:       OpenCL C
    .language_version:
      - 2
      - 0
    .max_flat_workgroup_size: 512
    .name:           _ZN9rocsolver6v33100L18getf2_small_kernelILi37EdiiPKPdEEvT1_T3_lS5_lPS5_llPT2_S5_S5_S7_l
    .private_segment_fixed_size: 0
    .sgpr_count:     16
    .sgpr_spill_count: 0
    .symbol:         _ZN9rocsolver6v33100L18getf2_small_kernelILi37EdiiPKPdEEvT1_T3_lS5_lPS5_llPT2_S5_S5_S7_l.kd
    .uniform_work_group_size: 1
    .uses_dynamic_stack: false
    .vgpr_count:     158
    .vgpr_spill_count: 0
    .wavefront_size: 32
    .workgroup_processor_mode: 1
  - .args:
      - .offset:         0
        .size:           4
        .value_kind:     by_value
      - .address_space:  global
        .offset:         8
        .size:           8
        .value_kind:     global_buffer
      - .offset:         16
        .size:           8
        .value_kind:     by_value
      - .offset:         24
        .size:           4
        .value_kind:     by_value
      - .offset:         32
        .size:           8
        .value_kind:     by_value
      - .address_space:  global
        .offset:         40
        .size:           8
        .value_kind:     global_buffer
      - .offset:         48
        .size:           4
        .value_kind:     by_value
      - .offset:         52
        .size:           4
        .value_kind:     by_value
      - .offset:         56
        .size:           4
        .value_kind:     hidden_block_count_x
      - .offset:         60
        .size:           4
        .value_kind:     hidden_block_count_y
      - .offset:         64
        .size:           4
        .value_kind:     hidden_block_count_z
      - .offset:         68
        .size:           2
        .value_kind:     hidden_group_size_x
      - .offset:         70
        .size:           2
        .value_kind:     hidden_group_size_y
      - .offset:         72
        .size:           2
        .value_kind:     hidden_group_size_z
      - .offset:         74
        .size:           2
        .value_kind:     hidden_remainder_x
      - .offset:         76
        .size:           2
        .value_kind:     hidden_remainder_y
      - .offset:         78
        .size:           2
        .value_kind:     hidden_remainder_z
      - .offset:         96
        .size:           8
        .value_kind:     hidden_global_offset_x
      - .offset:         104
        .size:           8
        .value_kind:     hidden_global_offset_y
      - .offset:         112
        .size:           8
        .value_kind:     hidden_global_offset_z
      - .offset:         120
        .size:           2
        .value_kind:     hidden_grid_dims
      - .offset:         176
        .size:           4
        .value_kind:     hidden_dynamic_lds_size
    .group_segment_fixed_size: 0
    .kernarg_segment_align: 8
    .kernarg_segment_size: 312
    .language:       OpenCL C
    .language_version:
      - 2
      - 0
    .max_flat_workgroup_size: 512
    .name:           _ZN9rocsolver6v33100L23getf2_npvt_small_kernelILi37EdiiPKPdEEvT1_T3_lS5_lPT2_S5_S5_
    .private_segment_fixed_size: 0
    .sgpr_count:     13
    .sgpr_spill_count: 0
    .symbol:         _ZN9rocsolver6v33100L23getf2_npvt_small_kernelILi37EdiiPKPdEEvT1_T3_lS5_lPT2_S5_S5_.kd
    .uniform_work_group_size: 1
    .uses_dynamic_stack: false
    .vgpr_count:     233
    .vgpr_spill_count: 0
    .wavefront_size: 32
    .workgroup_processor_mode: 1
  - .args:
      - .offset:         0
        .size:           4
        .value_kind:     by_value
      - .address_space:  global
        .offset:         8
        .size:           8
        .value_kind:     global_buffer
      - .offset:         16
        .size:           8
        .value_kind:     by_value
      - .offset:         24
        .size:           4
        .value_kind:     by_value
      - .offset:         32
        .size:           8
        .value_kind:     by_value
      - .address_space:  global
        .offset:         40
        .size:           8
        .value_kind:     global_buffer
      - .offset:         48
        .size:           8
        .value_kind:     by_value
      - .offset:         56
        .size:           8
        .value_kind:     by_value
      - .address_space:  global
        .offset:         64
        .size:           8
        .value_kind:     global_buffer
      - .offset:         72
        .size:           4
        .value_kind:     by_value
      - .offset:         76
        .size:           4
        .value_kind:     by_value
      - .address_space:  global
        .offset:         80
        .size:           8
        .value_kind:     global_buffer
      - .offset:         88
        .size:           8
        .value_kind:     by_value
      - .offset:         96
        .size:           4
        .value_kind:     hidden_block_count_x
      - .offset:         100
        .size:           4
        .value_kind:     hidden_block_count_y
      - .offset:         104
        .size:           4
        .value_kind:     hidden_block_count_z
      - .offset:         108
        .size:           2
        .value_kind:     hidden_group_size_x
      - .offset:         110
        .size:           2
        .value_kind:     hidden_group_size_y
      - .offset:         112
        .size:           2
        .value_kind:     hidden_group_size_z
      - .offset:         114
        .size:           2
        .value_kind:     hidden_remainder_x
      - .offset:         116
        .size:           2
        .value_kind:     hidden_remainder_y
      - .offset:         118
        .size:           2
        .value_kind:     hidden_remainder_z
      - .offset:         136
        .size:           8
        .value_kind:     hidden_global_offset_x
      - .offset:         144
        .size:           8
        .value_kind:     hidden_global_offset_y
      - .offset:         152
        .size:           8
        .value_kind:     hidden_global_offset_z
      - .offset:         160
        .size:           2
        .value_kind:     hidden_grid_dims
      - .offset:         216
        .size:           4
        .value_kind:     hidden_dynamic_lds_size
    .group_segment_fixed_size: 0
    .kernarg_segment_align: 8
    .kernarg_segment_size: 352
    .language:       OpenCL C
    .language_version:
      - 2
      - 0
    .max_flat_workgroup_size: 512
    .name:           _ZN9rocsolver6v33100L18getf2_small_kernelILi38EdiiPKPdEEvT1_T3_lS5_lPS5_llPT2_S5_S5_S7_l
    .private_segment_fixed_size: 0
    .sgpr_count:     16
    .sgpr_spill_count: 0
    .symbol:         _ZN9rocsolver6v33100L18getf2_small_kernelILi38EdiiPKPdEEvT1_T3_lS5_lPS5_llPT2_S5_S5_S7_l.kd
    .uniform_work_group_size: 1
    .uses_dynamic_stack: false
    .vgpr_count:     164
    .vgpr_spill_count: 0
    .wavefront_size: 32
    .workgroup_processor_mode: 1
  - .args:
      - .offset:         0
        .size:           4
        .value_kind:     by_value
      - .address_space:  global
        .offset:         8
        .size:           8
        .value_kind:     global_buffer
      - .offset:         16
        .size:           8
        .value_kind:     by_value
      - .offset:         24
        .size:           4
        .value_kind:     by_value
      - .offset:         32
        .size:           8
        .value_kind:     by_value
      - .address_space:  global
        .offset:         40
        .size:           8
        .value_kind:     global_buffer
      - .offset:         48
        .size:           4
        .value_kind:     by_value
      - .offset:         52
        .size:           4
        .value_kind:     by_value
      - .offset:         56
        .size:           4
        .value_kind:     hidden_block_count_x
      - .offset:         60
        .size:           4
        .value_kind:     hidden_block_count_y
      - .offset:         64
        .size:           4
        .value_kind:     hidden_block_count_z
      - .offset:         68
        .size:           2
        .value_kind:     hidden_group_size_x
      - .offset:         70
        .size:           2
        .value_kind:     hidden_group_size_y
      - .offset:         72
        .size:           2
        .value_kind:     hidden_group_size_z
      - .offset:         74
        .size:           2
        .value_kind:     hidden_remainder_x
      - .offset:         76
        .size:           2
        .value_kind:     hidden_remainder_y
      - .offset:         78
        .size:           2
        .value_kind:     hidden_remainder_z
      - .offset:         96
        .size:           8
        .value_kind:     hidden_global_offset_x
      - .offset:         104
        .size:           8
        .value_kind:     hidden_global_offset_y
      - .offset:         112
        .size:           8
        .value_kind:     hidden_global_offset_z
      - .offset:         120
        .size:           2
        .value_kind:     hidden_grid_dims
      - .offset:         176
        .size:           4
        .value_kind:     hidden_dynamic_lds_size
    .group_segment_fixed_size: 0
    .kernarg_segment_align: 8
    .kernarg_segment_size: 312
    .language:       OpenCL C
    .language_version:
      - 2
      - 0
    .max_flat_workgroup_size: 512
    .name:           _ZN9rocsolver6v33100L23getf2_npvt_small_kernelILi38EdiiPKPdEEvT1_T3_lS5_lPT2_S5_S5_
    .private_segment_fixed_size: 0
    .sgpr_count:     13
    .sgpr_spill_count: 0
    .symbol:         _ZN9rocsolver6v33100L23getf2_npvt_small_kernelILi38EdiiPKPdEEvT1_T3_lS5_lPT2_S5_S5_.kd
    .uniform_work_group_size: 1
    .uses_dynamic_stack: false
    .vgpr_count:     239
    .vgpr_spill_count: 0
    .wavefront_size: 32
    .workgroup_processor_mode: 1
  - .args:
      - .offset:         0
        .size:           4
        .value_kind:     by_value
      - .address_space:  global
        .offset:         8
        .size:           8
        .value_kind:     global_buffer
      - .offset:         16
        .size:           8
        .value_kind:     by_value
      - .offset:         24
        .size:           4
        .value_kind:     by_value
      - .offset:         32
        .size:           8
        .value_kind:     by_value
      - .address_space:  global
        .offset:         40
        .size:           8
        .value_kind:     global_buffer
      - .offset:         48
        .size:           8
        .value_kind:     by_value
      - .offset:         56
        .size:           8
        .value_kind:     by_value
      - .address_space:  global
        .offset:         64
        .size:           8
        .value_kind:     global_buffer
      - .offset:         72
        .size:           4
        .value_kind:     by_value
      - .offset:         76
        .size:           4
        .value_kind:     by_value
      - .address_space:  global
        .offset:         80
        .size:           8
        .value_kind:     global_buffer
      - .offset:         88
        .size:           8
        .value_kind:     by_value
      - .offset:         96
        .size:           4
        .value_kind:     hidden_block_count_x
      - .offset:         100
        .size:           4
        .value_kind:     hidden_block_count_y
      - .offset:         104
        .size:           4
        .value_kind:     hidden_block_count_z
      - .offset:         108
        .size:           2
        .value_kind:     hidden_group_size_x
      - .offset:         110
        .size:           2
        .value_kind:     hidden_group_size_y
      - .offset:         112
        .size:           2
        .value_kind:     hidden_group_size_z
      - .offset:         114
        .size:           2
        .value_kind:     hidden_remainder_x
      - .offset:         116
        .size:           2
        .value_kind:     hidden_remainder_y
      - .offset:         118
        .size:           2
        .value_kind:     hidden_remainder_z
      - .offset:         136
        .size:           8
        .value_kind:     hidden_global_offset_x
      - .offset:         144
        .size:           8
        .value_kind:     hidden_global_offset_y
      - .offset:         152
        .size:           8
        .value_kind:     hidden_global_offset_z
      - .offset:         160
        .size:           2
        .value_kind:     hidden_grid_dims
      - .offset:         216
        .size:           4
        .value_kind:     hidden_dynamic_lds_size
    .group_segment_fixed_size: 0
    .kernarg_segment_align: 8
    .kernarg_segment_size: 352
    .language:       OpenCL C
    .language_version:
      - 2
      - 0
    .max_flat_workgroup_size: 512
    .name:           _ZN9rocsolver6v33100L18getf2_small_kernelILi39EdiiPKPdEEvT1_T3_lS5_lPS5_llPT2_S5_S5_S7_l
    .private_segment_fixed_size: 0
    .sgpr_count:     16
    .sgpr_spill_count: 0
    .symbol:         _ZN9rocsolver6v33100L18getf2_small_kernelILi39EdiiPKPdEEvT1_T3_lS5_lPS5_llPT2_S5_S5_S7_l.kd
    .uniform_work_group_size: 1
    .uses_dynamic_stack: false
    .vgpr_count:     166
    .vgpr_spill_count: 0
    .wavefront_size: 32
    .workgroup_processor_mode: 1
  - .args:
      - .offset:         0
        .size:           4
        .value_kind:     by_value
      - .address_space:  global
        .offset:         8
        .size:           8
        .value_kind:     global_buffer
      - .offset:         16
        .size:           8
        .value_kind:     by_value
      - .offset:         24
        .size:           4
        .value_kind:     by_value
      - .offset:         32
        .size:           8
        .value_kind:     by_value
      - .address_space:  global
        .offset:         40
        .size:           8
        .value_kind:     global_buffer
      - .offset:         48
        .size:           4
        .value_kind:     by_value
      - .offset:         52
        .size:           4
        .value_kind:     by_value
      - .offset:         56
        .size:           4
        .value_kind:     hidden_block_count_x
      - .offset:         60
        .size:           4
        .value_kind:     hidden_block_count_y
      - .offset:         64
        .size:           4
        .value_kind:     hidden_block_count_z
      - .offset:         68
        .size:           2
        .value_kind:     hidden_group_size_x
      - .offset:         70
        .size:           2
        .value_kind:     hidden_group_size_y
      - .offset:         72
        .size:           2
        .value_kind:     hidden_group_size_z
      - .offset:         74
        .size:           2
        .value_kind:     hidden_remainder_x
      - .offset:         76
        .size:           2
        .value_kind:     hidden_remainder_y
      - .offset:         78
        .size:           2
        .value_kind:     hidden_remainder_z
      - .offset:         96
        .size:           8
        .value_kind:     hidden_global_offset_x
      - .offset:         104
        .size:           8
        .value_kind:     hidden_global_offset_y
      - .offset:         112
        .size:           8
        .value_kind:     hidden_global_offset_z
      - .offset:         120
        .size:           2
        .value_kind:     hidden_grid_dims
      - .offset:         176
        .size:           4
        .value_kind:     hidden_dynamic_lds_size
    .group_segment_fixed_size: 0
    .kernarg_segment_align: 8
    .kernarg_segment_size: 312
    .language:       OpenCL C
    .language_version:
      - 2
      - 0
    .max_flat_workgroup_size: 512
    .name:           _ZN9rocsolver6v33100L23getf2_npvt_small_kernelILi39EdiiPKPdEEvT1_T3_lS5_lPT2_S5_S5_
    .private_segment_fixed_size: 0
    .sgpr_count:     13
    .sgpr_spill_count: 0
    .symbol:         _ZN9rocsolver6v33100L23getf2_npvt_small_kernelILi39EdiiPKPdEEvT1_T3_lS5_lPT2_S5_S5_.kd
    .uniform_work_group_size: 1
    .uses_dynamic_stack: false
    .vgpr_count:     245
    .vgpr_spill_count: 0
    .wavefront_size: 32
    .workgroup_processor_mode: 1
  - .args:
      - .offset:         0
        .size:           4
        .value_kind:     by_value
      - .address_space:  global
        .offset:         8
        .size:           8
        .value_kind:     global_buffer
      - .offset:         16
        .size:           8
        .value_kind:     by_value
      - .offset:         24
        .size:           4
        .value_kind:     by_value
      - .offset:         32
        .size:           8
        .value_kind:     by_value
      - .address_space:  global
        .offset:         40
        .size:           8
        .value_kind:     global_buffer
      - .offset:         48
        .size:           8
        .value_kind:     by_value
      - .offset:         56
        .size:           8
        .value_kind:     by_value
      - .address_space:  global
        .offset:         64
        .size:           8
        .value_kind:     global_buffer
      - .offset:         72
        .size:           4
        .value_kind:     by_value
      - .offset:         76
        .size:           4
        .value_kind:     by_value
      - .address_space:  global
        .offset:         80
        .size:           8
        .value_kind:     global_buffer
      - .offset:         88
        .size:           8
        .value_kind:     by_value
      - .offset:         96
        .size:           4
        .value_kind:     hidden_block_count_x
      - .offset:         100
        .size:           4
        .value_kind:     hidden_block_count_y
      - .offset:         104
        .size:           4
        .value_kind:     hidden_block_count_z
      - .offset:         108
        .size:           2
        .value_kind:     hidden_group_size_x
      - .offset:         110
        .size:           2
        .value_kind:     hidden_group_size_y
      - .offset:         112
        .size:           2
        .value_kind:     hidden_group_size_z
      - .offset:         114
        .size:           2
        .value_kind:     hidden_remainder_x
      - .offset:         116
        .size:           2
        .value_kind:     hidden_remainder_y
      - .offset:         118
        .size:           2
        .value_kind:     hidden_remainder_z
      - .offset:         136
        .size:           8
        .value_kind:     hidden_global_offset_x
      - .offset:         144
        .size:           8
        .value_kind:     hidden_global_offset_y
      - .offset:         152
        .size:           8
        .value_kind:     hidden_global_offset_z
      - .offset:         160
        .size:           2
        .value_kind:     hidden_grid_dims
      - .offset:         216
        .size:           4
        .value_kind:     hidden_dynamic_lds_size
    .group_segment_fixed_size: 0
    .kernarg_segment_align: 8
    .kernarg_segment_size: 352
    .language:       OpenCL C
    .language_version:
      - 2
      - 0
    .max_flat_workgroup_size: 512
    .name:           _ZN9rocsolver6v33100L18getf2_small_kernelILi40EdiiPKPdEEvT1_T3_lS5_lPS5_llPT2_S5_S5_S7_l
    .private_segment_fixed_size: 0
    .sgpr_count:     16
    .sgpr_spill_count: 0
    .symbol:         _ZN9rocsolver6v33100L18getf2_small_kernelILi40EdiiPKPdEEvT1_T3_lS5_lPS5_llPT2_S5_S5_S7_l.kd
    .uniform_work_group_size: 1
    .uses_dynamic_stack: false
    .vgpr_count:     168
    .vgpr_spill_count: 0
    .wavefront_size: 32
    .workgroup_processor_mode: 1
  - .args:
      - .offset:         0
        .size:           4
        .value_kind:     by_value
      - .address_space:  global
        .offset:         8
        .size:           8
        .value_kind:     global_buffer
      - .offset:         16
        .size:           8
        .value_kind:     by_value
      - .offset:         24
        .size:           4
        .value_kind:     by_value
      - .offset:         32
        .size:           8
        .value_kind:     by_value
      - .address_space:  global
        .offset:         40
        .size:           8
        .value_kind:     global_buffer
      - .offset:         48
        .size:           4
        .value_kind:     by_value
      - .offset:         52
        .size:           4
        .value_kind:     by_value
      - .offset:         56
        .size:           4
        .value_kind:     hidden_block_count_x
      - .offset:         60
        .size:           4
        .value_kind:     hidden_block_count_y
      - .offset:         64
        .size:           4
        .value_kind:     hidden_block_count_z
      - .offset:         68
        .size:           2
        .value_kind:     hidden_group_size_x
      - .offset:         70
        .size:           2
        .value_kind:     hidden_group_size_y
      - .offset:         72
        .size:           2
        .value_kind:     hidden_group_size_z
      - .offset:         74
        .size:           2
        .value_kind:     hidden_remainder_x
      - .offset:         76
        .size:           2
        .value_kind:     hidden_remainder_y
      - .offset:         78
        .size:           2
        .value_kind:     hidden_remainder_z
      - .offset:         96
        .size:           8
        .value_kind:     hidden_global_offset_x
      - .offset:         104
        .size:           8
        .value_kind:     hidden_global_offset_y
      - .offset:         112
        .size:           8
        .value_kind:     hidden_global_offset_z
      - .offset:         120
        .size:           2
        .value_kind:     hidden_grid_dims
      - .offset:         176
        .size:           4
        .value_kind:     hidden_dynamic_lds_size
    .group_segment_fixed_size: 0
    .kernarg_segment_align: 8
    .kernarg_segment_size: 312
    .language:       OpenCL C
    .language_version:
      - 2
      - 0
    .max_flat_workgroup_size: 512
    .name:           _ZN9rocsolver6v33100L23getf2_npvt_small_kernelILi40EdiiPKPdEEvT1_T3_lS5_lPT2_S5_S5_
    .private_segment_fixed_size: 0
    .sgpr_count:     13
    .sgpr_spill_count: 0
    .symbol:         _ZN9rocsolver6v33100L23getf2_npvt_small_kernelILi40EdiiPKPdEEvT1_T3_lS5_lPT2_S5_S5_.kd
    .uniform_work_group_size: 1
    .uses_dynamic_stack: false
    .vgpr_count:     251
    .vgpr_spill_count: 0
    .wavefront_size: 32
    .workgroup_processor_mode: 1
  - .args:
      - .offset:         0
        .size:           4
        .value_kind:     by_value
      - .address_space:  global
        .offset:         8
        .size:           8
        .value_kind:     global_buffer
      - .offset:         16
        .size:           8
        .value_kind:     by_value
      - .offset:         24
        .size:           4
        .value_kind:     by_value
      - .offset:         32
        .size:           8
        .value_kind:     by_value
      - .address_space:  global
        .offset:         40
        .size:           8
        .value_kind:     global_buffer
      - .offset:         48
        .size:           8
        .value_kind:     by_value
      - .offset:         56
        .size:           8
        .value_kind:     by_value
      - .address_space:  global
        .offset:         64
        .size:           8
        .value_kind:     global_buffer
      - .offset:         72
        .size:           4
        .value_kind:     by_value
      - .offset:         76
        .size:           4
        .value_kind:     by_value
      - .address_space:  global
        .offset:         80
        .size:           8
        .value_kind:     global_buffer
      - .offset:         88
        .size:           8
        .value_kind:     by_value
      - .offset:         96
        .size:           4
        .value_kind:     hidden_block_count_x
      - .offset:         100
        .size:           4
        .value_kind:     hidden_block_count_y
      - .offset:         104
        .size:           4
        .value_kind:     hidden_block_count_z
      - .offset:         108
        .size:           2
        .value_kind:     hidden_group_size_x
      - .offset:         110
        .size:           2
        .value_kind:     hidden_group_size_y
      - .offset:         112
        .size:           2
        .value_kind:     hidden_group_size_z
      - .offset:         114
        .size:           2
        .value_kind:     hidden_remainder_x
      - .offset:         116
        .size:           2
        .value_kind:     hidden_remainder_y
      - .offset:         118
        .size:           2
        .value_kind:     hidden_remainder_z
      - .offset:         136
        .size:           8
        .value_kind:     hidden_global_offset_x
      - .offset:         144
        .size:           8
        .value_kind:     hidden_global_offset_y
      - .offset:         152
        .size:           8
        .value_kind:     hidden_global_offset_z
      - .offset:         160
        .size:           2
        .value_kind:     hidden_grid_dims
      - .offset:         216
        .size:           4
        .value_kind:     hidden_dynamic_lds_size
    .group_segment_fixed_size: 0
    .kernarg_segment_align: 8
    .kernarg_segment_size: 352
    .language:       OpenCL C
    .language_version:
      - 2
      - 0
    .max_flat_workgroup_size: 512
    .name:           _ZN9rocsolver6v33100L18getf2_small_kernelILi41EdiiPKPdEEvT1_T3_lS5_lPS5_llPT2_S5_S5_S7_l
    .private_segment_fixed_size: 0
    .sgpr_count:     16
    .sgpr_spill_count: 0
    .symbol:         _ZN9rocsolver6v33100L18getf2_small_kernelILi41EdiiPKPdEEvT1_T3_lS5_lPS5_llPT2_S5_S5_S7_l.kd
    .uniform_work_group_size: 1
    .uses_dynamic_stack: false
    .vgpr_count:     170
    .vgpr_spill_count: 0
    .wavefront_size: 32
    .workgroup_processor_mode: 1
  - .args:
      - .offset:         0
        .size:           4
        .value_kind:     by_value
      - .address_space:  global
        .offset:         8
        .size:           8
        .value_kind:     global_buffer
      - .offset:         16
        .size:           8
        .value_kind:     by_value
      - .offset:         24
        .size:           4
        .value_kind:     by_value
      - .offset:         32
        .size:           8
        .value_kind:     by_value
      - .address_space:  global
        .offset:         40
        .size:           8
        .value_kind:     global_buffer
      - .offset:         48
        .size:           4
        .value_kind:     by_value
      - .offset:         52
        .size:           4
        .value_kind:     by_value
      - .offset:         56
        .size:           4
        .value_kind:     hidden_block_count_x
      - .offset:         60
        .size:           4
        .value_kind:     hidden_block_count_y
      - .offset:         64
        .size:           4
        .value_kind:     hidden_block_count_z
      - .offset:         68
        .size:           2
        .value_kind:     hidden_group_size_x
      - .offset:         70
        .size:           2
        .value_kind:     hidden_group_size_y
      - .offset:         72
        .size:           2
        .value_kind:     hidden_group_size_z
      - .offset:         74
        .size:           2
        .value_kind:     hidden_remainder_x
      - .offset:         76
        .size:           2
        .value_kind:     hidden_remainder_y
      - .offset:         78
        .size:           2
        .value_kind:     hidden_remainder_z
      - .offset:         96
        .size:           8
        .value_kind:     hidden_global_offset_x
      - .offset:         104
        .size:           8
        .value_kind:     hidden_global_offset_y
      - .offset:         112
        .size:           8
        .value_kind:     hidden_global_offset_z
      - .offset:         120
        .size:           2
        .value_kind:     hidden_grid_dims
      - .offset:         176
        .size:           4
        .value_kind:     hidden_dynamic_lds_size
    .group_segment_fixed_size: 0
    .kernarg_segment_align: 8
    .kernarg_segment_size: 312
    .language:       OpenCL C
    .language_version:
      - 2
      - 0
    .max_flat_workgroup_size: 512
    .name:           _ZN9rocsolver6v33100L23getf2_npvt_small_kernelILi41EdiiPKPdEEvT1_T3_lS5_lPT2_S5_S5_
    .private_segment_fixed_size: 12
    .sgpr_count:     18
    .sgpr_spill_count: 0
    .symbol:         _ZN9rocsolver6v33100L23getf2_npvt_small_kernelILi41EdiiPKPdEEvT1_T3_lS5_lPT2_S5_S5_.kd
    .uniform_work_group_size: 1
    .uses_dynamic_stack: false
    .vgpr_count:     256
    .vgpr_spill_count: 2
    .wavefront_size: 32
    .workgroup_processor_mode: 1
  - .args:
      - .offset:         0
        .size:           4
        .value_kind:     by_value
      - .address_space:  global
        .offset:         8
        .size:           8
        .value_kind:     global_buffer
      - .offset:         16
        .size:           8
        .value_kind:     by_value
      - .offset:         24
        .size:           4
        .value_kind:     by_value
      - .offset:         32
        .size:           8
        .value_kind:     by_value
      - .address_space:  global
        .offset:         40
        .size:           8
        .value_kind:     global_buffer
      - .offset:         48
        .size:           8
        .value_kind:     by_value
      - .offset:         56
        .size:           8
        .value_kind:     by_value
      - .address_space:  global
        .offset:         64
        .size:           8
        .value_kind:     global_buffer
      - .offset:         72
        .size:           4
        .value_kind:     by_value
      - .offset:         76
        .size:           4
        .value_kind:     by_value
      - .address_space:  global
        .offset:         80
        .size:           8
        .value_kind:     global_buffer
      - .offset:         88
        .size:           8
        .value_kind:     by_value
      - .offset:         96
        .size:           4
        .value_kind:     hidden_block_count_x
      - .offset:         100
        .size:           4
        .value_kind:     hidden_block_count_y
      - .offset:         104
        .size:           4
        .value_kind:     hidden_block_count_z
      - .offset:         108
        .size:           2
        .value_kind:     hidden_group_size_x
      - .offset:         110
        .size:           2
        .value_kind:     hidden_group_size_y
      - .offset:         112
        .size:           2
        .value_kind:     hidden_group_size_z
      - .offset:         114
        .size:           2
        .value_kind:     hidden_remainder_x
      - .offset:         116
        .size:           2
        .value_kind:     hidden_remainder_y
      - .offset:         118
        .size:           2
        .value_kind:     hidden_remainder_z
      - .offset:         136
        .size:           8
        .value_kind:     hidden_global_offset_x
      - .offset:         144
        .size:           8
        .value_kind:     hidden_global_offset_y
      - .offset:         152
        .size:           8
        .value_kind:     hidden_global_offset_z
      - .offset:         160
        .size:           2
        .value_kind:     hidden_grid_dims
      - .offset:         216
        .size:           4
        .value_kind:     hidden_dynamic_lds_size
    .group_segment_fixed_size: 0
    .kernarg_segment_align: 8
    .kernarg_segment_size: 352
    .language:       OpenCL C
    .language_version:
      - 2
      - 0
    .max_flat_workgroup_size: 512
    .name:           _ZN9rocsolver6v33100L18getf2_small_kernelILi42EdiiPKPdEEvT1_T3_lS5_lPS5_llPT2_S5_S5_S7_l
    .private_segment_fixed_size: 0
    .sgpr_count:     16
    .sgpr_spill_count: 0
    .symbol:         _ZN9rocsolver6v33100L18getf2_small_kernelILi42EdiiPKPdEEvT1_T3_lS5_lPS5_llPT2_S5_S5_S7_l.kd
    .uniform_work_group_size: 1
    .uses_dynamic_stack: false
    .vgpr_count:     176
    .vgpr_spill_count: 0
    .wavefront_size: 32
    .workgroup_processor_mode: 1
  - .args:
      - .offset:         0
        .size:           4
        .value_kind:     by_value
      - .address_space:  global
        .offset:         8
        .size:           8
        .value_kind:     global_buffer
      - .offset:         16
        .size:           8
        .value_kind:     by_value
      - .offset:         24
        .size:           4
        .value_kind:     by_value
      - .offset:         32
        .size:           8
        .value_kind:     by_value
      - .address_space:  global
        .offset:         40
        .size:           8
        .value_kind:     global_buffer
      - .offset:         48
        .size:           4
        .value_kind:     by_value
      - .offset:         52
        .size:           4
        .value_kind:     by_value
      - .offset:         56
        .size:           4
        .value_kind:     hidden_block_count_x
      - .offset:         60
        .size:           4
        .value_kind:     hidden_block_count_y
      - .offset:         64
        .size:           4
        .value_kind:     hidden_block_count_z
      - .offset:         68
        .size:           2
        .value_kind:     hidden_group_size_x
      - .offset:         70
        .size:           2
        .value_kind:     hidden_group_size_y
      - .offset:         72
        .size:           2
        .value_kind:     hidden_group_size_z
      - .offset:         74
        .size:           2
        .value_kind:     hidden_remainder_x
      - .offset:         76
        .size:           2
        .value_kind:     hidden_remainder_y
      - .offset:         78
        .size:           2
        .value_kind:     hidden_remainder_z
      - .offset:         96
        .size:           8
        .value_kind:     hidden_global_offset_x
      - .offset:         104
        .size:           8
        .value_kind:     hidden_global_offset_y
      - .offset:         112
        .size:           8
        .value_kind:     hidden_global_offset_z
      - .offset:         120
        .size:           2
        .value_kind:     hidden_grid_dims
      - .offset:         176
        .size:           4
        .value_kind:     hidden_dynamic_lds_size
    .group_segment_fixed_size: 0
    .kernarg_segment_align: 8
    .kernarg_segment_size: 312
    .language:       OpenCL C
    .language_version:
      - 2
      - 0
    .max_flat_workgroup_size: 512
    .name:           _ZN9rocsolver6v33100L23getf2_npvt_small_kernelILi42EdiiPKPdEEvT1_T3_lS5_lPT2_S5_S5_
    .private_segment_fixed_size: 36
    .sgpr_count:     18
    .sgpr_spill_count: 0
    .symbol:         _ZN9rocsolver6v33100L23getf2_npvt_small_kernelILi42EdiiPKPdEEvT1_T3_lS5_lPT2_S5_S5_.kd
    .uniform_work_group_size: 1
    .uses_dynamic_stack: false
    .vgpr_count:     256
    .vgpr_spill_count: 8
    .wavefront_size: 32
    .workgroup_processor_mode: 1
  - .args:
      - .offset:         0
        .size:           4
        .value_kind:     by_value
      - .address_space:  global
        .offset:         8
        .size:           8
        .value_kind:     global_buffer
      - .offset:         16
        .size:           8
        .value_kind:     by_value
      - .offset:         24
        .size:           4
        .value_kind:     by_value
      - .offset:         32
        .size:           8
        .value_kind:     by_value
      - .address_space:  global
        .offset:         40
        .size:           8
        .value_kind:     global_buffer
      - .offset:         48
        .size:           8
        .value_kind:     by_value
      - .offset:         56
        .size:           8
        .value_kind:     by_value
      - .address_space:  global
        .offset:         64
        .size:           8
        .value_kind:     global_buffer
      - .offset:         72
        .size:           4
        .value_kind:     by_value
      - .offset:         76
        .size:           4
        .value_kind:     by_value
      - .address_space:  global
        .offset:         80
        .size:           8
        .value_kind:     global_buffer
      - .offset:         88
        .size:           8
        .value_kind:     by_value
      - .offset:         96
        .size:           4
        .value_kind:     hidden_block_count_x
      - .offset:         100
        .size:           4
        .value_kind:     hidden_block_count_y
      - .offset:         104
        .size:           4
        .value_kind:     hidden_block_count_z
      - .offset:         108
        .size:           2
        .value_kind:     hidden_group_size_x
      - .offset:         110
        .size:           2
        .value_kind:     hidden_group_size_y
      - .offset:         112
        .size:           2
        .value_kind:     hidden_group_size_z
      - .offset:         114
        .size:           2
        .value_kind:     hidden_remainder_x
      - .offset:         116
        .size:           2
        .value_kind:     hidden_remainder_y
      - .offset:         118
        .size:           2
        .value_kind:     hidden_remainder_z
      - .offset:         136
        .size:           8
        .value_kind:     hidden_global_offset_x
      - .offset:         144
        .size:           8
        .value_kind:     hidden_global_offset_y
      - .offset:         152
        .size:           8
        .value_kind:     hidden_global_offset_z
      - .offset:         160
        .size:           2
        .value_kind:     hidden_grid_dims
      - .offset:         216
        .size:           4
        .value_kind:     hidden_dynamic_lds_size
    .group_segment_fixed_size: 0
    .kernarg_segment_align: 8
    .kernarg_segment_size: 352
    .language:       OpenCL C
    .language_version:
      - 2
      - 0
    .max_flat_workgroup_size: 512
    .name:           _ZN9rocsolver6v33100L18getf2_small_kernelILi43EdiiPKPdEEvT1_T3_lS5_lPS5_llPT2_S5_S5_S7_l
    .private_segment_fixed_size: 0
    .sgpr_count:     16
    .sgpr_spill_count: 0
    .symbol:         _ZN9rocsolver6v33100L18getf2_small_kernelILi43EdiiPKPdEEvT1_T3_lS5_lPS5_llPT2_S5_S5_S7_l.kd
    .uniform_work_group_size: 1
    .uses_dynamic_stack: false
    .vgpr_count:     178
    .vgpr_spill_count: 0
    .wavefront_size: 32
    .workgroup_processor_mode: 1
  - .args:
      - .offset:         0
        .size:           4
        .value_kind:     by_value
      - .address_space:  global
        .offset:         8
        .size:           8
        .value_kind:     global_buffer
      - .offset:         16
        .size:           8
        .value_kind:     by_value
      - .offset:         24
        .size:           4
        .value_kind:     by_value
      - .offset:         32
        .size:           8
        .value_kind:     by_value
      - .address_space:  global
        .offset:         40
        .size:           8
        .value_kind:     global_buffer
      - .offset:         48
        .size:           4
        .value_kind:     by_value
      - .offset:         52
        .size:           4
        .value_kind:     by_value
      - .offset:         56
        .size:           4
        .value_kind:     hidden_block_count_x
      - .offset:         60
        .size:           4
        .value_kind:     hidden_block_count_y
      - .offset:         64
        .size:           4
        .value_kind:     hidden_block_count_z
      - .offset:         68
        .size:           2
        .value_kind:     hidden_group_size_x
      - .offset:         70
        .size:           2
        .value_kind:     hidden_group_size_y
      - .offset:         72
        .size:           2
        .value_kind:     hidden_group_size_z
      - .offset:         74
        .size:           2
        .value_kind:     hidden_remainder_x
      - .offset:         76
        .size:           2
        .value_kind:     hidden_remainder_y
      - .offset:         78
        .size:           2
        .value_kind:     hidden_remainder_z
      - .offset:         96
        .size:           8
        .value_kind:     hidden_global_offset_x
      - .offset:         104
        .size:           8
        .value_kind:     hidden_global_offset_y
      - .offset:         112
        .size:           8
        .value_kind:     hidden_global_offset_z
      - .offset:         120
        .size:           2
        .value_kind:     hidden_grid_dims
      - .offset:         176
        .size:           4
        .value_kind:     hidden_dynamic_lds_size
    .group_segment_fixed_size: 0
    .kernarg_segment_align: 8
    .kernarg_segment_size: 312
    .language:       OpenCL C
    .language_version:
      - 2
      - 0
    .max_flat_workgroup_size: 512
    .name:           _ZN9rocsolver6v33100L23getf2_npvt_small_kernelILi43EdiiPKPdEEvT1_T3_lS5_lPT2_S5_S5_
    .private_segment_fixed_size: 60
    .sgpr_count:     18
    .sgpr_spill_count: 0
    .symbol:         _ZN9rocsolver6v33100L23getf2_npvt_small_kernelILi43EdiiPKPdEEvT1_T3_lS5_lPT2_S5_S5_.kd
    .uniform_work_group_size: 1
    .uses_dynamic_stack: false
    .vgpr_count:     256
    .vgpr_spill_count: 14
    .wavefront_size: 32
    .workgroup_processor_mode: 1
  - .args:
      - .offset:         0
        .size:           4
        .value_kind:     by_value
      - .address_space:  global
        .offset:         8
        .size:           8
        .value_kind:     global_buffer
      - .offset:         16
        .size:           8
        .value_kind:     by_value
      - .offset:         24
        .size:           4
        .value_kind:     by_value
      - .offset:         32
        .size:           8
        .value_kind:     by_value
      - .address_space:  global
        .offset:         40
        .size:           8
        .value_kind:     global_buffer
      - .offset:         48
        .size:           8
        .value_kind:     by_value
      - .offset:         56
        .size:           8
        .value_kind:     by_value
      - .address_space:  global
        .offset:         64
        .size:           8
        .value_kind:     global_buffer
      - .offset:         72
        .size:           4
        .value_kind:     by_value
      - .offset:         76
        .size:           4
        .value_kind:     by_value
      - .address_space:  global
        .offset:         80
        .size:           8
        .value_kind:     global_buffer
      - .offset:         88
        .size:           8
        .value_kind:     by_value
      - .offset:         96
        .size:           4
        .value_kind:     hidden_block_count_x
      - .offset:         100
        .size:           4
        .value_kind:     hidden_block_count_y
      - .offset:         104
        .size:           4
        .value_kind:     hidden_block_count_z
      - .offset:         108
        .size:           2
        .value_kind:     hidden_group_size_x
      - .offset:         110
        .size:           2
        .value_kind:     hidden_group_size_y
      - .offset:         112
        .size:           2
        .value_kind:     hidden_group_size_z
      - .offset:         114
        .size:           2
        .value_kind:     hidden_remainder_x
      - .offset:         116
        .size:           2
        .value_kind:     hidden_remainder_y
      - .offset:         118
        .size:           2
        .value_kind:     hidden_remainder_z
      - .offset:         136
        .size:           8
        .value_kind:     hidden_global_offset_x
      - .offset:         144
        .size:           8
        .value_kind:     hidden_global_offset_y
      - .offset:         152
        .size:           8
        .value_kind:     hidden_global_offset_z
      - .offset:         160
        .size:           2
        .value_kind:     hidden_grid_dims
      - .offset:         216
        .size:           4
        .value_kind:     hidden_dynamic_lds_size
    .group_segment_fixed_size: 0
    .kernarg_segment_align: 8
    .kernarg_segment_size: 352
    .language:       OpenCL C
    .language_version:
      - 2
      - 0
    .max_flat_workgroup_size: 512
    .name:           _ZN9rocsolver6v33100L18getf2_small_kernelILi44EdiiPKPdEEvT1_T3_lS5_lPS5_llPT2_S5_S5_S7_l
    .private_segment_fixed_size: 0
    .sgpr_count:     16
    .sgpr_spill_count: 0
    .symbol:         _ZN9rocsolver6v33100L18getf2_small_kernelILi44EdiiPKPdEEvT1_T3_lS5_lPS5_llPT2_S5_S5_S7_l.kd
    .uniform_work_group_size: 1
    .uses_dynamic_stack: false
    .vgpr_count:     184
    .vgpr_spill_count: 0
    .wavefront_size: 32
    .workgroup_processor_mode: 1
  - .args:
      - .offset:         0
        .size:           4
        .value_kind:     by_value
      - .address_space:  global
        .offset:         8
        .size:           8
        .value_kind:     global_buffer
      - .offset:         16
        .size:           8
        .value_kind:     by_value
      - .offset:         24
        .size:           4
        .value_kind:     by_value
      - .offset:         32
        .size:           8
        .value_kind:     by_value
      - .address_space:  global
        .offset:         40
        .size:           8
        .value_kind:     global_buffer
      - .offset:         48
        .size:           4
        .value_kind:     by_value
      - .offset:         52
        .size:           4
        .value_kind:     by_value
      - .offset:         56
        .size:           4
        .value_kind:     hidden_block_count_x
      - .offset:         60
        .size:           4
        .value_kind:     hidden_block_count_y
      - .offset:         64
        .size:           4
        .value_kind:     hidden_block_count_z
      - .offset:         68
        .size:           2
        .value_kind:     hidden_group_size_x
      - .offset:         70
        .size:           2
        .value_kind:     hidden_group_size_y
      - .offset:         72
        .size:           2
        .value_kind:     hidden_group_size_z
      - .offset:         74
        .size:           2
        .value_kind:     hidden_remainder_x
      - .offset:         76
        .size:           2
        .value_kind:     hidden_remainder_y
      - .offset:         78
        .size:           2
        .value_kind:     hidden_remainder_z
      - .offset:         96
        .size:           8
        .value_kind:     hidden_global_offset_x
      - .offset:         104
        .size:           8
        .value_kind:     hidden_global_offset_y
      - .offset:         112
        .size:           8
        .value_kind:     hidden_global_offset_z
      - .offset:         120
        .size:           2
        .value_kind:     hidden_grid_dims
      - .offset:         176
        .size:           4
        .value_kind:     hidden_dynamic_lds_size
    .group_segment_fixed_size: 0
    .kernarg_segment_align: 8
    .kernarg_segment_size: 312
    .language:       OpenCL C
    .language_version:
      - 2
      - 0
    .max_flat_workgroup_size: 512
    .name:           _ZN9rocsolver6v33100L23getf2_npvt_small_kernelILi44EdiiPKPdEEvT1_T3_lS5_lPT2_S5_S5_
    .private_segment_fixed_size: 84
    .sgpr_count:     18
    .sgpr_spill_count: 0
    .symbol:         _ZN9rocsolver6v33100L23getf2_npvt_small_kernelILi44EdiiPKPdEEvT1_T3_lS5_lPT2_S5_S5_.kd
    .uniform_work_group_size: 1
    .uses_dynamic_stack: false
    .vgpr_count:     256
    .vgpr_spill_count: 20
    .wavefront_size: 32
    .workgroup_processor_mode: 1
  - .args:
      - .offset:         0
        .size:           4
        .value_kind:     by_value
      - .address_space:  global
        .offset:         8
        .size:           8
        .value_kind:     global_buffer
      - .offset:         16
        .size:           8
        .value_kind:     by_value
      - .offset:         24
        .size:           4
        .value_kind:     by_value
      - .offset:         32
        .size:           8
        .value_kind:     by_value
      - .address_space:  global
        .offset:         40
        .size:           8
        .value_kind:     global_buffer
      - .offset:         48
        .size:           8
        .value_kind:     by_value
      - .offset:         56
        .size:           8
        .value_kind:     by_value
      - .address_space:  global
        .offset:         64
        .size:           8
        .value_kind:     global_buffer
      - .offset:         72
        .size:           4
        .value_kind:     by_value
      - .offset:         76
        .size:           4
        .value_kind:     by_value
      - .address_space:  global
        .offset:         80
        .size:           8
        .value_kind:     global_buffer
      - .offset:         88
        .size:           8
        .value_kind:     by_value
      - .offset:         96
        .size:           4
        .value_kind:     hidden_block_count_x
      - .offset:         100
        .size:           4
        .value_kind:     hidden_block_count_y
      - .offset:         104
        .size:           4
        .value_kind:     hidden_block_count_z
      - .offset:         108
        .size:           2
        .value_kind:     hidden_group_size_x
      - .offset:         110
        .size:           2
        .value_kind:     hidden_group_size_y
      - .offset:         112
        .size:           2
        .value_kind:     hidden_group_size_z
      - .offset:         114
        .size:           2
        .value_kind:     hidden_remainder_x
      - .offset:         116
        .size:           2
        .value_kind:     hidden_remainder_y
      - .offset:         118
        .size:           2
        .value_kind:     hidden_remainder_z
      - .offset:         136
        .size:           8
        .value_kind:     hidden_global_offset_x
      - .offset:         144
        .size:           8
        .value_kind:     hidden_global_offset_y
      - .offset:         152
        .size:           8
        .value_kind:     hidden_global_offset_z
      - .offset:         160
        .size:           2
        .value_kind:     hidden_grid_dims
      - .offset:         216
        .size:           4
        .value_kind:     hidden_dynamic_lds_size
    .group_segment_fixed_size: 0
    .kernarg_segment_align: 8
    .kernarg_segment_size: 352
    .language:       OpenCL C
    .language_version:
      - 2
      - 0
    .max_flat_workgroup_size: 512
    .name:           _ZN9rocsolver6v33100L18getf2_small_kernelILi45EdiiPKPdEEvT1_T3_lS5_lPS5_llPT2_S5_S5_S7_l
    .private_segment_fixed_size: 0
    .sgpr_count:     16
    .sgpr_spill_count: 0
    .symbol:         _ZN9rocsolver6v33100L18getf2_small_kernelILi45EdiiPKPdEEvT1_T3_lS5_lPS5_llPT2_S5_S5_S7_l.kd
    .uniform_work_group_size: 1
    .uses_dynamic_stack: false
    .vgpr_count:     186
    .vgpr_spill_count: 0
    .wavefront_size: 32
    .workgroup_processor_mode: 1
  - .args:
      - .offset:         0
        .size:           4
        .value_kind:     by_value
      - .address_space:  global
        .offset:         8
        .size:           8
        .value_kind:     global_buffer
      - .offset:         16
        .size:           8
        .value_kind:     by_value
      - .offset:         24
        .size:           4
        .value_kind:     by_value
      - .offset:         32
        .size:           8
        .value_kind:     by_value
      - .address_space:  global
        .offset:         40
        .size:           8
        .value_kind:     global_buffer
      - .offset:         48
        .size:           4
        .value_kind:     by_value
      - .offset:         52
        .size:           4
        .value_kind:     by_value
      - .offset:         56
        .size:           4
        .value_kind:     hidden_block_count_x
      - .offset:         60
        .size:           4
        .value_kind:     hidden_block_count_y
      - .offset:         64
        .size:           4
        .value_kind:     hidden_block_count_z
      - .offset:         68
        .size:           2
        .value_kind:     hidden_group_size_x
      - .offset:         70
        .size:           2
        .value_kind:     hidden_group_size_y
      - .offset:         72
        .size:           2
        .value_kind:     hidden_group_size_z
      - .offset:         74
        .size:           2
        .value_kind:     hidden_remainder_x
      - .offset:         76
        .size:           2
        .value_kind:     hidden_remainder_y
      - .offset:         78
        .size:           2
        .value_kind:     hidden_remainder_z
      - .offset:         96
        .size:           8
        .value_kind:     hidden_global_offset_x
      - .offset:         104
        .size:           8
        .value_kind:     hidden_global_offset_y
      - .offset:         112
        .size:           8
        .value_kind:     hidden_global_offset_z
      - .offset:         120
        .size:           2
        .value_kind:     hidden_grid_dims
      - .offset:         176
        .size:           4
        .value_kind:     hidden_dynamic_lds_size
    .group_segment_fixed_size: 0
    .kernarg_segment_align: 8
    .kernarg_segment_size: 312
    .language:       OpenCL C
    .language_version:
      - 2
      - 0
    .max_flat_workgroup_size: 512
    .name:           _ZN9rocsolver6v33100L23getf2_npvt_small_kernelILi45EdiiPKPdEEvT1_T3_lS5_lPT2_S5_S5_
    .private_segment_fixed_size: 108
    .sgpr_count:     18
    .sgpr_spill_count: 0
    .symbol:         _ZN9rocsolver6v33100L23getf2_npvt_small_kernelILi45EdiiPKPdEEvT1_T3_lS5_lPT2_S5_S5_.kd
    .uniform_work_group_size: 1
    .uses_dynamic_stack: false
    .vgpr_count:     256
    .vgpr_spill_count: 26
    .wavefront_size: 32
    .workgroup_processor_mode: 1
  - .args:
      - .offset:         0
        .size:           4
        .value_kind:     by_value
      - .address_space:  global
        .offset:         8
        .size:           8
        .value_kind:     global_buffer
      - .offset:         16
        .size:           8
        .value_kind:     by_value
      - .offset:         24
        .size:           4
        .value_kind:     by_value
      - .offset:         32
        .size:           8
        .value_kind:     by_value
      - .address_space:  global
        .offset:         40
        .size:           8
        .value_kind:     global_buffer
      - .offset:         48
        .size:           8
        .value_kind:     by_value
      - .offset:         56
        .size:           8
        .value_kind:     by_value
      - .address_space:  global
        .offset:         64
        .size:           8
        .value_kind:     global_buffer
      - .offset:         72
        .size:           4
        .value_kind:     by_value
      - .offset:         76
        .size:           4
        .value_kind:     by_value
      - .address_space:  global
        .offset:         80
        .size:           8
        .value_kind:     global_buffer
      - .offset:         88
        .size:           8
        .value_kind:     by_value
      - .offset:         96
        .size:           4
        .value_kind:     hidden_block_count_x
      - .offset:         100
        .size:           4
        .value_kind:     hidden_block_count_y
      - .offset:         104
        .size:           4
        .value_kind:     hidden_block_count_z
      - .offset:         108
        .size:           2
        .value_kind:     hidden_group_size_x
      - .offset:         110
        .size:           2
        .value_kind:     hidden_group_size_y
      - .offset:         112
        .size:           2
        .value_kind:     hidden_group_size_z
      - .offset:         114
        .size:           2
        .value_kind:     hidden_remainder_x
      - .offset:         116
        .size:           2
        .value_kind:     hidden_remainder_y
      - .offset:         118
        .size:           2
        .value_kind:     hidden_remainder_z
      - .offset:         136
        .size:           8
        .value_kind:     hidden_global_offset_x
      - .offset:         144
        .size:           8
        .value_kind:     hidden_global_offset_y
      - .offset:         152
        .size:           8
        .value_kind:     hidden_global_offset_z
      - .offset:         160
        .size:           2
        .value_kind:     hidden_grid_dims
      - .offset:         216
        .size:           4
        .value_kind:     hidden_dynamic_lds_size
    .group_segment_fixed_size: 0
    .kernarg_segment_align: 8
    .kernarg_segment_size: 352
    .language:       OpenCL C
    .language_version:
      - 2
      - 0
    .max_flat_workgroup_size: 512
    .name:           _ZN9rocsolver6v33100L18getf2_small_kernelILi46EdiiPKPdEEvT1_T3_lS5_lPS5_llPT2_S5_S5_S7_l
    .private_segment_fixed_size: 0
    .sgpr_count:     16
    .sgpr_spill_count: 0
    .symbol:         _ZN9rocsolver6v33100L18getf2_small_kernelILi46EdiiPKPdEEvT1_T3_lS5_lPS5_llPT2_S5_S5_S7_l.kd
    .uniform_work_group_size: 1
    .uses_dynamic_stack: false
    .vgpr_count:     192
    .vgpr_spill_count: 0
    .wavefront_size: 32
    .workgroup_processor_mode: 1
  - .args:
      - .offset:         0
        .size:           4
        .value_kind:     by_value
      - .address_space:  global
        .offset:         8
        .size:           8
        .value_kind:     global_buffer
      - .offset:         16
        .size:           8
        .value_kind:     by_value
      - .offset:         24
        .size:           4
        .value_kind:     by_value
      - .offset:         32
        .size:           8
        .value_kind:     by_value
      - .address_space:  global
        .offset:         40
        .size:           8
        .value_kind:     global_buffer
      - .offset:         48
        .size:           4
        .value_kind:     by_value
      - .offset:         52
        .size:           4
        .value_kind:     by_value
      - .offset:         56
        .size:           4
        .value_kind:     hidden_block_count_x
      - .offset:         60
        .size:           4
        .value_kind:     hidden_block_count_y
      - .offset:         64
        .size:           4
        .value_kind:     hidden_block_count_z
      - .offset:         68
        .size:           2
        .value_kind:     hidden_group_size_x
      - .offset:         70
        .size:           2
        .value_kind:     hidden_group_size_y
      - .offset:         72
        .size:           2
        .value_kind:     hidden_group_size_z
      - .offset:         74
        .size:           2
        .value_kind:     hidden_remainder_x
      - .offset:         76
        .size:           2
        .value_kind:     hidden_remainder_y
      - .offset:         78
        .size:           2
        .value_kind:     hidden_remainder_z
      - .offset:         96
        .size:           8
        .value_kind:     hidden_global_offset_x
      - .offset:         104
        .size:           8
        .value_kind:     hidden_global_offset_y
      - .offset:         112
        .size:           8
        .value_kind:     hidden_global_offset_z
      - .offset:         120
        .size:           2
        .value_kind:     hidden_grid_dims
      - .offset:         176
        .size:           4
        .value_kind:     hidden_dynamic_lds_size
    .group_segment_fixed_size: 0
    .kernarg_segment_align: 8
    .kernarg_segment_size: 312
    .language:       OpenCL C
    .language_version:
      - 2
      - 0
    .max_flat_workgroup_size: 512
    .name:           _ZN9rocsolver6v33100L23getf2_npvt_small_kernelILi46EdiiPKPdEEvT1_T3_lS5_lPT2_S5_S5_
    .private_segment_fixed_size: 140
    .sgpr_count:     18
    .sgpr_spill_count: 0
    .symbol:         _ZN9rocsolver6v33100L23getf2_npvt_small_kernelILi46EdiiPKPdEEvT1_T3_lS5_lPT2_S5_S5_.kd
    .uniform_work_group_size: 1
    .uses_dynamic_stack: false
    .vgpr_count:     256
    .vgpr_spill_count: 34
    .wavefront_size: 32
    .workgroup_processor_mode: 1
  - .args:
      - .offset:         0
        .size:           4
        .value_kind:     by_value
      - .address_space:  global
        .offset:         8
        .size:           8
        .value_kind:     global_buffer
      - .offset:         16
        .size:           8
        .value_kind:     by_value
      - .offset:         24
        .size:           4
        .value_kind:     by_value
      - .offset:         32
        .size:           8
        .value_kind:     by_value
      - .address_space:  global
        .offset:         40
        .size:           8
        .value_kind:     global_buffer
      - .offset:         48
        .size:           8
        .value_kind:     by_value
      - .offset:         56
        .size:           8
        .value_kind:     by_value
      - .address_space:  global
        .offset:         64
        .size:           8
        .value_kind:     global_buffer
      - .offset:         72
        .size:           4
        .value_kind:     by_value
      - .offset:         76
        .size:           4
        .value_kind:     by_value
      - .address_space:  global
        .offset:         80
        .size:           8
        .value_kind:     global_buffer
      - .offset:         88
        .size:           8
        .value_kind:     by_value
      - .offset:         96
        .size:           4
        .value_kind:     hidden_block_count_x
      - .offset:         100
        .size:           4
        .value_kind:     hidden_block_count_y
      - .offset:         104
        .size:           4
        .value_kind:     hidden_block_count_z
      - .offset:         108
        .size:           2
        .value_kind:     hidden_group_size_x
      - .offset:         110
        .size:           2
        .value_kind:     hidden_group_size_y
      - .offset:         112
        .size:           2
        .value_kind:     hidden_group_size_z
      - .offset:         114
        .size:           2
        .value_kind:     hidden_remainder_x
      - .offset:         116
        .size:           2
        .value_kind:     hidden_remainder_y
      - .offset:         118
        .size:           2
        .value_kind:     hidden_remainder_z
      - .offset:         136
        .size:           8
        .value_kind:     hidden_global_offset_x
      - .offset:         144
        .size:           8
        .value_kind:     hidden_global_offset_y
      - .offset:         152
        .size:           8
        .value_kind:     hidden_global_offset_z
      - .offset:         160
        .size:           2
        .value_kind:     hidden_grid_dims
      - .offset:         216
        .size:           4
        .value_kind:     hidden_dynamic_lds_size
    .group_segment_fixed_size: 0
    .kernarg_segment_align: 8
    .kernarg_segment_size: 352
    .language:       OpenCL C
    .language_version:
      - 2
      - 0
    .max_flat_workgroup_size: 512
    .name:           _ZN9rocsolver6v33100L18getf2_small_kernelILi47EdiiPKPdEEvT1_T3_lS5_lPS5_llPT2_S5_S5_S7_l
    .private_segment_fixed_size: 0
    .sgpr_count:     16
    .sgpr_spill_count: 0
    .symbol:         _ZN9rocsolver6v33100L18getf2_small_kernelILi47EdiiPKPdEEvT1_T3_lS5_lPS5_llPT2_S5_S5_S7_l.kd
    .uniform_work_group_size: 1
    .uses_dynamic_stack: false
    .vgpr_count:     198
    .vgpr_spill_count: 0
    .wavefront_size: 32
    .workgroup_processor_mode: 1
  - .args:
      - .offset:         0
        .size:           4
        .value_kind:     by_value
      - .address_space:  global
        .offset:         8
        .size:           8
        .value_kind:     global_buffer
      - .offset:         16
        .size:           8
        .value_kind:     by_value
      - .offset:         24
        .size:           4
        .value_kind:     by_value
      - .offset:         32
        .size:           8
        .value_kind:     by_value
      - .address_space:  global
        .offset:         40
        .size:           8
        .value_kind:     global_buffer
      - .offset:         48
        .size:           4
        .value_kind:     by_value
      - .offset:         52
        .size:           4
        .value_kind:     by_value
      - .offset:         56
        .size:           4
        .value_kind:     hidden_block_count_x
      - .offset:         60
        .size:           4
        .value_kind:     hidden_block_count_y
      - .offset:         64
        .size:           4
        .value_kind:     hidden_block_count_z
      - .offset:         68
        .size:           2
        .value_kind:     hidden_group_size_x
      - .offset:         70
        .size:           2
        .value_kind:     hidden_group_size_y
      - .offset:         72
        .size:           2
        .value_kind:     hidden_group_size_z
      - .offset:         74
        .size:           2
        .value_kind:     hidden_remainder_x
      - .offset:         76
        .size:           2
        .value_kind:     hidden_remainder_y
      - .offset:         78
        .size:           2
        .value_kind:     hidden_remainder_z
      - .offset:         96
        .size:           8
        .value_kind:     hidden_global_offset_x
      - .offset:         104
        .size:           8
        .value_kind:     hidden_global_offset_y
      - .offset:         112
        .size:           8
        .value_kind:     hidden_global_offset_z
      - .offset:         120
        .size:           2
        .value_kind:     hidden_grid_dims
      - .offset:         176
        .size:           4
        .value_kind:     hidden_dynamic_lds_size
    .group_segment_fixed_size: 0
    .kernarg_segment_align: 8
    .kernarg_segment_size: 312
    .language:       OpenCL C
    .language_version:
      - 2
      - 0
    .max_flat_workgroup_size: 512
    .name:           _ZN9rocsolver6v33100L23getf2_npvt_small_kernelILi47EdiiPKPdEEvT1_T3_lS5_lPT2_S5_S5_
    .private_segment_fixed_size: 164
    .sgpr_count:     18
    .sgpr_spill_count: 0
    .symbol:         _ZN9rocsolver6v33100L23getf2_npvt_small_kernelILi47EdiiPKPdEEvT1_T3_lS5_lPT2_S5_S5_.kd
    .uniform_work_group_size: 1
    .uses_dynamic_stack: false
    .vgpr_count:     256
    .vgpr_spill_count: 40
    .wavefront_size: 32
    .workgroup_processor_mode: 1
  - .args:
      - .offset:         0
        .size:           4
        .value_kind:     by_value
      - .address_space:  global
        .offset:         8
        .size:           8
        .value_kind:     global_buffer
      - .offset:         16
        .size:           8
        .value_kind:     by_value
      - .offset:         24
        .size:           4
        .value_kind:     by_value
      - .offset:         32
        .size:           8
        .value_kind:     by_value
      - .address_space:  global
        .offset:         40
        .size:           8
        .value_kind:     global_buffer
      - .offset:         48
        .size:           8
        .value_kind:     by_value
      - .offset:         56
        .size:           8
        .value_kind:     by_value
      - .address_space:  global
        .offset:         64
        .size:           8
        .value_kind:     global_buffer
      - .offset:         72
        .size:           4
        .value_kind:     by_value
      - .offset:         76
        .size:           4
        .value_kind:     by_value
      - .address_space:  global
        .offset:         80
        .size:           8
        .value_kind:     global_buffer
      - .offset:         88
        .size:           8
        .value_kind:     by_value
      - .offset:         96
        .size:           4
        .value_kind:     hidden_block_count_x
      - .offset:         100
        .size:           4
        .value_kind:     hidden_block_count_y
      - .offset:         104
        .size:           4
        .value_kind:     hidden_block_count_z
      - .offset:         108
        .size:           2
        .value_kind:     hidden_group_size_x
      - .offset:         110
        .size:           2
        .value_kind:     hidden_group_size_y
      - .offset:         112
        .size:           2
        .value_kind:     hidden_group_size_z
      - .offset:         114
        .size:           2
        .value_kind:     hidden_remainder_x
      - .offset:         116
        .size:           2
        .value_kind:     hidden_remainder_y
      - .offset:         118
        .size:           2
        .value_kind:     hidden_remainder_z
      - .offset:         136
        .size:           8
        .value_kind:     hidden_global_offset_x
      - .offset:         144
        .size:           8
        .value_kind:     hidden_global_offset_y
      - .offset:         152
        .size:           8
        .value_kind:     hidden_global_offset_z
      - .offset:         160
        .size:           2
        .value_kind:     hidden_grid_dims
      - .offset:         216
        .size:           4
        .value_kind:     hidden_dynamic_lds_size
    .group_segment_fixed_size: 0
    .kernarg_segment_align: 8
    .kernarg_segment_size: 352
    .language:       OpenCL C
    .language_version:
      - 2
      - 0
    .max_flat_workgroup_size: 512
    .name:           _ZN9rocsolver6v33100L18getf2_small_kernelILi48EdiiPKPdEEvT1_T3_lS5_lPS5_llPT2_S5_S5_S7_l
    .private_segment_fixed_size: 0
    .sgpr_count:     16
    .sgpr_spill_count: 0
    .symbol:         _ZN9rocsolver6v33100L18getf2_small_kernelILi48EdiiPKPdEEvT1_T3_lS5_lPS5_llPT2_S5_S5_S7_l.kd
    .uniform_work_group_size: 1
    .uses_dynamic_stack: false
    .vgpr_count:     200
    .vgpr_spill_count: 0
    .wavefront_size: 32
    .workgroup_processor_mode: 1
  - .args:
      - .offset:         0
        .size:           4
        .value_kind:     by_value
      - .address_space:  global
        .offset:         8
        .size:           8
        .value_kind:     global_buffer
      - .offset:         16
        .size:           8
        .value_kind:     by_value
      - .offset:         24
        .size:           4
        .value_kind:     by_value
      - .offset:         32
        .size:           8
        .value_kind:     by_value
      - .address_space:  global
        .offset:         40
        .size:           8
        .value_kind:     global_buffer
      - .offset:         48
        .size:           4
        .value_kind:     by_value
      - .offset:         52
        .size:           4
        .value_kind:     by_value
      - .offset:         56
        .size:           4
        .value_kind:     hidden_block_count_x
      - .offset:         60
        .size:           4
        .value_kind:     hidden_block_count_y
      - .offset:         64
        .size:           4
        .value_kind:     hidden_block_count_z
      - .offset:         68
        .size:           2
        .value_kind:     hidden_group_size_x
      - .offset:         70
        .size:           2
        .value_kind:     hidden_group_size_y
      - .offset:         72
        .size:           2
        .value_kind:     hidden_group_size_z
      - .offset:         74
        .size:           2
        .value_kind:     hidden_remainder_x
      - .offset:         76
        .size:           2
        .value_kind:     hidden_remainder_y
      - .offset:         78
        .size:           2
        .value_kind:     hidden_remainder_z
      - .offset:         96
        .size:           8
        .value_kind:     hidden_global_offset_x
      - .offset:         104
        .size:           8
        .value_kind:     hidden_global_offset_y
      - .offset:         112
        .size:           8
        .value_kind:     hidden_global_offset_z
      - .offset:         120
        .size:           2
        .value_kind:     hidden_grid_dims
      - .offset:         176
        .size:           4
        .value_kind:     hidden_dynamic_lds_size
    .group_segment_fixed_size: 0
    .kernarg_segment_align: 8
    .kernarg_segment_size: 312
    .language:       OpenCL C
    .language_version:
      - 2
      - 0
    .max_flat_workgroup_size: 512
    .name:           _ZN9rocsolver6v33100L23getf2_npvt_small_kernelILi48EdiiPKPdEEvT1_T3_lS5_lPT2_S5_S5_
    .private_segment_fixed_size: 180
    .sgpr_count:     18
    .sgpr_spill_count: 0
    .symbol:         _ZN9rocsolver6v33100L23getf2_npvt_small_kernelILi48EdiiPKPdEEvT1_T3_lS5_lPT2_S5_S5_.kd
    .uniform_work_group_size: 1
    .uses_dynamic_stack: false
    .vgpr_count:     256
    .vgpr_spill_count: 44
    .wavefront_size: 32
    .workgroup_processor_mode: 1
  - .args:
      - .offset:         0
        .size:           4
        .value_kind:     by_value
      - .address_space:  global
        .offset:         8
        .size:           8
        .value_kind:     global_buffer
      - .offset:         16
        .size:           8
        .value_kind:     by_value
      - .offset:         24
        .size:           4
        .value_kind:     by_value
      - .offset:         32
        .size:           8
        .value_kind:     by_value
      - .address_space:  global
        .offset:         40
        .size:           8
        .value_kind:     global_buffer
      - .offset:         48
        .size:           8
        .value_kind:     by_value
      - .offset:         56
        .size:           8
        .value_kind:     by_value
      - .address_space:  global
        .offset:         64
        .size:           8
        .value_kind:     global_buffer
      - .offset:         72
        .size:           4
        .value_kind:     by_value
      - .offset:         76
        .size:           4
        .value_kind:     by_value
      - .address_space:  global
        .offset:         80
        .size:           8
        .value_kind:     global_buffer
      - .offset:         88
        .size:           8
        .value_kind:     by_value
      - .offset:         96
        .size:           4
        .value_kind:     hidden_block_count_x
      - .offset:         100
        .size:           4
        .value_kind:     hidden_block_count_y
      - .offset:         104
        .size:           4
        .value_kind:     hidden_block_count_z
      - .offset:         108
        .size:           2
        .value_kind:     hidden_group_size_x
      - .offset:         110
        .size:           2
        .value_kind:     hidden_group_size_y
      - .offset:         112
        .size:           2
        .value_kind:     hidden_group_size_z
      - .offset:         114
        .size:           2
        .value_kind:     hidden_remainder_x
      - .offset:         116
        .size:           2
        .value_kind:     hidden_remainder_y
      - .offset:         118
        .size:           2
        .value_kind:     hidden_remainder_z
      - .offset:         136
        .size:           8
        .value_kind:     hidden_global_offset_x
      - .offset:         144
        .size:           8
        .value_kind:     hidden_global_offset_y
      - .offset:         152
        .size:           8
        .value_kind:     hidden_global_offset_z
      - .offset:         160
        .size:           2
        .value_kind:     hidden_grid_dims
      - .offset:         216
        .size:           4
        .value_kind:     hidden_dynamic_lds_size
    .group_segment_fixed_size: 0
    .kernarg_segment_align: 8
    .kernarg_segment_size: 352
    .language:       OpenCL C
    .language_version:
      - 2
      - 0
    .max_flat_workgroup_size: 512
    .name:           _ZN9rocsolver6v33100L18getf2_small_kernelILi49EdiiPKPdEEvT1_T3_lS5_lPS5_llPT2_S5_S5_S7_l
    .private_segment_fixed_size: 0
    .sgpr_count:     16
    .sgpr_spill_count: 0
    .symbol:         _ZN9rocsolver6v33100L18getf2_small_kernelILi49EdiiPKPdEEvT1_T3_lS5_lPS5_llPT2_S5_S5_S7_l.kd
    .uniform_work_group_size: 1
    .uses_dynamic_stack: false
    .vgpr_count:     202
    .vgpr_spill_count: 0
    .wavefront_size: 32
    .workgroup_processor_mode: 1
  - .args:
      - .offset:         0
        .size:           4
        .value_kind:     by_value
      - .address_space:  global
        .offset:         8
        .size:           8
        .value_kind:     global_buffer
      - .offset:         16
        .size:           8
        .value_kind:     by_value
      - .offset:         24
        .size:           4
        .value_kind:     by_value
      - .offset:         32
        .size:           8
        .value_kind:     by_value
      - .address_space:  global
        .offset:         40
        .size:           8
        .value_kind:     global_buffer
      - .offset:         48
        .size:           4
        .value_kind:     by_value
      - .offset:         52
        .size:           4
        .value_kind:     by_value
      - .offset:         56
        .size:           4
        .value_kind:     hidden_block_count_x
      - .offset:         60
        .size:           4
        .value_kind:     hidden_block_count_y
      - .offset:         64
        .size:           4
        .value_kind:     hidden_block_count_z
      - .offset:         68
        .size:           2
        .value_kind:     hidden_group_size_x
      - .offset:         70
        .size:           2
        .value_kind:     hidden_group_size_y
      - .offset:         72
        .size:           2
        .value_kind:     hidden_group_size_z
      - .offset:         74
        .size:           2
        .value_kind:     hidden_remainder_x
      - .offset:         76
        .size:           2
        .value_kind:     hidden_remainder_y
      - .offset:         78
        .size:           2
        .value_kind:     hidden_remainder_z
      - .offset:         96
        .size:           8
        .value_kind:     hidden_global_offset_x
      - .offset:         104
        .size:           8
        .value_kind:     hidden_global_offset_y
      - .offset:         112
        .size:           8
        .value_kind:     hidden_global_offset_z
      - .offset:         120
        .size:           2
        .value_kind:     hidden_grid_dims
      - .offset:         176
        .size:           4
        .value_kind:     hidden_dynamic_lds_size
    .group_segment_fixed_size: 0
    .kernarg_segment_align: 8
    .kernarg_segment_size: 312
    .language:       OpenCL C
    .language_version:
      - 2
      - 0
    .max_flat_workgroup_size: 512
    .name:           _ZN9rocsolver6v33100L23getf2_npvt_small_kernelILi49EdiiPKPdEEvT1_T3_lS5_lPT2_S5_S5_
    .private_segment_fixed_size: 220
    .sgpr_count:     18
    .sgpr_spill_count: 0
    .symbol:         _ZN9rocsolver6v33100L23getf2_npvt_small_kernelILi49EdiiPKPdEEvT1_T3_lS5_lPT2_S5_S5_.kd
    .uniform_work_group_size: 1
    .uses_dynamic_stack: false
    .vgpr_count:     256
    .vgpr_spill_count: 54
    .wavefront_size: 32
    .workgroup_processor_mode: 1
  - .args:
      - .offset:         0
        .size:           4
        .value_kind:     by_value
      - .address_space:  global
        .offset:         8
        .size:           8
        .value_kind:     global_buffer
      - .offset:         16
        .size:           8
        .value_kind:     by_value
      - .offset:         24
        .size:           4
        .value_kind:     by_value
      - .offset:         32
        .size:           8
        .value_kind:     by_value
      - .address_space:  global
        .offset:         40
        .size:           8
        .value_kind:     global_buffer
      - .offset:         48
        .size:           8
        .value_kind:     by_value
      - .offset:         56
        .size:           8
        .value_kind:     by_value
      - .address_space:  global
        .offset:         64
        .size:           8
        .value_kind:     global_buffer
      - .offset:         72
        .size:           4
        .value_kind:     by_value
      - .offset:         76
        .size:           4
        .value_kind:     by_value
      - .address_space:  global
        .offset:         80
        .size:           8
        .value_kind:     global_buffer
      - .offset:         88
        .size:           8
        .value_kind:     by_value
      - .offset:         96
        .size:           4
        .value_kind:     hidden_block_count_x
      - .offset:         100
        .size:           4
        .value_kind:     hidden_block_count_y
      - .offset:         104
        .size:           4
        .value_kind:     hidden_block_count_z
      - .offset:         108
        .size:           2
        .value_kind:     hidden_group_size_x
      - .offset:         110
        .size:           2
        .value_kind:     hidden_group_size_y
      - .offset:         112
        .size:           2
        .value_kind:     hidden_group_size_z
      - .offset:         114
        .size:           2
        .value_kind:     hidden_remainder_x
      - .offset:         116
        .size:           2
        .value_kind:     hidden_remainder_y
      - .offset:         118
        .size:           2
        .value_kind:     hidden_remainder_z
      - .offset:         136
        .size:           8
        .value_kind:     hidden_global_offset_x
      - .offset:         144
        .size:           8
        .value_kind:     hidden_global_offset_y
      - .offset:         152
        .size:           8
        .value_kind:     hidden_global_offset_z
      - .offset:         160
        .size:           2
        .value_kind:     hidden_grid_dims
      - .offset:         216
        .size:           4
        .value_kind:     hidden_dynamic_lds_size
    .group_segment_fixed_size: 0
    .kernarg_segment_align: 8
    .kernarg_segment_size: 352
    .language:       OpenCL C
    .language_version:
      - 2
      - 0
    .max_flat_workgroup_size: 512
    .name:           _ZN9rocsolver6v33100L18getf2_small_kernelILi50EdiiPKPdEEvT1_T3_lS5_lPS5_llPT2_S5_S5_S7_l
    .private_segment_fixed_size: 0
    .sgpr_count:     16
    .sgpr_spill_count: 0
    .symbol:         _ZN9rocsolver6v33100L18getf2_small_kernelILi50EdiiPKPdEEvT1_T3_lS5_lPS5_llPT2_S5_S5_S7_l.kd
    .uniform_work_group_size: 1
    .uses_dynamic_stack: false
    .vgpr_count:     208
    .vgpr_spill_count: 0
    .wavefront_size: 32
    .workgroup_processor_mode: 1
  - .args:
      - .offset:         0
        .size:           4
        .value_kind:     by_value
      - .address_space:  global
        .offset:         8
        .size:           8
        .value_kind:     global_buffer
      - .offset:         16
        .size:           8
        .value_kind:     by_value
      - .offset:         24
        .size:           4
        .value_kind:     by_value
      - .offset:         32
        .size:           8
        .value_kind:     by_value
      - .address_space:  global
        .offset:         40
        .size:           8
        .value_kind:     global_buffer
      - .offset:         48
        .size:           4
        .value_kind:     by_value
      - .offset:         52
        .size:           4
        .value_kind:     by_value
      - .offset:         56
        .size:           4
        .value_kind:     hidden_block_count_x
      - .offset:         60
        .size:           4
        .value_kind:     hidden_block_count_y
      - .offset:         64
        .size:           4
        .value_kind:     hidden_block_count_z
      - .offset:         68
        .size:           2
        .value_kind:     hidden_group_size_x
      - .offset:         70
        .size:           2
        .value_kind:     hidden_group_size_y
      - .offset:         72
        .size:           2
        .value_kind:     hidden_group_size_z
      - .offset:         74
        .size:           2
        .value_kind:     hidden_remainder_x
      - .offset:         76
        .size:           2
        .value_kind:     hidden_remainder_y
      - .offset:         78
        .size:           2
        .value_kind:     hidden_remainder_z
      - .offset:         96
        .size:           8
        .value_kind:     hidden_global_offset_x
      - .offset:         104
        .size:           8
        .value_kind:     hidden_global_offset_y
      - .offset:         112
        .size:           8
        .value_kind:     hidden_global_offset_z
      - .offset:         120
        .size:           2
        .value_kind:     hidden_grid_dims
      - .offset:         176
        .size:           4
        .value_kind:     hidden_dynamic_lds_size
    .group_segment_fixed_size: 0
    .kernarg_segment_align: 8
    .kernarg_segment_size: 312
    .language:       OpenCL C
    .language_version:
      - 2
      - 0
    .max_flat_workgroup_size: 512
    .name:           _ZN9rocsolver6v33100L23getf2_npvt_small_kernelILi50EdiiPKPdEEvT1_T3_lS5_lPT2_S5_S5_
    .private_segment_fixed_size: 236
    .sgpr_count:     18
    .sgpr_spill_count: 0
    .symbol:         _ZN9rocsolver6v33100L23getf2_npvt_small_kernelILi50EdiiPKPdEEvT1_T3_lS5_lPT2_S5_S5_.kd
    .uniform_work_group_size: 1
    .uses_dynamic_stack: false
    .vgpr_count:     256
    .vgpr_spill_count: 58
    .wavefront_size: 32
    .workgroup_processor_mode: 1
  - .args:
      - .offset:         0
        .size:           4
        .value_kind:     by_value
      - .address_space:  global
        .offset:         8
        .size:           8
        .value_kind:     global_buffer
      - .offset:         16
        .size:           8
        .value_kind:     by_value
      - .offset:         24
        .size:           4
        .value_kind:     by_value
      - .offset:         32
        .size:           8
        .value_kind:     by_value
      - .address_space:  global
        .offset:         40
        .size:           8
        .value_kind:     global_buffer
      - .offset:         48
        .size:           8
        .value_kind:     by_value
      - .offset:         56
        .size:           8
        .value_kind:     by_value
      - .address_space:  global
        .offset:         64
        .size:           8
        .value_kind:     global_buffer
      - .offset:         72
        .size:           4
        .value_kind:     by_value
      - .offset:         76
        .size:           4
        .value_kind:     by_value
      - .address_space:  global
        .offset:         80
        .size:           8
        .value_kind:     global_buffer
      - .offset:         88
        .size:           8
        .value_kind:     by_value
      - .offset:         96
        .size:           4
        .value_kind:     hidden_block_count_x
      - .offset:         100
        .size:           4
        .value_kind:     hidden_block_count_y
      - .offset:         104
        .size:           4
        .value_kind:     hidden_block_count_z
      - .offset:         108
        .size:           2
        .value_kind:     hidden_group_size_x
      - .offset:         110
        .size:           2
        .value_kind:     hidden_group_size_y
      - .offset:         112
        .size:           2
        .value_kind:     hidden_group_size_z
      - .offset:         114
        .size:           2
        .value_kind:     hidden_remainder_x
      - .offset:         116
        .size:           2
        .value_kind:     hidden_remainder_y
      - .offset:         118
        .size:           2
        .value_kind:     hidden_remainder_z
      - .offset:         136
        .size:           8
        .value_kind:     hidden_global_offset_x
      - .offset:         144
        .size:           8
        .value_kind:     hidden_global_offset_y
      - .offset:         152
        .size:           8
        .value_kind:     hidden_global_offset_z
      - .offset:         160
        .size:           2
        .value_kind:     hidden_grid_dims
      - .offset:         216
        .size:           4
        .value_kind:     hidden_dynamic_lds_size
    .group_segment_fixed_size: 0
    .kernarg_segment_align: 8
    .kernarg_segment_size: 352
    .language:       OpenCL C
    .language_version:
      - 2
      - 0
    .max_flat_workgroup_size: 512
    .name:           _ZN9rocsolver6v33100L18getf2_small_kernelILi51EdiiPKPdEEvT1_T3_lS5_lPS5_llPT2_S5_S5_S7_l
    .private_segment_fixed_size: 0
    .sgpr_count:     16
    .sgpr_spill_count: 0
    .symbol:         _ZN9rocsolver6v33100L18getf2_small_kernelILi51EdiiPKPdEEvT1_T3_lS5_lPS5_llPT2_S5_S5_S7_l.kd
    .uniform_work_group_size: 1
    .uses_dynamic_stack: false
    .vgpr_count:     210
    .vgpr_spill_count: 0
    .wavefront_size: 32
    .workgroup_processor_mode: 1
  - .args:
      - .offset:         0
        .size:           4
        .value_kind:     by_value
      - .address_space:  global
        .offset:         8
        .size:           8
        .value_kind:     global_buffer
      - .offset:         16
        .size:           8
        .value_kind:     by_value
      - .offset:         24
        .size:           4
        .value_kind:     by_value
      - .offset:         32
        .size:           8
        .value_kind:     by_value
      - .address_space:  global
        .offset:         40
        .size:           8
        .value_kind:     global_buffer
      - .offset:         48
        .size:           4
        .value_kind:     by_value
      - .offset:         52
        .size:           4
        .value_kind:     by_value
      - .offset:         56
        .size:           4
        .value_kind:     hidden_block_count_x
      - .offset:         60
        .size:           4
        .value_kind:     hidden_block_count_y
      - .offset:         64
        .size:           4
        .value_kind:     hidden_block_count_z
      - .offset:         68
        .size:           2
        .value_kind:     hidden_group_size_x
      - .offset:         70
        .size:           2
        .value_kind:     hidden_group_size_y
      - .offset:         72
        .size:           2
        .value_kind:     hidden_group_size_z
      - .offset:         74
        .size:           2
        .value_kind:     hidden_remainder_x
      - .offset:         76
        .size:           2
        .value_kind:     hidden_remainder_y
      - .offset:         78
        .size:           2
        .value_kind:     hidden_remainder_z
      - .offset:         96
        .size:           8
        .value_kind:     hidden_global_offset_x
      - .offset:         104
        .size:           8
        .value_kind:     hidden_global_offset_y
      - .offset:         112
        .size:           8
        .value_kind:     hidden_global_offset_z
      - .offset:         120
        .size:           2
        .value_kind:     hidden_grid_dims
      - .offset:         176
        .size:           4
        .value_kind:     hidden_dynamic_lds_size
    .group_segment_fixed_size: 0
    .kernarg_segment_align: 8
    .kernarg_segment_size: 312
    .language:       OpenCL C
    .language_version:
      - 2
      - 0
    .max_flat_workgroup_size: 512
    .name:           _ZN9rocsolver6v33100L23getf2_npvt_small_kernelILi51EdiiPKPdEEvT1_T3_lS5_lPT2_S5_S5_
    .private_segment_fixed_size: 260
    .sgpr_count:     18
    .sgpr_spill_count: 0
    .symbol:         _ZN9rocsolver6v33100L23getf2_npvt_small_kernelILi51EdiiPKPdEEvT1_T3_lS5_lPT2_S5_S5_.kd
    .uniform_work_group_size: 1
    .uses_dynamic_stack: false
    .vgpr_count:     256
    .vgpr_spill_count: 64
    .wavefront_size: 32
    .workgroup_processor_mode: 1
  - .args:
      - .offset:         0
        .size:           4
        .value_kind:     by_value
      - .address_space:  global
        .offset:         8
        .size:           8
        .value_kind:     global_buffer
      - .offset:         16
        .size:           8
        .value_kind:     by_value
      - .offset:         24
        .size:           4
        .value_kind:     by_value
      - .offset:         32
        .size:           8
        .value_kind:     by_value
      - .address_space:  global
        .offset:         40
        .size:           8
        .value_kind:     global_buffer
      - .offset:         48
        .size:           8
        .value_kind:     by_value
      - .offset:         56
        .size:           8
        .value_kind:     by_value
      - .address_space:  global
        .offset:         64
        .size:           8
        .value_kind:     global_buffer
      - .offset:         72
        .size:           4
        .value_kind:     by_value
      - .offset:         76
        .size:           4
        .value_kind:     by_value
      - .address_space:  global
        .offset:         80
        .size:           8
        .value_kind:     global_buffer
      - .offset:         88
        .size:           8
        .value_kind:     by_value
      - .offset:         96
        .size:           4
        .value_kind:     hidden_block_count_x
      - .offset:         100
        .size:           4
        .value_kind:     hidden_block_count_y
      - .offset:         104
        .size:           4
        .value_kind:     hidden_block_count_z
      - .offset:         108
        .size:           2
        .value_kind:     hidden_group_size_x
      - .offset:         110
        .size:           2
        .value_kind:     hidden_group_size_y
      - .offset:         112
        .size:           2
        .value_kind:     hidden_group_size_z
      - .offset:         114
        .size:           2
        .value_kind:     hidden_remainder_x
      - .offset:         116
        .size:           2
        .value_kind:     hidden_remainder_y
      - .offset:         118
        .size:           2
        .value_kind:     hidden_remainder_z
      - .offset:         136
        .size:           8
        .value_kind:     hidden_global_offset_x
      - .offset:         144
        .size:           8
        .value_kind:     hidden_global_offset_y
      - .offset:         152
        .size:           8
        .value_kind:     hidden_global_offset_z
      - .offset:         160
        .size:           2
        .value_kind:     hidden_grid_dims
      - .offset:         216
        .size:           4
        .value_kind:     hidden_dynamic_lds_size
    .group_segment_fixed_size: 0
    .kernarg_segment_align: 8
    .kernarg_segment_size: 352
    .language:       OpenCL C
    .language_version:
      - 2
      - 0
    .max_flat_workgroup_size: 512
    .name:           _ZN9rocsolver6v33100L18getf2_small_kernelILi52EdiiPKPdEEvT1_T3_lS5_lPS5_llPT2_S5_S5_S7_l
    .private_segment_fixed_size: 0
    .sgpr_count:     16
    .sgpr_spill_count: 0
    .symbol:         _ZN9rocsolver6v33100L18getf2_small_kernelILi52EdiiPKPdEEvT1_T3_lS5_lPS5_llPT2_S5_S5_S7_l.kd
    .uniform_work_group_size: 1
    .uses_dynamic_stack: false
    .vgpr_count:     216
    .vgpr_spill_count: 0
    .wavefront_size: 32
    .workgroup_processor_mode: 1
  - .args:
      - .offset:         0
        .size:           4
        .value_kind:     by_value
      - .address_space:  global
        .offset:         8
        .size:           8
        .value_kind:     global_buffer
      - .offset:         16
        .size:           8
        .value_kind:     by_value
      - .offset:         24
        .size:           4
        .value_kind:     by_value
      - .offset:         32
        .size:           8
        .value_kind:     by_value
      - .address_space:  global
        .offset:         40
        .size:           8
        .value_kind:     global_buffer
      - .offset:         48
        .size:           4
        .value_kind:     by_value
      - .offset:         52
        .size:           4
        .value_kind:     by_value
      - .offset:         56
        .size:           4
        .value_kind:     hidden_block_count_x
      - .offset:         60
        .size:           4
        .value_kind:     hidden_block_count_y
      - .offset:         64
        .size:           4
        .value_kind:     hidden_block_count_z
      - .offset:         68
        .size:           2
        .value_kind:     hidden_group_size_x
      - .offset:         70
        .size:           2
        .value_kind:     hidden_group_size_y
      - .offset:         72
        .size:           2
        .value_kind:     hidden_group_size_z
      - .offset:         74
        .size:           2
        .value_kind:     hidden_remainder_x
      - .offset:         76
        .size:           2
        .value_kind:     hidden_remainder_y
      - .offset:         78
        .size:           2
        .value_kind:     hidden_remainder_z
      - .offset:         96
        .size:           8
        .value_kind:     hidden_global_offset_x
      - .offset:         104
        .size:           8
        .value_kind:     hidden_global_offset_y
      - .offset:         112
        .size:           8
        .value_kind:     hidden_global_offset_z
      - .offset:         120
        .size:           2
        .value_kind:     hidden_grid_dims
      - .offset:         176
        .size:           4
        .value_kind:     hidden_dynamic_lds_size
    .group_segment_fixed_size: 0
    .kernarg_segment_align: 8
    .kernarg_segment_size: 312
    .language:       OpenCL C
    .language_version:
      - 2
      - 0
    .max_flat_workgroup_size: 512
    .name:           _ZN9rocsolver6v33100L23getf2_npvt_small_kernelILi52EdiiPKPdEEvT1_T3_lS5_lPT2_S5_S5_
    .private_segment_fixed_size: 292
    .sgpr_count:     18
    .sgpr_spill_count: 0
    .symbol:         _ZN9rocsolver6v33100L23getf2_npvt_small_kernelILi52EdiiPKPdEEvT1_T3_lS5_lPT2_S5_S5_.kd
    .uniform_work_group_size: 1
    .uses_dynamic_stack: false
    .vgpr_count:     256
    .vgpr_spill_count: 72
    .wavefront_size: 32
    .workgroup_processor_mode: 1
  - .args:
      - .offset:         0
        .size:           4
        .value_kind:     by_value
      - .address_space:  global
        .offset:         8
        .size:           8
        .value_kind:     global_buffer
      - .offset:         16
        .size:           8
        .value_kind:     by_value
      - .offset:         24
        .size:           4
        .value_kind:     by_value
      - .offset:         32
        .size:           8
        .value_kind:     by_value
      - .address_space:  global
        .offset:         40
        .size:           8
        .value_kind:     global_buffer
      - .offset:         48
        .size:           8
        .value_kind:     by_value
      - .offset:         56
        .size:           8
        .value_kind:     by_value
      - .address_space:  global
        .offset:         64
        .size:           8
        .value_kind:     global_buffer
      - .offset:         72
        .size:           4
        .value_kind:     by_value
      - .offset:         76
        .size:           4
        .value_kind:     by_value
      - .address_space:  global
        .offset:         80
        .size:           8
        .value_kind:     global_buffer
      - .offset:         88
        .size:           8
        .value_kind:     by_value
      - .offset:         96
        .size:           4
        .value_kind:     hidden_block_count_x
      - .offset:         100
        .size:           4
        .value_kind:     hidden_block_count_y
      - .offset:         104
        .size:           4
        .value_kind:     hidden_block_count_z
      - .offset:         108
        .size:           2
        .value_kind:     hidden_group_size_x
      - .offset:         110
        .size:           2
        .value_kind:     hidden_group_size_y
      - .offset:         112
        .size:           2
        .value_kind:     hidden_group_size_z
      - .offset:         114
        .size:           2
        .value_kind:     hidden_remainder_x
      - .offset:         116
        .size:           2
        .value_kind:     hidden_remainder_y
      - .offset:         118
        .size:           2
        .value_kind:     hidden_remainder_z
      - .offset:         136
        .size:           8
        .value_kind:     hidden_global_offset_x
      - .offset:         144
        .size:           8
        .value_kind:     hidden_global_offset_y
      - .offset:         152
        .size:           8
        .value_kind:     hidden_global_offset_z
      - .offset:         160
        .size:           2
        .value_kind:     hidden_grid_dims
      - .offset:         216
        .size:           4
        .value_kind:     hidden_dynamic_lds_size
    .group_segment_fixed_size: 0
    .kernarg_segment_align: 8
    .kernarg_segment_size: 352
    .language:       OpenCL C
    .language_version:
      - 2
      - 0
    .max_flat_workgroup_size: 512
    .name:           _ZN9rocsolver6v33100L18getf2_small_kernelILi53EdiiPKPdEEvT1_T3_lS5_lPS5_llPT2_S5_S5_S7_l
    .private_segment_fixed_size: 0
    .sgpr_count:     16
    .sgpr_spill_count: 0
    .symbol:         _ZN9rocsolver6v33100L18getf2_small_kernelILi53EdiiPKPdEEvT1_T3_lS5_lPS5_llPT2_S5_S5_S7_l.kd
    .uniform_work_group_size: 1
    .uses_dynamic_stack: false
    .vgpr_count:     218
    .vgpr_spill_count: 0
    .wavefront_size: 32
    .workgroup_processor_mode: 1
  - .args:
      - .offset:         0
        .size:           4
        .value_kind:     by_value
      - .address_space:  global
        .offset:         8
        .size:           8
        .value_kind:     global_buffer
      - .offset:         16
        .size:           8
        .value_kind:     by_value
      - .offset:         24
        .size:           4
        .value_kind:     by_value
      - .offset:         32
        .size:           8
        .value_kind:     by_value
      - .address_space:  global
        .offset:         40
        .size:           8
        .value_kind:     global_buffer
      - .offset:         48
        .size:           4
        .value_kind:     by_value
      - .offset:         52
        .size:           4
        .value_kind:     by_value
      - .offset:         56
        .size:           4
        .value_kind:     hidden_block_count_x
      - .offset:         60
        .size:           4
        .value_kind:     hidden_block_count_y
      - .offset:         64
        .size:           4
        .value_kind:     hidden_block_count_z
      - .offset:         68
        .size:           2
        .value_kind:     hidden_group_size_x
      - .offset:         70
        .size:           2
        .value_kind:     hidden_group_size_y
      - .offset:         72
        .size:           2
        .value_kind:     hidden_group_size_z
      - .offset:         74
        .size:           2
        .value_kind:     hidden_remainder_x
      - .offset:         76
        .size:           2
        .value_kind:     hidden_remainder_y
      - .offset:         78
        .size:           2
        .value_kind:     hidden_remainder_z
      - .offset:         96
        .size:           8
        .value_kind:     hidden_global_offset_x
      - .offset:         104
        .size:           8
        .value_kind:     hidden_global_offset_y
      - .offset:         112
        .size:           8
        .value_kind:     hidden_global_offset_z
      - .offset:         120
        .size:           2
        .value_kind:     hidden_grid_dims
      - .offset:         176
        .size:           4
        .value_kind:     hidden_dynamic_lds_size
    .group_segment_fixed_size: 0
    .kernarg_segment_align: 8
    .kernarg_segment_size: 312
    .language:       OpenCL C
    .language_version:
      - 2
      - 0
    .max_flat_workgroup_size: 512
    .name:           _ZN9rocsolver6v33100L23getf2_npvt_small_kernelILi53EdiiPKPdEEvT1_T3_lS5_lPT2_S5_S5_
    .private_segment_fixed_size: 316
    .sgpr_count:     18
    .sgpr_spill_count: 0
    .symbol:         _ZN9rocsolver6v33100L23getf2_npvt_small_kernelILi53EdiiPKPdEEvT1_T3_lS5_lPT2_S5_S5_.kd
    .uniform_work_group_size: 1
    .uses_dynamic_stack: false
    .vgpr_count:     256
    .vgpr_spill_count: 78
    .wavefront_size: 32
    .workgroup_processor_mode: 1
  - .args:
      - .offset:         0
        .size:           4
        .value_kind:     by_value
      - .address_space:  global
        .offset:         8
        .size:           8
        .value_kind:     global_buffer
      - .offset:         16
        .size:           8
        .value_kind:     by_value
      - .offset:         24
        .size:           4
        .value_kind:     by_value
      - .offset:         32
        .size:           8
        .value_kind:     by_value
      - .address_space:  global
        .offset:         40
        .size:           8
        .value_kind:     global_buffer
      - .offset:         48
        .size:           8
        .value_kind:     by_value
      - .offset:         56
        .size:           8
        .value_kind:     by_value
      - .address_space:  global
        .offset:         64
        .size:           8
        .value_kind:     global_buffer
      - .offset:         72
        .size:           4
        .value_kind:     by_value
      - .offset:         76
        .size:           4
        .value_kind:     by_value
      - .address_space:  global
        .offset:         80
        .size:           8
        .value_kind:     global_buffer
      - .offset:         88
        .size:           8
        .value_kind:     by_value
      - .offset:         96
        .size:           4
        .value_kind:     hidden_block_count_x
      - .offset:         100
        .size:           4
        .value_kind:     hidden_block_count_y
      - .offset:         104
        .size:           4
        .value_kind:     hidden_block_count_z
      - .offset:         108
        .size:           2
        .value_kind:     hidden_group_size_x
      - .offset:         110
        .size:           2
        .value_kind:     hidden_group_size_y
      - .offset:         112
        .size:           2
        .value_kind:     hidden_group_size_z
      - .offset:         114
        .size:           2
        .value_kind:     hidden_remainder_x
      - .offset:         116
        .size:           2
        .value_kind:     hidden_remainder_y
      - .offset:         118
        .size:           2
        .value_kind:     hidden_remainder_z
      - .offset:         136
        .size:           8
        .value_kind:     hidden_global_offset_x
      - .offset:         144
        .size:           8
        .value_kind:     hidden_global_offset_y
      - .offset:         152
        .size:           8
        .value_kind:     hidden_global_offset_z
      - .offset:         160
        .size:           2
        .value_kind:     hidden_grid_dims
      - .offset:         216
        .size:           4
        .value_kind:     hidden_dynamic_lds_size
    .group_segment_fixed_size: 0
    .kernarg_segment_align: 8
    .kernarg_segment_size: 352
    .language:       OpenCL C
    .language_version:
      - 2
      - 0
    .max_flat_workgroup_size: 512
    .name:           _ZN9rocsolver6v33100L18getf2_small_kernelILi54EdiiPKPdEEvT1_T3_lS5_lPS5_llPT2_S5_S5_S7_l
    .private_segment_fixed_size: 0
    .sgpr_count:     16
    .sgpr_spill_count: 0
    .symbol:         _ZN9rocsolver6v33100L18getf2_small_kernelILi54EdiiPKPdEEvT1_T3_lS5_lPS5_llPT2_S5_S5_S7_l.kd
    .uniform_work_group_size: 1
    .uses_dynamic_stack: false
    .vgpr_count:     224
    .vgpr_spill_count: 0
    .wavefront_size: 32
    .workgroup_processor_mode: 1
  - .args:
      - .offset:         0
        .size:           4
        .value_kind:     by_value
      - .address_space:  global
        .offset:         8
        .size:           8
        .value_kind:     global_buffer
      - .offset:         16
        .size:           8
        .value_kind:     by_value
      - .offset:         24
        .size:           4
        .value_kind:     by_value
      - .offset:         32
        .size:           8
        .value_kind:     by_value
      - .address_space:  global
        .offset:         40
        .size:           8
        .value_kind:     global_buffer
      - .offset:         48
        .size:           4
        .value_kind:     by_value
      - .offset:         52
        .size:           4
        .value_kind:     by_value
      - .offset:         56
        .size:           4
        .value_kind:     hidden_block_count_x
      - .offset:         60
        .size:           4
        .value_kind:     hidden_block_count_y
      - .offset:         64
        .size:           4
        .value_kind:     hidden_block_count_z
      - .offset:         68
        .size:           2
        .value_kind:     hidden_group_size_x
      - .offset:         70
        .size:           2
        .value_kind:     hidden_group_size_y
      - .offset:         72
        .size:           2
        .value_kind:     hidden_group_size_z
      - .offset:         74
        .size:           2
        .value_kind:     hidden_remainder_x
      - .offset:         76
        .size:           2
        .value_kind:     hidden_remainder_y
      - .offset:         78
        .size:           2
        .value_kind:     hidden_remainder_z
      - .offset:         96
        .size:           8
        .value_kind:     hidden_global_offset_x
      - .offset:         104
        .size:           8
        .value_kind:     hidden_global_offset_y
      - .offset:         112
        .size:           8
        .value_kind:     hidden_global_offset_z
      - .offset:         120
        .size:           2
        .value_kind:     hidden_grid_dims
      - .offset:         176
        .size:           4
        .value_kind:     hidden_dynamic_lds_size
    .group_segment_fixed_size: 0
    .kernarg_segment_align: 8
    .kernarg_segment_size: 312
    .language:       OpenCL C
    .language_version:
      - 2
      - 0
    .max_flat_workgroup_size: 512
    .name:           _ZN9rocsolver6v33100L23getf2_npvt_small_kernelILi54EdiiPKPdEEvT1_T3_lS5_lPT2_S5_S5_
    .private_segment_fixed_size: 332
    .sgpr_count:     18
    .sgpr_spill_count: 0
    .symbol:         _ZN9rocsolver6v33100L23getf2_npvt_small_kernelILi54EdiiPKPdEEvT1_T3_lS5_lPT2_S5_S5_.kd
    .uniform_work_group_size: 1
    .uses_dynamic_stack: false
    .vgpr_count:     256
    .vgpr_spill_count: 82
    .wavefront_size: 32
    .workgroup_processor_mode: 1
  - .args:
      - .offset:         0
        .size:           4
        .value_kind:     by_value
      - .address_space:  global
        .offset:         8
        .size:           8
        .value_kind:     global_buffer
      - .offset:         16
        .size:           8
        .value_kind:     by_value
      - .offset:         24
        .size:           4
        .value_kind:     by_value
      - .offset:         32
        .size:           8
        .value_kind:     by_value
      - .address_space:  global
        .offset:         40
        .size:           8
        .value_kind:     global_buffer
      - .offset:         48
        .size:           8
        .value_kind:     by_value
      - .offset:         56
        .size:           8
        .value_kind:     by_value
      - .address_space:  global
        .offset:         64
        .size:           8
        .value_kind:     global_buffer
      - .offset:         72
        .size:           4
        .value_kind:     by_value
      - .offset:         76
        .size:           4
        .value_kind:     by_value
      - .address_space:  global
        .offset:         80
        .size:           8
        .value_kind:     global_buffer
      - .offset:         88
        .size:           8
        .value_kind:     by_value
      - .offset:         96
        .size:           4
        .value_kind:     hidden_block_count_x
      - .offset:         100
        .size:           4
        .value_kind:     hidden_block_count_y
      - .offset:         104
        .size:           4
        .value_kind:     hidden_block_count_z
      - .offset:         108
        .size:           2
        .value_kind:     hidden_group_size_x
      - .offset:         110
        .size:           2
        .value_kind:     hidden_group_size_y
      - .offset:         112
        .size:           2
        .value_kind:     hidden_group_size_z
      - .offset:         114
        .size:           2
        .value_kind:     hidden_remainder_x
      - .offset:         116
        .size:           2
        .value_kind:     hidden_remainder_y
      - .offset:         118
        .size:           2
        .value_kind:     hidden_remainder_z
      - .offset:         136
        .size:           8
        .value_kind:     hidden_global_offset_x
      - .offset:         144
        .size:           8
        .value_kind:     hidden_global_offset_y
      - .offset:         152
        .size:           8
        .value_kind:     hidden_global_offset_z
      - .offset:         160
        .size:           2
        .value_kind:     hidden_grid_dims
      - .offset:         216
        .size:           4
        .value_kind:     hidden_dynamic_lds_size
    .group_segment_fixed_size: 0
    .kernarg_segment_align: 8
    .kernarg_segment_size: 352
    .language:       OpenCL C
    .language_version:
      - 2
      - 0
    .max_flat_workgroup_size: 512
    .name:           _ZN9rocsolver6v33100L18getf2_small_kernelILi55EdiiPKPdEEvT1_T3_lS5_lPS5_llPT2_S5_S5_S7_l
    .private_segment_fixed_size: 0
    .sgpr_count:     16
    .sgpr_spill_count: 0
    .symbol:         _ZN9rocsolver6v33100L18getf2_small_kernelILi55EdiiPKPdEEvT1_T3_lS5_lPS5_llPT2_S5_S5_S7_l.kd
    .uniform_work_group_size: 1
    .uses_dynamic_stack: false
    .vgpr_count:     226
    .vgpr_spill_count: 0
    .wavefront_size: 32
    .workgroup_processor_mode: 1
  - .args:
      - .offset:         0
        .size:           4
        .value_kind:     by_value
      - .address_space:  global
        .offset:         8
        .size:           8
        .value_kind:     global_buffer
      - .offset:         16
        .size:           8
        .value_kind:     by_value
      - .offset:         24
        .size:           4
        .value_kind:     by_value
      - .offset:         32
        .size:           8
        .value_kind:     by_value
      - .address_space:  global
        .offset:         40
        .size:           8
        .value_kind:     global_buffer
      - .offset:         48
        .size:           4
        .value_kind:     by_value
      - .offset:         52
        .size:           4
        .value_kind:     by_value
      - .offset:         56
        .size:           4
        .value_kind:     hidden_block_count_x
      - .offset:         60
        .size:           4
        .value_kind:     hidden_block_count_y
      - .offset:         64
        .size:           4
        .value_kind:     hidden_block_count_z
      - .offset:         68
        .size:           2
        .value_kind:     hidden_group_size_x
      - .offset:         70
        .size:           2
        .value_kind:     hidden_group_size_y
      - .offset:         72
        .size:           2
        .value_kind:     hidden_group_size_z
      - .offset:         74
        .size:           2
        .value_kind:     hidden_remainder_x
      - .offset:         76
        .size:           2
        .value_kind:     hidden_remainder_y
      - .offset:         78
        .size:           2
        .value_kind:     hidden_remainder_z
      - .offset:         96
        .size:           8
        .value_kind:     hidden_global_offset_x
      - .offset:         104
        .size:           8
        .value_kind:     hidden_global_offset_y
      - .offset:         112
        .size:           8
        .value_kind:     hidden_global_offset_z
      - .offset:         120
        .size:           2
        .value_kind:     hidden_grid_dims
      - .offset:         176
        .size:           4
        .value_kind:     hidden_dynamic_lds_size
    .group_segment_fixed_size: 0
    .kernarg_segment_align: 8
    .kernarg_segment_size: 312
    .language:       OpenCL C
    .language_version:
      - 2
      - 0
    .max_flat_workgroup_size: 512
    .name:           _ZN9rocsolver6v33100L23getf2_npvt_small_kernelILi55EdiiPKPdEEvT1_T3_lS5_lPT2_S5_S5_
    .private_segment_fixed_size: 356
    .sgpr_count:     18
    .sgpr_spill_count: 0
    .symbol:         _ZN9rocsolver6v33100L23getf2_npvt_small_kernelILi55EdiiPKPdEEvT1_T3_lS5_lPT2_S5_S5_.kd
    .uniform_work_group_size: 1
    .uses_dynamic_stack: false
    .vgpr_count:     256
    .vgpr_spill_count: 88
    .wavefront_size: 32
    .workgroup_processor_mode: 1
  - .args:
      - .offset:         0
        .size:           4
        .value_kind:     by_value
      - .address_space:  global
        .offset:         8
        .size:           8
        .value_kind:     global_buffer
      - .offset:         16
        .size:           8
        .value_kind:     by_value
      - .offset:         24
        .size:           4
        .value_kind:     by_value
      - .offset:         32
        .size:           8
        .value_kind:     by_value
      - .address_space:  global
        .offset:         40
        .size:           8
        .value_kind:     global_buffer
      - .offset:         48
        .size:           8
        .value_kind:     by_value
      - .offset:         56
        .size:           8
        .value_kind:     by_value
      - .address_space:  global
        .offset:         64
        .size:           8
        .value_kind:     global_buffer
      - .offset:         72
        .size:           4
        .value_kind:     by_value
      - .offset:         76
        .size:           4
        .value_kind:     by_value
      - .address_space:  global
        .offset:         80
        .size:           8
        .value_kind:     global_buffer
      - .offset:         88
        .size:           8
        .value_kind:     by_value
      - .offset:         96
        .size:           4
        .value_kind:     hidden_block_count_x
      - .offset:         100
        .size:           4
        .value_kind:     hidden_block_count_y
      - .offset:         104
        .size:           4
        .value_kind:     hidden_block_count_z
      - .offset:         108
        .size:           2
        .value_kind:     hidden_group_size_x
      - .offset:         110
        .size:           2
        .value_kind:     hidden_group_size_y
      - .offset:         112
        .size:           2
        .value_kind:     hidden_group_size_z
      - .offset:         114
        .size:           2
        .value_kind:     hidden_remainder_x
      - .offset:         116
        .size:           2
        .value_kind:     hidden_remainder_y
      - .offset:         118
        .size:           2
        .value_kind:     hidden_remainder_z
      - .offset:         136
        .size:           8
        .value_kind:     hidden_global_offset_x
      - .offset:         144
        .size:           8
        .value_kind:     hidden_global_offset_y
      - .offset:         152
        .size:           8
        .value_kind:     hidden_global_offset_z
      - .offset:         160
        .size:           2
        .value_kind:     hidden_grid_dims
      - .offset:         216
        .size:           4
        .value_kind:     hidden_dynamic_lds_size
    .group_segment_fixed_size: 0
    .kernarg_segment_align: 8
    .kernarg_segment_size: 352
    .language:       OpenCL C
    .language_version:
      - 2
      - 0
    .max_flat_workgroup_size: 512
    .name:           _ZN9rocsolver6v33100L18getf2_small_kernelILi56EdiiPKPdEEvT1_T3_lS5_lPS5_llPT2_S5_S5_S7_l
    .private_segment_fixed_size: 0
    .sgpr_count:     16
    .sgpr_spill_count: 0
    .symbol:         _ZN9rocsolver6v33100L18getf2_small_kernelILi56EdiiPKPdEEvT1_T3_lS5_lPS5_llPT2_S5_S5_S7_l.kd
    .uniform_work_group_size: 1
    .uses_dynamic_stack: false
    .vgpr_count:     232
    .vgpr_spill_count: 0
    .wavefront_size: 32
    .workgroup_processor_mode: 1
  - .args:
      - .offset:         0
        .size:           4
        .value_kind:     by_value
      - .address_space:  global
        .offset:         8
        .size:           8
        .value_kind:     global_buffer
      - .offset:         16
        .size:           8
        .value_kind:     by_value
      - .offset:         24
        .size:           4
        .value_kind:     by_value
      - .offset:         32
        .size:           8
        .value_kind:     by_value
      - .address_space:  global
        .offset:         40
        .size:           8
        .value_kind:     global_buffer
      - .offset:         48
        .size:           4
        .value_kind:     by_value
      - .offset:         52
        .size:           4
        .value_kind:     by_value
      - .offset:         56
        .size:           4
        .value_kind:     hidden_block_count_x
      - .offset:         60
        .size:           4
        .value_kind:     hidden_block_count_y
      - .offset:         64
        .size:           4
        .value_kind:     hidden_block_count_z
      - .offset:         68
        .size:           2
        .value_kind:     hidden_group_size_x
      - .offset:         70
        .size:           2
        .value_kind:     hidden_group_size_y
      - .offset:         72
        .size:           2
        .value_kind:     hidden_group_size_z
      - .offset:         74
        .size:           2
        .value_kind:     hidden_remainder_x
      - .offset:         76
        .size:           2
        .value_kind:     hidden_remainder_y
      - .offset:         78
        .size:           2
        .value_kind:     hidden_remainder_z
      - .offset:         96
        .size:           8
        .value_kind:     hidden_global_offset_x
      - .offset:         104
        .size:           8
        .value_kind:     hidden_global_offset_y
      - .offset:         112
        .size:           8
        .value_kind:     hidden_global_offset_z
      - .offset:         120
        .size:           2
        .value_kind:     hidden_grid_dims
      - .offset:         176
        .size:           4
        .value_kind:     hidden_dynamic_lds_size
    .group_segment_fixed_size: 0
    .kernarg_segment_align: 8
    .kernarg_segment_size: 312
    .language:       OpenCL C
    .language_version:
      - 2
      - 0
    .max_flat_workgroup_size: 512
    .name:           _ZN9rocsolver6v33100L23getf2_npvt_small_kernelILi56EdiiPKPdEEvT1_T3_lS5_lPT2_S5_S5_
    .private_segment_fixed_size: 380
    .sgpr_count:     18
    .sgpr_spill_count: 0
    .symbol:         _ZN9rocsolver6v33100L23getf2_npvt_small_kernelILi56EdiiPKPdEEvT1_T3_lS5_lPT2_S5_S5_.kd
    .uniform_work_group_size: 1
    .uses_dynamic_stack: false
    .vgpr_count:     256
    .vgpr_spill_count: 94
    .wavefront_size: 32
    .workgroup_processor_mode: 1
  - .args:
      - .offset:         0
        .size:           4
        .value_kind:     by_value
      - .address_space:  global
        .offset:         8
        .size:           8
        .value_kind:     global_buffer
      - .offset:         16
        .size:           8
        .value_kind:     by_value
      - .offset:         24
        .size:           4
        .value_kind:     by_value
      - .offset:         32
        .size:           8
        .value_kind:     by_value
      - .address_space:  global
        .offset:         40
        .size:           8
        .value_kind:     global_buffer
      - .offset:         48
        .size:           8
        .value_kind:     by_value
      - .offset:         56
        .size:           8
        .value_kind:     by_value
      - .address_space:  global
        .offset:         64
        .size:           8
        .value_kind:     global_buffer
      - .offset:         72
        .size:           4
        .value_kind:     by_value
      - .offset:         76
        .size:           4
        .value_kind:     by_value
      - .address_space:  global
        .offset:         80
        .size:           8
        .value_kind:     global_buffer
      - .offset:         88
        .size:           8
        .value_kind:     by_value
      - .offset:         96
        .size:           4
        .value_kind:     hidden_block_count_x
      - .offset:         100
        .size:           4
        .value_kind:     hidden_block_count_y
      - .offset:         104
        .size:           4
        .value_kind:     hidden_block_count_z
      - .offset:         108
        .size:           2
        .value_kind:     hidden_group_size_x
      - .offset:         110
        .size:           2
        .value_kind:     hidden_group_size_y
      - .offset:         112
        .size:           2
        .value_kind:     hidden_group_size_z
      - .offset:         114
        .size:           2
        .value_kind:     hidden_remainder_x
      - .offset:         116
        .size:           2
        .value_kind:     hidden_remainder_y
      - .offset:         118
        .size:           2
        .value_kind:     hidden_remainder_z
      - .offset:         136
        .size:           8
        .value_kind:     hidden_global_offset_x
      - .offset:         144
        .size:           8
        .value_kind:     hidden_global_offset_y
      - .offset:         152
        .size:           8
        .value_kind:     hidden_global_offset_z
      - .offset:         160
        .size:           2
        .value_kind:     hidden_grid_dims
      - .offset:         216
        .size:           4
        .value_kind:     hidden_dynamic_lds_size
    .group_segment_fixed_size: 0
    .kernarg_segment_align: 8
    .kernarg_segment_size: 352
    .language:       OpenCL C
    .language_version:
      - 2
      - 0
    .max_flat_workgroup_size: 512
    .name:           _ZN9rocsolver6v33100L18getf2_small_kernelILi57EdiiPKPdEEvT1_T3_lS5_lPS5_llPT2_S5_S5_S7_l
    .private_segment_fixed_size: 0
    .sgpr_count:     16
    .sgpr_spill_count: 0
    .symbol:         _ZN9rocsolver6v33100L18getf2_small_kernelILi57EdiiPKPdEEvT1_T3_lS5_lPS5_llPT2_S5_S5_S7_l.kd
    .uniform_work_group_size: 1
    .uses_dynamic_stack: false
    .vgpr_count:     234
    .vgpr_spill_count: 0
    .wavefront_size: 32
    .workgroup_processor_mode: 1
  - .args:
      - .offset:         0
        .size:           4
        .value_kind:     by_value
      - .address_space:  global
        .offset:         8
        .size:           8
        .value_kind:     global_buffer
      - .offset:         16
        .size:           8
        .value_kind:     by_value
      - .offset:         24
        .size:           4
        .value_kind:     by_value
      - .offset:         32
        .size:           8
        .value_kind:     by_value
      - .address_space:  global
        .offset:         40
        .size:           8
        .value_kind:     global_buffer
      - .offset:         48
        .size:           4
        .value_kind:     by_value
      - .offset:         52
        .size:           4
        .value_kind:     by_value
      - .offset:         56
        .size:           4
        .value_kind:     hidden_block_count_x
      - .offset:         60
        .size:           4
        .value_kind:     hidden_block_count_y
      - .offset:         64
        .size:           4
        .value_kind:     hidden_block_count_z
      - .offset:         68
        .size:           2
        .value_kind:     hidden_group_size_x
      - .offset:         70
        .size:           2
        .value_kind:     hidden_group_size_y
      - .offset:         72
        .size:           2
        .value_kind:     hidden_group_size_z
      - .offset:         74
        .size:           2
        .value_kind:     hidden_remainder_x
      - .offset:         76
        .size:           2
        .value_kind:     hidden_remainder_y
      - .offset:         78
        .size:           2
        .value_kind:     hidden_remainder_z
      - .offset:         96
        .size:           8
        .value_kind:     hidden_global_offset_x
      - .offset:         104
        .size:           8
        .value_kind:     hidden_global_offset_y
      - .offset:         112
        .size:           8
        .value_kind:     hidden_global_offset_z
      - .offset:         120
        .size:           2
        .value_kind:     hidden_grid_dims
      - .offset:         176
        .size:           4
        .value_kind:     hidden_dynamic_lds_size
    .group_segment_fixed_size: 0
    .kernarg_segment_align: 8
    .kernarg_segment_size: 312
    .language:       OpenCL C
    .language_version:
      - 2
      - 0
    .max_flat_workgroup_size: 512
    .name:           _ZN9rocsolver6v33100L23getf2_npvt_small_kernelILi57EdiiPKPdEEvT1_T3_lS5_lPT2_S5_S5_
    .private_segment_fixed_size: 404
    .sgpr_count:     18
    .sgpr_spill_count: 0
    .symbol:         _ZN9rocsolver6v33100L23getf2_npvt_small_kernelILi57EdiiPKPdEEvT1_T3_lS5_lPT2_S5_S5_.kd
    .uniform_work_group_size: 1
    .uses_dynamic_stack: false
    .vgpr_count:     256
    .vgpr_spill_count: 100
    .wavefront_size: 32
    .workgroup_processor_mode: 1
  - .args:
      - .offset:         0
        .size:           4
        .value_kind:     by_value
      - .address_space:  global
        .offset:         8
        .size:           8
        .value_kind:     global_buffer
      - .offset:         16
        .size:           8
        .value_kind:     by_value
      - .offset:         24
        .size:           4
        .value_kind:     by_value
      - .offset:         32
        .size:           8
        .value_kind:     by_value
      - .address_space:  global
        .offset:         40
        .size:           8
        .value_kind:     global_buffer
      - .offset:         48
        .size:           8
        .value_kind:     by_value
      - .offset:         56
        .size:           8
        .value_kind:     by_value
      - .address_space:  global
        .offset:         64
        .size:           8
        .value_kind:     global_buffer
      - .offset:         72
        .size:           4
        .value_kind:     by_value
      - .offset:         76
        .size:           4
        .value_kind:     by_value
      - .address_space:  global
        .offset:         80
        .size:           8
        .value_kind:     global_buffer
      - .offset:         88
        .size:           8
        .value_kind:     by_value
      - .offset:         96
        .size:           4
        .value_kind:     hidden_block_count_x
      - .offset:         100
        .size:           4
        .value_kind:     hidden_block_count_y
      - .offset:         104
        .size:           4
        .value_kind:     hidden_block_count_z
      - .offset:         108
        .size:           2
        .value_kind:     hidden_group_size_x
      - .offset:         110
        .size:           2
        .value_kind:     hidden_group_size_y
      - .offset:         112
        .size:           2
        .value_kind:     hidden_group_size_z
      - .offset:         114
        .size:           2
        .value_kind:     hidden_remainder_x
      - .offset:         116
        .size:           2
        .value_kind:     hidden_remainder_y
      - .offset:         118
        .size:           2
        .value_kind:     hidden_remainder_z
      - .offset:         136
        .size:           8
        .value_kind:     hidden_global_offset_x
      - .offset:         144
        .size:           8
        .value_kind:     hidden_global_offset_y
      - .offset:         152
        .size:           8
        .value_kind:     hidden_global_offset_z
      - .offset:         160
        .size:           2
        .value_kind:     hidden_grid_dims
      - .offset:         216
        .size:           4
        .value_kind:     hidden_dynamic_lds_size
    .group_segment_fixed_size: 0
    .kernarg_segment_align: 8
    .kernarg_segment_size: 352
    .language:       OpenCL C
    .language_version:
      - 2
      - 0
    .max_flat_workgroup_size: 512
    .name:           _ZN9rocsolver6v33100L18getf2_small_kernelILi58EdiiPKPdEEvT1_T3_lS5_lPS5_llPT2_S5_S5_S7_l
    .private_segment_fixed_size: 0
    .sgpr_count:     16
    .sgpr_spill_count: 0
    .symbol:         _ZN9rocsolver6v33100L18getf2_small_kernelILi58EdiiPKPdEEvT1_T3_lS5_lPS5_llPT2_S5_S5_S7_l.kd
    .uniform_work_group_size: 1
    .uses_dynamic_stack: false
    .vgpr_count:     240
    .vgpr_spill_count: 0
    .wavefront_size: 32
    .workgroup_processor_mode: 1
  - .args:
      - .offset:         0
        .size:           4
        .value_kind:     by_value
      - .address_space:  global
        .offset:         8
        .size:           8
        .value_kind:     global_buffer
      - .offset:         16
        .size:           8
        .value_kind:     by_value
      - .offset:         24
        .size:           4
        .value_kind:     by_value
      - .offset:         32
        .size:           8
        .value_kind:     by_value
      - .address_space:  global
        .offset:         40
        .size:           8
        .value_kind:     global_buffer
      - .offset:         48
        .size:           4
        .value_kind:     by_value
      - .offset:         52
        .size:           4
        .value_kind:     by_value
      - .offset:         56
        .size:           4
        .value_kind:     hidden_block_count_x
      - .offset:         60
        .size:           4
        .value_kind:     hidden_block_count_y
      - .offset:         64
        .size:           4
        .value_kind:     hidden_block_count_z
      - .offset:         68
        .size:           2
        .value_kind:     hidden_group_size_x
      - .offset:         70
        .size:           2
        .value_kind:     hidden_group_size_y
      - .offset:         72
        .size:           2
        .value_kind:     hidden_group_size_z
      - .offset:         74
        .size:           2
        .value_kind:     hidden_remainder_x
      - .offset:         76
        .size:           2
        .value_kind:     hidden_remainder_y
      - .offset:         78
        .size:           2
        .value_kind:     hidden_remainder_z
      - .offset:         96
        .size:           8
        .value_kind:     hidden_global_offset_x
      - .offset:         104
        .size:           8
        .value_kind:     hidden_global_offset_y
      - .offset:         112
        .size:           8
        .value_kind:     hidden_global_offset_z
      - .offset:         120
        .size:           2
        .value_kind:     hidden_grid_dims
      - .offset:         176
        .size:           4
        .value_kind:     hidden_dynamic_lds_size
    .group_segment_fixed_size: 0
    .kernarg_segment_align: 8
    .kernarg_segment_size: 312
    .language:       OpenCL C
    .language_version:
      - 2
      - 0
    .max_flat_workgroup_size: 512
    .name:           _ZN9rocsolver6v33100L23getf2_npvt_small_kernelILi58EdiiPKPdEEvT1_T3_lS5_lPT2_S5_S5_
    .private_segment_fixed_size: 428
    .sgpr_count:     18
    .sgpr_spill_count: 0
    .symbol:         _ZN9rocsolver6v33100L23getf2_npvt_small_kernelILi58EdiiPKPdEEvT1_T3_lS5_lPT2_S5_S5_.kd
    .uniform_work_group_size: 1
    .uses_dynamic_stack: false
    .vgpr_count:     256
    .vgpr_spill_count: 106
    .wavefront_size: 32
    .workgroup_processor_mode: 1
  - .args:
      - .offset:         0
        .size:           4
        .value_kind:     by_value
      - .address_space:  global
        .offset:         8
        .size:           8
        .value_kind:     global_buffer
      - .offset:         16
        .size:           8
        .value_kind:     by_value
      - .offset:         24
        .size:           4
        .value_kind:     by_value
      - .offset:         32
        .size:           8
        .value_kind:     by_value
      - .address_space:  global
        .offset:         40
        .size:           8
        .value_kind:     global_buffer
      - .offset:         48
        .size:           8
        .value_kind:     by_value
      - .offset:         56
        .size:           8
        .value_kind:     by_value
      - .address_space:  global
        .offset:         64
        .size:           8
        .value_kind:     global_buffer
      - .offset:         72
        .size:           4
        .value_kind:     by_value
      - .offset:         76
        .size:           4
        .value_kind:     by_value
      - .address_space:  global
        .offset:         80
        .size:           8
        .value_kind:     global_buffer
      - .offset:         88
        .size:           8
        .value_kind:     by_value
      - .offset:         96
        .size:           4
        .value_kind:     hidden_block_count_x
      - .offset:         100
        .size:           4
        .value_kind:     hidden_block_count_y
      - .offset:         104
        .size:           4
        .value_kind:     hidden_block_count_z
      - .offset:         108
        .size:           2
        .value_kind:     hidden_group_size_x
      - .offset:         110
        .size:           2
        .value_kind:     hidden_group_size_y
      - .offset:         112
        .size:           2
        .value_kind:     hidden_group_size_z
      - .offset:         114
        .size:           2
        .value_kind:     hidden_remainder_x
      - .offset:         116
        .size:           2
        .value_kind:     hidden_remainder_y
      - .offset:         118
        .size:           2
        .value_kind:     hidden_remainder_z
      - .offset:         136
        .size:           8
        .value_kind:     hidden_global_offset_x
      - .offset:         144
        .size:           8
        .value_kind:     hidden_global_offset_y
      - .offset:         152
        .size:           8
        .value_kind:     hidden_global_offset_z
      - .offset:         160
        .size:           2
        .value_kind:     hidden_grid_dims
      - .offset:         216
        .size:           4
        .value_kind:     hidden_dynamic_lds_size
    .group_segment_fixed_size: 0
    .kernarg_segment_align: 8
    .kernarg_segment_size: 352
    .language:       OpenCL C
    .language_version:
      - 2
      - 0
    .max_flat_workgroup_size: 512
    .name:           _ZN9rocsolver6v33100L18getf2_small_kernelILi59EdiiPKPdEEvT1_T3_lS5_lPS5_llPT2_S5_S5_S7_l
    .private_segment_fixed_size: 0
    .sgpr_count:     16
    .sgpr_spill_count: 0
    .symbol:         _ZN9rocsolver6v33100L18getf2_small_kernelILi59EdiiPKPdEEvT1_T3_lS5_lPS5_llPT2_S5_S5_S7_l.kd
    .uniform_work_group_size: 1
    .uses_dynamic_stack: false
    .vgpr_count:     242
    .vgpr_spill_count: 0
    .wavefront_size: 32
    .workgroup_processor_mode: 1
  - .args:
      - .offset:         0
        .size:           4
        .value_kind:     by_value
      - .address_space:  global
        .offset:         8
        .size:           8
        .value_kind:     global_buffer
      - .offset:         16
        .size:           8
        .value_kind:     by_value
      - .offset:         24
        .size:           4
        .value_kind:     by_value
      - .offset:         32
        .size:           8
        .value_kind:     by_value
      - .address_space:  global
        .offset:         40
        .size:           8
        .value_kind:     global_buffer
      - .offset:         48
        .size:           4
        .value_kind:     by_value
      - .offset:         52
        .size:           4
        .value_kind:     by_value
      - .offset:         56
        .size:           4
        .value_kind:     hidden_block_count_x
      - .offset:         60
        .size:           4
        .value_kind:     hidden_block_count_y
      - .offset:         64
        .size:           4
        .value_kind:     hidden_block_count_z
      - .offset:         68
        .size:           2
        .value_kind:     hidden_group_size_x
      - .offset:         70
        .size:           2
        .value_kind:     hidden_group_size_y
      - .offset:         72
        .size:           2
        .value_kind:     hidden_group_size_z
      - .offset:         74
        .size:           2
        .value_kind:     hidden_remainder_x
      - .offset:         76
        .size:           2
        .value_kind:     hidden_remainder_y
      - .offset:         78
        .size:           2
        .value_kind:     hidden_remainder_z
      - .offset:         96
        .size:           8
        .value_kind:     hidden_global_offset_x
      - .offset:         104
        .size:           8
        .value_kind:     hidden_global_offset_y
      - .offset:         112
        .size:           8
        .value_kind:     hidden_global_offset_z
      - .offset:         120
        .size:           2
        .value_kind:     hidden_grid_dims
      - .offset:         176
        .size:           4
        .value_kind:     hidden_dynamic_lds_size
    .group_segment_fixed_size: 0
    .kernarg_segment_align: 8
    .kernarg_segment_size: 312
    .language:       OpenCL C
    .language_version:
      - 2
      - 0
    .max_flat_workgroup_size: 512
    .name:           _ZN9rocsolver6v33100L23getf2_npvt_small_kernelILi59EdiiPKPdEEvT1_T3_lS5_lPT2_S5_S5_
    .private_segment_fixed_size: 452
    .sgpr_count:     18
    .sgpr_spill_count: 0
    .symbol:         _ZN9rocsolver6v33100L23getf2_npvt_small_kernelILi59EdiiPKPdEEvT1_T3_lS5_lPT2_S5_S5_.kd
    .uniform_work_group_size: 1
    .uses_dynamic_stack: false
    .vgpr_count:     256
    .vgpr_spill_count: 112
    .wavefront_size: 32
    .workgroup_processor_mode: 1
  - .args:
      - .offset:         0
        .size:           4
        .value_kind:     by_value
      - .address_space:  global
        .offset:         8
        .size:           8
        .value_kind:     global_buffer
      - .offset:         16
        .size:           8
        .value_kind:     by_value
      - .offset:         24
        .size:           4
        .value_kind:     by_value
      - .offset:         32
        .size:           8
        .value_kind:     by_value
      - .address_space:  global
        .offset:         40
        .size:           8
        .value_kind:     global_buffer
      - .offset:         48
        .size:           8
        .value_kind:     by_value
      - .offset:         56
        .size:           8
        .value_kind:     by_value
      - .address_space:  global
        .offset:         64
        .size:           8
        .value_kind:     global_buffer
      - .offset:         72
        .size:           4
        .value_kind:     by_value
      - .offset:         76
        .size:           4
        .value_kind:     by_value
      - .address_space:  global
        .offset:         80
        .size:           8
        .value_kind:     global_buffer
      - .offset:         88
        .size:           8
        .value_kind:     by_value
      - .offset:         96
        .size:           4
        .value_kind:     hidden_block_count_x
      - .offset:         100
        .size:           4
        .value_kind:     hidden_block_count_y
      - .offset:         104
        .size:           4
        .value_kind:     hidden_block_count_z
      - .offset:         108
        .size:           2
        .value_kind:     hidden_group_size_x
      - .offset:         110
        .size:           2
        .value_kind:     hidden_group_size_y
      - .offset:         112
        .size:           2
        .value_kind:     hidden_group_size_z
      - .offset:         114
        .size:           2
        .value_kind:     hidden_remainder_x
      - .offset:         116
        .size:           2
        .value_kind:     hidden_remainder_y
      - .offset:         118
        .size:           2
        .value_kind:     hidden_remainder_z
      - .offset:         136
        .size:           8
        .value_kind:     hidden_global_offset_x
      - .offset:         144
        .size:           8
        .value_kind:     hidden_global_offset_y
      - .offset:         152
        .size:           8
        .value_kind:     hidden_global_offset_z
      - .offset:         160
        .size:           2
        .value_kind:     hidden_grid_dims
      - .offset:         216
        .size:           4
        .value_kind:     hidden_dynamic_lds_size
    .group_segment_fixed_size: 0
    .kernarg_segment_align: 8
    .kernarg_segment_size: 352
    .language:       OpenCL C
    .language_version:
      - 2
      - 0
    .max_flat_workgroup_size: 512
    .name:           _ZN9rocsolver6v33100L18getf2_small_kernelILi60EdiiPKPdEEvT1_T3_lS5_lPS5_llPT2_S5_S5_S7_l
    .private_segment_fixed_size: 0
    .sgpr_count:     16
    .sgpr_spill_count: 0
    .symbol:         _ZN9rocsolver6v33100L18getf2_small_kernelILi60EdiiPKPdEEvT1_T3_lS5_lPS5_llPT2_S5_S5_S7_l.kd
    .uniform_work_group_size: 1
    .uses_dynamic_stack: false
    .vgpr_count:     248
    .vgpr_spill_count: 0
    .wavefront_size: 32
    .workgroup_processor_mode: 1
  - .args:
      - .offset:         0
        .size:           4
        .value_kind:     by_value
      - .address_space:  global
        .offset:         8
        .size:           8
        .value_kind:     global_buffer
      - .offset:         16
        .size:           8
        .value_kind:     by_value
      - .offset:         24
        .size:           4
        .value_kind:     by_value
      - .offset:         32
        .size:           8
        .value_kind:     by_value
      - .address_space:  global
        .offset:         40
        .size:           8
        .value_kind:     global_buffer
      - .offset:         48
        .size:           4
        .value_kind:     by_value
      - .offset:         52
        .size:           4
        .value_kind:     by_value
      - .offset:         56
        .size:           4
        .value_kind:     hidden_block_count_x
      - .offset:         60
        .size:           4
        .value_kind:     hidden_block_count_y
      - .offset:         64
        .size:           4
        .value_kind:     hidden_block_count_z
      - .offset:         68
        .size:           2
        .value_kind:     hidden_group_size_x
      - .offset:         70
        .size:           2
        .value_kind:     hidden_group_size_y
      - .offset:         72
        .size:           2
        .value_kind:     hidden_group_size_z
      - .offset:         74
        .size:           2
        .value_kind:     hidden_remainder_x
      - .offset:         76
        .size:           2
        .value_kind:     hidden_remainder_y
      - .offset:         78
        .size:           2
        .value_kind:     hidden_remainder_z
      - .offset:         96
        .size:           8
        .value_kind:     hidden_global_offset_x
      - .offset:         104
        .size:           8
        .value_kind:     hidden_global_offset_y
      - .offset:         112
        .size:           8
        .value_kind:     hidden_global_offset_z
      - .offset:         120
        .size:           2
        .value_kind:     hidden_grid_dims
      - .offset:         176
        .size:           4
        .value_kind:     hidden_dynamic_lds_size
    .group_segment_fixed_size: 0
    .kernarg_segment_align: 8
    .kernarg_segment_size: 312
    .language:       OpenCL C
    .language_version:
      - 2
      - 0
    .max_flat_workgroup_size: 512
    .name:           _ZN9rocsolver6v33100L23getf2_npvt_small_kernelILi60EdiiPKPdEEvT1_T3_lS5_lPT2_S5_S5_
    .private_segment_fixed_size: 484
    .sgpr_count:     18
    .sgpr_spill_count: 0
    .symbol:         _ZN9rocsolver6v33100L23getf2_npvt_small_kernelILi60EdiiPKPdEEvT1_T3_lS5_lPT2_S5_S5_.kd
    .uniform_work_group_size: 1
    .uses_dynamic_stack: false
    .vgpr_count:     256
    .vgpr_spill_count: 120
    .wavefront_size: 32
    .workgroup_processor_mode: 1
  - .args:
      - .offset:         0
        .size:           4
        .value_kind:     by_value
      - .address_space:  global
        .offset:         8
        .size:           8
        .value_kind:     global_buffer
      - .offset:         16
        .size:           8
        .value_kind:     by_value
      - .offset:         24
        .size:           4
        .value_kind:     by_value
      - .offset:         32
        .size:           8
        .value_kind:     by_value
      - .address_space:  global
        .offset:         40
        .size:           8
        .value_kind:     global_buffer
      - .offset:         48
        .size:           8
        .value_kind:     by_value
      - .offset:         56
        .size:           8
        .value_kind:     by_value
      - .address_space:  global
        .offset:         64
        .size:           8
        .value_kind:     global_buffer
      - .offset:         72
        .size:           4
        .value_kind:     by_value
      - .offset:         76
        .size:           4
        .value_kind:     by_value
      - .address_space:  global
        .offset:         80
        .size:           8
        .value_kind:     global_buffer
      - .offset:         88
        .size:           8
        .value_kind:     by_value
      - .offset:         96
        .size:           4
        .value_kind:     hidden_block_count_x
      - .offset:         100
        .size:           4
        .value_kind:     hidden_block_count_y
      - .offset:         104
        .size:           4
        .value_kind:     hidden_block_count_z
      - .offset:         108
        .size:           2
        .value_kind:     hidden_group_size_x
      - .offset:         110
        .size:           2
        .value_kind:     hidden_group_size_y
      - .offset:         112
        .size:           2
        .value_kind:     hidden_group_size_z
      - .offset:         114
        .size:           2
        .value_kind:     hidden_remainder_x
      - .offset:         116
        .size:           2
        .value_kind:     hidden_remainder_y
      - .offset:         118
        .size:           2
        .value_kind:     hidden_remainder_z
      - .offset:         136
        .size:           8
        .value_kind:     hidden_global_offset_x
      - .offset:         144
        .size:           8
        .value_kind:     hidden_global_offset_y
      - .offset:         152
        .size:           8
        .value_kind:     hidden_global_offset_z
      - .offset:         160
        .size:           2
        .value_kind:     hidden_grid_dims
      - .offset:         216
        .size:           4
        .value_kind:     hidden_dynamic_lds_size
    .group_segment_fixed_size: 0
    .kernarg_segment_align: 8
    .kernarg_segment_size: 352
    .language:       OpenCL C
    .language_version:
      - 2
      - 0
    .max_flat_workgroup_size: 512
    .name:           _ZN9rocsolver6v33100L18getf2_small_kernelILi61EdiiPKPdEEvT1_T3_lS5_lPS5_llPT2_S5_S5_S7_l
    .private_segment_fixed_size: 0
    .sgpr_count:     16
    .sgpr_spill_count: 0
    .symbol:         _ZN9rocsolver6v33100L18getf2_small_kernelILi61EdiiPKPdEEvT1_T3_lS5_lPS5_llPT2_S5_S5_S7_l.kd
    .uniform_work_group_size: 1
    .uses_dynamic_stack: false
    .vgpr_count:     250
    .vgpr_spill_count: 0
    .wavefront_size: 32
    .workgroup_processor_mode: 1
  - .args:
      - .offset:         0
        .size:           4
        .value_kind:     by_value
      - .address_space:  global
        .offset:         8
        .size:           8
        .value_kind:     global_buffer
      - .offset:         16
        .size:           8
        .value_kind:     by_value
      - .offset:         24
        .size:           4
        .value_kind:     by_value
      - .offset:         32
        .size:           8
        .value_kind:     by_value
      - .address_space:  global
        .offset:         40
        .size:           8
        .value_kind:     global_buffer
      - .offset:         48
        .size:           4
        .value_kind:     by_value
      - .offset:         52
        .size:           4
        .value_kind:     by_value
      - .offset:         56
        .size:           4
        .value_kind:     hidden_block_count_x
      - .offset:         60
        .size:           4
        .value_kind:     hidden_block_count_y
      - .offset:         64
        .size:           4
        .value_kind:     hidden_block_count_z
      - .offset:         68
        .size:           2
        .value_kind:     hidden_group_size_x
      - .offset:         70
        .size:           2
        .value_kind:     hidden_group_size_y
      - .offset:         72
        .size:           2
        .value_kind:     hidden_group_size_z
      - .offset:         74
        .size:           2
        .value_kind:     hidden_remainder_x
      - .offset:         76
        .size:           2
        .value_kind:     hidden_remainder_y
      - .offset:         78
        .size:           2
        .value_kind:     hidden_remainder_z
      - .offset:         96
        .size:           8
        .value_kind:     hidden_global_offset_x
      - .offset:         104
        .size:           8
        .value_kind:     hidden_global_offset_y
      - .offset:         112
        .size:           8
        .value_kind:     hidden_global_offset_z
      - .offset:         120
        .size:           2
        .value_kind:     hidden_grid_dims
      - .offset:         176
        .size:           4
        .value_kind:     hidden_dynamic_lds_size
    .group_segment_fixed_size: 0
    .kernarg_segment_align: 8
    .kernarg_segment_size: 312
    .language:       OpenCL C
    .language_version:
      - 2
      - 0
    .max_flat_workgroup_size: 512
    .name:           _ZN9rocsolver6v33100L23getf2_npvt_small_kernelILi61EdiiPKPdEEvT1_T3_lS5_lPT2_S5_S5_
    .private_segment_fixed_size: 508
    .sgpr_count:     18
    .sgpr_spill_count: 0
    .symbol:         _ZN9rocsolver6v33100L23getf2_npvt_small_kernelILi61EdiiPKPdEEvT1_T3_lS5_lPT2_S5_S5_.kd
    .uniform_work_group_size: 1
    .uses_dynamic_stack: false
    .vgpr_count:     256
    .vgpr_spill_count: 126
    .wavefront_size: 32
    .workgroup_processor_mode: 1
  - .args:
      - .offset:         0
        .size:           4
        .value_kind:     by_value
      - .address_space:  global
        .offset:         8
        .size:           8
        .value_kind:     global_buffer
      - .offset:         16
        .size:           8
        .value_kind:     by_value
      - .offset:         24
        .size:           4
        .value_kind:     by_value
      - .offset:         32
        .size:           8
        .value_kind:     by_value
      - .address_space:  global
        .offset:         40
        .size:           8
        .value_kind:     global_buffer
      - .offset:         48
        .size:           8
        .value_kind:     by_value
      - .offset:         56
        .size:           8
        .value_kind:     by_value
      - .address_space:  global
        .offset:         64
        .size:           8
        .value_kind:     global_buffer
      - .offset:         72
        .size:           4
        .value_kind:     by_value
      - .offset:         76
        .size:           4
        .value_kind:     by_value
      - .address_space:  global
        .offset:         80
        .size:           8
        .value_kind:     global_buffer
      - .offset:         88
        .size:           8
        .value_kind:     by_value
      - .offset:         96
        .size:           4
        .value_kind:     hidden_block_count_x
      - .offset:         100
        .size:           4
        .value_kind:     hidden_block_count_y
      - .offset:         104
        .size:           4
        .value_kind:     hidden_block_count_z
      - .offset:         108
        .size:           2
        .value_kind:     hidden_group_size_x
      - .offset:         110
        .size:           2
        .value_kind:     hidden_group_size_y
      - .offset:         112
        .size:           2
        .value_kind:     hidden_group_size_z
      - .offset:         114
        .size:           2
        .value_kind:     hidden_remainder_x
      - .offset:         116
        .size:           2
        .value_kind:     hidden_remainder_y
      - .offset:         118
        .size:           2
        .value_kind:     hidden_remainder_z
      - .offset:         136
        .size:           8
        .value_kind:     hidden_global_offset_x
      - .offset:         144
        .size:           8
        .value_kind:     hidden_global_offset_y
      - .offset:         152
        .size:           8
        .value_kind:     hidden_global_offset_z
      - .offset:         160
        .size:           2
        .value_kind:     hidden_grid_dims
      - .offset:         216
        .size:           4
        .value_kind:     hidden_dynamic_lds_size
    .group_segment_fixed_size: 0
    .kernarg_segment_align: 8
    .kernarg_segment_size: 352
    .language:       OpenCL C
    .language_version:
      - 2
      - 0
    .max_flat_workgroup_size: 512
    .name:           _ZN9rocsolver6v33100L18getf2_small_kernelILi62EdiiPKPdEEvT1_T3_lS5_lPS5_llPT2_S5_S5_S7_l
    .private_segment_fixed_size: 0
    .sgpr_count:     16
    .sgpr_spill_count: 0
    .symbol:         _ZN9rocsolver6v33100L18getf2_small_kernelILi62EdiiPKPdEEvT1_T3_lS5_lPS5_llPT2_S5_S5_S7_l.kd
    .uniform_work_group_size: 1
    .uses_dynamic_stack: false
    .vgpr_count:     256
    .vgpr_spill_count: 0
    .wavefront_size: 32
    .workgroup_processor_mode: 1
  - .args:
      - .offset:         0
        .size:           4
        .value_kind:     by_value
      - .address_space:  global
        .offset:         8
        .size:           8
        .value_kind:     global_buffer
      - .offset:         16
        .size:           8
        .value_kind:     by_value
      - .offset:         24
        .size:           4
        .value_kind:     by_value
      - .offset:         32
        .size:           8
        .value_kind:     by_value
      - .address_space:  global
        .offset:         40
        .size:           8
        .value_kind:     global_buffer
      - .offset:         48
        .size:           4
        .value_kind:     by_value
      - .offset:         52
        .size:           4
        .value_kind:     by_value
      - .offset:         56
        .size:           4
        .value_kind:     hidden_block_count_x
      - .offset:         60
        .size:           4
        .value_kind:     hidden_block_count_y
      - .offset:         64
        .size:           4
        .value_kind:     hidden_block_count_z
      - .offset:         68
        .size:           2
        .value_kind:     hidden_group_size_x
      - .offset:         70
        .size:           2
        .value_kind:     hidden_group_size_y
      - .offset:         72
        .size:           2
        .value_kind:     hidden_group_size_z
      - .offset:         74
        .size:           2
        .value_kind:     hidden_remainder_x
      - .offset:         76
        .size:           2
        .value_kind:     hidden_remainder_y
      - .offset:         78
        .size:           2
        .value_kind:     hidden_remainder_z
      - .offset:         96
        .size:           8
        .value_kind:     hidden_global_offset_x
      - .offset:         104
        .size:           8
        .value_kind:     hidden_global_offset_y
      - .offset:         112
        .size:           8
        .value_kind:     hidden_global_offset_z
      - .offset:         120
        .size:           2
        .value_kind:     hidden_grid_dims
      - .offset:         176
        .size:           4
        .value_kind:     hidden_dynamic_lds_size
    .group_segment_fixed_size: 0
    .kernarg_segment_align: 8
    .kernarg_segment_size: 312
    .language:       OpenCL C
    .language_version:
      - 2
      - 0
    .max_flat_workgroup_size: 512
    .name:           _ZN9rocsolver6v33100L23getf2_npvt_small_kernelILi62EdiiPKPdEEvT1_T3_lS5_lPT2_S5_S5_
    .private_segment_fixed_size: 532
    .sgpr_count:     18
    .sgpr_spill_count: 0
    .symbol:         _ZN9rocsolver6v33100L23getf2_npvt_small_kernelILi62EdiiPKPdEEvT1_T3_lS5_lPT2_S5_S5_.kd
    .uniform_work_group_size: 1
    .uses_dynamic_stack: false
    .vgpr_count:     256
    .vgpr_spill_count: 132
    .wavefront_size: 32
    .workgroup_processor_mode: 1
  - .args:
      - .offset:         0
        .size:           4
        .value_kind:     by_value
      - .address_space:  global
        .offset:         8
        .size:           8
        .value_kind:     global_buffer
      - .offset:         16
        .size:           8
        .value_kind:     by_value
      - .offset:         24
        .size:           4
        .value_kind:     by_value
      - .offset:         32
        .size:           8
        .value_kind:     by_value
      - .address_space:  global
        .offset:         40
        .size:           8
        .value_kind:     global_buffer
      - .offset:         48
        .size:           8
        .value_kind:     by_value
      - .offset:         56
        .size:           8
        .value_kind:     by_value
      - .address_space:  global
        .offset:         64
        .size:           8
        .value_kind:     global_buffer
      - .offset:         72
        .size:           4
        .value_kind:     by_value
      - .offset:         76
        .size:           4
        .value_kind:     by_value
      - .address_space:  global
        .offset:         80
        .size:           8
        .value_kind:     global_buffer
      - .offset:         88
        .size:           8
        .value_kind:     by_value
      - .offset:         96
        .size:           4
        .value_kind:     hidden_block_count_x
      - .offset:         100
        .size:           4
        .value_kind:     hidden_block_count_y
      - .offset:         104
        .size:           4
        .value_kind:     hidden_block_count_z
      - .offset:         108
        .size:           2
        .value_kind:     hidden_group_size_x
      - .offset:         110
        .size:           2
        .value_kind:     hidden_group_size_y
      - .offset:         112
        .size:           2
        .value_kind:     hidden_group_size_z
      - .offset:         114
        .size:           2
        .value_kind:     hidden_remainder_x
      - .offset:         116
        .size:           2
        .value_kind:     hidden_remainder_y
      - .offset:         118
        .size:           2
        .value_kind:     hidden_remainder_z
      - .offset:         136
        .size:           8
        .value_kind:     hidden_global_offset_x
      - .offset:         144
        .size:           8
        .value_kind:     hidden_global_offset_y
      - .offset:         152
        .size:           8
        .value_kind:     hidden_global_offset_z
      - .offset:         160
        .size:           2
        .value_kind:     hidden_grid_dims
      - .offset:         216
        .size:           4
        .value_kind:     hidden_dynamic_lds_size
    .group_segment_fixed_size: 0
    .kernarg_segment_align: 8
    .kernarg_segment_size: 352
    .language:       OpenCL C
    .language_version:
      - 2
      - 0
    .max_flat_workgroup_size: 512
    .name:           _ZN9rocsolver6v33100L18getf2_small_kernelILi63EdiiPKPdEEvT1_T3_lS5_lPS5_llPT2_S5_S5_S7_l
    .private_segment_fixed_size: 0
    .sgpr_count:     16
    .sgpr_spill_count: 0
    .symbol:         _ZN9rocsolver6v33100L18getf2_small_kernelILi63EdiiPKPdEEvT1_T3_lS5_lPS5_llPT2_S5_S5_S7_l.kd
    .uniform_work_group_size: 1
    .uses_dynamic_stack: false
    .vgpr_count:     198
    .vgpr_spill_count: 0
    .wavefront_size: 32
    .workgroup_processor_mode: 1
  - .args:
      - .offset:         0
        .size:           4
        .value_kind:     by_value
      - .address_space:  global
        .offset:         8
        .size:           8
        .value_kind:     global_buffer
      - .offset:         16
        .size:           8
        .value_kind:     by_value
      - .offset:         24
        .size:           4
        .value_kind:     by_value
      - .offset:         32
        .size:           8
        .value_kind:     by_value
      - .address_space:  global
        .offset:         40
        .size:           8
        .value_kind:     global_buffer
      - .offset:         48
        .size:           4
        .value_kind:     by_value
      - .offset:         52
        .size:           4
        .value_kind:     by_value
      - .offset:         56
        .size:           4
        .value_kind:     hidden_block_count_x
      - .offset:         60
        .size:           4
        .value_kind:     hidden_block_count_y
      - .offset:         64
        .size:           4
        .value_kind:     hidden_block_count_z
      - .offset:         68
        .size:           2
        .value_kind:     hidden_group_size_x
      - .offset:         70
        .size:           2
        .value_kind:     hidden_group_size_y
      - .offset:         72
        .size:           2
        .value_kind:     hidden_group_size_z
      - .offset:         74
        .size:           2
        .value_kind:     hidden_remainder_x
      - .offset:         76
        .size:           2
        .value_kind:     hidden_remainder_y
      - .offset:         78
        .size:           2
        .value_kind:     hidden_remainder_z
      - .offset:         96
        .size:           8
        .value_kind:     hidden_global_offset_x
      - .offset:         104
        .size:           8
        .value_kind:     hidden_global_offset_y
      - .offset:         112
        .size:           8
        .value_kind:     hidden_global_offset_z
      - .offset:         120
        .size:           2
        .value_kind:     hidden_grid_dims
      - .offset:         176
        .size:           4
        .value_kind:     hidden_dynamic_lds_size
    .group_segment_fixed_size: 0
    .kernarg_segment_align: 8
    .kernarg_segment_size: 312
    .language:       OpenCL C
    .language_version:
      - 2
      - 0
    .max_flat_workgroup_size: 512
    .name:           _ZN9rocsolver6v33100L23getf2_npvt_small_kernelILi63EdiiPKPdEEvT1_T3_lS5_lPT2_S5_S5_
    .private_segment_fixed_size: 556
    .sgpr_count:     18
    .sgpr_spill_count: 0
    .symbol:         _ZN9rocsolver6v33100L23getf2_npvt_small_kernelILi63EdiiPKPdEEvT1_T3_lS5_lPT2_S5_S5_.kd
    .uniform_work_group_size: 1
    .uses_dynamic_stack: false
    .vgpr_count:     256
    .vgpr_spill_count: 138
    .wavefront_size: 32
    .workgroup_processor_mode: 1
  - .args:
      - .offset:         0
        .size:           4
        .value_kind:     by_value
      - .address_space:  global
        .offset:         8
        .size:           8
        .value_kind:     global_buffer
      - .offset:         16
        .size:           8
        .value_kind:     by_value
      - .offset:         24
        .size:           4
        .value_kind:     by_value
      - .offset:         32
        .size:           8
        .value_kind:     by_value
      - .address_space:  global
        .offset:         40
        .size:           8
        .value_kind:     global_buffer
      - .offset:         48
        .size:           8
        .value_kind:     by_value
      - .offset:         56
        .size:           8
        .value_kind:     by_value
      - .address_space:  global
        .offset:         64
        .size:           8
        .value_kind:     global_buffer
      - .offset:         72
        .size:           4
        .value_kind:     by_value
      - .offset:         76
        .size:           4
        .value_kind:     by_value
      - .address_space:  global
        .offset:         80
        .size:           8
        .value_kind:     global_buffer
      - .offset:         88
        .size:           8
        .value_kind:     by_value
      - .offset:         96
        .size:           4
        .value_kind:     hidden_block_count_x
      - .offset:         100
        .size:           4
        .value_kind:     hidden_block_count_y
      - .offset:         104
        .size:           4
        .value_kind:     hidden_block_count_z
      - .offset:         108
        .size:           2
        .value_kind:     hidden_group_size_x
      - .offset:         110
        .size:           2
        .value_kind:     hidden_group_size_y
      - .offset:         112
        .size:           2
        .value_kind:     hidden_group_size_z
      - .offset:         114
        .size:           2
        .value_kind:     hidden_remainder_x
      - .offset:         116
        .size:           2
        .value_kind:     hidden_remainder_y
      - .offset:         118
        .size:           2
        .value_kind:     hidden_remainder_z
      - .offset:         136
        .size:           8
        .value_kind:     hidden_global_offset_x
      - .offset:         144
        .size:           8
        .value_kind:     hidden_global_offset_y
      - .offset:         152
        .size:           8
        .value_kind:     hidden_global_offset_z
      - .offset:         160
        .size:           2
        .value_kind:     hidden_grid_dims
      - .offset:         216
        .size:           4
        .value_kind:     hidden_dynamic_lds_size
    .group_segment_fixed_size: 0
    .kernarg_segment_align: 8
    .kernarg_segment_size: 352
    .language:       OpenCL C
    .language_version:
      - 2
      - 0
    .max_flat_workgroup_size: 512
    .name:           _ZN9rocsolver6v33100L18getf2_small_kernelILi64EdiiPKPdEEvT1_T3_lS5_lPS5_llPT2_S5_S5_S7_l
    .private_segment_fixed_size: 0
    .sgpr_count:     16
    .sgpr_spill_count: 0
    .symbol:         _ZN9rocsolver6v33100L18getf2_small_kernelILi64EdiiPKPdEEvT1_T3_lS5_lPS5_llPT2_S5_S5_S7_l.kd
    .uniform_work_group_size: 1
    .uses_dynamic_stack: false
    .vgpr_count:     200
    .vgpr_spill_count: 0
    .wavefront_size: 32
    .workgroup_processor_mode: 1
  - .args:
      - .offset:         0
        .size:           4
        .value_kind:     by_value
      - .address_space:  global
        .offset:         8
        .size:           8
        .value_kind:     global_buffer
      - .offset:         16
        .size:           8
        .value_kind:     by_value
      - .offset:         24
        .size:           4
        .value_kind:     by_value
      - .offset:         32
        .size:           8
        .value_kind:     by_value
      - .address_space:  global
        .offset:         40
        .size:           8
        .value_kind:     global_buffer
      - .offset:         48
        .size:           4
        .value_kind:     by_value
      - .offset:         52
        .size:           4
        .value_kind:     by_value
      - .offset:         56
        .size:           4
        .value_kind:     hidden_block_count_x
      - .offset:         60
        .size:           4
        .value_kind:     hidden_block_count_y
      - .offset:         64
        .size:           4
        .value_kind:     hidden_block_count_z
      - .offset:         68
        .size:           2
        .value_kind:     hidden_group_size_x
      - .offset:         70
        .size:           2
        .value_kind:     hidden_group_size_y
      - .offset:         72
        .size:           2
        .value_kind:     hidden_group_size_z
      - .offset:         74
        .size:           2
        .value_kind:     hidden_remainder_x
      - .offset:         76
        .size:           2
        .value_kind:     hidden_remainder_y
      - .offset:         78
        .size:           2
        .value_kind:     hidden_remainder_z
      - .offset:         96
        .size:           8
        .value_kind:     hidden_global_offset_x
      - .offset:         104
        .size:           8
        .value_kind:     hidden_global_offset_y
      - .offset:         112
        .size:           8
        .value_kind:     hidden_global_offset_z
      - .offset:         120
        .size:           2
        .value_kind:     hidden_grid_dims
      - .offset:         176
        .size:           4
        .value_kind:     hidden_dynamic_lds_size
    .group_segment_fixed_size: 0
    .kernarg_segment_align: 8
    .kernarg_segment_size: 312
    .language:       OpenCL C
    .language_version:
      - 2
      - 0
    .max_flat_workgroup_size: 512
    .name:           _ZN9rocsolver6v33100L23getf2_npvt_small_kernelILi64EdiiPKPdEEvT1_T3_lS5_lPT2_S5_S5_
    .private_segment_fixed_size: 580
    .sgpr_count:     18
    .sgpr_spill_count: 0
    .symbol:         _ZN9rocsolver6v33100L23getf2_npvt_small_kernelILi64EdiiPKPdEEvT1_T3_lS5_lPT2_S5_S5_.kd
    .uniform_work_group_size: 1
    .uses_dynamic_stack: false
    .vgpr_count:     256
    .vgpr_spill_count: 144
    .wavefront_size: 32
    .workgroup_processor_mode: 1
amdhsa.target:   amdgcn-amd-amdhsa--gfx1030
amdhsa.version:
  - 1
  - 2
...

	.end_amdgpu_metadata
